;; amdgpu-corpus repo=ROCm/rocThrust kind=compiled arch=gfx1100 opt=O3
	.text
	.amdgcn_target "amdgcn-amd-amdhsa--gfx1100"
	.amdhsa_code_object_version 6
	.protected	_Z17UniqueByKeyKerneliPiS_S_ ; -- Begin function _Z17UniqueByKeyKerneliPiS_S_
	.globl	_Z17UniqueByKeyKerneliPiS_S_
	.p2align	8
	.type	_Z17UniqueByKeyKerneliPiS_S_,@function
_Z17UniqueByKeyKerneliPiS_S_:           ; @_Z17UniqueByKeyKerneliPiS_S_
; %bb.0:
	s_mov_b32 s2, exec_lo
	v_cmpx_eq_u32_e32 0, v0
	s_cbranch_execz .LBB0_13
; %bb.1:
	s_clause 0x2
	s_load_b32 s8, s[0:1], 0x0
	s_load_b128 s[4:7], s[0:1], 0x8
	s_load_b64 s[0:1], s[0:1], 0x18
	s_waitcnt lgkmcnt(0)
	s_ashr_i32 s9, s8, 31
	s_delay_alu instid0(SALU_CYCLE_1) | instskip(NEXT) | instid1(SALU_CYCLE_1)
	s_lshl_b64 s[2:3], s[8:9], 2
	s_cmp_eq_u64 s[2:3], 0
	s_cbranch_scc1 .LBB0_8
; %bb.2:
	s_load_b32 s15, s[4:5], 0x0
	s_load_b32 s9, s[6:7], 0x0
	s_cmp_eq_u32 s8, 1
	s_cbranch_scc1 .LBB0_9
; %bb.3:
	s_add_u32 s10, s6, 4
	s_addc_u32 s11, s7, 0
	s_add_u32 s12, s4, 4
	s_waitcnt lgkmcnt(0)
	v_dual_mov_b32 v0, s15 :: v_dual_mov_b32 v3, s9
	v_mov_b32_e32 v2, 0
	s_addc_u32 s13, s5, 0
	s_add_u32 s14, s2, -4
	s_addc_u32 s15, s3, -1
	s_mov_b64 s[8:9], s[6:7]
	s_mov_b64 s[2:3], s[4:5]
	global_load_b32 v1, v2, s[10:11]
	s_waitcnt vmcnt(0)
	v_cmp_eq_u32_e32 vcc_lo, v3, v1
	s_cbranch_vccnz .LBB0_5
	.p2align	6
.LBB0_4:
	global_load_b32 v4, v2, s[12:13]
	s_add_u32 s16, s8, 4
	s_addc_u32 s17, s9, 0
	s_add_u32 s18, s2, 4
	s_clause 0x1
	global_store_b32 v2, v3, s[8:9]
	global_store_b32 v2, v0, s[2:3]
	s_addc_u32 s19, s3, 0
	s_mov_b64 s[8:9], s[16:17]
	s_mov_b64 s[2:3], s[18:19]
	s_waitcnt vmcnt(0)
	v_mov_b32_e32 v0, v4
	s_branch .LBB0_6
	.p2align	6
.LBB0_5:
	v_mov_b32_e32 v1, v3
.LBB0_6:
	s_add_u32 s10, s10, 4
	s_addc_u32 s11, s11, 0
	s_add_u32 s12, s12, 4
	s_addc_u32 s13, s13, 0
	s_add_u32 s14, s14, -4
	s_addc_u32 s15, s15, -1
	s_delay_alu instid0(SALU_CYCLE_1)
	s_cmp_lg_u64 s[14:15], 0
	s_cbranch_scc0 .LBB0_10
; %bb.7:
	v_mov_b32_e32 v3, v1
	global_load_b32 v1, v2, s[10:11]
	s_waitcnt vmcnt(0)
	v_cmp_eq_u32_e32 vcc_lo, v3, v1
	s_cbranch_vccnz .LBB0_5
	s_branch .LBB0_4
.LBB0_8:
	s_mov_b64 s[10:11], s[6:7]
	s_mov_b64 s[12:13], s[4:5]
	s_branch .LBB0_12
.LBB0_9:
	s_waitcnt lgkmcnt(0)
	v_dual_mov_b32 v0, s15 :: v_dual_mov_b32 v1, s9
	s_mov_b64 s[8:9], s[6:7]
	s_mov_b64 s[2:3], s[4:5]
	;; [unrolled: 1-line block ×4, first 2 shown]
	s_branch .LBB0_11
.LBB0_10:
	s_mov_b64 s[10:11], s[8:9]
	s_mov_b64 s[12:13], s[2:3]
.LBB0_11:
	v_mov_b32_e32 v2, 0
	s_add_u32 s10, s10, 4
	s_addc_u32 s11, s11, 0
	s_add_u32 s12, s12, 4
	s_addc_u32 s13, s13, 0
	s_clause 0x1
	global_store_b32 v2, v1, s[8:9]
	global_store_b32 v2, v0, s[2:3]
.LBB0_12:
	s_sub_u32 s2, s12, s4
	s_subb_u32 s3, s13, s5
	s_sub_u32 s4, s10, s6
	s_subb_u32 s5, s11, s7
	v_mov_b32_e32 v2, 0
	v_alignbit_b32 v0, s3, s2, 2
	v_alignbit_b32 v1, s5, s4, 2
	global_store_b64 v2, v[0:1], s[0:1]
.LBB0_13:
	s_nop 0
	s_sendmsg sendmsg(MSG_DEALLOC_VGPRS)
	s_endpgm
	.section	.rodata,"a",@progbits
	.p2align	6, 0x0
	.amdhsa_kernel _Z17UniqueByKeyKerneliPiS_S_
		.amdhsa_group_segment_fixed_size 0
		.amdhsa_private_segment_fixed_size 0
		.amdhsa_kernarg_size 32
		.amdhsa_user_sgpr_count 15
		.amdhsa_user_sgpr_dispatch_ptr 0
		.amdhsa_user_sgpr_queue_ptr 0
		.amdhsa_user_sgpr_kernarg_segment_ptr 1
		.amdhsa_user_sgpr_dispatch_id 0
		.amdhsa_user_sgpr_private_segment_size 0
		.amdhsa_wavefront_size32 1
		.amdhsa_uses_dynamic_stack 0
		.amdhsa_enable_private_segment 0
		.amdhsa_system_sgpr_workgroup_id_x 1
		.amdhsa_system_sgpr_workgroup_id_y 0
		.amdhsa_system_sgpr_workgroup_id_z 0
		.amdhsa_system_sgpr_workgroup_info 0
		.amdhsa_system_vgpr_workitem_id 0
		.amdhsa_next_free_vgpr 5
		.amdhsa_next_free_sgpr 20
		.amdhsa_reserve_vcc 1
		.amdhsa_float_round_mode_32 0
		.amdhsa_float_round_mode_16_64 0
		.amdhsa_float_denorm_mode_32 3
		.amdhsa_float_denorm_mode_16_64 3
		.amdhsa_dx10_clamp 1
		.amdhsa_ieee_mode 1
		.amdhsa_fp16_overflow 0
		.amdhsa_workgroup_processor_mode 1
		.amdhsa_memory_ordered 1
		.amdhsa_forward_progress 0
		.amdhsa_shared_vgpr_count 0
		.amdhsa_exception_fp_ieee_invalid_op 0
		.amdhsa_exception_fp_denorm_src 0
		.amdhsa_exception_fp_ieee_div_zero 0
		.amdhsa_exception_fp_ieee_overflow 0
		.amdhsa_exception_fp_ieee_underflow 0
		.amdhsa_exception_fp_ieee_inexact 0
		.amdhsa_exception_int_div_zero 0
	.end_amdhsa_kernel
	.text
.Lfunc_end0:
	.size	_Z17UniqueByKeyKerneliPiS_S_, .Lfunc_end0-_Z17UniqueByKeyKerneliPiS_S_
                                        ; -- End function
	.section	.AMDGPU.csdata,"",@progbits
; Kernel info:
; codeLenInByte = 436
; NumSgprs: 22
; NumVgprs: 5
; ScratchSize: 0
; MemoryBound: 0
; FloatMode: 240
; IeeeMode: 1
; LDSByteSize: 0 bytes/workgroup (compile time only)
; SGPRBlocks: 2
; VGPRBlocks: 0
; NumSGPRsForWavesPerEU: 22
; NumVGPRsForWavesPerEU: 5
; Occupancy: 16
; WaveLimiterHint : 0
; COMPUTE_PGM_RSRC2:SCRATCH_EN: 0
; COMPUTE_PGM_RSRC2:USER_SGPR: 15
; COMPUTE_PGM_RSRC2:TRAP_HANDLER: 0
; COMPUTE_PGM_RSRC2:TGID_X_EN: 1
; COMPUTE_PGM_RSRC2:TGID_Y_EN: 0
; COMPUTE_PGM_RSRC2:TGID_Z_EN: 0
; COMPUTE_PGM_RSRC2:TIDIG_COMP_CNT: 0
	.section	.text._ZN6thrust23THRUST_200600_302600_NS11hip_rocprim14__parallel_for6kernelILj256ENS1_20__uninitialized_fill7functorINS0_10device_ptrIiEEiEEmLj1EEEvT0_T1_SA_,"axG",@progbits,_ZN6thrust23THRUST_200600_302600_NS11hip_rocprim14__parallel_for6kernelILj256ENS1_20__uninitialized_fill7functorINS0_10device_ptrIiEEiEEmLj1EEEvT0_T1_SA_,comdat
	.protected	_ZN6thrust23THRUST_200600_302600_NS11hip_rocprim14__parallel_for6kernelILj256ENS1_20__uninitialized_fill7functorINS0_10device_ptrIiEEiEEmLj1EEEvT0_T1_SA_ ; -- Begin function _ZN6thrust23THRUST_200600_302600_NS11hip_rocprim14__parallel_for6kernelILj256ENS1_20__uninitialized_fill7functorINS0_10device_ptrIiEEiEEmLj1EEEvT0_T1_SA_
	.globl	_ZN6thrust23THRUST_200600_302600_NS11hip_rocprim14__parallel_for6kernelILj256ENS1_20__uninitialized_fill7functorINS0_10device_ptrIiEEiEEmLj1EEEvT0_T1_SA_
	.p2align	8
	.type	_ZN6thrust23THRUST_200600_302600_NS11hip_rocprim14__parallel_for6kernelILj256ENS1_20__uninitialized_fill7functorINS0_10device_ptrIiEEiEEmLj1EEEvT0_T1_SA_,@function
_ZN6thrust23THRUST_200600_302600_NS11hip_rocprim14__parallel_for6kernelILj256ENS1_20__uninitialized_fill7functorINS0_10device_ptrIiEEiEEmLj1EEEvT0_T1_SA_: ; @_ZN6thrust23THRUST_200600_302600_NS11hip_rocprim14__parallel_for6kernelILj256ENS1_20__uninitialized_fill7functorINS0_10device_ptrIiEEiEEmLj1EEEvT0_T1_SA_
; %bb.0:
	s_load_b128 s[4:7], s[0:1], 0x10
	s_lshl_b32 s2, s15, 8
	s_waitcnt lgkmcnt(0)
	s_add_u32 s2, s2, s6
	s_addc_u32 s3, 0, s7
	s_sub_u32 s4, s4, s2
	s_subb_u32 s5, s5, s3
	s_delay_alu instid0(SALU_CYCLE_1) | instskip(NEXT) | instid1(VALU_DEP_1)
	v_cmp_gt_u64_e64 s5, 0x100, s[4:5]
	s_and_b32 vcc_lo, exec_lo, s5
	s_mov_b32 s5, 0
	s_cbranch_vccz .LBB1_2
; %bb.1:
	v_cmp_gt_u32_e32 vcc_lo, s4, v0
	s_and_b32 s5, vcc_lo, exec_lo
	s_cbranch_execz .LBB1_3
	s_branch .LBB1_4
.LBB1_2:
.LBB1_3:
	s_or_b32 s5, s5, exec_lo
.LBB1_4:
	s_delay_alu instid0(SALU_CYCLE_1)
	s_and_saveexec_b32 s4, s5
	s_cbranch_execnz .LBB1_6
; %bb.5:
	s_endpgm
.LBB1_6:
	s_clause 0x1
	s_load_b64 s[4:5], s[0:1], 0x0
	s_load_b32 s6, s[0:1], 0x8
	v_mov_b32_e32 v1, 0
	s_lshl_b64 s[0:1], s[2:3], 2
	s_waitcnt lgkmcnt(0)
	s_add_u32 s0, s4, s0
	v_mov_b32_e32 v2, s6
	v_lshlrev_b64 v[0:1], 2, v[0:1]
	s_addc_u32 s1, s5, s1
	s_delay_alu instid0(VALU_DEP_1) | instskip(NEXT) | instid1(VALU_DEP_2)
	v_add_co_u32 v0, vcc_lo, s0, v0
	v_add_co_ci_u32_e32 v1, vcc_lo, s1, v1, vcc_lo
	flat_store_b32 v[0:1], v2
	s_endpgm
	.section	.rodata,"a",@progbits
	.p2align	6, 0x0
	.amdhsa_kernel _ZN6thrust23THRUST_200600_302600_NS11hip_rocprim14__parallel_for6kernelILj256ENS1_20__uninitialized_fill7functorINS0_10device_ptrIiEEiEEmLj1EEEvT0_T1_SA_
		.amdhsa_group_segment_fixed_size 0
		.amdhsa_private_segment_fixed_size 0
		.amdhsa_kernarg_size 32
		.amdhsa_user_sgpr_count 15
		.amdhsa_user_sgpr_dispatch_ptr 0
		.amdhsa_user_sgpr_queue_ptr 0
		.amdhsa_user_sgpr_kernarg_segment_ptr 1
		.amdhsa_user_sgpr_dispatch_id 0
		.amdhsa_user_sgpr_private_segment_size 0
		.amdhsa_wavefront_size32 1
		.amdhsa_uses_dynamic_stack 0
		.amdhsa_enable_private_segment 0
		.amdhsa_system_sgpr_workgroup_id_x 1
		.amdhsa_system_sgpr_workgroup_id_y 0
		.amdhsa_system_sgpr_workgroup_id_z 0
		.amdhsa_system_sgpr_workgroup_info 0
		.amdhsa_system_vgpr_workitem_id 0
		.amdhsa_next_free_vgpr 3
		.amdhsa_next_free_sgpr 16
		.amdhsa_reserve_vcc 1
		.amdhsa_float_round_mode_32 0
		.amdhsa_float_round_mode_16_64 0
		.amdhsa_float_denorm_mode_32 3
		.amdhsa_float_denorm_mode_16_64 3
		.amdhsa_dx10_clamp 1
		.amdhsa_ieee_mode 1
		.amdhsa_fp16_overflow 0
		.amdhsa_workgroup_processor_mode 1
		.amdhsa_memory_ordered 1
		.amdhsa_forward_progress 0
		.amdhsa_shared_vgpr_count 0
		.amdhsa_exception_fp_ieee_invalid_op 0
		.amdhsa_exception_fp_denorm_src 0
		.amdhsa_exception_fp_ieee_div_zero 0
		.amdhsa_exception_fp_ieee_overflow 0
		.amdhsa_exception_fp_ieee_underflow 0
		.amdhsa_exception_fp_ieee_inexact 0
		.amdhsa_exception_int_div_zero 0
	.end_amdhsa_kernel
	.section	.text._ZN6thrust23THRUST_200600_302600_NS11hip_rocprim14__parallel_for6kernelILj256ENS1_20__uninitialized_fill7functorINS0_10device_ptrIiEEiEEmLj1EEEvT0_T1_SA_,"axG",@progbits,_ZN6thrust23THRUST_200600_302600_NS11hip_rocprim14__parallel_for6kernelILj256ENS1_20__uninitialized_fill7functorINS0_10device_ptrIiEEiEEmLj1EEEvT0_T1_SA_,comdat
.Lfunc_end1:
	.size	_ZN6thrust23THRUST_200600_302600_NS11hip_rocprim14__parallel_for6kernelILj256ENS1_20__uninitialized_fill7functorINS0_10device_ptrIiEEiEEmLj1EEEvT0_T1_SA_, .Lfunc_end1-_ZN6thrust23THRUST_200600_302600_NS11hip_rocprim14__parallel_for6kernelILj256ENS1_20__uninitialized_fill7functorINS0_10device_ptrIiEEiEEmLj1EEEvT0_T1_SA_
                                        ; -- End function
	.section	.AMDGPU.csdata,"",@progbits
; Kernel info:
; codeLenInByte = 176
; NumSgprs: 18
; NumVgprs: 3
; ScratchSize: 0
; MemoryBound: 0
; FloatMode: 240
; IeeeMode: 1
; LDSByteSize: 0 bytes/workgroup (compile time only)
; SGPRBlocks: 2
; VGPRBlocks: 0
; NumSGPRsForWavesPerEU: 18
; NumVGPRsForWavesPerEU: 3
; Occupancy: 16
; WaveLimiterHint : 0
; COMPUTE_PGM_RSRC2:SCRATCH_EN: 0
; COMPUTE_PGM_RSRC2:USER_SGPR: 15
; COMPUTE_PGM_RSRC2:TRAP_HANDLER: 0
; COMPUTE_PGM_RSRC2:TGID_X_EN: 1
; COMPUTE_PGM_RSRC2:TGID_Y_EN: 0
; COMPUTE_PGM_RSRC2:TGID_Z_EN: 0
; COMPUTE_PGM_RSRC2:TIDIG_COMP_CNT: 0
	.section	.text._ZN6thrust23THRUST_200600_302600_NS11hip_rocprim14__parallel_for6kernelILj256ENS1_20__uninitialized_fill7functorINS0_10device_ptrIdEEdEEmLj1EEEvT0_T1_SA_,"axG",@progbits,_ZN6thrust23THRUST_200600_302600_NS11hip_rocprim14__parallel_for6kernelILj256ENS1_20__uninitialized_fill7functorINS0_10device_ptrIdEEdEEmLj1EEEvT0_T1_SA_,comdat
	.protected	_ZN6thrust23THRUST_200600_302600_NS11hip_rocprim14__parallel_for6kernelILj256ENS1_20__uninitialized_fill7functorINS0_10device_ptrIdEEdEEmLj1EEEvT0_T1_SA_ ; -- Begin function _ZN6thrust23THRUST_200600_302600_NS11hip_rocprim14__parallel_for6kernelILj256ENS1_20__uninitialized_fill7functorINS0_10device_ptrIdEEdEEmLj1EEEvT0_T1_SA_
	.globl	_ZN6thrust23THRUST_200600_302600_NS11hip_rocprim14__parallel_for6kernelILj256ENS1_20__uninitialized_fill7functorINS0_10device_ptrIdEEdEEmLj1EEEvT0_T1_SA_
	.p2align	8
	.type	_ZN6thrust23THRUST_200600_302600_NS11hip_rocprim14__parallel_for6kernelILj256ENS1_20__uninitialized_fill7functorINS0_10device_ptrIdEEdEEmLj1EEEvT0_T1_SA_,@function
_ZN6thrust23THRUST_200600_302600_NS11hip_rocprim14__parallel_for6kernelILj256ENS1_20__uninitialized_fill7functorINS0_10device_ptrIdEEdEEmLj1EEEvT0_T1_SA_: ; @_ZN6thrust23THRUST_200600_302600_NS11hip_rocprim14__parallel_for6kernelILj256ENS1_20__uninitialized_fill7functorINS0_10device_ptrIdEEdEEmLj1EEEvT0_T1_SA_
; %bb.0:
	s_load_b256 s[0:7], s[0:1], 0x0
	s_lshl_b32 s8, s15, 8
	s_waitcnt lgkmcnt(0)
	s_add_u32 s6, s8, s6
	s_addc_u32 s7, 0, s7
	s_sub_u32 s4, s4, s6
	s_subb_u32 s5, s5, s7
	s_delay_alu instid0(SALU_CYCLE_1) | instskip(NEXT) | instid1(VALU_DEP_1)
	v_cmp_gt_u64_e64 s5, 0x100, s[4:5]
	s_and_b32 vcc_lo, exec_lo, s5
	s_mov_b32 s5, 0
	s_cbranch_vccz .LBB2_2
; %bb.1:
	v_cmp_gt_u32_e32 vcc_lo, s4, v0
	s_and_b32 s5, vcc_lo, exec_lo
	s_cbranch_execz .LBB2_3
	s_branch .LBB2_4
.LBB2_2:
.LBB2_3:
	s_or_b32 s5, s5, exec_lo
.LBB2_4:
	s_delay_alu instid0(SALU_CYCLE_1)
	s_and_saveexec_b32 s4, s5
	s_cbranch_execnz .LBB2_6
; %bb.5:
	s_endpgm
.LBB2_6:
	v_dual_mov_b32 v1, 0 :: v_dual_mov_b32 v2, s2
	s_lshl_b64 s[4:5], s[6:7], 3
	v_mov_b32_e32 v3, s3
	s_add_u32 s0, s0, s4
	s_delay_alu instid0(VALU_DEP_2) | instskip(SKIP_1) | instid1(VALU_DEP_1)
	v_lshlrev_b64 v[0:1], 3, v[0:1]
	s_addc_u32 s1, s1, s5
	v_add_co_u32 v0, vcc_lo, s0, v0
	s_delay_alu instid0(VALU_DEP_2)
	v_add_co_ci_u32_e32 v1, vcc_lo, s1, v1, vcc_lo
	flat_store_b64 v[0:1], v[2:3]
	s_endpgm
	.section	.rodata,"a",@progbits
	.p2align	6, 0x0
	.amdhsa_kernel _ZN6thrust23THRUST_200600_302600_NS11hip_rocprim14__parallel_for6kernelILj256ENS1_20__uninitialized_fill7functorINS0_10device_ptrIdEEdEEmLj1EEEvT0_T1_SA_
		.amdhsa_group_segment_fixed_size 0
		.amdhsa_private_segment_fixed_size 0
		.amdhsa_kernarg_size 32
		.amdhsa_user_sgpr_count 15
		.amdhsa_user_sgpr_dispatch_ptr 0
		.amdhsa_user_sgpr_queue_ptr 0
		.amdhsa_user_sgpr_kernarg_segment_ptr 1
		.amdhsa_user_sgpr_dispatch_id 0
		.amdhsa_user_sgpr_private_segment_size 0
		.amdhsa_wavefront_size32 1
		.amdhsa_uses_dynamic_stack 0
		.amdhsa_enable_private_segment 0
		.amdhsa_system_sgpr_workgroup_id_x 1
		.amdhsa_system_sgpr_workgroup_id_y 0
		.amdhsa_system_sgpr_workgroup_id_z 0
		.amdhsa_system_sgpr_workgroup_info 0
		.amdhsa_system_vgpr_workitem_id 0
		.amdhsa_next_free_vgpr 4
		.amdhsa_next_free_sgpr 16
		.amdhsa_reserve_vcc 1
		.amdhsa_float_round_mode_32 0
		.amdhsa_float_round_mode_16_64 0
		.amdhsa_float_denorm_mode_32 3
		.amdhsa_float_denorm_mode_16_64 3
		.amdhsa_dx10_clamp 1
		.amdhsa_ieee_mode 1
		.amdhsa_fp16_overflow 0
		.amdhsa_workgroup_processor_mode 1
		.amdhsa_memory_ordered 1
		.amdhsa_forward_progress 0
		.amdhsa_shared_vgpr_count 0
		.amdhsa_exception_fp_ieee_invalid_op 0
		.amdhsa_exception_fp_denorm_src 0
		.amdhsa_exception_fp_ieee_div_zero 0
		.amdhsa_exception_fp_ieee_overflow 0
		.amdhsa_exception_fp_ieee_underflow 0
		.amdhsa_exception_fp_ieee_inexact 0
		.amdhsa_exception_int_div_zero 0
	.end_amdhsa_kernel
	.section	.text._ZN6thrust23THRUST_200600_302600_NS11hip_rocprim14__parallel_for6kernelILj256ENS1_20__uninitialized_fill7functorINS0_10device_ptrIdEEdEEmLj1EEEvT0_T1_SA_,"axG",@progbits,_ZN6thrust23THRUST_200600_302600_NS11hip_rocprim14__parallel_for6kernelILj256ENS1_20__uninitialized_fill7functorINS0_10device_ptrIdEEdEEmLj1EEEvT0_T1_SA_,comdat
.Lfunc_end2:
	.size	_ZN6thrust23THRUST_200600_302600_NS11hip_rocprim14__parallel_for6kernelILj256ENS1_20__uninitialized_fill7functorINS0_10device_ptrIdEEdEEmLj1EEEvT0_T1_SA_, .Lfunc_end2-_ZN6thrust23THRUST_200600_302600_NS11hip_rocprim14__parallel_for6kernelILj256ENS1_20__uninitialized_fill7functorINS0_10device_ptrIdEEdEEmLj1EEEvT0_T1_SA_
                                        ; -- End function
	.section	.AMDGPU.csdata,"",@progbits
; Kernel info:
; codeLenInByte = 160
; NumSgprs: 18
; NumVgprs: 4
; ScratchSize: 0
; MemoryBound: 0
; FloatMode: 240
; IeeeMode: 1
; LDSByteSize: 0 bytes/workgroup (compile time only)
; SGPRBlocks: 2
; VGPRBlocks: 0
; NumSGPRsForWavesPerEU: 18
; NumVGPRsForWavesPerEU: 4
; Occupancy: 16
; WaveLimiterHint : 0
; COMPUTE_PGM_RSRC2:SCRATCH_EN: 0
; COMPUTE_PGM_RSRC2:USER_SGPR: 15
; COMPUTE_PGM_RSRC2:TRAP_HANDLER: 0
; COMPUTE_PGM_RSRC2:TGID_X_EN: 1
; COMPUTE_PGM_RSRC2:TGID_Y_EN: 0
; COMPUTE_PGM_RSRC2:TGID_Z_EN: 0
; COMPUTE_PGM_RSRC2:TIDIG_COMP_CNT: 0
	.section	.text._ZN7rocprim17ROCPRIM_400000_NS6detail31init_lookback_scan_state_kernelINS1_19lookback_scan_stateIjLb0ELb1EEENS1_16block_id_wrapperIjLb0EEEEEvT_jT0_jPNS7_10value_typeE,"axG",@progbits,_ZN7rocprim17ROCPRIM_400000_NS6detail31init_lookback_scan_state_kernelINS1_19lookback_scan_stateIjLb0ELb1EEENS1_16block_id_wrapperIjLb0EEEEEvT_jT0_jPNS7_10value_typeE,comdat
	.protected	_ZN7rocprim17ROCPRIM_400000_NS6detail31init_lookback_scan_state_kernelINS1_19lookback_scan_stateIjLb0ELb1EEENS1_16block_id_wrapperIjLb0EEEEEvT_jT0_jPNS7_10value_typeE ; -- Begin function _ZN7rocprim17ROCPRIM_400000_NS6detail31init_lookback_scan_state_kernelINS1_19lookback_scan_stateIjLb0ELb1EEENS1_16block_id_wrapperIjLb0EEEEEvT_jT0_jPNS7_10value_typeE
	.globl	_ZN7rocprim17ROCPRIM_400000_NS6detail31init_lookback_scan_state_kernelINS1_19lookback_scan_stateIjLb0ELb1EEENS1_16block_id_wrapperIjLb0EEEEEvT_jT0_jPNS7_10value_typeE
	.p2align	8
	.type	_ZN7rocprim17ROCPRIM_400000_NS6detail31init_lookback_scan_state_kernelINS1_19lookback_scan_stateIjLb0ELb1EEENS1_16block_id_wrapperIjLb0EEEEEvT_jT0_jPNS7_10value_typeE,@function
_ZN7rocprim17ROCPRIM_400000_NS6detail31init_lookback_scan_state_kernelINS1_19lookback_scan_stateIjLb0ELb1EEENS1_16block_id_wrapperIjLb0EEEEEvT_jT0_jPNS7_10value_typeE: ; @_ZN7rocprim17ROCPRIM_400000_NS6detail31init_lookback_scan_state_kernelINS1_19lookback_scan_stateIjLb0ELb1EEENS1_16block_id_wrapperIjLb0EEEEEvT_jT0_jPNS7_10value_typeE
; %bb.0:
	s_clause 0x3
	s_load_b32 s7, s[0:1], 0x2c
	s_load_b64 s[4:5], s[0:1], 0x18
	s_load_b64 s[2:3], s[0:1], 0x0
	s_load_b32 s6, s[0:1], 0x8
	s_waitcnt lgkmcnt(0)
	s_and_b32 s7, s7, 0xffff
	s_cmp_eq_u64 s[4:5], 0
	v_mad_u64_u32 v[1:2], null, s15, s7, v[0:1]
	s_cbranch_scc1 .LBB3_6
; %bb.1:
	s_load_b32 s0, s[0:1], 0x10
	s_waitcnt lgkmcnt(0)
	s_cmp_lt_u32 s0, s6
	s_cselect_b32 s1, s0, 0
	s_delay_alu instid0(VALU_DEP_1) | instid1(SALU_CYCLE_1)
	v_cmp_eq_u32_e32 vcc_lo, s1, v1
	s_mov_b32 s1, 0
	s_and_saveexec_b32 s7, vcc_lo
	s_cbranch_execz .LBB3_5
; %bb.2:
	s_add_i32 s0, s0, 32
	v_mov_b32_e32 v4, 0
	s_lshl_b64 s[0:1], s[0:1], 3
	s_delay_alu instid0(SALU_CYCLE_1) | instskip(SKIP_4) | instid1(VALU_DEP_1)
	s_add_u32 s0, s2, s0
	s_addc_u32 s1, s3, s1
	global_load_b64 v[2:3], v4, s[0:1] glc
	s_waitcnt vmcnt(0)
	v_and_b32_e32 v5, 0xff, v3
	v_cmp_ne_u64_e32 vcc_lo, 0, v[4:5]
	s_cbranch_vccnz .LBB3_4
.LBB3_3:                                ; =>This Inner Loop Header: Depth=1
	global_load_b64 v[2:3], v4, s[0:1] glc
	s_waitcnt vmcnt(0)
	v_and_b32_e32 v5, 0xff, v3
	s_delay_alu instid0(VALU_DEP_1)
	v_cmp_eq_u64_e32 vcc_lo, 0, v[4:5]
	s_cbranch_vccnz .LBB3_3
.LBB3_4:
	v_mov_b32_e32 v0, 0
	global_store_b32 v0, v2, s[4:5]
.LBB3_5:
	s_or_b32 exec_lo, exec_lo, s7
.LBB3_6:
	s_delay_alu instid0(SALU_CYCLE_1) | instskip(NEXT) | instid1(VALU_DEP_1)
	s_mov_b32 s0, exec_lo
	v_cmpx_gt_u32_e64 s6, v1
	s_cbranch_execz .LBB3_8
; %bb.7:
	v_dual_mov_b32 v3, 0 :: v_dual_add_nc_u32 v2, 32, v1
	s_delay_alu instid0(VALU_DEP_1) | instskip(SKIP_1) | instid1(VALU_DEP_2)
	v_lshlrev_b64 v[4:5], 3, v[2:3]
	v_mov_b32_e32 v2, v3
	v_add_co_u32 v4, vcc_lo, s2, v4
	s_delay_alu instid0(VALU_DEP_3)
	v_add_co_ci_u32_e32 v5, vcc_lo, s3, v5, vcc_lo
	global_store_b64 v[4:5], v[2:3], off
.LBB3_8:
	s_or_b32 exec_lo, exec_lo, s0
	s_delay_alu instid0(SALU_CYCLE_1)
	s_mov_b32 s0, exec_lo
	v_cmpx_gt_u32_e32 32, v1
	s_cbranch_execz .LBB3_10
; %bb.9:
	v_dual_mov_b32 v2, 0 :: v_dual_mov_b32 v3, 0xff
	s_delay_alu instid0(VALU_DEP_1) | instskip(NEXT) | instid1(VALU_DEP_1)
	v_lshlrev_b64 v[0:1], 3, v[1:2]
	v_add_co_u32 v0, vcc_lo, s2, v0
	s_delay_alu instid0(VALU_DEP_2)
	v_add_co_ci_u32_e32 v1, vcc_lo, s3, v1, vcc_lo
	global_store_b64 v[0:1], v[2:3], off
.LBB3_10:
	s_nop 0
	s_sendmsg sendmsg(MSG_DEALLOC_VGPRS)
	s_endpgm
	.section	.rodata,"a",@progbits
	.p2align	6, 0x0
	.amdhsa_kernel _ZN7rocprim17ROCPRIM_400000_NS6detail31init_lookback_scan_state_kernelINS1_19lookback_scan_stateIjLb0ELb1EEENS1_16block_id_wrapperIjLb0EEEEEvT_jT0_jPNS7_10value_typeE
		.amdhsa_group_segment_fixed_size 0
		.amdhsa_private_segment_fixed_size 0
		.amdhsa_kernarg_size 288
		.amdhsa_user_sgpr_count 15
		.amdhsa_user_sgpr_dispatch_ptr 0
		.amdhsa_user_sgpr_queue_ptr 0
		.amdhsa_user_sgpr_kernarg_segment_ptr 1
		.amdhsa_user_sgpr_dispatch_id 0
		.amdhsa_user_sgpr_private_segment_size 0
		.amdhsa_wavefront_size32 1
		.amdhsa_uses_dynamic_stack 0
		.amdhsa_enable_private_segment 0
		.amdhsa_system_sgpr_workgroup_id_x 1
		.amdhsa_system_sgpr_workgroup_id_y 0
		.amdhsa_system_sgpr_workgroup_id_z 0
		.amdhsa_system_sgpr_workgroup_info 0
		.amdhsa_system_vgpr_workitem_id 0
		.amdhsa_next_free_vgpr 6
		.amdhsa_next_free_sgpr 16
		.amdhsa_reserve_vcc 1
		.amdhsa_float_round_mode_32 0
		.amdhsa_float_round_mode_16_64 0
		.amdhsa_float_denorm_mode_32 3
		.amdhsa_float_denorm_mode_16_64 3
		.amdhsa_dx10_clamp 1
		.amdhsa_ieee_mode 1
		.amdhsa_fp16_overflow 0
		.amdhsa_workgroup_processor_mode 1
		.amdhsa_memory_ordered 1
		.amdhsa_forward_progress 0
		.amdhsa_shared_vgpr_count 0
		.amdhsa_exception_fp_ieee_invalid_op 0
		.amdhsa_exception_fp_denorm_src 0
		.amdhsa_exception_fp_ieee_div_zero 0
		.amdhsa_exception_fp_ieee_overflow 0
		.amdhsa_exception_fp_ieee_underflow 0
		.amdhsa_exception_fp_ieee_inexact 0
		.amdhsa_exception_int_div_zero 0
	.end_amdhsa_kernel
	.section	.text._ZN7rocprim17ROCPRIM_400000_NS6detail31init_lookback_scan_state_kernelINS1_19lookback_scan_stateIjLb0ELb1EEENS1_16block_id_wrapperIjLb0EEEEEvT_jT0_jPNS7_10value_typeE,"axG",@progbits,_ZN7rocprim17ROCPRIM_400000_NS6detail31init_lookback_scan_state_kernelINS1_19lookback_scan_stateIjLb0ELb1EEENS1_16block_id_wrapperIjLb0EEEEEvT_jT0_jPNS7_10value_typeE,comdat
.Lfunc_end3:
	.size	_ZN7rocprim17ROCPRIM_400000_NS6detail31init_lookback_scan_state_kernelINS1_19lookback_scan_stateIjLb0ELb1EEENS1_16block_id_wrapperIjLb0EEEEEvT_jT0_jPNS7_10value_typeE, .Lfunc_end3-_ZN7rocprim17ROCPRIM_400000_NS6detail31init_lookback_scan_state_kernelINS1_19lookback_scan_stateIjLb0ELb1EEENS1_16block_id_wrapperIjLb0EEEEEvT_jT0_jPNS7_10value_typeE
                                        ; -- End function
	.section	.AMDGPU.csdata,"",@progbits
; Kernel info:
; codeLenInByte = 352
; NumSgprs: 18
; NumVgprs: 6
; ScratchSize: 0
; MemoryBound: 0
; FloatMode: 240
; IeeeMode: 1
; LDSByteSize: 0 bytes/workgroup (compile time only)
; SGPRBlocks: 2
; VGPRBlocks: 0
; NumSGPRsForWavesPerEU: 18
; NumVGPRsForWavesPerEU: 6
; Occupancy: 16
; WaveLimiterHint : 0
; COMPUTE_PGM_RSRC2:SCRATCH_EN: 0
; COMPUTE_PGM_RSRC2:USER_SGPR: 15
; COMPUTE_PGM_RSRC2:TRAP_HANDLER: 0
; COMPUTE_PGM_RSRC2:TGID_X_EN: 1
; COMPUTE_PGM_RSRC2:TGID_Y_EN: 0
; COMPUTE_PGM_RSRC2:TGID_Z_EN: 0
; COMPUTE_PGM_RSRC2:TIDIG_COMP_CNT: 0
	.section	.text._ZN7rocprim17ROCPRIM_400000_NS6detail17trampoline_kernelINS0_14default_configENS1_25partition_config_selectorILNS1_17partition_subalgoE9EddbEEZZNS1_14partition_implILS5_9ELb0ES3_jN6thrust23THRUST_200600_302600_NS6detail15normal_iteratorINS9_10device_ptrIdEEEESE_PNS0_10empty_typeENS0_5tupleIJSE_SF_EEENSH_IJSE_SG_EEENS0_18inequality_wrapperINS9_8equal_toIdEEEEPmJSF_EEE10hipError_tPvRmT3_T4_T5_T6_T7_T9_mT8_P12ihipStream_tbDpT10_ENKUlT_T0_E_clISt17integral_constantIbLb0EES18_EEDaS13_S14_EUlS13_E_NS1_11comp_targetILNS1_3genE0ELNS1_11target_archE4294967295ELNS1_3gpuE0ELNS1_3repE0EEENS1_30default_config_static_selectorELNS0_4arch9wavefront6targetE0EEEvT1_,"axG",@progbits,_ZN7rocprim17ROCPRIM_400000_NS6detail17trampoline_kernelINS0_14default_configENS1_25partition_config_selectorILNS1_17partition_subalgoE9EddbEEZZNS1_14partition_implILS5_9ELb0ES3_jN6thrust23THRUST_200600_302600_NS6detail15normal_iteratorINS9_10device_ptrIdEEEESE_PNS0_10empty_typeENS0_5tupleIJSE_SF_EEENSH_IJSE_SG_EEENS0_18inequality_wrapperINS9_8equal_toIdEEEEPmJSF_EEE10hipError_tPvRmT3_T4_T5_T6_T7_T9_mT8_P12ihipStream_tbDpT10_ENKUlT_T0_E_clISt17integral_constantIbLb0EES18_EEDaS13_S14_EUlS13_E_NS1_11comp_targetILNS1_3genE0ELNS1_11target_archE4294967295ELNS1_3gpuE0ELNS1_3repE0EEENS1_30default_config_static_selectorELNS0_4arch9wavefront6targetE0EEEvT1_,comdat
	.protected	_ZN7rocprim17ROCPRIM_400000_NS6detail17trampoline_kernelINS0_14default_configENS1_25partition_config_selectorILNS1_17partition_subalgoE9EddbEEZZNS1_14partition_implILS5_9ELb0ES3_jN6thrust23THRUST_200600_302600_NS6detail15normal_iteratorINS9_10device_ptrIdEEEESE_PNS0_10empty_typeENS0_5tupleIJSE_SF_EEENSH_IJSE_SG_EEENS0_18inequality_wrapperINS9_8equal_toIdEEEEPmJSF_EEE10hipError_tPvRmT3_T4_T5_T6_T7_T9_mT8_P12ihipStream_tbDpT10_ENKUlT_T0_E_clISt17integral_constantIbLb0EES18_EEDaS13_S14_EUlS13_E_NS1_11comp_targetILNS1_3genE0ELNS1_11target_archE4294967295ELNS1_3gpuE0ELNS1_3repE0EEENS1_30default_config_static_selectorELNS0_4arch9wavefront6targetE0EEEvT1_ ; -- Begin function _ZN7rocprim17ROCPRIM_400000_NS6detail17trampoline_kernelINS0_14default_configENS1_25partition_config_selectorILNS1_17partition_subalgoE9EddbEEZZNS1_14partition_implILS5_9ELb0ES3_jN6thrust23THRUST_200600_302600_NS6detail15normal_iteratorINS9_10device_ptrIdEEEESE_PNS0_10empty_typeENS0_5tupleIJSE_SF_EEENSH_IJSE_SG_EEENS0_18inequality_wrapperINS9_8equal_toIdEEEEPmJSF_EEE10hipError_tPvRmT3_T4_T5_T6_T7_T9_mT8_P12ihipStream_tbDpT10_ENKUlT_T0_E_clISt17integral_constantIbLb0EES18_EEDaS13_S14_EUlS13_E_NS1_11comp_targetILNS1_3genE0ELNS1_11target_archE4294967295ELNS1_3gpuE0ELNS1_3repE0EEENS1_30default_config_static_selectorELNS0_4arch9wavefront6targetE0EEEvT1_
	.globl	_ZN7rocprim17ROCPRIM_400000_NS6detail17trampoline_kernelINS0_14default_configENS1_25partition_config_selectorILNS1_17partition_subalgoE9EddbEEZZNS1_14partition_implILS5_9ELb0ES3_jN6thrust23THRUST_200600_302600_NS6detail15normal_iteratorINS9_10device_ptrIdEEEESE_PNS0_10empty_typeENS0_5tupleIJSE_SF_EEENSH_IJSE_SG_EEENS0_18inequality_wrapperINS9_8equal_toIdEEEEPmJSF_EEE10hipError_tPvRmT3_T4_T5_T6_T7_T9_mT8_P12ihipStream_tbDpT10_ENKUlT_T0_E_clISt17integral_constantIbLb0EES18_EEDaS13_S14_EUlS13_E_NS1_11comp_targetILNS1_3genE0ELNS1_11target_archE4294967295ELNS1_3gpuE0ELNS1_3repE0EEENS1_30default_config_static_selectorELNS0_4arch9wavefront6targetE0EEEvT1_
	.p2align	8
	.type	_ZN7rocprim17ROCPRIM_400000_NS6detail17trampoline_kernelINS0_14default_configENS1_25partition_config_selectorILNS1_17partition_subalgoE9EddbEEZZNS1_14partition_implILS5_9ELb0ES3_jN6thrust23THRUST_200600_302600_NS6detail15normal_iteratorINS9_10device_ptrIdEEEESE_PNS0_10empty_typeENS0_5tupleIJSE_SF_EEENSH_IJSE_SG_EEENS0_18inequality_wrapperINS9_8equal_toIdEEEEPmJSF_EEE10hipError_tPvRmT3_T4_T5_T6_T7_T9_mT8_P12ihipStream_tbDpT10_ENKUlT_T0_E_clISt17integral_constantIbLb0EES18_EEDaS13_S14_EUlS13_E_NS1_11comp_targetILNS1_3genE0ELNS1_11target_archE4294967295ELNS1_3gpuE0ELNS1_3repE0EEENS1_30default_config_static_selectorELNS0_4arch9wavefront6targetE0EEEvT1_,@function
_ZN7rocprim17ROCPRIM_400000_NS6detail17trampoline_kernelINS0_14default_configENS1_25partition_config_selectorILNS1_17partition_subalgoE9EddbEEZZNS1_14partition_implILS5_9ELb0ES3_jN6thrust23THRUST_200600_302600_NS6detail15normal_iteratorINS9_10device_ptrIdEEEESE_PNS0_10empty_typeENS0_5tupleIJSE_SF_EEENSH_IJSE_SG_EEENS0_18inequality_wrapperINS9_8equal_toIdEEEEPmJSF_EEE10hipError_tPvRmT3_T4_T5_T6_T7_T9_mT8_P12ihipStream_tbDpT10_ENKUlT_T0_E_clISt17integral_constantIbLb0EES18_EEDaS13_S14_EUlS13_E_NS1_11comp_targetILNS1_3genE0ELNS1_11target_archE4294967295ELNS1_3gpuE0ELNS1_3repE0EEENS1_30default_config_static_selectorELNS0_4arch9wavefront6targetE0EEEvT1_: ; @_ZN7rocprim17ROCPRIM_400000_NS6detail17trampoline_kernelINS0_14default_configENS1_25partition_config_selectorILNS1_17partition_subalgoE9EddbEEZZNS1_14partition_implILS5_9ELb0ES3_jN6thrust23THRUST_200600_302600_NS6detail15normal_iteratorINS9_10device_ptrIdEEEESE_PNS0_10empty_typeENS0_5tupleIJSE_SF_EEENSH_IJSE_SG_EEENS0_18inequality_wrapperINS9_8equal_toIdEEEEPmJSF_EEE10hipError_tPvRmT3_T4_T5_T6_T7_T9_mT8_P12ihipStream_tbDpT10_ENKUlT_T0_E_clISt17integral_constantIbLb0EES18_EEDaS13_S14_EUlS13_E_NS1_11comp_targetILNS1_3genE0ELNS1_11target_archE4294967295ELNS1_3gpuE0ELNS1_3repE0EEENS1_30default_config_static_selectorELNS0_4arch9wavefront6targetE0EEEvT1_
; %bb.0:
	.section	.rodata,"a",@progbits
	.p2align	6, 0x0
	.amdhsa_kernel _ZN7rocprim17ROCPRIM_400000_NS6detail17trampoline_kernelINS0_14default_configENS1_25partition_config_selectorILNS1_17partition_subalgoE9EddbEEZZNS1_14partition_implILS5_9ELb0ES3_jN6thrust23THRUST_200600_302600_NS6detail15normal_iteratorINS9_10device_ptrIdEEEESE_PNS0_10empty_typeENS0_5tupleIJSE_SF_EEENSH_IJSE_SG_EEENS0_18inequality_wrapperINS9_8equal_toIdEEEEPmJSF_EEE10hipError_tPvRmT3_T4_T5_T6_T7_T9_mT8_P12ihipStream_tbDpT10_ENKUlT_T0_E_clISt17integral_constantIbLb0EES18_EEDaS13_S14_EUlS13_E_NS1_11comp_targetILNS1_3genE0ELNS1_11target_archE4294967295ELNS1_3gpuE0ELNS1_3repE0EEENS1_30default_config_static_selectorELNS0_4arch9wavefront6targetE0EEEvT1_
		.amdhsa_group_segment_fixed_size 0
		.amdhsa_private_segment_fixed_size 0
		.amdhsa_kernarg_size 112
		.amdhsa_user_sgpr_count 15
		.amdhsa_user_sgpr_dispatch_ptr 0
		.amdhsa_user_sgpr_queue_ptr 0
		.amdhsa_user_sgpr_kernarg_segment_ptr 1
		.amdhsa_user_sgpr_dispatch_id 0
		.amdhsa_user_sgpr_private_segment_size 0
		.amdhsa_wavefront_size32 1
		.amdhsa_uses_dynamic_stack 0
		.amdhsa_enable_private_segment 0
		.amdhsa_system_sgpr_workgroup_id_x 1
		.amdhsa_system_sgpr_workgroup_id_y 0
		.amdhsa_system_sgpr_workgroup_id_z 0
		.amdhsa_system_sgpr_workgroup_info 0
		.amdhsa_system_vgpr_workitem_id 0
		.amdhsa_next_free_vgpr 1
		.amdhsa_next_free_sgpr 1
		.amdhsa_reserve_vcc 0
		.amdhsa_float_round_mode_32 0
		.amdhsa_float_round_mode_16_64 0
		.amdhsa_float_denorm_mode_32 3
		.amdhsa_float_denorm_mode_16_64 3
		.amdhsa_dx10_clamp 1
		.amdhsa_ieee_mode 1
		.amdhsa_fp16_overflow 0
		.amdhsa_workgroup_processor_mode 1
		.amdhsa_memory_ordered 1
		.amdhsa_forward_progress 0
		.amdhsa_shared_vgpr_count 0
		.amdhsa_exception_fp_ieee_invalid_op 0
		.amdhsa_exception_fp_denorm_src 0
		.amdhsa_exception_fp_ieee_div_zero 0
		.amdhsa_exception_fp_ieee_overflow 0
		.amdhsa_exception_fp_ieee_underflow 0
		.amdhsa_exception_fp_ieee_inexact 0
		.amdhsa_exception_int_div_zero 0
	.end_amdhsa_kernel
	.section	.text._ZN7rocprim17ROCPRIM_400000_NS6detail17trampoline_kernelINS0_14default_configENS1_25partition_config_selectorILNS1_17partition_subalgoE9EddbEEZZNS1_14partition_implILS5_9ELb0ES3_jN6thrust23THRUST_200600_302600_NS6detail15normal_iteratorINS9_10device_ptrIdEEEESE_PNS0_10empty_typeENS0_5tupleIJSE_SF_EEENSH_IJSE_SG_EEENS0_18inequality_wrapperINS9_8equal_toIdEEEEPmJSF_EEE10hipError_tPvRmT3_T4_T5_T6_T7_T9_mT8_P12ihipStream_tbDpT10_ENKUlT_T0_E_clISt17integral_constantIbLb0EES18_EEDaS13_S14_EUlS13_E_NS1_11comp_targetILNS1_3genE0ELNS1_11target_archE4294967295ELNS1_3gpuE0ELNS1_3repE0EEENS1_30default_config_static_selectorELNS0_4arch9wavefront6targetE0EEEvT1_,"axG",@progbits,_ZN7rocprim17ROCPRIM_400000_NS6detail17trampoline_kernelINS0_14default_configENS1_25partition_config_selectorILNS1_17partition_subalgoE9EddbEEZZNS1_14partition_implILS5_9ELb0ES3_jN6thrust23THRUST_200600_302600_NS6detail15normal_iteratorINS9_10device_ptrIdEEEESE_PNS0_10empty_typeENS0_5tupleIJSE_SF_EEENSH_IJSE_SG_EEENS0_18inequality_wrapperINS9_8equal_toIdEEEEPmJSF_EEE10hipError_tPvRmT3_T4_T5_T6_T7_T9_mT8_P12ihipStream_tbDpT10_ENKUlT_T0_E_clISt17integral_constantIbLb0EES18_EEDaS13_S14_EUlS13_E_NS1_11comp_targetILNS1_3genE0ELNS1_11target_archE4294967295ELNS1_3gpuE0ELNS1_3repE0EEENS1_30default_config_static_selectorELNS0_4arch9wavefront6targetE0EEEvT1_,comdat
.Lfunc_end4:
	.size	_ZN7rocprim17ROCPRIM_400000_NS6detail17trampoline_kernelINS0_14default_configENS1_25partition_config_selectorILNS1_17partition_subalgoE9EddbEEZZNS1_14partition_implILS5_9ELb0ES3_jN6thrust23THRUST_200600_302600_NS6detail15normal_iteratorINS9_10device_ptrIdEEEESE_PNS0_10empty_typeENS0_5tupleIJSE_SF_EEENSH_IJSE_SG_EEENS0_18inequality_wrapperINS9_8equal_toIdEEEEPmJSF_EEE10hipError_tPvRmT3_T4_T5_T6_T7_T9_mT8_P12ihipStream_tbDpT10_ENKUlT_T0_E_clISt17integral_constantIbLb0EES18_EEDaS13_S14_EUlS13_E_NS1_11comp_targetILNS1_3genE0ELNS1_11target_archE4294967295ELNS1_3gpuE0ELNS1_3repE0EEENS1_30default_config_static_selectorELNS0_4arch9wavefront6targetE0EEEvT1_, .Lfunc_end4-_ZN7rocprim17ROCPRIM_400000_NS6detail17trampoline_kernelINS0_14default_configENS1_25partition_config_selectorILNS1_17partition_subalgoE9EddbEEZZNS1_14partition_implILS5_9ELb0ES3_jN6thrust23THRUST_200600_302600_NS6detail15normal_iteratorINS9_10device_ptrIdEEEESE_PNS0_10empty_typeENS0_5tupleIJSE_SF_EEENSH_IJSE_SG_EEENS0_18inequality_wrapperINS9_8equal_toIdEEEEPmJSF_EEE10hipError_tPvRmT3_T4_T5_T6_T7_T9_mT8_P12ihipStream_tbDpT10_ENKUlT_T0_E_clISt17integral_constantIbLb0EES18_EEDaS13_S14_EUlS13_E_NS1_11comp_targetILNS1_3genE0ELNS1_11target_archE4294967295ELNS1_3gpuE0ELNS1_3repE0EEENS1_30default_config_static_selectorELNS0_4arch9wavefront6targetE0EEEvT1_
                                        ; -- End function
	.section	.AMDGPU.csdata,"",@progbits
; Kernel info:
; codeLenInByte = 0
; NumSgprs: 0
; NumVgprs: 0
; ScratchSize: 0
; MemoryBound: 0
; FloatMode: 240
; IeeeMode: 1
; LDSByteSize: 0 bytes/workgroup (compile time only)
; SGPRBlocks: 0
; VGPRBlocks: 0
; NumSGPRsForWavesPerEU: 1
; NumVGPRsForWavesPerEU: 1
; Occupancy: 16
; WaveLimiterHint : 0
; COMPUTE_PGM_RSRC2:SCRATCH_EN: 0
; COMPUTE_PGM_RSRC2:USER_SGPR: 15
; COMPUTE_PGM_RSRC2:TRAP_HANDLER: 0
; COMPUTE_PGM_RSRC2:TGID_X_EN: 1
; COMPUTE_PGM_RSRC2:TGID_Y_EN: 0
; COMPUTE_PGM_RSRC2:TGID_Z_EN: 0
; COMPUTE_PGM_RSRC2:TIDIG_COMP_CNT: 0
	.section	.text._ZN7rocprim17ROCPRIM_400000_NS6detail17trampoline_kernelINS0_14default_configENS1_25partition_config_selectorILNS1_17partition_subalgoE9EddbEEZZNS1_14partition_implILS5_9ELb0ES3_jN6thrust23THRUST_200600_302600_NS6detail15normal_iteratorINS9_10device_ptrIdEEEESE_PNS0_10empty_typeENS0_5tupleIJSE_SF_EEENSH_IJSE_SG_EEENS0_18inequality_wrapperINS9_8equal_toIdEEEEPmJSF_EEE10hipError_tPvRmT3_T4_T5_T6_T7_T9_mT8_P12ihipStream_tbDpT10_ENKUlT_T0_E_clISt17integral_constantIbLb0EES18_EEDaS13_S14_EUlS13_E_NS1_11comp_targetILNS1_3genE5ELNS1_11target_archE942ELNS1_3gpuE9ELNS1_3repE0EEENS1_30default_config_static_selectorELNS0_4arch9wavefront6targetE0EEEvT1_,"axG",@progbits,_ZN7rocprim17ROCPRIM_400000_NS6detail17trampoline_kernelINS0_14default_configENS1_25partition_config_selectorILNS1_17partition_subalgoE9EddbEEZZNS1_14partition_implILS5_9ELb0ES3_jN6thrust23THRUST_200600_302600_NS6detail15normal_iteratorINS9_10device_ptrIdEEEESE_PNS0_10empty_typeENS0_5tupleIJSE_SF_EEENSH_IJSE_SG_EEENS0_18inequality_wrapperINS9_8equal_toIdEEEEPmJSF_EEE10hipError_tPvRmT3_T4_T5_T6_T7_T9_mT8_P12ihipStream_tbDpT10_ENKUlT_T0_E_clISt17integral_constantIbLb0EES18_EEDaS13_S14_EUlS13_E_NS1_11comp_targetILNS1_3genE5ELNS1_11target_archE942ELNS1_3gpuE9ELNS1_3repE0EEENS1_30default_config_static_selectorELNS0_4arch9wavefront6targetE0EEEvT1_,comdat
	.protected	_ZN7rocprim17ROCPRIM_400000_NS6detail17trampoline_kernelINS0_14default_configENS1_25partition_config_selectorILNS1_17partition_subalgoE9EddbEEZZNS1_14partition_implILS5_9ELb0ES3_jN6thrust23THRUST_200600_302600_NS6detail15normal_iteratorINS9_10device_ptrIdEEEESE_PNS0_10empty_typeENS0_5tupleIJSE_SF_EEENSH_IJSE_SG_EEENS0_18inequality_wrapperINS9_8equal_toIdEEEEPmJSF_EEE10hipError_tPvRmT3_T4_T5_T6_T7_T9_mT8_P12ihipStream_tbDpT10_ENKUlT_T0_E_clISt17integral_constantIbLb0EES18_EEDaS13_S14_EUlS13_E_NS1_11comp_targetILNS1_3genE5ELNS1_11target_archE942ELNS1_3gpuE9ELNS1_3repE0EEENS1_30default_config_static_selectorELNS0_4arch9wavefront6targetE0EEEvT1_ ; -- Begin function _ZN7rocprim17ROCPRIM_400000_NS6detail17trampoline_kernelINS0_14default_configENS1_25partition_config_selectorILNS1_17partition_subalgoE9EddbEEZZNS1_14partition_implILS5_9ELb0ES3_jN6thrust23THRUST_200600_302600_NS6detail15normal_iteratorINS9_10device_ptrIdEEEESE_PNS0_10empty_typeENS0_5tupleIJSE_SF_EEENSH_IJSE_SG_EEENS0_18inequality_wrapperINS9_8equal_toIdEEEEPmJSF_EEE10hipError_tPvRmT3_T4_T5_T6_T7_T9_mT8_P12ihipStream_tbDpT10_ENKUlT_T0_E_clISt17integral_constantIbLb0EES18_EEDaS13_S14_EUlS13_E_NS1_11comp_targetILNS1_3genE5ELNS1_11target_archE942ELNS1_3gpuE9ELNS1_3repE0EEENS1_30default_config_static_selectorELNS0_4arch9wavefront6targetE0EEEvT1_
	.globl	_ZN7rocprim17ROCPRIM_400000_NS6detail17trampoline_kernelINS0_14default_configENS1_25partition_config_selectorILNS1_17partition_subalgoE9EddbEEZZNS1_14partition_implILS5_9ELb0ES3_jN6thrust23THRUST_200600_302600_NS6detail15normal_iteratorINS9_10device_ptrIdEEEESE_PNS0_10empty_typeENS0_5tupleIJSE_SF_EEENSH_IJSE_SG_EEENS0_18inequality_wrapperINS9_8equal_toIdEEEEPmJSF_EEE10hipError_tPvRmT3_T4_T5_T6_T7_T9_mT8_P12ihipStream_tbDpT10_ENKUlT_T0_E_clISt17integral_constantIbLb0EES18_EEDaS13_S14_EUlS13_E_NS1_11comp_targetILNS1_3genE5ELNS1_11target_archE942ELNS1_3gpuE9ELNS1_3repE0EEENS1_30default_config_static_selectorELNS0_4arch9wavefront6targetE0EEEvT1_
	.p2align	8
	.type	_ZN7rocprim17ROCPRIM_400000_NS6detail17trampoline_kernelINS0_14default_configENS1_25partition_config_selectorILNS1_17partition_subalgoE9EddbEEZZNS1_14partition_implILS5_9ELb0ES3_jN6thrust23THRUST_200600_302600_NS6detail15normal_iteratorINS9_10device_ptrIdEEEESE_PNS0_10empty_typeENS0_5tupleIJSE_SF_EEENSH_IJSE_SG_EEENS0_18inequality_wrapperINS9_8equal_toIdEEEEPmJSF_EEE10hipError_tPvRmT3_T4_T5_T6_T7_T9_mT8_P12ihipStream_tbDpT10_ENKUlT_T0_E_clISt17integral_constantIbLb0EES18_EEDaS13_S14_EUlS13_E_NS1_11comp_targetILNS1_3genE5ELNS1_11target_archE942ELNS1_3gpuE9ELNS1_3repE0EEENS1_30default_config_static_selectorELNS0_4arch9wavefront6targetE0EEEvT1_,@function
_ZN7rocprim17ROCPRIM_400000_NS6detail17trampoline_kernelINS0_14default_configENS1_25partition_config_selectorILNS1_17partition_subalgoE9EddbEEZZNS1_14partition_implILS5_9ELb0ES3_jN6thrust23THRUST_200600_302600_NS6detail15normal_iteratorINS9_10device_ptrIdEEEESE_PNS0_10empty_typeENS0_5tupleIJSE_SF_EEENSH_IJSE_SG_EEENS0_18inequality_wrapperINS9_8equal_toIdEEEEPmJSF_EEE10hipError_tPvRmT3_T4_T5_T6_T7_T9_mT8_P12ihipStream_tbDpT10_ENKUlT_T0_E_clISt17integral_constantIbLb0EES18_EEDaS13_S14_EUlS13_E_NS1_11comp_targetILNS1_3genE5ELNS1_11target_archE942ELNS1_3gpuE9ELNS1_3repE0EEENS1_30default_config_static_selectorELNS0_4arch9wavefront6targetE0EEEvT1_: ; @_ZN7rocprim17ROCPRIM_400000_NS6detail17trampoline_kernelINS0_14default_configENS1_25partition_config_selectorILNS1_17partition_subalgoE9EddbEEZZNS1_14partition_implILS5_9ELb0ES3_jN6thrust23THRUST_200600_302600_NS6detail15normal_iteratorINS9_10device_ptrIdEEEESE_PNS0_10empty_typeENS0_5tupleIJSE_SF_EEENSH_IJSE_SG_EEENS0_18inequality_wrapperINS9_8equal_toIdEEEEPmJSF_EEE10hipError_tPvRmT3_T4_T5_T6_T7_T9_mT8_P12ihipStream_tbDpT10_ENKUlT_T0_E_clISt17integral_constantIbLb0EES18_EEDaS13_S14_EUlS13_E_NS1_11comp_targetILNS1_3genE5ELNS1_11target_archE942ELNS1_3gpuE9ELNS1_3repE0EEENS1_30default_config_static_selectorELNS0_4arch9wavefront6targetE0EEEvT1_
; %bb.0:
	.section	.rodata,"a",@progbits
	.p2align	6, 0x0
	.amdhsa_kernel _ZN7rocprim17ROCPRIM_400000_NS6detail17trampoline_kernelINS0_14default_configENS1_25partition_config_selectorILNS1_17partition_subalgoE9EddbEEZZNS1_14partition_implILS5_9ELb0ES3_jN6thrust23THRUST_200600_302600_NS6detail15normal_iteratorINS9_10device_ptrIdEEEESE_PNS0_10empty_typeENS0_5tupleIJSE_SF_EEENSH_IJSE_SG_EEENS0_18inequality_wrapperINS9_8equal_toIdEEEEPmJSF_EEE10hipError_tPvRmT3_T4_T5_T6_T7_T9_mT8_P12ihipStream_tbDpT10_ENKUlT_T0_E_clISt17integral_constantIbLb0EES18_EEDaS13_S14_EUlS13_E_NS1_11comp_targetILNS1_3genE5ELNS1_11target_archE942ELNS1_3gpuE9ELNS1_3repE0EEENS1_30default_config_static_selectorELNS0_4arch9wavefront6targetE0EEEvT1_
		.amdhsa_group_segment_fixed_size 0
		.amdhsa_private_segment_fixed_size 0
		.amdhsa_kernarg_size 112
		.amdhsa_user_sgpr_count 15
		.amdhsa_user_sgpr_dispatch_ptr 0
		.amdhsa_user_sgpr_queue_ptr 0
		.amdhsa_user_sgpr_kernarg_segment_ptr 1
		.amdhsa_user_sgpr_dispatch_id 0
		.amdhsa_user_sgpr_private_segment_size 0
		.amdhsa_wavefront_size32 1
		.amdhsa_uses_dynamic_stack 0
		.amdhsa_enable_private_segment 0
		.amdhsa_system_sgpr_workgroup_id_x 1
		.amdhsa_system_sgpr_workgroup_id_y 0
		.amdhsa_system_sgpr_workgroup_id_z 0
		.amdhsa_system_sgpr_workgroup_info 0
		.amdhsa_system_vgpr_workitem_id 0
		.amdhsa_next_free_vgpr 1
		.amdhsa_next_free_sgpr 1
		.amdhsa_reserve_vcc 0
		.amdhsa_float_round_mode_32 0
		.amdhsa_float_round_mode_16_64 0
		.amdhsa_float_denorm_mode_32 3
		.amdhsa_float_denorm_mode_16_64 3
		.amdhsa_dx10_clamp 1
		.amdhsa_ieee_mode 1
		.amdhsa_fp16_overflow 0
		.amdhsa_workgroup_processor_mode 1
		.amdhsa_memory_ordered 1
		.amdhsa_forward_progress 0
		.amdhsa_shared_vgpr_count 0
		.amdhsa_exception_fp_ieee_invalid_op 0
		.amdhsa_exception_fp_denorm_src 0
		.amdhsa_exception_fp_ieee_div_zero 0
		.amdhsa_exception_fp_ieee_overflow 0
		.amdhsa_exception_fp_ieee_underflow 0
		.amdhsa_exception_fp_ieee_inexact 0
		.amdhsa_exception_int_div_zero 0
	.end_amdhsa_kernel
	.section	.text._ZN7rocprim17ROCPRIM_400000_NS6detail17trampoline_kernelINS0_14default_configENS1_25partition_config_selectorILNS1_17partition_subalgoE9EddbEEZZNS1_14partition_implILS5_9ELb0ES3_jN6thrust23THRUST_200600_302600_NS6detail15normal_iteratorINS9_10device_ptrIdEEEESE_PNS0_10empty_typeENS0_5tupleIJSE_SF_EEENSH_IJSE_SG_EEENS0_18inequality_wrapperINS9_8equal_toIdEEEEPmJSF_EEE10hipError_tPvRmT3_T4_T5_T6_T7_T9_mT8_P12ihipStream_tbDpT10_ENKUlT_T0_E_clISt17integral_constantIbLb0EES18_EEDaS13_S14_EUlS13_E_NS1_11comp_targetILNS1_3genE5ELNS1_11target_archE942ELNS1_3gpuE9ELNS1_3repE0EEENS1_30default_config_static_selectorELNS0_4arch9wavefront6targetE0EEEvT1_,"axG",@progbits,_ZN7rocprim17ROCPRIM_400000_NS6detail17trampoline_kernelINS0_14default_configENS1_25partition_config_selectorILNS1_17partition_subalgoE9EddbEEZZNS1_14partition_implILS5_9ELb0ES3_jN6thrust23THRUST_200600_302600_NS6detail15normal_iteratorINS9_10device_ptrIdEEEESE_PNS0_10empty_typeENS0_5tupleIJSE_SF_EEENSH_IJSE_SG_EEENS0_18inequality_wrapperINS9_8equal_toIdEEEEPmJSF_EEE10hipError_tPvRmT3_T4_T5_T6_T7_T9_mT8_P12ihipStream_tbDpT10_ENKUlT_T0_E_clISt17integral_constantIbLb0EES18_EEDaS13_S14_EUlS13_E_NS1_11comp_targetILNS1_3genE5ELNS1_11target_archE942ELNS1_3gpuE9ELNS1_3repE0EEENS1_30default_config_static_selectorELNS0_4arch9wavefront6targetE0EEEvT1_,comdat
.Lfunc_end5:
	.size	_ZN7rocprim17ROCPRIM_400000_NS6detail17trampoline_kernelINS0_14default_configENS1_25partition_config_selectorILNS1_17partition_subalgoE9EddbEEZZNS1_14partition_implILS5_9ELb0ES3_jN6thrust23THRUST_200600_302600_NS6detail15normal_iteratorINS9_10device_ptrIdEEEESE_PNS0_10empty_typeENS0_5tupleIJSE_SF_EEENSH_IJSE_SG_EEENS0_18inequality_wrapperINS9_8equal_toIdEEEEPmJSF_EEE10hipError_tPvRmT3_T4_T5_T6_T7_T9_mT8_P12ihipStream_tbDpT10_ENKUlT_T0_E_clISt17integral_constantIbLb0EES18_EEDaS13_S14_EUlS13_E_NS1_11comp_targetILNS1_3genE5ELNS1_11target_archE942ELNS1_3gpuE9ELNS1_3repE0EEENS1_30default_config_static_selectorELNS0_4arch9wavefront6targetE0EEEvT1_, .Lfunc_end5-_ZN7rocprim17ROCPRIM_400000_NS6detail17trampoline_kernelINS0_14default_configENS1_25partition_config_selectorILNS1_17partition_subalgoE9EddbEEZZNS1_14partition_implILS5_9ELb0ES3_jN6thrust23THRUST_200600_302600_NS6detail15normal_iteratorINS9_10device_ptrIdEEEESE_PNS0_10empty_typeENS0_5tupleIJSE_SF_EEENSH_IJSE_SG_EEENS0_18inequality_wrapperINS9_8equal_toIdEEEEPmJSF_EEE10hipError_tPvRmT3_T4_T5_T6_T7_T9_mT8_P12ihipStream_tbDpT10_ENKUlT_T0_E_clISt17integral_constantIbLb0EES18_EEDaS13_S14_EUlS13_E_NS1_11comp_targetILNS1_3genE5ELNS1_11target_archE942ELNS1_3gpuE9ELNS1_3repE0EEENS1_30default_config_static_selectorELNS0_4arch9wavefront6targetE0EEEvT1_
                                        ; -- End function
	.section	.AMDGPU.csdata,"",@progbits
; Kernel info:
; codeLenInByte = 0
; NumSgprs: 0
; NumVgprs: 0
; ScratchSize: 0
; MemoryBound: 0
; FloatMode: 240
; IeeeMode: 1
; LDSByteSize: 0 bytes/workgroup (compile time only)
; SGPRBlocks: 0
; VGPRBlocks: 0
; NumSGPRsForWavesPerEU: 1
; NumVGPRsForWavesPerEU: 1
; Occupancy: 16
; WaveLimiterHint : 0
; COMPUTE_PGM_RSRC2:SCRATCH_EN: 0
; COMPUTE_PGM_RSRC2:USER_SGPR: 15
; COMPUTE_PGM_RSRC2:TRAP_HANDLER: 0
; COMPUTE_PGM_RSRC2:TGID_X_EN: 1
; COMPUTE_PGM_RSRC2:TGID_Y_EN: 0
; COMPUTE_PGM_RSRC2:TGID_Z_EN: 0
; COMPUTE_PGM_RSRC2:TIDIG_COMP_CNT: 0
	.section	.text._ZN7rocprim17ROCPRIM_400000_NS6detail17trampoline_kernelINS0_14default_configENS1_25partition_config_selectorILNS1_17partition_subalgoE9EddbEEZZNS1_14partition_implILS5_9ELb0ES3_jN6thrust23THRUST_200600_302600_NS6detail15normal_iteratorINS9_10device_ptrIdEEEESE_PNS0_10empty_typeENS0_5tupleIJSE_SF_EEENSH_IJSE_SG_EEENS0_18inequality_wrapperINS9_8equal_toIdEEEEPmJSF_EEE10hipError_tPvRmT3_T4_T5_T6_T7_T9_mT8_P12ihipStream_tbDpT10_ENKUlT_T0_E_clISt17integral_constantIbLb0EES18_EEDaS13_S14_EUlS13_E_NS1_11comp_targetILNS1_3genE4ELNS1_11target_archE910ELNS1_3gpuE8ELNS1_3repE0EEENS1_30default_config_static_selectorELNS0_4arch9wavefront6targetE0EEEvT1_,"axG",@progbits,_ZN7rocprim17ROCPRIM_400000_NS6detail17trampoline_kernelINS0_14default_configENS1_25partition_config_selectorILNS1_17partition_subalgoE9EddbEEZZNS1_14partition_implILS5_9ELb0ES3_jN6thrust23THRUST_200600_302600_NS6detail15normal_iteratorINS9_10device_ptrIdEEEESE_PNS0_10empty_typeENS0_5tupleIJSE_SF_EEENSH_IJSE_SG_EEENS0_18inequality_wrapperINS9_8equal_toIdEEEEPmJSF_EEE10hipError_tPvRmT3_T4_T5_T6_T7_T9_mT8_P12ihipStream_tbDpT10_ENKUlT_T0_E_clISt17integral_constantIbLb0EES18_EEDaS13_S14_EUlS13_E_NS1_11comp_targetILNS1_3genE4ELNS1_11target_archE910ELNS1_3gpuE8ELNS1_3repE0EEENS1_30default_config_static_selectorELNS0_4arch9wavefront6targetE0EEEvT1_,comdat
	.protected	_ZN7rocprim17ROCPRIM_400000_NS6detail17trampoline_kernelINS0_14default_configENS1_25partition_config_selectorILNS1_17partition_subalgoE9EddbEEZZNS1_14partition_implILS5_9ELb0ES3_jN6thrust23THRUST_200600_302600_NS6detail15normal_iteratorINS9_10device_ptrIdEEEESE_PNS0_10empty_typeENS0_5tupleIJSE_SF_EEENSH_IJSE_SG_EEENS0_18inequality_wrapperINS9_8equal_toIdEEEEPmJSF_EEE10hipError_tPvRmT3_T4_T5_T6_T7_T9_mT8_P12ihipStream_tbDpT10_ENKUlT_T0_E_clISt17integral_constantIbLb0EES18_EEDaS13_S14_EUlS13_E_NS1_11comp_targetILNS1_3genE4ELNS1_11target_archE910ELNS1_3gpuE8ELNS1_3repE0EEENS1_30default_config_static_selectorELNS0_4arch9wavefront6targetE0EEEvT1_ ; -- Begin function _ZN7rocprim17ROCPRIM_400000_NS6detail17trampoline_kernelINS0_14default_configENS1_25partition_config_selectorILNS1_17partition_subalgoE9EddbEEZZNS1_14partition_implILS5_9ELb0ES3_jN6thrust23THRUST_200600_302600_NS6detail15normal_iteratorINS9_10device_ptrIdEEEESE_PNS0_10empty_typeENS0_5tupleIJSE_SF_EEENSH_IJSE_SG_EEENS0_18inequality_wrapperINS9_8equal_toIdEEEEPmJSF_EEE10hipError_tPvRmT3_T4_T5_T6_T7_T9_mT8_P12ihipStream_tbDpT10_ENKUlT_T0_E_clISt17integral_constantIbLb0EES18_EEDaS13_S14_EUlS13_E_NS1_11comp_targetILNS1_3genE4ELNS1_11target_archE910ELNS1_3gpuE8ELNS1_3repE0EEENS1_30default_config_static_selectorELNS0_4arch9wavefront6targetE0EEEvT1_
	.globl	_ZN7rocprim17ROCPRIM_400000_NS6detail17trampoline_kernelINS0_14default_configENS1_25partition_config_selectorILNS1_17partition_subalgoE9EddbEEZZNS1_14partition_implILS5_9ELb0ES3_jN6thrust23THRUST_200600_302600_NS6detail15normal_iteratorINS9_10device_ptrIdEEEESE_PNS0_10empty_typeENS0_5tupleIJSE_SF_EEENSH_IJSE_SG_EEENS0_18inequality_wrapperINS9_8equal_toIdEEEEPmJSF_EEE10hipError_tPvRmT3_T4_T5_T6_T7_T9_mT8_P12ihipStream_tbDpT10_ENKUlT_T0_E_clISt17integral_constantIbLb0EES18_EEDaS13_S14_EUlS13_E_NS1_11comp_targetILNS1_3genE4ELNS1_11target_archE910ELNS1_3gpuE8ELNS1_3repE0EEENS1_30default_config_static_selectorELNS0_4arch9wavefront6targetE0EEEvT1_
	.p2align	8
	.type	_ZN7rocprim17ROCPRIM_400000_NS6detail17trampoline_kernelINS0_14default_configENS1_25partition_config_selectorILNS1_17partition_subalgoE9EddbEEZZNS1_14partition_implILS5_9ELb0ES3_jN6thrust23THRUST_200600_302600_NS6detail15normal_iteratorINS9_10device_ptrIdEEEESE_PNS0_10empty_typeENS0_5tupleIJSE_SF_EEENSH_IJSE_SG_EEENS0_18inequality_wrapperINS9_8equal_toIdEEEEPmJSF_EEE10hipError_tPvRmT3_T4_T5_T6_T7_T9_mT8_P12ihipStream_tbDpT10_ENKUlT_T0_E_clISt17integral_constantIbLb0EES18_EEDaS13_S14_EUlS13_E_NS1_11comp_targetILNS1_3genE4ELNS1_11target_archE910ELNS1_3gpuE8ELNS1_3repE0EEENS1_30default_config_static_selectorELNS0_4arch9wavefront6targetE0EEEvT1_,@function
_ZN7rocprim17ROCPRIM_400000_NS6detail17trampoline_kernelINS0_14default_configENS1_25partition_config_selectorILNS1_17partition_subalgoE9EddbEEZZNS1_14partition_implILS5_9ELb0ES3_jN6thrust23THRUST_200600_302600_NS6detail15normal_iteratorINS9_10device_ptrIdEEEESE_PNS0_10empty_typeENS0_5tupleIJSE_SF_EEENSH_IJSE_SG_EEENS0_18inequality_wrapperINS9_8equal_toIdEEEEPmJSF_EEE10hipError_tPvRmT3_T4_T5_T6_T7_T9_mT8_P12ihipStream_tbDpT10_ENKUlT_T0_E_clISt17integral_constantIbLb0EES18_EEDaS13_S14_EUlS13_E_NS1_11comp_targetILNS1_3genE4ELNS1_11target_archE910ELNS1_3gpuE8ELNS1_3repE0EEENS1_30default_config_static_selectorELNS0_4arch9wavefront6targetE0EEEvT1_: ; @_ZN7rocprim17ROCPRIM_400000_NS6detail17trampoline_kernelINS0_14default_configENS1_25partition_config_selectorILNS1_17partition_subalgoE9EddbEEZZNS1_14partition_implILS5_9ELb0ES3_jN6thrust23THRUST_200600_302600_NS6detail15normal_iteratorINS9_10device_ptrIdEEEESE_PNS0_10empty_typeENS0_5tupleIJSE_SF_EEENSH_IJSE_SG_EEENS0_18inequality_wrapperINS9_8equal_toIdEEEEPmJSF_EEE10hipError_tPvRmT3_T4_T5_T6_T7_T9_mT8_P12ihipStream_tbDpT10_ENKUlT_T0_E_clISt17integral_constantIbLb0EES18_EEDaS13_S14_EUlS13_E_NS1_11comp_targetILNS1_3genE4ELNS1_11target_archE910ELNS1_3gpuE8ELNS1_3repE0EEENS1_30default_config_static_selectorELNS0_4arch9wavefront6targetE0EEEvT1_
; %bb.0:
	.section	.rodata,"a",@progbits
	.p2align	6, 0x0
	.amdhsa_kernel _ZN7rocprim17ROCPRIM_400000_NS6detail17trampoline_kernelINS0_14default_configENS1_25partition_config_selectorILNS1_17partition_subalgoE9EddbEEZZNS1_14partition_implILS5_9ELb0ES3_jN6thrust23THRUST_200600_302600_NS6detail15normal_iteratorINS9_10device_ptrIdEEEESE_PNS0_10empty_typeENS0_5tupleIJSE_SF_EEENSH_IJSE_SG_EEENS0_18inequality_wrapperINS9_8equal_toIdEEEEPmJSF_EEE10hipError_tPvRmT3_T4_T5_T6_T7_T9_mT8_P12ihipStream_tbDpT10_ENKUlT_T0_E_clISt17integral_constantIbLb0EES18_EEDaS13_S14_EUlS13_E_NS1_11comp_targetILNS1_3genE4ELNS1_11target_archE910ELNS1_3gpuE8ELNS1_3repE0EEENS1_30default_config_static_selectorELNS0_4arch9wavefront6targetE0EEEvT1_
		.amdhsa_group_segment_fixed_size 0
		.amdhsa_private_segment_fixed_size 0
		.amdhsa_kernarg_size 112
		.amdhsa_user_sgpr_count 15
		.amdhsa_user_sgpr_dispatch_ptr 0
		.amdhsa_user_sgpr_queue_ptr 0
		.amdhsa_user_sgpr_kernarg_segment_ptr 1
		.amdhsa_user_sgpr_dispatch_id 0
		.amdhsa_user_sgpr_private_segment_size 0
		.amdhsa_wavefront_size32 1
		.amdhsa_uses_dynamic_stack 0
		.amdhsa_enable_private_segment 0
		.amdhsa_system_sgpr_workgroup_id_x 1
		.amdhsa_system_sgpr_workgroup_id_y 0
		.amdhsa_system_sgpr_workgroup_id_z 0
		.amdhsa_system_sgpr_workgroup_info 0
		.amdhsa_system_vgpr_workitem_id 0
		.amdhsa_next_free_vgpr 1
		.amdhsa_next_free_sgpr 1
		.amdhsa_reserve_vcc 0
		.amdhsa_float_round_mode_32 0
		.amdhsa_float_round_mode_16_64 0
		.amdhsa_float_denorm_mode_32 3
		.amdhsa_float_denorm_mode_16_64 3
		.amdhsa_dx10_clamp 1
		.amdhsa_ieee_mode 1
		.amdhsa_fp16_overflow 0
		.amdhsa_workgroup_processor_mode 1
		.amdhsa_memory_ordered 1
		.amdhsa_forward_progress 0
		.amdhsa_shared_vgpr_count 0
		.amdhsa_exception_fp_ieee_invalid_op 0
		.amdhsa_exception_fp_denorm_src 0
		.amdhsa_exception_fp_ieee_div_zero 0
		.amdhsa_exception_fp_ieee_overflow 0
		.amdhsa_exception_fp_ieee_underflow 0
		.amdhsa_exception_fp_ieee_inexact 0
		.amdhsa_exception_int_div_zero 0
	.end_amdhsa_kernel
	.section	.text._ZN7rocprim17ROCPRIM_400000_NS6detail17trampoline_kernelINS0_14default_configENS1_25partition_config_selectorILNS1_17partition_subalgoE9EddbEEZZNS1_14partition_implILS5_9ELb0ES3_jN6thrust23THRUST_200600_302600_NS6detail15normal_iteratorINS9_10device_ptrIdEEEESE_PNS0_10empty_typeENS0_5tupleIJSE_SF_EEENSH_IJSE_SG_EEENS0_18inequality_wrapperINS9_8equal_toIdEEEEPmJSF_EEE10hipError_tPvRmT3_T4_T5_T6_T7_T9_mT8_P12ihipStream_tbDpT10_ENKUlT_T0_E_clISt17integral_constantIbLb0EES18_EEDaS13_S14_EUlS13_E_NS1_11comp_targetILNS1_3genE4ELNS1_11target_archE910ELNS1_3gpuE8ELNS1_3repE0EEENS1_30default_config_static_selectorELNS0_4arch9wavefront6targetE0EEEvT1_,"axG",@progbits,_ZN7rocprim17ROCPRIM_400000_NS6detail17trampoline_kernelINS0_14default_configENS1_25partition_config_selectorILNS1_17partition_subalgoE9EddbEEZZNS1_14partition_implILS5_9ELb0ES3_jN6thrust23THRUST_200600_302600_NS6detail15normal_iteratorINS9_10device_ptrIdEEEESE_PNS0_10empty_typeENS0_5tupleIJSE_SF_EEENSH_IJSE_SG_EEENS0_18inequality_wrapperINS9_8equal_toIdEEEEPmJSF_EEE10hipError_tPvRmT3_T4_T5_T6_T7_T9_mT8_P12ihipStream_tbDpT10_ENKUlT_T0_E_clISt17integral_constantIbLb0EES18_EEDaS13_S14_EUlS13_E_NS1_11comp_targetILNS1_3genE4ELNS1_11target_archE910ELNS1_3gpuE8ELNS1_3repE0EEENS1_30default_config_static_selectorELNS0_4arch9wavefront6targetE0EEEvT1_,comdat
.Lfunc_end6:
	.size	_ZN7rocprim17ROCPRIM_400000_NS6detail17trampoline_kernelINS0_14default_configENS1_25partition_config_selectorILNS1_17partition_subalgoE9EddbEEZZNS1_14partition_implILS5_9ELb0ES3_jN6thrust23THRUST_200600_302600_NS6detail15normal_iteratorINS9_10device_ptrIdEEEESE_PNS0_10empty_typeENS0_5tupleIJSE_SF_EEENSH_IJSE_SG_EEENS0_18inequality_wrapperINS9_8equal_toIdEEEEPmJSF_EEE10hipError_tPvRmT3_T4_T5_T6_T7_T9_mT8_P12ihipStream_tbDpT10_ENKUlT_T0_E_clISt17integral_constantIbLb0EES18_EEDaS13_S14_EUlS13_E_NS1_11comp_targetILNS1_3genE4ELNS1_11target_archE910ELNS1_3gpuE8ELNS1_3repE0EEENS1_30default_config_static_selectorELNS0_4arch9wavefront6targetE0EEEvT1_, .Lfunc_end6-_ZN7rocprim17ROCPRIM_400000_NS6detail17trampoline_kernelINS0_14default_configENS1_25partition_config_selectorILNS1_17partition_subalgoE9EddbEEZZNS1_14partition_implILS5_9ELb0ES3_jN6thrust23THRUST_200600_302600_NS6detail15normal_iteratorINS9_10device_ptrIdEEEESE_PNS0_10empty_typeENS0_5tupleIJSE_SF_EEENSH_IJSE_SG_EEENS0_18inequality_wrapperINS9_8equal_toIdEEEEPmJSF_EEE10hipError_tPvRmT3_T4_T5_T6_T7_T9_mT8_P12ihipStream_tbDpT10_ENKUlT_T0_E_clISt17integral_constantIbLb0EES18_EEDaS13_S14_EUlS13_E_NS1_11comp_targetILNS1_3genE4ELNS1_11target_archE910ELNS1_3gpuE8ELNS1_3repE0EEENS1_30default_config_static_selectorELNS0_4arch9wavefront6targetE0EEEvT1_
                                        ; -- End function
	.section	.AMDGPU.csdata,"",@progbits
; Kernel info:
; codeLenInByte = 0
; NumSgprs: 0
; NumVgprs: 0
; ScratchSize: 0
; MemoryBound: 0
; FloatMode: 240
; IeeeMode: 1
; LDSByteSize: 0 bytes/workgroup (compile time only)
; SGPRBlocks: 0
; VGPRBlocks: 0
; NumSGPRsForWavesPerEU: 1
; NumVGPRsForWavesPerEU: 1
; Occupancy: 16
; WaveLimiterHint : 0
; COMPUTE_PGM_RSRC2:SCRATCH_EN: 0
; COMPUTE_PGM_RSRC2:USER_SGPR: 15
; COMPUTE_PGM_RSRC2:TRAP_HANDLER: 0
; COMPUTE_PGM_RSRC2:TGID_X_EN: 1
; COMPUTE_PGM_RSRC2:TGID_Y_EN: 0
; COMPUTE_PGM_RSRC2:TGID_Z_EN: 0
; COMPUTE_PGM_RSRC2:TIDIG_COMP_CNT: 0
	.section	.text._ZN7rocprim17ROCPRIM_400000_NS6detail17trampoline_kernelINS0_14default_configENS1_25partition_config_selectorILNS1_17partition_subalgoE9EddbEEZZNS1_14partition_implILS5_9ELb0ES3_jN6thrust23THRUST_200600_302600_NS6detail15normal_iteratorINS9_10device_ptrIdEEEESE_PNS0_10empty_typeENS0_5tupleIJSE_SF_EEENSH_IJSE_SG_EEENS0_18inequality_wrapperINS9_8equal_toIdEEEEPmJSF_EEE10hipError_tPvRmT3_T4_T5_T6_T7_T9_mT8_P12ihipStream_tbDpT10_ENKUlT_T0_E_clISt17integral_constantIbLb0EES18_EEDaS13_S14_EUlS13_E_NS1_11comp_targetILNS1_3genE3ELNS1_11target_archE908ELNS1_3gpuE7ELNS1_3repE0EEENS1_30default_config_static_selectorELNS0_4arch9wavefront6targetE0EEEvT1_,"axG",@progbits,_ZN7rocprim17ROCPRIM_400000_NS6detail17trampoline_kernelINS0_14default_configENS1_25partition_config_selectorILNS1_17partition_subalgoE9EddbEEZZNS1_14partition_implILS5_9ELb0ES3_jN6thrust23THRUST_200600_302600_NS6detail15normal_iteratorINS9_10device_ptrIdEEEESE_PNS0_10empty_typeENS0_5tupleIJSE_SF_EEENSH_IJSE_SG_EEENS0_18inequality_wrapperINS9_8equal_toIdEEEEPmJSF_EEE10hipError_tPvRmT3_T4_T5_T6_T7_T9_mT8_P12ihipStream_tbDpT10_ENKUlT_T0_E_clISt17integral_constantIbLb0EES18_EEDaS13_S14_EUlS13_E_NS1_11comp_targetILNS1_3genE3ELNS1_11target_archE908ELNS1_3gpuE7ELNS1_3repE0EEENS1_30default_config_static_selectorELNS0_4arch9wavefront6targetE0EEEvT1_,comdat
	.protected	_ZN7rocprim17ROCPRIM_400000_NS6detail17trampoline_kernelINS0_14default_configENS1_25partition_config_selectorILNS1_17partition_subalgoE9EddbEEZZNS1_14partition_implILS5_9ELb0ES3_jN6thrust23THRUST_200600_302600_NS6detail15normal_iteratorINS9_10device_ptrIdEEEESE_PNS0_10empty_typeENS0_5tupleIJSE_SF_EEENSH_IJSE_SG_EEENS0_18inequality_wrapperINS9_8equal_toIdEEEEPmJSF_EEE10hipError_tPvRmT3_T4_T5_T6_T7_T9_mT8_P12ihipStream_tbDpT10_ENKUlT_T0_E_clISt17integral_constantIbLb0EES18_EEDaS13_S14_EUlS13_E_NS1_11comp_targetILNS1_3genE3ELNS1_11target_archE908ELNS1_3gpuE7ELNS1_3repE0EEENS1_30default_config_static_selectorELNS0_4arch9wavefront6targetE0EEEvT1_ ; -- Begin function _ZN7rocprim17ROCPRIM_400000_NS6detail17trampoline_kernelINS0_14default_configENS1_25partition_config_selectorILNS1_17partition_subalgoE9EddbEEZZNS1_14partition_implILS5_9ELb0ES3_jN6thrust23THRUST_200600_302600_NS6detail15normal_iteratorINS9_10device_ptrIdEEEESE_PNS0_10empty_typeENS0_5tupleIJSE_SF_EEENSH_IJSE_SG_EEENS0_18inequality_wrapperINS9_8equal_toIdEEEEPmJSF_EEE10hipError_tPvRmT3_T4_T5_T6_T7_T9_mT8_P12ihipStream_tbDpT10_ENKUlT_T0_E_clISt17integral_constantIbLb0EES18_EEDaS13_S14_EUlS13_E_NS1_11comp_targetILNS1_3genE3ELNS1_11target_archE908ELNS1_3gpuE7ELNS1_3repE0EEENS1_30default_config_static_selectorELNS0_4arch9wavefront6targetE0EEEvT1_
	.globl	_ZN7rocprim17ROCPRIM_400000_NS6detail17trampoline_kernelINS0_14default_configENS1_25partition_config_selectorILNS1_17partition_subalgoE9EddbEEZZNS1_14partition_implILS5_9ELb0ES3_jN6thrust23THRUST_200600_302600_NS6detail15normal_iteratorINS9_10device_ptrIdEEEESE_PNS0_10empty_typeENS0_5tupleIJSE_SF_EEENSH_IJSE_SG_EEENS0_18inequality_wrapperINS9_8equal_toIdEEEEPmJSF_EEE10hipError_tPvRmT3_T4_T5_T6_T7_T9_mT8_P12ihipStream_tbDpT10_ENKUlT_T0_E_clISt17integral_constantIbLb0EES18_EEDaS13_S14_EUlS13_E_NS1_11comp_targetILNS1_3genE3ELNS1_11target_archE908ELNS1_3gpuE7ELNS1_3repE0EEENS1_30default_config_static_selectorELNS0_4arch9wavefront6targetE0EEEvT1_
	.p2align	8
	.type	_ZN7rocprim17ROCPRIM_400000_NS6detail17trampoline_kernelINS0_14default_configENS1_25partition_config_selectorILNS1_17partition_subalgoE9EddbEEZZNS1_14partition_implILS5_9ELb0ES3_jN6thrust23THRUST_200600_302600_NS6detail15normal_iteratorINS9_10device_ptrIdEEEESE_PNS0_10empty_typeENS0_5tupleIJSE_SF_EEENSH_IJSE_SG_EEENS0_18inequality_wrapperINS9_8equal_toIdEEEEPmJSF_EEE10hipError_tPvRmT3_T4_T5_T6_T7_T9_mT8_P12ihipStream_tbDpT10_ENKUlT_T0_E_clISt17integral_constantIbLb0EES18_EEDaS13_S14_EUlS13_E_NS1_11comp_targetILNS1_3genE3ELNS1_11target_archE908ELNS1_3gpuE7ELNS1_3repE0EEENS1_30default_config_static_selectorELNS0_4arch9wavefront6targetE0EEEvT1_,@function
_ZN7rocprim17ROCPRIM_400000_NS6detail17trampoline_kernelINS0_14default_configENS1_25partition_config_selectorILNS1_17partition_subalgoE9EddbEEZZNS1_14partition_implILS5_9ELb0ES3_jN6thrust23THRUST_200600_302600_NS6detail15normal_iteratorINS9_10device_ptrIdEEEESE_PNS0_10empty_typeENS0_5tupleIJSE_SF_EEENSH_IJSE_SG_EEENS0_18inequality_wrapperINS9_8equal_toIdEEEEPmJSF_EEE10hipError_tPvRmT3_T4_T5_T6_T7_T9_mT8_P12ihipStream_tbDpT10_ENKUlT_T0_E_clISt17integral_constantIbLb0EES18_EEDaS13_S14_EUlS13_E_NS1_11comp_targetILNS1_3genE3ELNS1_11target_archE908ELNS1_3gpuE7ELNS1_3repE0EEENS1_30default_config_static_selectorELNS0_4arch9wavefront6targetE0EEEvT1_: ; @_ZN7rocprim17ROCPRIM_400000_NS6detail17trampoline_kernelINS0_14default_configENS1_25partition_config_selectorILNS1_17partition_subalgoE9EddbEEZZNS1_14partition_implILS5_9ELb0ES3_jN6thrust23THRUST_200600_302600_NS6detail15normal_iteratorINS9_10device_ptrIdEEEESE_PNS0_10empty_typeENS0_5tupleIJSE_SF_EEENSH_IJSE_SG_EEENS0_18inequality_wrapperINS9_8equal_toIdEEEEPmJSF_EEE10hipError_tPvRmT3_T4_T5_T6_T7_T9_mT8_P12ihipStream_tbDpT10_ENKUlT_T0_E_clISt17integral_constantIbLb0EES18_EEDaS13_S14_EUlS13_E_NS1_11comp_targetILNS1_3genE3ELNS1_11target_archE908ELNS1_3gpuE7ELNS1_3repE0EEENS1_30default_config_static_selectorELNS0_4arch9wavefront6targetE0EEEvT1_
; %bb.0:
	.section	.rodata,"a",@progbits
	.p2align	6, 0x0
	.amdhsa_kernel _ZN7rocprim17ROCPRIM_400000_NS6detail17trampoline_kernelINS0_14default_configENS1_25partition_config_selectorILNS1_17partition_subalgoE9EddbEEZZNS1_14partition_implILS5_9ELb0ES3_jN6thrust23THRUST_200600_302600_NS6detail15normal_iteratorINS9_10device_ptrIdEEEESE_PNS0_10empty_typeENS0_5tupleIJSE_SF_EEENSH_IJSE_SG_EEENS0_18inequality_wrapperINS9_8equal_toIdEEEEPmJSF_EEE10hipError_tPvRmT3_T4_T5_T6_T7_T9_mT8_P12ihipStream_tbDpT10_ENKUlT_T0_E_clISt17integral_constantIbLb0EES18_EEDaS13_S14_EUlS13_E_NS1_11comp_targetILNS1_3genE3ELNS1_11target_archE908ELNS1_3gpuE7ELNS1_3repE0EEENS1_30default_config_static_selectorELNS0_4arch9wavefront6targetE0EEEvT1_
		.amdhsa_group_segment_fixed_size 0
		.amdhsa_private_segment_fixed_size 0
		.amdhsa_kernarg_size 112
		.amdhsa_user_sgpr_count 15
		.amdhsa_user_sgpr_dispatch_ptr 0
		.amdhsa_user_sgpr_queue_ptr 0
		.amdhsa_user_sgpr_kernarg_segment_ptr 1
		.amdhsa_user_sgpr_dispatch_id 0
		.amdhsa_user_sgpr_private_segment_size 0
		.amdhsa_wavefront_size32 1
		.amdhsa_uses_dynamic_stack 0
		.amdhsa_enable_private_segment 0
		.amdhsa_system_sgpr_workgroup_id_x 1
		.amdhsa_system_sgpr_workgroup_id_y 0
		.amdhsa_system_sgpr_workgroup_id_z 0
		.amdhsa_system_sgpr_workgroup_info 0
		.amdhsa_system_vgpr_workitem_id 0
		.amdhsa_next_free_vgpr 1
		.amdhsa_next_free_sgpr 1
		.amdhsa_reserve_vcc 0
		.amdhsa_float_round_mode_32 0
		.amdhsa_float_round_mode_16_64 0
		.amdhsa_float_denorm_mode_32 3
		.amdhsa_float_denorm_mode_16_64 3
		.amdhsa_dx10_clamp 1
		.amdhsa_ieee_mode 1
		.amdhsa_fp16_overflow 0
		.amdhsa_workgroup_processor_mode 1
		.amdhsa_memory_ordered 1
		.amdhsa_forward_progress 0
		.amdhsa_shared_vgpr_count 0
		.amdhsa_exception_fp_ieee_invalid_op 0
		.amdhsa_exception_fp_denorm_src 0
		.amdhsa_exception_fp_ieee_div_zero 0
		.amdhsa_exception_fp_ieee_overflow 0
		.amdhsa_exception_fp_ieee_underflow 0
		.amdhsa_exception_fp_ieee_inexact 0
		.amdhsa_exception_int_div_zero 0
	.end_amdhsa_kernel
	.section	.text._ZN7rocprim17ROCPRIM_400000_NS6detail17trampoline_kernelINS0_14default_configENS1_25partition_config_selectorILNS1_17partition_subalgoE9EddbEEZZNS1_14partition_implILS5_9ELb0ES3_jN6thrust23THRUST_200600_302600_NS6detail15normal_iteratorINS9_10device_ptrIdEEEESE_PNS0_10empty_typeENS0_5tupleIJSE_SF_EEENSH_IJSE_SG_EEENS0_18inequality_wrapperINS9_8equal_toIdEEEEPmJSF_EEE10hipError_tPvRmT3_T4_T5_T6_T7_T9_mT8_P12ihipStream_tbDpT10_ENKUlT_T0_E_clISt17integral_constantIbLb0EES18_EEDaS13_S14_EUlS13_E_NS1_11comp_targetILNS1_3genE3ELNS1_11target_archE908ELNS1_3gpuE7ELNS1_3repE0EEENS1_30default_config_static_selectorELNS0_4arch9wavefront6targetE0EEEvT1_,"axG",@progbits,_ZN7rocprim17ROCPRIM_400000_NS6detail17trampoline_kernelINS0_14default_configENS1_25partition_config_selectorILNS1_17partition_subalgoE9EddbEEZZNS1_14partition_implILS5_9ELb0ES3_jN6thrust23THRUST_200600_302600_NS6detail15normal_iteratorINS9_10device_ptrIdEEEESE_PNS0_10empty_typeENS0_5tupleIJSE_SF_EEENSH_IJSE_SG_EEENS0_18inequality_wrapperINS9_8equal_toIdEEEEPmJSF_EEE10hipError_tPvRmT3_T4_T5_T6_T7_T9_mT8_P12ihipStream_tbDpT10_ENKUlT_T0_E_clISt17integral_constantIbLb0EES18_EEDaS13_S14_EUlS13_E_NS1_11comp_targetILNS1_3genE3ELNS1_11target_archE908ELNS1_3gpuE7ELNS1_3repE0EEENS1_30default_config_static_selectorELNS0_4arch9wavefront6targetE0EEEvT1_,comdat
.Lfunc_end7:
	.size	_ZN7rocprim17ROCPRIM_400000_NS6detail17trampoline_kernelINS0_14default_configENS1_25partition_config_selectorILNS1_17partition_subalgoE9EddbEEZZNS1_14partition_implILS5_9ELb0ES3_jN6thrust23THRUST_200600_302600_NS6detail15normal_iteratorINS9_10device_ptrIdEEEESE_PNS0_10empty_typeENS0_5tupleIJSE_SF_EEENSH_IJSE_SG_EEENS0_18inequality_wrapperINS9_8equal_toIdEEEEPmJSF_EEE10hipError_tPvRmT3_T4_T5_T6_T7_T9_mT8_P12ihipStream_tbDpT10_ENKUlT_T0_E_clISt17integral_constantIbLb0EES18_EEDaS13_S14_EUlS13_E_NS1_11comp_targetILNS1_3genE3ELNS1_11target_archE908ELNS1_3gpuE7ELNS1_3repE0EEENS1_30default_config_static_selectorELNS0_4arch9wavefront6targetE0EEEvT1_, .Lfunc_end7-_ZN7rocprim17ROCPRIM_400000_NS6detail17trampoline_kernelINS0_14default_configENS1_25partition_config_selectorILNS1_17partition_subalgoE9EddbEEZZNS1_14partition_implILS5_9ELb0ES3_jN6thrust23THRUST_200600_302600_NS6detail15normal_iteratorINS9_10device_ptrIdEEEESE_PNS0_10empty_typeENS0_5tupleIJSE_SF_EEENSH_IJSE_SG_EEENS0_18inequality_wrapperINS9_8equal_toIdEEEEPmJSF_EEE10hipError_tPvRmT3_T4_T5_T6_T7_T9_mT8_P12ihipStream_tbDpT10_ENKUlT_T0_E_clISt17integral_constantIbLb0EES18_EEDaS13_S14_EUlS13_E_NS1_11comp_targetILNS1_3genE3ELNS1_11target_archE908ELNS1_3gpuE7ELNS1_3repE0EEENS1_30default_config_static_selectorELNS0_4arch9wavefront6targetE0EEEvT1_
                                        ; -- End function
	.section	.AMDGPU.csdata,"",@progbits
; Kernel info:
; codeLenInByte = 0
; NumSgprs: 0
; NumVgprs: 0
; ScratchSize: 0
; MemoryBound: 0
; FloatMode: 240
; IeeeMode: 1
; LDSByteSize: 0 bytes/workgroup (compile time only)
; SGPRBlocks: 0
; VGPRBlocks: 0
; NumSGPRsForWavesPerEU: 1
; NumVGPRsForWavesPerEU: 1
; Occupancy: 16
; WaveLimiterHint : 0
; COMPUTE_PGM_RSRC2:SCRATCH_EN: 0
; COMPUTE_PGM_RSRC2:USER_SGPR: 15
; COMPUTE_PGM_RSRC2:TRAP_HANDLER: 0
; COMPUTE_PGM_RSRC2:TGID_X_EN: 1
; COMPUTE_PGM_RSRC2:TGID_Y_EN: 0
; COMPUTE_PGM_RSRC2:TGID_Z_EN: 0
; COMPUTE_PGM_RSRC2:TIDIG_COMP_CNT: 0
	.section	.text._ZN7rocprim17ROCPRIM_400000_NS6detail17trampoline_kernelINS0_14default_configENS1_25partition_config_selectorILNS1_17partition_subalgoE9EddbEEZZNS1_14partition_implILS5_9ELb0ES3_jN6thrust23THRUST_200600_302600_NS6detail15normal_iteratorINS9_10device_ptrIdEEEESE_PNS0_10empty_typeENS0_5tupleIJSE_SF_EEENSH_IJSE_SG_EEENS0_18inequality_wrapperINS9_8equal_toIdEEEEPmJSF_EEE10hipError_tPvRmT3_T4_T5_T6_T7_T9_mT8_P12ihipStream_tbDpT10_ENKUlT_T0_E_clISt17integral_constantIbLb0EES18_EEDaS13_S14_EUlS13_E_NS1_11comp_targetILNS1_3genE2ELNS1_11target_archE906ELNS1_3gpuE6ELNS1_3repE0EEENS1_30default_config_static_selectorELNS0_4arch9wavefront6targetE0EEEvT1_,"axG",@progbits,_ZN7rocprim17ROCPRIM_400000_NS6detail17trampoline_kernelINS0_14default_configENS1_25partition_config_selectorILNS1_17partition_subalgoE9EddbEEZZNS1_14partition_implILS5_9ELb0ES3_jN6thrust23THRUST_200600_302600_NS6detail15normal_iteratorINS9_10device_ptrIdEEEESE_PNS0_10empty_typeENS0_5tupleIJSE_SF_EEENSH_IJSE_SG_EEENS0_18inequality_wrapperINS9_8equal_toIdEEEEPmJSF_EEE10hipError_tPvRmT3_T4_T5_T6_T7_T9_mT8_P12ihipStream_tbDpT10_ENKUlT_T0_E_clISt17integral_constantIbLb0EES18_EEDaS13_S14_EUlS13_E_NS1_11comp_targetILNS1_3genE2ELNS1_11target_archE906ELNS1_3gpuE6ELNS1_3repE0EEENS1_30default_config_static_selectorELNS0_4arch9wavefront6targetE0EEEvT1_,comdat
	.protected	_ZN7rocprim17ROCPRIM_400000_NS6detail17trampoline_kernelINS0_14default_configENS1_25partition_config_selectorILNS1_17partition_subalgoE9EddbEEZZNS1_14partition_implILS5_9ELb0ES3_jN6thrust23THRUST_200600_302600_NS6detail15normal_iteratorINS9_10device_ptrIdEEEESE_PNS0_10empty_typeENS0_5tupleIJSE_SF_EEENSH_IJSE_SG_EEENS0_18inequality_wrapperINS9_8equal_toIdEEEEPmJSF_EEE10hipError_tPvRmT3_T4_T5_T6_T7_T9_mT8_P12ihipStream_tbDpT10_ENKUlT_T0_E_clISt17integral_constantIbLb0EES18_EEDaS13_S14_EUlS13_E_NS1_11comp_targetILNS1_3genE2ELNS1_11target_archE906ELNS1_3gpuE6ELNS1_3repE0EEENS1_30default_config_static_selectorELNS0_4arch9wavefront6targetE0EEEvT1_ ; -- Begin function _ZN7rocprim17ROCPRIM_400000_NS6detail17trampoline_kernelINS0_14default_configENS1_25partition_config_selectorILNS1_17partition_subalgoE9EddbEEZZNS1_14partition_implILS5_9ELb0ES3_jN6thrust23THRUST_200600_302600_NS6detail15normal_iteratorINS9_10device_ptrIdEEEESE_PNS0_10empty_typeENS0_5tupleIJSE_SF_EEENSH_IJSE_SG_EEENS0_18inequality_wrapperINS9_8equal_toIdEEEEPmJSF_EEE10hipError_tPvRmT3_T4_T5_T6_T7_T9_mT8_P12ihipStream_tbDpT10_ENKUlT_T0_E_clISt17integral_constantIbLb0EES18_EEDaS13_S14_EUlS13_E_NS1_11comp_targetILNS1_3genE2ELNS1_11target_archE906ELNS1_3gpuE6ELNS1_3repE0EEENS1_30default_config_static_selectorELNS0_4arch9wavefront6targetE0EEEvT1_
	.globl	_ZN7rocprim17ROCPRIM_400000_NS6detail17trampoline_kernelINS0_14default_configENS1_25partition_config_selectorILNS1_17partition_subalgoE9EddbEEZZNS1_14partition_implILS5_9ELb0ES3_jN6thrust23THRUST_200600_302600_NS6detail15normal_iteratorINS9_10device_ptrIdEEEESE_PNS0_10empty_typeENS0_5tupleIJSE_SF_EEENSH_IJSE_SG_EEENS0_18inequality_wrapperINS9_8equal_toIdEEEEPmJSF_EEE10hipError_tPvRmT3_T4_T5_T6_T7_T9_mT8_P12ihipStream_tbDpT10_ENKUlT_T0_E_clISt17integral_constantIbLb0EES18_EEDaS13_S14_EUlS13_E_NS1_11comp_targetILNS1_3genE2ELNS1_11target_archE906ELNS1_3gpuE6ELNS1_3repE0EEENS1_30default_config_static_selectorELNS0_4arch9wavefront6targetE0EEEvT1_
	.p2align	8
	.type	_ZN7rocprim17ROCPRIM_400000_NS6detail17trampoline_kernelINS0_14default_configENS1_25partition_config_selectorILNS1_17partition_subalgoE9EddbEEZZNS1_14partition_implILS5_9ELb0ES3_jN6thrust23THRUST_200600_302600_NS6detail15normal_iteratorINS9_10device_ptrIdEEEESE_PNS0_10empty_typeENS0_5tupleIJSE_SF_EEENSH_IJSE_SG_EEENS0_18inequality_wrapperINS9_8equal_toIdEEEEPmJSF_EEE10hipError_tPvRmT3_T4_T5_T6_T7_T9_mT8_P12ihipStream_tbDpT10_ENKUlT_T0_E_clISt17integral_constantIbLb0EES18_EEDaS13_S14_EUlS13_E_NS1_11comp_targetILNS1_3genE2ELNS1_11target_archE906ELNS1_3gpuE6ELNS1_3repE0EEENS1_30default_config_static_selectorELNS0_4arch9wavefront6targetE0EEEvT1_,@function
_ZN7rocprim17ROCPRIM_400000_NS6detail17trampoline_kernelINS0_14default_configENS1_25partition_config_selectorILNS1_17partition_subalgoE9EddbEEZZNS1_14partition_implILS5_9ELb0ES3_jN6thrust23THRUST_200600_302600_NS6detail15normal_iteratorINS9_10device_ptrIdEEEESE_PNS0_10empty_typeENS0_5tupleIJSE_SF_EEENSH_IJSE_SG_EEENS0_18inequality_wrapperINS9_8equal_toIdEEEEPmJSF_EEE10hipError_tPvRmT3_T4_T5_T6_T7_T9_mT8_P12ihipStream_tbDpT10_ENKUlT_T0_E_clISt17integral_constantIbLb0EES18_EEDaS13_S14_EUlS13_E_NS1_11comp_targetILNS1_3genE2ELNS1_11target_archE906ELNS1_3gpuE6ELNS1_3repE0EEENS1_30default_config_static_selectorELNS0_4arch9wavefront6targetE0EEEvT1_: ; @_ZN7rocprim17ROCPRIM_400000_NS6detail17trampoline_kernelINS0_14default_configENS1_25partition_config_selectorILNS1_17partition_subalgoE9EddbEEZZNS1_14partition_implILS5_9ELb0ES3_jN6thrust23THRUST_200600_302600_NS6detail15normal_iteratorINS9_10device_ptrIdEEEESE_PNS0_10empty_typeENS0_5tupleIJSE_SF_EEENSH_IJSE_SG_EEENS0_18inequality_wrapperINS9_8equal_toIdEEEEPmJSF_EEE10hipError_tPvRmT3_T4_T5_T6_T7_T9_mT8_P12ihipStream_tbDpT10_ENKUlT_T0_E_clISt17integral_constantIbLb0EES18_EEDaS13_S14_EUlS13_E_NS1_11comp_targetILNS1_3genE2ELNS1_11target_archE906ELNS1_3gpuE6ELNS1_3repE0EEENS1_30default_config_static_selectorELNS0_4arch9wavefront6targetE0EEEvT1_
; %bb.0:
	.section	.rodata,"a",@progbits
	.p2align	6, 0x0
	.amdhsa_kernel _ZN7rocprim17ROCPRIM_400000_NS6detail17trampoline_kernelINS0_14default_configENS1_25partition_config_selectorILNS1_17partition_subalgoE9EddbEEZZNS1_14partition_implILS5_9ELb0ES3_jN6thrust23THRUST_200600_302600_NS6detail15normal_iteratorINS9_10device_ptrIdEEEESE_PNS0_10empty_typeENS0_5tupleIJSE_SF_EEENSH_IJSE_SG_EEENS0_18inequality_wrapperINS9_8equal_toIdEEEEPmJSF_EEE10hipError_tPvRmT3_T4_T5_T6_T7_T9_mT8_P12ihipStream_tbDpT10_ENKUlT_T0_E_clISt17integral_constantIbLb0EES18_EEDaS13_S14_EUlS13_E_NS1_11comp_targetILNS1_3genE2ELNS1_11target_archE906ELNS1_3gpuE6ELNS1_3repE0EEENS1_30default_config_static_selectorELNS0_4arch9wavefront6targetE0EEEvT1_
		.amdhsa_group_segment_fixed_size 0
		.amdhsa_private_segment_fixed_size 0
		.amdhsa_kernarg_size 112
		.amdhsa_user_sgpr_count 15
		.amdhsa_user_sgpr_dispatch_ptr 0
		.amdhsa_user_sgpr_queue_ptr 0
		.amdhsa_user_sgpr_kernarg_segment_ptr 1
		.amdhsa_user_sgpr_dispatch_id 0
		.amdhsa_user_sgpr_private_segment_size 0
		.amdhsa_wavefront_size32 1
		.amdhsa_uses_dynamic_stack 0
		.amdhsa_enable_private_segment 0
		.amdhsa_system_sgpr_workgroup_id_x 1
		.amdhsa_system_sgpr_workgroup_id_y 0
		.amdhsa_system_sgpr_workgroup_id_z 0
		.amdhsa_system_sgpr_workgroup_info 0
		.amdhsa_system_vgpr_workitem_id 0
		.amdhsa_next_free_vgpr 1
		.amdhsa_next_free_sgpr 1
		.amdhsa_reserve_vcc 0
		.amdhsa_float_round_mode_32 0
		.amdhsa_float_round_mode_16_64 0
		.amdhsa_float_denorm_mode_32 3
		.amdhsa_float_denorm_mode_16_64 3
		.amdhsa_dx10_clamp 1
		.amdhsa_ieee_mode 1
		.amdhsa_fp16_overflow 0
		.amdhsa_workgroup_processor_mode 1
		.amdhsa_memory_ordered 1
		.amdhsa_forward_progress 0
		.amdhsa_shared_vgpr_count 0
		.amdhsa_exception_fp_ieee_invalid_op 0
		.amdhsa_exception_fp_denorm_src 0
		.amdhsa_exception_fp_ieee_div_zero 0
		.amdhsa_exception_fp_ieee_overflow 0
		.amdhsa_exception_fp_ieee_underflow 0
		.amdhsa_exception_fp_ieee_inexact 0
		.amdhsa_exception_int_div_zero 0
	.end_amdhsa_kernel
	.section	.text._ZN7rocprim17ROCPRIM_400000_NS6detail17trampoline_kernelINS0_14default_configENS1_25partition_config_selectorILNS1_17partition_subalgoE9EddbEEZZNS1_14partition_implILS5_9ELb0ES3_jN6thrust23THRUST_200600_302600_NS6detail15normal_iteratorINS9_10device_ptrIdEEEESE_PNS0_10empty_typeENS0_5tupleIJSE_SF_EEENSH_IJSE_SG_EEENS0_18inequality_wrapperINS9_8equal_toIdEEEEPmJSF_EEE10hipError_tPvRmT3_T4_T5_T6_T7_T9_mT8_P12ihipStream_tbDpT10_ENKUlT_T0_E_clISt17integral_constantIbLb0EES18_EEDaS13_S14_EUlS13_E_NS1_11comp_targetILNS1_3genE2ELNS1_11target_archE906ELNS1_3gpuE6ELNS1_3repE0EEENS1_30default_config_static_selectorELNS0_4arch9wavefront6targetE0EEEvT1_,"axG",@progbits,_ZN7rocprim17ROCPRIM_400000_NS6detail17trampoline_kernelINS0_14default_configENS1_25partition_config_selectorILNS1_17partition_subalgoE9EddbEEZZNS1_14partition_implILS5_9ELb0ES3_jN6thrust23THRUST_200600_302600_NS6detail15normal_iteratorINS9_10device_ptrIdEEEESE_PNS0_10empty_typeENS0_5tupleIJSE_SF_EEENSH_IJSE_SG_EEENS0_18inequality_wrapperINS9_8equal_toIdEEEEPmJSF_EEE10hipError_tPvRmT3_T4_T5_T6_T7_T9_mT8_P12ihipStream_tbDpT10_ENKUlT_T0_E_clISt17integral_constantIbLb0EES18_EEDaS13_S14_EUlS13_E_NS1_11comp_targetILNS1_3genE2ELNS1_11target_archE906ELNS1_3gpuE6ELNS1_3repE0EEENS1_30default_config_static_selectorELNS0_4arch9wavefront6targetE0EEEvT1_,comdat
.Lfunc_end8:
	.size	_ZN7rocprim17ROCPRIM_400000_NS6detail17trampoline_kernelINS0_14default_configENS1_25partition_config_selectorILNS1_17partition_subalgoE9EddbEEZZNS1_14partition_implILS5_9ELb0ES3_jN6thrust23THRUST_200600_302600_NS6detail15normal_iteratorINS9_10device_ptrIdEEEESE_PNS0_10empty_typeENS0_5tupleIJSE_SF_EEENSH_IJSE_SG_EEENS0_18inequality_wrapperINS9_8equal_toIdEEEEPmJSF_EEE10hipError_tPvRmT3_T4_T5_T6_T7_T9_mT8_P12ihipStream_tbDpT10_ENKUlT_T0_E_clISt17integral_constantIbLb0EES18_EEDaS13_S14_EUlS13_E_NS1_11comp_targetILNS1_3genE2ELNS1_11target_archE906ELNS1_3gpuE6ELNS1_3repE0EEENS1_30default_config_static_selectorELNS0_4arch9wavefront6targetE0EEEvT1_, .Lfunc_end8-_ZN7rocprim17ROCPRIM_400000_NS6detail17trampoline_kernelINS0_14default_configENS1_25partition_config_selectorILNS1_17partition_subalgoE9EddbEEZZNS1_14partition_implILS5_9ELb0ES3_jN6thrust23THRUST_200600_302600_NS6detail15normal_iteratorINS9_10device_ptrIdEEEESE_PNS0_10empty_typeENS0_5tupleIJSE_SF_EEENSH_IJSE_SG_EEENS0_18inequality_wrapperINS9_8equal_toIdEEEEPmJSF_EEE10hipError_tPvRmT3_T4_T5_T6_T7_T9_mT8_P12ihipStream_tbDpT10_ENKUlT_T0_E_clISt17integral_constantIbLb0EES18_EEDaS13_S14_EUlS13_E_NS1_11comp_targetILNS1_3genE2ELNS1_11target_archE906ELNS1_3gpuE6ELNS1_3repE0EEENS1_30default_config_static_selectorELNS0_4arch9wavefront6targetE0EEEvT1_
                                        ; -- End function
	.section	.AMDGPU.csdata,"",@progbits
; Kernel info:
; codeLenInByte = 0
; NumSgprs: 0
; NumVgprs: 0
; ScratchSize: 0
; MemoryBound: 0
; FloatMode: 240
; IeeeMode: 1
; LDSByteSize: 0 bytes/workgroup (compile time only)
; SGPRBlocks: 0
; VGPRBlocks: 0
; NumSGPRsForWavesPerEU: 1
; NumVGPRsForWavesPerEU: 1
; Occupancy: 16
; WaveLimiterHint : 0
; COMPUTE_PGM_RSRC2:SCRATCH_EN: 0
; COMPUTE_PGM_RSRC2:USER_SGPR: 15
; COMPUTE_PGM_RSRC2:TRAP_HANDLER: 0
; COMPUTE_PGM_RSRC2:TGID_X_EN: 1
; COMPUTE_PGM_RSRC2:TGID_Y_EN: 0
; COMPUTE_PGM_RSRC2:TGID_Z_EN: 0
; COMPUTE_PGM_RSRC2:TIDIG_COMP_CNT: 0
	.section	.text._ZN7rocprim17ROCPRIM_400000_NS6detail17trampoline_kernelINS0_14default_configENS1_25partition_config_selectorILNS1_17partition_subalgoE9EddbEEZZNS1_14partition_implILS5_9ELb0ES3_jN6thrust23THRUST_200600_302600_NS6detail15normal_iteratorINS9_10device_ptrIdEEEESE_PNS0_10empty_typeENS0_5tupleIJSE_SF_EEENSH_IJSE_SG_EEENS0_18inequality_wrapperINS9_8equal_toIdEEEEPmJSF_EEE10hipError_tPvRmT3_T4_T5_T6_T7_T9_mT8_P12ihipStream_tbDpT10_ENKUlT_T0_E_clISt17integral_constantIbLb0EES18_EEDaS13_S14_EUlS13_E_NS1_11comp_targetILNS1_3genE10ELNS1_11target_archE1200ELNS1_3gpuE4ELNS1_3repE0EEENS1_30default_config_static_selectorELNS0_4arch9wavefront6targetE0EEEvT1_,"axG",@progbits,_ZN7rocprim17ROCPRIM_400000_NS6detail17trampoline_kernelINS0_14default_configENS1_25partition_config_selectorILNS1_17partition_subalgoE9EddbEEZZNS1_14partition_implILS5_9ELb0ES3_jN6thrust23THRUST_200600_302600_NS6detail15normal_iteratorINS9_10device_ptrIdEEEESE_PNS0_10empty_typeENS0_5tupleIJSE_SF_EEENSH_IJSE_SG_EEENS0_18inequality_wrapperINS9_8equal_toIdEEEEPmJSF_EEE10hipError_tPvRmT3_T4_T5_T6_T7_T9_mT8_P12ihipStream_tbDpT10_ENKUlT_T0_E_clISt17integral_constantIbLb0EES18_EEDaS13_S14_EUlS13_E_NS1_11comp_targetILNS1_3genE10ELNS1_11target_archE1200ELNS1_3gpuE4ELNS1_3repE0EEENS1_30default_config_static_selectorELNS0_4arch9wavefront6targetE0EEEvT1_,comdat
	.protected	_ZN7rocprim17ROCPRIM_400000_NS6detail17trampoline_kernelINS0_14default_configENS1_25partition_config_selectorILNS1_17partition_subalgoE9EddbEEZZNS1_14partition_implILS5_9ELb0ES3_jN6thrust23THRUST_200600_302600_NS6detail15normal_iteratorINS9_10device_ptrIdEEEESE_PNS0_10empty_typeENS0_5tupleIJSE_SF_EEENSH_IJSE_SG_EEENS0_18inequality_wrapperINS9_8equal_toIdEEEEPmJSF_EEE10hipError_tPvRmT3_T4_T5_T6_T7_T9_mT8_P12ihipStream_tbDpT10_ENKUlT_T0_E_clISt17integral_constantIbLb0EES18_EEDaS13_S14_EUlS13_E_NS1_11comp_targetILNS1_3genE10ELNS1_11target_archE1200ELNS1_3gpuE4ELNS1_3repE0EEENS1_30default_config_static_selectorELNS0_4arch9wavefront6targetE0EEEvT1_ ; -- Begin function _ZN7rocprim17ROCPRIM_400000_NS6detail17trampoline_kernelINS0_14default_configENS1_25partition_config_selectorILNS1_17partition_subalgoE9EddbEEZZNS1_14partition_implILS5_9ELb0ES3_jN6thrust23THRUST_200600_302600_NS6detail15normal_iteratorINS9_10device_ptrIdEEEESE_PNS0_10empty_typeENS0_5tupleIJSE_SF_EEENSH_IJSE_SG_EEENS0_18inequality_wrapperINS9_8equal_toIdEEEEPmJSF_EEE10hipError_tPvRmT3_T4_T5_T6_T7_T9_mT8_P12ihipStream_tbDpT10_ENKUlT_T0_E_clISt17integral_constantIbLb0EES18_EEDaS13_S14_EUlS13_E_NS1_11comp_targetILNS1_3genE10ELNS1_11target_archE1200ELNS1_3gpuE4ELNS1_3repE0EEENS1_30default_config_static_selectorELNS0_4arch9wavefront6targetE0EEEvT1_
	.globl	_ZN7rocprim17ROCPRIM_400000_NS6detail17trampoline_kernelINS0_14default_configENS1_25partition_config_selectorILNS1_17partition_subalgoE9EddbEEZZNS1_14partition_implILS5_9ELb0ES3_jN6thrust23THRUST_200600_302600_NS6detail15normal_iteratorINS9_10device_ptrIdEEEESE_PNS0_10empty_typeENS0_5tupleIJSE_SF_EEENSH_IJSE_SG_EEENS0_18inequality_wrapperINS9_8equal_toIdEEEEPmJSF_EEE10hipError_tPvRmT3_T4_T5_T6_T7_T9_mT8_P12ihipStream_tbDpT10_ENKUlT_T0_E_clISt17integral_constantIbLb0EES18_EEDaS13_S14_EUlS13_E_NS1_11comp_targetILNS1_3genE10ELNS1_11target_archE1200ELNS1_3gpuE4ELNS1_3repE0EEENS1_30default_config_static_selectorELNS0_4arch9wavefront6targetE0EEEvT1_
	.p2align	8
	.type	_ZN7rocprim17ROCPRIM_400000_NS6detail17trampoline_kernelINS0_14default_configENS1_25partition_config_selectorILNS1_17partition_subalgoE9EddbEEZZNS1_14partition_implILS5_9ELb0ES3_jN6thrust23THRUST_200600_302600_NS6detail15normal_iteratorINS9_10device_ptrIdEEEESE_PNS0_10empty_typeENS0_5tupleIJSE_SF_EEENSH_IJSE_SG_EEENS0_18inequality_wrapperINS9_8equal_toIdEEEEPmJSF_EEE10hipError_tPvRmT3_T4_T5_T6_T7_T9_mT8_P12ihipStream_tbDpT10_ENKUlT_T0_E_clISt17integral_constantIbLb0EES18_EEDaS13_S14_EUlS13_E_NS1_11comp_targetILNS1_3genE10ELNS1_11target_archE1200ELNS1_3gpuE4ELNS1_3repE0EEENS1_30default_config_static_selectorELNS0_4arch9wavefront6targetE0EEEvT1_,@function
_ZN7rocprim17ROCPRIM_400000_NS6detail17trampoline_kernelINS0_14default_configENS1_25partition_config_selectorILNS1_17partition_subalgoE9EddbEEZZNS1_14partition_implILS5_9ELb0ES3_jN6thrust23THRUST_200600_302600_NS6detail15normal_iteratorINS9_10device_ptrIdEEEESE_PNS0_10empty_typeENS0_5tupleIJSE_SF_EEENSH_IJSE_SG_EEENS0_18inequality_wrapperINS9_8equal_toIdEEEEPmJSF_EEE10hipError_tPvRmT3_T4_T5_T6_T7_T9_mT8_P12ihipStream_tbDpT10_ENKUlT_T0_E_clISt17integral_constantIbLb0EES18_EEDaS13_S14_EUlS13_E_NS1_11comp_targetILNS1_3genE10ELNS1_11target_archE1200ELNS1_3gpuE4ELNS1_3repE0EEENS1_30default_config_static_selectorELNS0_4arch9wavefront6targetE0EEEvT1_: ; @_ZN7rocprim17ROCPRIM_400000_NS6detail17trampoline_kernelINS0_14default_configENS1_25partition_config_selectorILNS1_17partition_subalgoE9EddbEEZZNS1_14partition_implILS5_9ELb0ES3_jN6thrust23THRUST_200600_302600_NS6detail15normal_iteratorINS9_10device_ptrIdEEEESE_PNS0_10empty_typeENS0_5tupleIJSE_SF_EEENSH_IJSE_SG_EEENS0_18inequality_wrapperINS9_8equal_toIdEEEEPmJSF_EEE10hipError_tPvRmT3_T4_T5_T6_T7_T9_mT8_P12ihipStream_tbDpT10_ENKUlT_T0_E_clISt17integral_constantIbLb0EES18_EEDaS13_S14_EUlS13_E_NS1_11comp_targetILNS1_3genE10ELNS1_11target_archE1200ELNS1_3gpuE4ELNS1_3repE0EEENS1_30default_config_static_selectorELNS0_4arch9wavefront6targetE0EEEvT1_
; %bb.0:
	.section	.rodata,"a",@progbits
	.p2align	6, 0x0
	.amdhsa_kernel _ZN7rocprim17ROCPRIM_400000_NS6detail17trampoline_kernelINS0_14default_configENS1_25partition_config_selectorILNS1_17partition_subalgoE9EddbEEZZNS1_14partition_implILS5_9ELb0ES3_jN6thrust23THRUST_200600_302600_NS6detail15normal_iteratorINS9_10device_ptrIdEEEESE_PNS0_10empty_typeENS0_5tupleIJSE_SF_EEENSH_IJSE_SG_EEENS0_18inequality_wrapperINS9_8equal_toIdEEEEPmJSF_EEE10hipError_tPvRmT3_T4_T5_T6_T7_T9_mT8_P12ihipStream_tbDpT10_ENKUlT_T0_E_clISt17integral_constantIbLb0EES18_EEDaS13_S14_EUlS13_E_NS1_11comp_targetILNS1_3genE10ELNS1_11target_archE1200ELNS1_3gpuE4ELNS1_3repE0EEENS1_30default_config_static_selectorELNS0_4arch9wavefront6targetE0EEEvT1_
		.amdhsa_group_segment_fixed_size 0
		.amdhsa_private_segment_fixed_size 0
		.amdhsa_kernarg_size 112
		.amdhsa_user_sgpr_count 15
		.amdhsa_user_sgpr_dispatch_ptr 0
		.amdhsa_user_sgpr_queue_ptr 0
		.amdhsa_user_sgpr_kernarg_segment_ptr 1
		.amdhsa_user_sgpr_dispatch_id 0
		.amdhsa_user_sgpr_private_segment_size 0
		.amdhsa_wavefront_size32 1
		.amdhsa_uses_dynamic_stack 0
		.amdhsa_enable_private_segment 0
		.amdhsa_system_sgpr_workgroup_id_x 1
		.amdhsa_system_sgpr_workgroup_id_y 0
		.amdhsa_system_sgpr_workgroup_id_z 0
		.amdhsa_system_sgpr_workgroup_info 0
		.amdhsa_system_vgpr_workitem_id 0
		.amdhsa_next_free_vgpr 1
		.amdhsa_next_free_sgpr 1
		.amdhsa_reserve_vcc 0
		.amdhsa_float_round_mode_32 0
		.amdhsa_float_round_mode_16_64 0
		.amdhsa_float_denorm_mode_32 3
		.amdhsa_float_denorm_mode_16_64 3
		.amdhsa_dx10_clamp 1
		.amdhsa_ieee_mode 1
		.amdhsa_fp16_overflow 0
		.amdhsa_workgroup_processor_mode 1
		.amdhsa_memory_ordered 1
		.amdhsa_forward_progress 0
		.amdhsa_shared_vgpr_count 0
		.amdhsa_exception_fp_ieee_invalid_op 0
		.amdhsa_exception_fp_denorm_src 0
		.amdhsa_exception_fp_ieee_div_zero 0
		.amdhsa_exception_fp_ieee_overflow 0
		.amdhsa_exception_fp_ieee_underflow 0
		.amdhsa_exception_fp_ieee_inexact 0
		.amdhsa_exception_int_div_zero 0
	.end_amdhsa_kernel
	.section	.text._ZN7rocprim17ROCPRIM_400000_NS6detail17trampoline_kernelINS0_14default_configENS1_25partition_config_selectorILNS1_17partition_subalgoE9EddbEEZZNS1_14partition_implILS5_9ELb0ES3_jN6thrust23THRUST_200600_302600_NS6detail15normal_iteratorINS9_10device_ptrIdEEEESE_PNS0_10empty_typeENS0_5tupleIJSE_SF_EEENSH_IJSE_SG_EEENS0_18inequality_wrapperINS9_8equal_toIdEEEEPmJSF_EEE10hipError_tPvRmT3_T4_T5_T6_T7_T9_mT8_P12ihipStream_tbDpT10_ENKUlT_T0_E_clISt17integral_constantIbLb0EES18_EEDaS13_S14_EUlS13_E_NS1_11comp_targetILNS1_3genE10ELNS1_11target_archE1200ELNS1_3gpuE4ELNS1_3repE0EEENS1_30default_config_static_selectorELNS0_4arch9wavefront6targetE0EEEvT1_,"axG",@progbits,_ZN7rocprim17ROCPRIM_400000_NS6detail17trampoline_kernelINS0_14default_configENS1_25partition_config_selectorILNS1_17partition_subalgoE9EddbEEZZNS1_14partition_implILS5_9ELb0ES3_jN6thrust23THRUST_200600_302600_NS6detail15normal_iteratorINS9_10device_ptrIdEEEESE_PNS0_10empty_typeENS0_5tupleIJSE_SF_EEENSH_IJSE_SG_EEENS0_18inequality_wrapperINS9_8equal_toIdEEEEPmJSF_EEE10hipError_tPvRmT3_T4_T5_T6_T7_T9_mT8_P12ihipStream_tbDpT10_ENKUlT_T0_E_clISt17integral_constantIbLb0EES18_EEDaS13_S14_EUlS13_E_NS1_11comp_targetILNS1_3genE10ELNS1_11target_archE1200ELNS1_3gpuE4ELNS1_3repE0EEENS1_30default_config_static_selectorELNS0_4arch9wavefront6targetE0EEEvT1_,comdat
.Lfunc_end9:
	.size	_ZN7rocprim17ROCPRIM_400000_NS6detail17trampoline_kernelINS0_14default_configENS1_25partition_config_selectorILNS1_17partition_subalgoE9EddbEEZZNS1_14partition_implILS5_9ELb0ES3_jN6thrust23THRUST_200600_302600_NS6detail15normal_iteratorINS9_10device_ptrIdEEEESE_PNS0_10empty_typeENS0_5tupleIJSE_SF_EEENSH_IJSE_SG_EEENS0_18inequality_wrapperINS9_8equal_toIdEEEEPmJSF_EEE10hipError_tPvRmT3_T4_T5_T6_T7_T9_mT8_P12ihipStream_tbDpT10_ENKUlT_T0_E_clISt17integral_constantIbLb0EES18_EEDaS13_S14_EUlS13_E_NS1_11comp_targetILNS1_3genE10ELNS1_11target_archE1200ELNS1_3gpuE4ELNS1_3repE0EEENS1_30default_config_static_selectorELNS0_4arch9wavefront6targetE0EEEvT1_, .Lfunc_end9-_ZN7rocprim17ROCPRIM_400000_NS6detail17trampoline_kernelINS0_14default_configENS1_25partition_config_selectorILNS1_17partition_subalgoE9EddbEEZZNS1_14partition_implILS5_9ELb0ES3_jN6thrust23THRUST_200600_302600_NS6detail15normal_iteratorINS9_10device_ptrIdEEEESE_PNS0_10empty_typeENS0_5tupleIJSE_SF_EEENSH_IJSE_SG_EEENS0_18inequality_wrapperINS9_8equal_toIdEEEEPmJSF_EEE10hipError_tPvRmT3_T4_T5_T6_T7_T9_mT8_P12ihipStream_tbDpT10_ENKUlT_T0_E_clISt17integral_constantIbLb0EES18_EEDaS13_S14_EUlS13_E_NS1_11comp_targetILNS1_3genE10ELNS1_11target_archE1200ELNS1_3gpuE4ELNS1_3repE0EEENS1_30default_config_static_selectorELNS0_4arch9wavefront6targetE0EEEvT1_
                                        ; -- End function
	.section	.AMDGPU.csdata,"",@progbits
; Kernel info:
; codeLenInByte = 0
; NumSgprs: 0
; NumVgprs: 0
; ScratchSize: 0
; MemoryBound: 0
; FloatMode: 240
; IeeeMode: 1
; LDSByteSize: 0 bytes/workgroup (compile time only)
; SGPRBlocks: 0
; VGPRBlocks: 0
; NumSGPRsForWavesPerEU: 1
; NumVGPRsForWavesPerEU: 1
; Occupancy: 15
; WaveLimiterHint : 0
; COMPUTE_PGM_RSRC2:SCRATCH_EN: 0
; COMPUTE_PGM_RSRC2:USER_SGPR: 15
; COMPUTE_PGM_RSRC2:TRAP_HANDLER: 0
; COMPUTE_PGM_RSRC2:TGID_X_EN: 1
; COMPUTE_PGM_RSRC2:TGID_Y_EN: 0
; COMPUTE_PGM_RSRC2:TGID_Z_EN: 0
; COMPUTE_PGM_RSRC2:TIDIG_COMP_CNT: 0
	.section	.text._ZN7rocprim17ROCPRIM_400000_NS6detail17trampoline_kernelINS0_14default_configENS1_25partition_config_selectorILNS1_17partition_subalgoE9EddbEEZZNS1_14partition_implILS5_9ELb0ES3_jN6thrust23THRUST_200600_302600_NS6detail15normal_iteratorINS9_10device_ptrIdEEEESE_PNS0_10empty_typeENS0_5tupleIJSE_SF_EEENSH_IJSE_SG_EEENS0_18inequality_wrapperINS9_8equal_toIdEEEEPmJSF_EEE10hipError_tPvRmT3_T4_T5_T6_T7_T9_mT8_P12ihipStream_tbDpT10_ENKUlT_T0_E_clISt17integral_constantIbLb0EES18_EEDaS13_S14_EUlS13_E_NS1_11comp_targetILNS1_3genE9ELNS1_11target_archE1100ELNS1_3gpuE3ELNS1_3repE0EEENS1_30default_config_static_selectorELNS0_4arch9wavefront6targetE0EEEvT1_,"axG",@progbits,_ZN7rocprim17ROCPRIM_400000_NS6detail17trampoline_kernelINS0_14default_configENS1_25partition_config_selectorILNS1_17partition_subalgoE9EddbEEZZNS1_14partition_implILS5_9ELb0ES3_jN6thrust23THRUST_200600_302600_NS6detail15normal_iteratorINS9_10device_ptrIdEEEESE_PNS0_10empty_typeENS0_5tupleIJSE_SF_EEENSH_IJSE_SG_EEENS0_18inequality_wrapperINS9_8equal_toIdEEEEPmJSF_EEE10hipError_tPvRmT3_T4_T5_T6_T7_T9_mT8_P12ihipStream_tbDpT10_ENKUlT_T0_E_clISt17integral_constantIbLb0EES18_EEDaS13_S14_EUlS13_E_NS1_11comp_targetILNS1_3genE9ELNS1_11target_archE1100ELNS1_3gpuE3ELNS1_3repE0EEENS1_30default_config_static_selectorELNS0_4arch9wavefront6targetE0EEEvT1_,comdat
	.protected	_ZN7rocprim17ROCPRIM_400000_NS6detail17trampoline_kernelINS0_14default_configENS1_25partition_config_selectorILNS1_17partition_subalgoE9EddbEEZZNS1_14partition_implILS5_9ELb0ES3_jN6thrust23THRUST_200600_302600_NS6detail15normal_iteratorINS9_10device_ptrIdEEEESE_PNS0_10empty_typeENS0_5tupleIJSE_SF_EEENSH_IJSE_SG_EEENS0_18inequality_wrapperINS9_8equal_toIdEEEEPmJSF_EEE10hipError_tPvRmT3_T4_T5_T6_T7_T9_mT8_P12ihipStream_tbDpT10_ENKUlT_T0_E_clISt17integral_constantIbLb0EES18_EEDaS13_S14_EUlS13_E_NS1_11comp_targetILNS1_3genE9ELNS1_11target_archE1100ELNS1_3gpuE3ELNS1_3repE0EEENS1_30default_config_static_selectorELNS0_4arch9wavefront6targetE0EEEvT1_ ; -- Begin function _ZN7rocprim17ROCPRIM_400000_NS6detail17trampoline_kernelINS0_14default_configENS1_25partition_config_selectorILNS1_17partition_subalgoE9EddbEEZZNS1_14partition_implILS5_9ELb0ES3_jN6thrust23THRUST_200600_302600_NS6detail15normal_iteratorINS9_10device_ptrIdEEEESE_PNS0_10empty_typeENS0_5tupleIJSE_SF_EEENSH_IJSE_SG_EEENS0_18inequality_wrapperINS9_8equal_toIdEEEEPmJSF_EEE10hipError_tPvRmT3_T4_T5_T6_T7_T9_mT8_P12ihipStream_tbDpT10_ENKUlT_T0_E_clISt17integral_constantIbLb0EES18_EEDaS13_S14_EUlS13_E_NS1_11comp_targetILNS1_3genE9ELNS1_11target_archE1100ELNS1_3gpuE3ELNS1_3repE0EEENS1_30default_config_static_selectorELNS0_4arch9wavefront6targetE0EEEvT1_
	.globl	_ZN7rocprim17ROCPRIM_400000_NS6detail17trampoline_kernelINS0_14default_configENS1_25partition_config_selectorILNS1_17partition_subalgoE9EddbEEZZNS1_14partition_implILS5_9ELb0ES3_jN6thrust23THRUST_200600_302600_NS6detail15normal_iteratorINS9_10device_ptrIdEEEESE_PNS0_10empty_typeENS0_5tupleIJSE_SF_EEENSH_IJSE_SG_EEENS0_18inequality_wrapperINS9_8equal_toIdEEEEPmJSF_EEE10hipError_tPvRmT3_T4_T5_T6_T7_T9_mT8_P12ihipStream_tbDpT10_ENKUlT_T0_E_clISt17integral_constantIbLb0EES18_EEDaS13_S14_EUlS13_E_NS1_11comp_targetILNS1_3genE9ELNS1_11target_archE1100ELNS1_3gpuE3ELNS1_3repE0EEENS1_30default_config_static_selectorELNS0_4arch9wavefront6targetE0EEEvT1_
	.p2align	8
	.type	_ZN7rocprim17ROCPRIM_400000_NS6detail17trampoline_kernelINS0_14default_configENS1_25partition_config_selectorILNS1_17partition_subalgoE9EddbEEZZNS1_14partition_implILS5_9ELb0ES3_jN6thrust23THRUST_200600_302600_NS6detail15normal_iteratorINS9_10device_ptrIdEEEESE_PNS0_10empty_typeENS0_5tupleIJSE_SF_EEENSH_IJSE_SG_EEENS0_18inequality_wrapperINS9_8equal_toIdEEEEPmJSF_EEE10hipError_tPvRmT3_T4_T5_T6_T7_T9_mT8_P12ihipStream_tbDpT10_ENKUlT_T0_E_clISt17integral_constantIbLb0EES18_EEDaS13_S14_EUlS13_E_NS1_11comp_targetILNS1_3genE9ELNS1_11target_archE1100ELNS1_3gpuE3ELNS1_3repE0EEENS1_30default_config_static_selectorELNS0_4arch9wavefront6targetE0EEEvT1_,@function
_ZN7rocprim17ROCPRIM_400000_NS6detail17trampoline_kernelINS0_14default_configENS1_25partition_config_selectorILNS1_17partition_subalgoE9EddbEEZZNS1_14partition_implILS5_9ELb0ES3_jN6thrust23THRUST_200600_302600_NS6detail15normal_iteratorINS9_10device_ptrIdEEEESE_PNS0_10empty_typeENS0_5tupleIJSE_SF_EEENSH_IJSE_SG_EEENS0_18inequality_wrapperINS9_8equal_toIdEEEEPmJSF_EEE10hipError_tPvRmT3_T4_T5_T6_T7_T9_mT8_P12ihipStream_tbDpT10_ENKUlT_T0_E_clISt17integral_constantIbLb0EES18_EEDaS13_S14_EUlS13_E_NS1_11comp_targetILNS1_3genE9ELNS1_11target_archE1100ELNS1_3gpuE3ELNS1_3repE0EEENS1_30default_config_static_selectorELNS0_4arch9wavefront6targetE0EEEvT1_: ; @_ZN7rocprim17ROCPRIM_400000_NS6detail17trampoline_kernelINS0_14default_configENS1_25partition_config_selectorILNS1_17partition_subalgoE9EddbEEZZNS1_14partition_implILS5_9ELb0ES3_jN6thrust23THRUST_200600_302600_NS6detail15normal_iteratorINS9_10device_ptrIdEEEESE_PNS0_10empty_typeENS0_5tupleIJSE_SF_EEENSH_IJSE_SG_EEENS0_18inequality_wrapperINS9_8equal_toIdEEEEPmJSF_EEE10hipError_tPvRmT3_T4_T5_T6_T7_T9_mT8_P12ihipStream_tbDpT10_ENKUlT_T0_E_clISt17integral_constantIbLb0EES18_EEDaS13_S14_EUlS13_E_NS1_11comp_targetILNS1_3genE9ELNS1_11target_archE1100ELNS1_3gpuE3ELNS1_3repE0EEENS1_30default_config_static_selectorELNS0_4arch9wavefront6targetE0EEEvT1_
; %bb.0:
	s_clause 0x4
	s_load_b128 s[4:7], s[0:1], 0x8
	s_load_b32 s14, s[0:1], 0x68
	s_load_b128 s[20:23], s[0:1], 0x40
	s_load_b64 s[2:3], s[0:1], 0x50
	s_load_b64 s[8:9], s[0:1], 0x18
	s_mov_b32 s13, 0
	v_lshlrev_b32_e32 v55, 3, v0
	v_lshrrev_b32_e32 v33, 2, v0
	v_or_b32_e32 v38, 0x200, v0
	v_or_b32_e32 v36, 0x400, v0
	;; [unrolled: 1-line block ×7, first 2 shown]
	s_waitcnt lgkmcnt(0)
	s_lshl_b64 s[10:11], s[6:7], 3
	s_delay_alu instid0(SALU_CYCLE_1)
	s_add_u32 s16, s4, s10
	s_addc_u32 s25, s5, s11
	s_add_i32 s17, s14, -1
	s_load_b64 s[18:19], s[22:23], 0x0
	s_lshl_b32 s4, s17, 12
	s_lshl_b32 s5, s14, 12
	s_add_i32 s4, s6, s4
	s_lshl_b32 s12, s15, 12
	s_sub_i32 s23, s2, s4
	s_add_u32 s4, s6, s5
	s_addc_u32 s5, s7, 0
	s_cmp_eq_u32 s15, s17
	v_cmp_ge_u64_e64 s2, s[4:5], s[2:3]
	s_cselect_b32 s17, -1, 0
	s_lshl_b64 s[4:5], s[12:13], 3
	s_mov_b32 s13, -1
	s_delay_alu instid0(VALU_DEP_1) | instskip(NEXT) | instid1(SALU_CYCLE_1)
	s_and_b32 s24, s17, s2
	s_xor_b32 s22, s24, -1
	s_add_u32 s12, s16, s4
	s_addc_u32 s3, s25, s5
	s_and_b32 vcc_lo, exec_lo, s22
	s_cbranch_vccz .LBB10_2
; %bb.1:
	v_add_co_u32 v1, s2, s12, v55
	s_delay_alu instid0(VALU_DEP_1) | instskip(SKIP_1) | instid1(VALU_DEP_3)
	v_add_co_ci_u32_e64 v2, null, s3, 0, s2
	v_lshrrev_b32_e32 v18, 2, v38
	v_add_co_u32 v3, vcc_lo, 0x1000, v1
	s_delay_alu instid0(VALU_DEP_3)
	v_add_co_ci_u32_e32 v4, vcc_lo, 0, v2, vcc_lo
	v_add_co_u32 v5, vcc_lo, 0x2000, v1
	v_add_co_ci_u32_e32 v6, vcc_lo, 0, v2, vcc_lo
	v_add_co_u32 v7, vcc_lo, 0x3000, v1
	;; [unrolled: 2-line block ×6, first 2 shown]
	v_add_co_ci_u32_e32 v16, vcc_lo, 0, v2, vcc_lo
	s_clause 0x7
	flat_load_b64 v[1:2], v[1:2]
	flat_load_b64 v[3:4], v[3:4]
	;; [unrolled: 1-line block ×8, first 2 shown]
	v_lshrrev_b32_e32 v19, 2, v36
	v_lshrrev_b32_e32 v20, 2, v40
	;; [unrolled: 1-line block ×3, first 2 shown]
	v_and_b32_e32 v17, 0x78, v33
	v_lshrrev_b32_e32 v22, 2, v37
	v_lshrrev_b32_e32 v23, 2, v34
	;; [unrolled: 1-line block ×3, first 2 shown]
	v_and_b32_e32 v18, 0xf8, v18
	v_and_b32_e32 v19, 0x178, v19
	;; [unrolled: 1-line block ×4, first 2 shown]
	v_add_nc_u32_e32 v17, v17, v55
	v_and_b32_e32 v22, 0x2f8, v22
	v_and_b32_e32 v23, 0x378, v23
	;; [unrolled: 1-line block ×3, first 2 shown]
	v_add_nc_u32_e32 v18, v18, v55
	v_add_nc_u32_e32 v19, v19, v55
	;; [unrolled: 1-line block ×4, first 2 shown]
	s_mov_b32 s13, 0
	v_add_nc_u32_e32 v22, v22, v55
	v_add_nc_u32_e32 v23, v23, v55
	v_add_nc_u32_e32 v24, v24, v55
	s_waitcnt vmcnt(7) lgkmcnt(0)
	ds_store_b64 v17, v[1:2]
	s_waitcnt vmcnt(6)
	ds_store_b64 v18, v[3:4] offset:4096
	s_waitcnt vmcnt(5)
	ds_store_b64 v19, v[5:6] offset:8192
	;; [unrolled: 2-line block ×7, first 2 shown]
	s_waitcnt lgkmcnt(0)
	s_barrier
.LBB10_2:
	v_cmp_gt_u32_e64 s2, s23, v0
	s_and_not1_b32 vcc_lo, exec_lo, s13
	s_cbranch_vccnz .LBB10_20
; %bb.3:
                                        ; implicit-def: $vgpr1_vgpr2_vgpr3_vgpr4_vgpr5_vgpr6_vgpr7_vgpr8_vgpr9_vgpr10_vgpr11_vgpr12_vgpr13_vgpr14_vgpr15_vgpr16
	s_delay_alu instid0(VALU_DEP_1)
	s_and_saveexec_b32 s13, s2
	s_cbranch_execz .LBB10_11
; %bb.4:
	v_add_co_u32 v1, s2, s12, v55
	s_delay_alu instid0(VALU_DEP_1) | instskip(SKIP_2) | instid1(SALU_CYCLE_1)
	v_add_co_ci_u32_e64 v2, null, s3, 0, s2
	flat_load_b64 v[1:2], v[1:2]
	s_or_b32 exec_lo, exec_lo, s13
	s_mov_b32 s2, exec_lo
	v_cmpx_gt_u32_e64 s23, v38
	s_cbranch_execnz .LBB10_12
.LBB10_5:
	s_or_b32 exec_lo, exec_lo, s2
	s_delay_alu instid0(SALU_CYCLE_1)
	s_mov_b32 s2, exec_lo
	v_cmpx_gt_u32_e64 s23, v36
	s_cbranch_execz .LBB10_13
.LBB10_6:
	v_lshlrev_b32_e32 v5, 3, v36
	s_delay_alu instid0(VALU_DEP_1) | instskip(NEXT) | instid1(VALU_DEP_1)
	v_add_co_u32 v5, s13, s12, v5
	v_add_co_ci_u32_e64 v6, null, s3, 0, s13
	flat_load_b64 v[5:6], v[5:6]
	s_or_b32 exec_lo, exec_lo, s2
	s_delay_alu instid0(SALU_CYCLE_1)
	s_mov_b32 s2, exec_lo
	v_cmpx_gt_u32_e64 s23, v40
	s_cbranch_execnz .LBB10_14
.LBB10_7:
	s_or_b32 exec_lo, exec_lo, s2
	s_delay_alu instid0(SALU_CYCLE_1)
	s_mov_b32 s2, exec_lo
	v_cmpx_gt_u32_e64 s23, v39
	s_cbranch_execz .LBB10_15
.LBB10_8:
	v_lshlrev_b32_e32 v9, 3, v39
	s_delay_alu instid0(VALU_DEP_1) | instskip(NEXT) | instid1(VALU_DEP_1)
	v_add_co_u32 v9, s13, s12, v9
	v_add_co_ci_u32_e64 v10, null, s3, 0, s13
	flat_load_b64 v[9:10], v[9:10]
	s_or_b32 exec_lo, exec_lo, s2
	s_delay_alu instid0(SALU_CYCLE_1)
	s_mov_b32 s2, exec_lo
	v_cmpx_gt_u32_e64 s23, v37
	s_cbranch_execnz .LBB10_16
.LBB10_9:
	s_or_b32 exec_lo, exec_lo, s2
	s_delay_alu instid0(SALU_CYCLE_1)
	s_mov_b32 s2, exec_lo
	v_cmpx_gt_u32_e64 s23, v34
	s_cbranch_execz .LBB10_17
.LBB10_10:
	v_lshlrev_b32_e32 v13, 3, v34
	s_delay_alu instid0(VALU_DEP_1) | instskip(NEXT) | instid1(VALU_DEP_1)
	v_add_co_u32 v13, s13, s12, v13
	v_add_co_ci_u32_e64 v14, null, s3, 0, s13
	flat_load_b64 v[13:14], v[13:14]
	s_or_b32 exec_lo, exec_lo, s2
	s_delay_alu instid0(SALU_CYCLE_1)
	s_mov_b32 s2, exec_lo
	v_cmpx_gt_u32_e64 s23, v35
	s_cbranch_execnz .LBB10_18
	s_branch .LBB10_19
.LBB10_11:
	s_or_b32 exec_lo, exec_lo, s13
	s_delay_alu instid0(SALU_CYCLE_1)
	s_mov_b32 s2, exec_lo
	v_cmpx_gt_u32_e64 s23, v38
	s_cbranch_execz .LBB10_5
.LBB10_12:
	v_lshlrev_b32_e32 v3, 3, v38
	s_delay_alu instid0(VALU_DEP_1) | instskip(NEXT) | instid1(VALU_DEP_1)
	v_add_co_u32 v3, s13, s12, v3
	v_add_co_ci_u32_e64 v4, null, s3, 0, s13
	flat_load_b64 v[3:4], v[3:4]
	s_or_b32 exec_lo, exec_lo, s2
	s_delay_alu instid0(SALU_CYCLE_1)
	s_mov_b32 s2, exec_lo
	v_cmpx_gt_u32_e64 s23, v36
	s_cbranch_execnz .LBB10_6
.LBB10_13:
	s_or_b32 exec_lo, exec_lo, s2
	s_delay_alu instid0(SALU_CYCLE_1)
	s_mov_b32 s2, exec_lo
	v_cmpx_gt_u32_e64 s23, v40
	s_cbranch_execz .LBB10_7
.LBB10_14:
	v_lshlrev_b32_e32 v7, 3, v40
	s_delay_alu instid0(VALU_DEP_1) | instskip(NEXT) | instid1(VALU_DEP_1)
	v_add_co_u32 v7, s13, s12, v7
	v_add_co_ci_u32_e64 v8, null, s3, 0, s13
	flat_load_b64 v[7:8], v[7:8]
	s_or_b32 exec_lo, exec_lo, s2
	s_delay_alu instid0(SALU_CYCLE_1)
	s_mov_b32 s2, exec_lo
	v_cmpx_gt_u32_e64 s23, v39
	s_cbranch_execnz .LBB10_8
.LBB10_15:
	s_or_b32 exec_lo, exec_lo, s2
	s_delay_alu instid0(SALU_CYCLE_1)
	s_mov_b32 s2, exec_lo
	v_cmpx_gt_u32_e64 s23, v37
	s_cbranch_execz .LBB10_9
.LBB10_16:
	v_lshlrev_b32_e32 v11, 3, v37
	s_delay_alu instid0(VALU_DEP_1) | instskip(NEXT) | instid1(VALU_DEP_1)
	v_add_co_u32 v11, s13, s12, v11
	v_add_co_ci_u32_e64 v12, null, s3, 0, s13
	flat_load_b64 v[11:12], v[11:12]
	s_or_b32 exec_lo, exec_lo, s2
	s_delay_alu instid0(SALU_CYCLE_1)
	s_mov_b32 s2, exec_lo
	v_cmpx_gt_u32_e64 s23, v34
	s_cbranch_execnz .LBB10_10
.LBB10_17:
	s_or_b32 exec_lo, exec_lo, s2
	s_delay_alu instid0(SALU_CYCLE_1)
	s_mov_b32 s2, exec_lo
	v_cmpx_gt_u32_e64 s23, v35
	s_cbranch_execz .LBB10_19
.LBB10_18:
	v_lshlrev_b32_e32 v15, 3, v35
	s_delay_alu instid0(VALU_DEP_1) | instskip(NEXT) | instid1(VALU_DEP_1)
	v_add_co_u32 v15, s13, s12, v15
	v_add_co_ci_u32_e64 v16, null, s3, 0, s13
	flat_load_b64 v[15:16], v[15:16]
.LBB10_19:
	s_or_b32 exec_lo, exec_lo, s2
	v_lshrrev_b32_e32 v17, 2, v38
	v_lshrrev_b32_e32 v18, 2, v36
	;; [unrolled: 1-line block ×4, first 2 shown]
	v_and_b32_e32 v19, 0x78, v33
	v_lshrrev_b32_e32 v22, 2, v37
	v_lshrrev_b32_e32 v23, 2, v34
	;; [unrolled: 1-line block ×3, first 2 shown]
	v_and_b32_e32 v17, 0xf8, v17
	v_and_b32_e32 v18, 0x1f8, v18
	;; [unrolled: 1-line block ×4, first 2 shown]
	v_add_nc_u32_e32 v19, v19, v55
	v_and_b32_e32 v22, 0x3f8, v22
	v_and_b32_e32 v23, 0x3f8, v23
	;; [unrolled: 1-line block ×3, first 2 shown]
	v_add_nc_u32_e32 v17, v17, v55
	v_add_nc_u32_e32 v18, v18, v55
	;; [unrolled: 1-line block ×7, first 2 shown]
	s_waitcnt vmcnt(0) lgkmcnt(0)
	ds_store_b64 v19, v[1:2]
	ds_store_b64 v17, v[3:4] offset:4096
	ds_store_b64 v18, v[5:6] offset:8192
	;; [unrolled: 1-line block ×7, first 2 shown]
	s_waitcnt lgkmcnt(0)
	s_barrier
.LBB10_20:
	v_add_lshl_u32 v41, v33, v55, 3
	s_waitcnt lgkmcnt(0)
	buffer_gl0_inv
	s_add_u32 s2, s8, s10
	s_addc_u32 s8, s9, s11
	s_add_u32 s2, s2, s4
	ds_load_2addr_b64 v[29:32], v41 offset1:1
	ds_load_2addr_b64 v[25:28], v41 offset0:2 offset1:3
	ds_load_2addr_b64 v[21:24], v41 offset0:4 offset1:5
	;; [unrolled: 1-line block ×3, first 2 shown]
	s_addc_u32 s4, s8, s5
	s_and_b32 vcc_lo, exec_lo, s22
	s_mov_b32 s5, -1
	s_waitcnt lgkmcnt(0)
	s_barrier
	buffer_gl0_inv
	s_cbranch_vccz .LBB10_22
; %bb.21:
	v_add_co_u32 v1, s5, s2, v55
	s_delay_alu instid0(VALU_DEP_1) | instskip(SKIP_1) | instid1(VALU_DEP_3)
	v_add_co_ci_u32_e64 v2, null, s4, 0, s5
	v_lshrrev_b32_e32 v43, 2, v38
	v_add_co_u32 v3, vcc_lo, 0x1000, v1
	s_delay_alu instid0(VALU_DEP_3)
	v_add_co_ci_u32_e32 v4, vcc_lo, 0, v2, vcc_lo
	v_add_co_u32 v5, vcc_lo, 0x2000, v1
	v_add_co_ci_u32_e32 v6, vcc_lo, 0, v2, vcc_lo
	v_add_co_u32 v7, vcc_lo, 0x3000, v1
	;; [unrolled: 2-line block ×6, first 2 shown]
	v_add_co_ci_u32_e32 v16, vcc_lo, 0, v2, vcc_lo
	s_clause 0x7
	flat_load_b64 v[1:2], v[1:2]
	flat_load_b64 v[3:4], v[3:4]
	;; [unrolled: 1-line block ×8, first 2 shown]
	v_lshrrev_b32_e32 v44, 2, v36
	v_lshrrev_b32_e32 v45, 2, v40
	;; [unrolled: 1-line block ×3, first 2 shown]
	v_and_b32_e32 v42, 0x78, v33
	v_lshrrev_b32_e32 v47, 2, v37
	v_lshrrev_b32_e32 v48, 2, v34
	;; [unrolled: 1-line block ×3, first 2 shown]
	v_and_b32_e32 v43, 0xf8, v43
	v_and_b32_e32 v44, 0x178, v44
	v_and_b32_e32 v45, 0x1f8, v45
	v_and_b32_e32 v46, 0x278, v46
	v_add_nc_u32_e32 v42, v42, v55
	v_and_b32_e32 v47, 0x2f8, v47
	v_and_b32_e32 v48, 0x378, v48
	;; [unrolled: 1-line block ×3, first 2 shown]
	v_add_nc_u32_e32 v43, v43, v55
	v_add_nc_u32_e32 v44, v44, v55
	;; [unrolled: 1-line block ×4, first 2 shown]
	s_mov_b32 s5, 0
	v_add_nc_u32_e32 v47, v47, v55
	v_add_nc_u32_e32 v48, v48, v55
	;; [unrolled: 1-line block ×3, first 2 shown]
	s_waitcnt vmcnt(7) lgkmcnt(7)
	ds_store_b64 v42, v[1:2]
	s_waitcnt vmcnt(6) lgkmcnt(7)
	ds_store_b64 v43, v[3:4] offset:4096
	s_waitcnt vmcnt(5) lgkmcnt(7)
	ds_store_b64 v44, v[5:6] offset:8192
	;; [unrolled: 2-line block ×7, first 2 shown]
	s_waitcnt lgkmcnt(0)
	s_barrier
.LBB10_22:
	s_and_not1_b32 vcc_lo, exec_lo, s5
	s_cbranch_vccnz .LBB10_40
; %bb.23:
	s_mov_b32 s5, exec_lo
                                        ; implicit-def: $vgpr1_vgpr2
	v_cmpx_gt_u32_e64 s23, v0
	s_cbranch_execz .LBB10_25
; %bb.24:
	v_add_co_u32 v1, s8, s2, v55
	s_delay_alu instid0(VALU_DEP_1)
	v_add_co_ci_u32_e64 v2, null, s4, 0, s8
	flat_load_b64 v[1:2], v[1:2]
.LBB10_25:
	s_or_b32 exec_lo, exec_lo, s5
	s_delay_alu instid0(SALU_CYCLE_1)
	s_mov_b32 s5, exec_lo
                                        ; implicit-def: $vgpr3_vgpr4
	v_cmpx_gt_u32_e64 s23, v38
	s_cbranch_execz .LBB10_27
; %bb.26:
	v_lshlrev_b32_e32 v3, 3, v38
	s_delay_alu instid0(VALU_DEP_1) | instskip(NEXT) | instid1(VALU_DEP_1)
	v_add_co_u32 v3, s8, s2, v3
	v_add_co_ci_u32_e64 v4, null, s4, 0, s8
	flat_load_b64 v[3:4], v[3:4]
.LBB10_27:
	s_or_b32 exec_lo, exec_lo, s5
	s_delay_alu instid0(SALU_CYCLE_1)
	s_mov_b32 s5, exec_lo
                                        ; implicit-def: $vgpr5_vgpr6
	v_cmpx_gt_u32_e64 s23, v36
	s_cbranch_execz .LBB10_29
; %bb.28:
	v_lshlrev_b32_e32 v5, 3, v36
	s_delay_alu instid0(VALU_DEP_1) | instskip(NEXT) | instid1(VALU_DEP_1)
	v_add_co_u32 v5, s8, s2, v5
	v_add_co_ci_u32_e64 v6, null, s4, 0, s8
	flat_load_b64 v[5:6], v[5:6]
.LBB10_29:
	s_or_b32 exec_lo, exec_lo, s5
	s_delay_alu instid0(SALU_CYCLE_1)
	s_mov_b32 s5, exec_lo
                                        ; implicit-def: $vgpr7_vgpr8
	v_cmpx_gt_u32_e64 s23, v40
	s_cbranch_execz .LBB10_31
; %bb.30:
	v_lshlrev_b32_e32 v7, 3, v40
	s_delay_alu instid0(VALU_DEP_1) | instskip(NEXT) | instid1(VALU_DEP_1)
	v_add_co_u32 v7, s8, s2, v7
	v_add_co_ci_u32_e64 v8, null, s4, 0, s8
	flat_load_b64 v[7:8], v[7:8]
.LBB10_31:
	s_or_b32 exec_lo, exec_lo, s5
	s_delay_alu instid0(SALU_CYCLE_1)
	s_mov_b32 s5, exec_lo
                                        ; implicit-def: $vgpr9_vgpr10
	v_cmpx_gt_u32_e64 s23, v39
	s_cbranch_execz .LBB10_33
; %bb.32:
	v_lshlrev_b32_e32 v9, 3, v39
	s_delay_alu instid0(VALU_DEP_1) | instskip(NEXT) | instid1(VALU_DEP_1)
	v_add_co_u32 v9, s8, s2, v9
	v_add_co_ci_u32_e64 v10, null, s4, 0, s8
	flat_load_b64 v[9:10], v[9:10]
.LBB10_33:
	s_or_b32 exec_lo, exec_lo, s5
	s_delay_alu instid0(SALU_CYCLE_1)
	s_mov_b32 s5, exec_lo
                                        ; implicit-def: $vgpr11_vgpr12
	v_cmpx_gt_u32_e64 s23, v37
	s_cbranch_execz .LBB10_35
; %bb.34:
	v_lshlrev_b32_e32 v11, 3, v37
	s_delay_alu instid0(VALU_DEP_1) | instskip(NEXT) | instid1(VALU_DEP_1)
	v_add_co_u32 v11, s8, s2, v11
	v_add_co_ci_u32_e64 v12, null, s4, 0, s8
	flat_load_b64 v[11:12], v[11:12]
.LBB10_35:
	s_or_b32 exec_lo, exec_lo, s5
	s_delay_alu instid0(SALU_CYCLE_1)
	s_mov_b32 s5, exec_lo
                                        ; implicit-def: $vgpr13_vgpr14
	v_cmpx_gt_u32_e64 s23, v34
	s_cbranch_execz .LBB10_37
; %bb.36:
	v_lshlrev_b32_e32 v13, 3, v34
	s_delay_alu instid0(VALU_DEP_1) | instskip(NEXT) | instid1(VALU_DEP_1)
	v_add_co_u32 v13, s8, s2, v13
	v_add_co_ci_u32_e64 v14, null, s4, 0, s8
	flat_load_b64 v[13:14], v[13:14]
.LBB10_37:
	s_or_b32 exec_lo, exec_lo, s5
	s_delay_alu instid0(SALU_CYCLE_1)
	s_mov_b32 s5, exec_lo
                                        ; implicit-def: $vgpr15_vgpr16
	v_cmpx_gt_u32_e64 s23, v35
	s_cbranch_execz .LBB10_39
; %bb.38:
	v_lshlrev_b32_e32 v15, 3, v35
	s_delay_alu instid0(VALU_DEP_1) | instskip(NEXT) | instid1(VALU_DEP_1)
	v_add_co_u32 v15, s2, s2, v15
	v_add_co_ci_u32_e64 v16, null, s4, 0, s2
	flat_load_b64 v[15:16], v[15:16]
.LBB10_39:
	s_or_b32 exec_lo, exec_lo, s5
	v_lshrrev_b32_e32 v38, 2, v38
	v_lshrrev_b32_e32 v36, 2, v36
	;; [unrolled: 1-line block ×4, first 2 shown]
	v_and_b32_e32 v33, 0x78, v33
	v_lshrrev_b32_e32 v37, 2, v37
	v_lshrrev_b32_e32 v34, 2, v34
	v_lshrrev_b32_e32 v35, 2, v35
	v_and_b32_e32 v38, 0xf8, v38
	v_and_b32_e32 v36, 0x1f8, v36
	;; [unrolled: 1-line block ×4, first 2 shown]
	v_add_nc_u32_e32 v33, v33, v55
	v_and_b32_e32 v37, 0x3f8, v37
	v_and_b32_e32 v34, 0x3f8, v34
	;; [unrolled: 1-line block ×3, first 2 shown]
	v_add_nc_u32_e32 v38, v38, v55
	v_add_nc_u32_e32 v36, v36, v55
	v_add_nc_u32_e32 v40, v40, v55
	v_add_nc_u32_e32 v39, v39, v55
	v_add_nc_u32_e32 v37, v37, v55
	v_add_nc_u32_e32 v34, v34, v55
	v_add_nc_u32_e32 v35, v35, v55
	s_waitcnt vmcnt(0) lgkmcnt(0)
	ds_store_b64 v33, v[1:2]
	ds_store_b64 v38, v[3:4] offset:4096
	ds_store_b64 v36, v[5:6] offset:8192
	;; [unrolled: 1-line block ×7, first 2 shown]
	s_waitcnt lgkmcnt(0)
	s_barrier
.LBB10_40:
	buffer_gl0_inv
	ds_load_2addr_b64 v[13:16], v41 offset1:1
	ds_load_2addr_b64 v[9:12], v41 offset0:2 offset1:3
	ds_load_2addr_b64 v[5:8], v41 offset0:4 offset1:5
	;; [unrolled: 1-line block ×3, first 2 shown]
	s_cmp_lg_u32 s15, 0
	s_mov_b32 s16, 0
	s_cselect_b32 s25, -1, 0
	s_cmp_lg_u64 s[6:7], 0
	s_waitcnt lgkmcnt(0)
	s_cselect_b32 s2, -1, 0
	s_barrier
	s_or_b32 s2, s25, s2
	buffer_gl0_inv
	s_and_b32 vcc_lo, exec_lo, s2
	s_cbranch_vccz .LBB10_45
; %bb.41:
	v_add_co_u32 v33, s2, -8, s12
	s_delay_alu instid0(VALU_DEP_1)
	v_add_co_ci_u32_e64 v34, null, -1, s3, s2
	s_mov_b32 s3, -1
	s_and_b32 vcc_lo, exec_lo, s22
	flat_load_b64 v[35:36], v[33:34]
	ds_store_b64 v55, v[19:20]
	s_cbranch_vccz .LBB10_46
; %bb.42:
	s_waitcnt vmcnt(0) lgkmcnt(1)
	v_dual_mov_b32 v33, v35 :: v_dual_mov_b32 v34, v36
	s_mov_b32 s3, 0
	s_mov_b32 s2, exec_lo
	s_waitcnt lgkmcnt(0)
	s_barrier
	buffer_gl0_inv
	v_cmpx_ne_u32_e32 0, v0
	s_cbranch_execz .LBB10_44
; %bb.43:
	v_add_nc_u32_e32 v33, -8, v55
	ds_load_b64 v[33:34], v33
.LBB10_44:
	s_or_b32 exec_lo, exec_lo, s2
	v_cmp_neq_f64_e32 vcc_lo, v[17:18], v[19:20]
	s_waitcnt lgkmcnt(0)
	v_cmp_neq_f64_e64 s2, v[33:34], v[29:30]
	v_cndmask_b32_e64 v33, 0, 1, vcc_lo
	v_cmp_neq_f64_e32 vcc_lo, v[23:24], v[17:18]
	s_delay_alu instid0(VALU_DEP_2) | instskip(SKIP_2) | instid1(VALU_DEP_2)
	v_lshlrev_b16 v33, 8, v33
	v_cndmask_b32_e64 v34, 0, 1, vcc_lo
	v_cmp_neq_f64_e32 vcc_lo, v[21:22], v[23:24]
	v_or_b32_e32 v33, v34, v33
	v_cndmask_b32_e64 v37, 0, 1, vcc_lo
	v_cmp_neq_f64_e32 vcc_lo, v[25:26], v[27:28]
	s_delay_alu instid0(VALU_DEP_2) | instskip(SKIP_2) | instid1(VALU_DEP_2)
	v_lshlrev_b16 v37, 8, v37
	v_cndmask_b32_e64 v38, 0, 1, vcc_lo
	v_cmp_neq_f64_e32 vcc_lo, v[27:28], v[21:22]
	v_lshlrev_b16 v38, 8, v38
	v_cndmask_b32_e64 v39, 0, 1, vcc_lo
	v_cmp_neq_f64_e32 vcc_lo, v[31:32], v[25:26]
	s_delay_alu instid0(VALU_DEP_2) | instskip(SKIP_1) | instid1(VALU_DEP_2)
	v_or_b32_e32 v37, v39, v37
	v_lshlrev_b32_e32 v39, 16, v33
	v_and_b32_e32 v37, 0xffff, v37
	v_cndmask_b32_e64 v40, 0, 1, vcc_lo
	v_cmp_neq_f64_e32 vcc_lo, v[29:30], v[31:32]
	s_delay_alu instid0(VALU_DEP_2) | instskip(NEXT) | instid1(VALU_DEP_1)
	v_or_b32_e32 v38, v40, v38
	v_lshlrev_b32_e32 v34, 16, v38
	v_cndmask_b32_e64 v41, 0, 1, vcc_lo
	s_delay_alu instid0(VALU_DEP_1) | instskip(NEXT) | instid1(VALU_DEP_1)
	v_lshlrev_b16 v40, 8, v41
	v_and_b32_e32 v38, 0xffff, v40
	s_delay_alu instid0(VALU_DEP_1)
	v_or_b32_e32 v33, v38, v34
	v_or_b32_e32 v34, v37, v39
	s_and_b32 vcc_lo, exec_lo, s3
	s_cbranch_vccnz .LBB10_47
	s_branch .LBB10_50
.LBB10_45:
                                        ; implicit-def: $sgpr2
                                        ; implicit-def: $vgpr34
	s_branch .LBB10_51
.LBB10_46:
                                        ; implicit-def: $sgpr2
                                        ; implicit-def: $vgpr34
	s_and_b32 vcc_lo, exec_lo, s3
	s_cbranch_vccz .LBB10_50
.LBB10_47:
	s_mov_b32 s2, exec_lo
	s_waitcnt vmcnt(0) lgkmcnt(0)
	s_barrier
	buffer_gl0_inv
	v_cmpx_ne_u32_e32 0, v0
	s_cbranch_execz .LBB10_49
; %bb.48:
	v_add_nc_u32_e32 v33, -8, v55
	ds_load_b64 v[35:36], v33
.LBB10_49:
	s_or_b32 exec_lo, exec_lo, s2
	v_cmp_neq_f64_e64 s2, v[23:24], v[17:18]
	v_cmp_neq_f64_e64 s3, v[21:22], v[23:24]
	;; [unrolled: 1-line block ×3, first 2 shown]
	v_cmp_neq_f64_e32 vcc_lo, v[17:18], v[19:20]
	v_cmp_neq_f64_e64 s5, v[25:26], v[27:28]
	v_cmp_neq_f64_e64 s6, v[31:32], v[25:26]
	;; [unrolled: 1-line block ×3, first 2 shown]
	v_or_b32_e32 v34, 6, v55
	v_or_b32_e32 v37, 5, v55
	s_waitcnt lgkmcnt(0)
	v_cmp_neq_f64_e64 s8, v[35:36], v[29:30]
	v_or_b32_e32 v38, 4, v55
	v_or_b32_e32 v33, 7, v55
	v_cmp_gt_u32_e64 s10, s23, v34
	v_or_b32_e32 v39, 3, v55
	v_cmp_gt_u32_e64 s11, s23, v37
	;; [unrolled: 2-line block ×4, first 2 shown]
	v_cmp_gt_u32_e64 s13, s23, v39
	v_cmp_gt_u32_e64 s14, s23, v40
	s_delay_alu instid0(VALU_DEP_4) | instskip(SKIP_1) | instid1(SALU_CYCLE_1)
	v_cmp_gt_u32_e64 s16, s23, v41
	s_and_b32 s2, s10, s2
	v_cndmask_b32_e64 v34, 0, 1, s2
	s_and_b32 s2, s11, s3
	s_and_b32 s9, s9, vcc_lo
	v_cndmask_b32_e64 v35, 0, 1, s2
	s_and_b32 s2, s12, s4
	v_cndmask_b32_e64 v33, 0, 1, s9
	v_cndmask_b32_e64 v36, 0, 1, s2
	s_and_b32 s2, s13, s5
	v_lshlrev_b16 v35, 8, v35
	v_cndmask_b32_e64 v37, 0, 1, s2
	s_and_b32 s2, s14, s6
	v_lshlrev_b16 v33, 8, v33
	;; [unrolled: 3-line block ×3, first 2 shown]
	v_cndmask_b32_e64 v39, 0, 1, s2
	v_or_b32_e32 v35, v36, v35
	v_or_b32_e32 v33, v34, v33
	v_cmp_gt_u32_e32 vcc_lo, s23, v55
	v_or_b32_e32 v37, v38, v37
	v_lshlrev_b16 v39, 8, v39
	v_and_b32_e32 v35, 0xffff, v35
	s_and_b32 s2, vcc_lo, s8
	s_delay_alu instid0(VALU_DEP_3) | instskip(NEXT) | instid1(VALU_DEP_3)
	v_lshlrev_b32_e32 v36, 16, v37
	v_and_b32_e32 v34, 0xffff, v39
	v_lshlrev_b32_e32 v37, 16, v33
	s_delay_alu instid0(VALU_DEP_2) | instskip(NEXT) | instid1(VALU_DEP_2)
	v_or_b32_e32 v33, v34, v36
	v_or_b32_e32 v34, v35, v37
.LBB10_50:
	s_mov_b32 s16, -1
	s_cbranch_execnz .LBB10_59
.LBB10_51:
	v_cmp_neq_f64_e64 s3, v[17:18], v[19:20]
	v_cmp_neq_f64_e64 s4, v[23:24], v[17:18]
	;; [unrolled: 1-line block ×7, first 2 shown]
	s_and_b32 vcc_lo, exec_lo, s22
	ds_store_b64 v55, v[19:20]
	s_cbranch_vccz .LBB10_55
; %bb.52:
	v_cndmask_b32_e64 v33, 0, 1, s3
	s_waitcnt vmcnt(0) lgkmcnt(2)
	v_cndmask_b32_e64 v35, 0, 1, s5
	v_cndmask_b32_e64 v37, 0, 1, s7
	;; [unrolled: 1-line block ×6, first 2 shown]
	v_lshlrev_b16 v35, 8, v35
	v_lshlrev_b16 v33, 8, v33
	v_lshlrev_b16 v37, 8, v37
	v_lshlrev_b16 v38, 8, v38
	s_mov_b32 s3, 0
	v_or_b32_e32 v35, v36, v35
	v_or_b32_e32 v33, v34, v33
	;; [unrolled: 1-line block ×4, first 2 shown]
	s_mov_b32 s4, exec_lo
	v_and_b32_e32 v35, 0xffff, v35
	v_lshlrev_b32_e32 v33, 16, v33
	v_lshlrev_b32_e32 v37, 16, v34
	v_and_b32_e32 v36, 0xffff, v36
	s_waitcnt lgkmcnt(0)
	s_barrier
	v_or_b32_e32 v34, v35, v33
	buffer_gl0_inv
	v_or_b32_e32 v33, v36, v37
                                        ; implicit-def: $sgpr2
	v_cmpx_ne_u32_e32 0, v0
	s_xor_b32 s4, exec_lo, s4
	s_cbranch_execz .LBB10_54
; %bb.53:
	v_add_nc_u32_e32 v35, -8, v55
	s_or_b32 s16, s16, exec_lo
	ds_load_b64 v[35:36], v35
	s_waitcnt lgkmcnt(0)
	v_cmp_neq_f64_e32 vcc_lo, v[35:36], v[29:30]
	s_and_b32 s2, vcc_lo, exec_lo
.LBB10_54:
	s_or_b32 exec_lo, exec_lo, s4
	s_delay_alu instid0(SALU_CYCLE_1)
	s_and_b32 vcc_lo, exec_lo, s3
	s_cbranch_vccnz .LBB10_56
	s_branch .LBB10_59
.LBB10_55:
                                        ; implicit-def: $sgpr2
                                        ; implicit-def: $vgpr34
	s_cbranch_execz .LBB10_59
.LBB10_56:
	v_cmp_neq_f64_e64 s2, v[23:24], v[17:18]
	v_cmp_neq_f64_e64 s3, v[21:22], v[23:24]
	;; [unrolled: 1-line block ×4, first 2 shown]
	v_cmp_neq_f64_e32 vcc_lo, v[17:18], v[19:20]
	v_cmp_neq_f64_e64 s6, v[29:30], v[31:32]
	v_cmp_neq_f64_e64 s7, v[31:32], v[25:26]
	v_or_b32_e32 v34, 6, v55
	s_waitcnt vmcnt(0) lgkmcnt(2)
	v_or_b32_e32 v35, 5, v55
	v_or_b32_e32 v36, 4, v55
	;; [unrolled: 1-line block ×4, first 2 shown]
	v_cmp_gt_u32_e64 s9, s23, v34
	v_cmp_gt_u32_e64 s10, s23, v35
	v_or_b32_e32 v39, 1, v55
	v_cmp_gt_u32_e64 s11, s23, v36
	v_cmp_gt_u32_e64 s12, s23, v37
	v_or_b32_e32 v38, 2, v55
	v_cmp_gt_u32_e64 s8, s23, v33
	v_cmp_gt_u32_e64 s14, s23, v39
	s_waitcnt lgkmcnt(0)
	s_barrier
	v_cmp_gt_u32_e64 s13, s23, v38
	buffer_gl0_inv
	s_and_b32 s2, s9, s2
	s_delay_alu instid0(SALU_CYCLE_1)
	v_cndmask_b32_e64 v34, 0, 1, s2
	s_and_b32 s2, s10, s3
	s_and_b32 s8, s8, vcc_lo
	v_cndmask_b32_e64 v35, 0, 1, s2
	s_and_b32 s2, s11, s4
	v_cndmask_b32_e64 v33, 0, 1, s8
	v_cndmask_b32_e64 v36, 0, 1, s2
	s_and_b32 s2, s12, s5
	v_lshlrev_b16 v35, 8, v35
	v_cndmask_b32_e64 v37, 0, 1, s2
	s_and_b32 s2, s14, s6
	v_lshlrev_b16 v33, 8, v33
	;; [unrolled: 3-line block ×3, first 2 shown]
	v_cndmask_b32_e64 v39, 0, 1, s2
	v_or_b32_e32 v35, v36, v35
	v_lshlrev_b16 v38, 8, v38
	v_or_b32_e32 v33, v34, v33
	s_mov_b32 s3, exec_lo
	v_or_b32_e32 v34, v39, v37
	v_and_b32_e32 v35, 0xffff, v35
	v_or_b32_e32 v36, 1, v38
	v_lshlrev_b32_e32 v33, 16, v33
                                        ; implicit-def: $sgpr2
	s_delay_alu instid0(VALU_DEP_4) | instskip(NEXT) | instid1(VALU_DEP_3)
	v_lshlrev_b32_e32 v37, 16, v34
	v_and_b32_e32 v36, 0xffff, v36
	s_delay_alu instid0(VALU_DEP_3) | instskip(NEXT) | instid1(VALU_DEP_2)
	v_or_b32_e32 v34, v35, v33
	v_or_b32_e32 v33, v36, v37
	v_cmpx_ne_u32_e32 0, v0
	s_cbranch_execz .LBB10_58
; %bb.57:
	v_add_nc_u32_e32 v35, -8, v55
	v_cmp_gt_u32_e64 s2, s23, v55
	s_or_b32 s16, s16, exec_lo
	ds_load_b64 v[35:36], v35
	s_waitcnt lgkmcnt(0)
	v_cmp_neq_f64_e32 vcc_lo, v[35:36], v[29:30]
	s_and_b32 s2, s2, vcc_lo
	s_delay_alu instid0(SALU_CYCLE_1)
	s_and_b32 s2, s2, exec_lo
.LBB10_58:
	s_or_b32 exec_lo, exec_lo, s3
.LBB10_59:
	s_and_saveexec_b32 s3, s16
	s_cbranch_execz .LBB10_61
; %bb.60:
	s_waitcnt vmcnt(0) lgkmcnt(1)
	v_and_b32_e32 v35, 0xffffff00, v33
	v_cndmask_b32_e64 v36, 0, 1, s2
	s_delay_alu instid0(VALU_DEP_1) | instskip(NEXT) | instid1(VALU_DEP_1)
	v_or_b32_e32 v35, v36, v35
	v_and_b32_e32 v35, 0xffff, v35
	s_delay_alu instid0(VALU_DEP_1)
	v_and_or_b32 v33, 0xffff0000, v33, v35
.LBB10_61:
	s_or_b32 exec_lo, exec_lo, s3
	s_load_b64 s[10:11], s[0:1], 0x60
	s_and_not1_b32 vcc_lo, exec_lo, s24
	s_cbranch_vccnz .LBB10_63
; %bb.62:
	v_cmp_gt_u32_e32 vcc_lo, s23, v55
	s_waitcnt vmcnt(0) lgkmcnt(0)
	v_or_b32_e32 v36, 1, v55
	v_and_b32_e32 v37, 0xffffff00, v34
	v_or_b32_e32 v38, 2, v55
	v_cndmask_b32_e32 v35, 0, v33, vcc_lo
	s_delay_alu instid0(VALU_DEP_4) | instskip(SKIP_1) | instid1(VALU_DEP_4)
	v_cmp_gt_u32_e32 vcc_lo, s23, v36
	v_or_b32_e32 v36, 4, v55
	v_cmp_gt_u32_e64 s2, s23, v38
	v_or_b32_e32 v38, 3, v55
	v_and_b32_e32 v35, 0xff, v35
	s_delay_alu instid0(VALU_DEP_2) | instskip(NEXT) | instid1(VALU_DEP_2)
	v_cmp_gt_u32_e64 s3, s23, v38
	v_cndmask_b32_e32 v35, v35, v33, vcc_lo
	v_cmp_gt_u32_e32 vcc_lo, s23, v36
	v_cndmask_b32_e32 v36, v37, v34, vcc_lo
	v_or_b32_e32 v37, 5, v55
	s_delay_alu instid0(VALU_DEP_2) | instskip(SKIP_1) | instid1(VALU_DEP_1)
	v_and_b32_e32 v36, 0xffff00ff, v36
	v_and_b32_e32 v35, 0xffff, v35
	v_cndmask_b32_e64 v35, v35, v33, s2
	s_delay_alu instid0(VALU_DEP_4) | instskip(SKIP_1) | instid1(VALU_DEP_3)
	v_cmp_gt_u32_e64 s2, s23, v37
	v_or_b32_e32 v37, 6, v55
	v_and_b32_e32 v35, 0xffffff, v35
	s_delay_alu instid0(VALU_DEP_3) | instskip(NEXT) | instid1(VALU_DEP_2)
	v_cndmask_b32_e64 v36, v36, v34, s2
	v_cndmask_b32_e64 v35, v35, v33, s3
	s_delay_alu instid0(VALU_DEP_1) | instskip(SKIP_2) | instid1(VALU_DEP_3)
	v_dual_cndmask_b32 v35, v35, v33 :: v_dual_and_b32 v36, 0xff00ffff, v36
	v_cmp_gt_u32_e32 vcc_lo, s23, v37
	v_or_b32_e32 v37, 7, v55
	v_cndmask_b32_e64 v35, v35, v33, s2
	s_delay_alu instid0(VALU_DEP_1) | instskip(NEXT) | instid1(VALU_DEP_1)
	v_dual_cndmask_b32 v36, v36, v34 :: v_dual_cndmask_b32 v35, v35, v33
	v_and_b32_e32 v36, 0xffffff, v36
	s_delay_alu instid0(VALU_DEP_4) | instskip(NEXT) | instid1(VALU_DEP_2)
	v_cmp_gt_u32_e32 vcc_lo, s23, v37
	v_dual_cndmask_b32 v34, v36, v34 :: v_dual_cndmask_b32 v33, v35, v33
.LBB10_63:
	s_delay_alu instid0(VALU_DEP_1) | instskip(SKIP_1) | instid1(VALU_DEP_2)
	v_and_b32_e32 v44, 0xff, v33
	s_waitcnt vmcnt(0) lgkmcnt(0)
	v_alignbit_b32 v35, v34, v33, 24
	v_bfe_u32 v46, v33, 8, 8
	v_bfe_u32 v48, v33, 16, 8
	v_and_b32_e32 v52, 0xff, v34
	v_bfe_u32 v54, v34, 8, 8
	v_and_b32_e32 v50, 0xff, v35
	v_add_nc_u32_e32 v35, v46, v44
	v_mbcnt_lo_u32_b32 v58, -1, 0
	v_bfe_u32 v57, v34, 16, 8
	v_lshrrev_b32_e32 v56, 24, v34
	v_lshrrev_b32_e32 v59, 5, v0
	v_add3_u32 v35, v35, v48, v50
	v_and_b32_e32 v36, 15, v58
	v_and_b32_e32 v37, 16, v58
	s_and_b32 vcc_lo, exec_lo, s25
	s_mov_b32 s9, -1
	v_add3_u32 v35, v35, v52, v54
	v_cmp_eq_u32_e64 s4, 0, v36
	v_cmp_lt_u32_e64 s2, 1, v36
	v_cmp_lt_u32_e64 s5, 3, v36
	;; [unrolled: 1-line block ×3, first 2 shown]
	v_add3_u32 v60, v35, v57, v56
	v_or_b32_e32 v35, 31, v0
	v_cmp_eq_u32_e64 s7, 0, v37
	s_barrier
	buffer_gl0_inv
	v_cmp_eq_u32_e64 s6, v35, v0
	s_cbranch_vccz .LBB10_89
; %bb.64:
	v_mov_b32_dpp v35, v60 row_shr:1 row_mask:0xf bank_mask:0xf
	s_delay_alu instid0(VALU_DEP_1) | instskip(NEXT) | instid1(VALU_DEP_1)
	v_cndmask_b32_e64 v35, v35, 0, s4
	v_add_nc_u32_e32 v35, v35, v60
	s_delay_alu instid0(VALU_DEP_1) | instskip(NEXT) | instid1(VALU_DEP_1)
	v_mov_b32_dpp v36, v35 row_shr:2 row_mask:0xf bank_mask:0xf
	v_cndmask_b32_e64 v36, 0, v36, s2
	s_delay_alu instid0(VALU_DEP_1) | instskip(NEXT) | instid1(VALU_DEP_1)
	v_add_nc_u32_e32 v35, v35, v36
	v_mov_b32_dpp v36, v35 row_shr:4 row_mask:0xf bank_mask:0xf
	s_delay_alu instid0(VALU_DEP_1) | instskip(NEXT) | instid1(VALU_DEP_1)
	v_cndmask_b32_e64 v36, 0, v36, s5
	v_add_nc_u32_e32 v35, v35, v36
	s_delay_alu instid0(VALU_DEP_1) | instskip(NEXT) | instid1(VALU_DEP_1)
	v_mov_b32_dpp v36, v35 row_shr:8 row_mask:0xf bank_mask:0xf
	v_cndmask_b32_e64 v36, 0, v36, s3
	s_delay_alu instid0(VALU_DEP_1) | instskip(SKIP_3) | instid1(VALU_DEP_1)
	v_add_nc_u32_e32 v35, v35, v36
	ds_swizzle_b32 v36, v35 offset:swizzle(BROADCAST,32,15)
	s_waitcnt lgkmcnt(0)
	v_cndmask_b32_e64 v36, v36, 0, s7
	v_add_nc_u32_e32 v35, v35, v36
	s_and_saveexec_b32 s8, s6
	s_cbranch_execz .LBB10_66
; %bb.65:
	v_lshlrev_b32_e32 v36, 2, v59
	ds_store_b32 v36, v35
.LBB10_66:
	s_or_b32 exec_lo, exec_lo, s8
	s_delay_alu instid0(SALU_CYCLE_1)
	s_mov_b32 s8, exec_lo
	s_waitcnt lgkmcnt(0)
	s_barrier
	buffer_gl0_inv
	v_cmpx_gt_u32_e32 16, v0
	s_cbranch_execz .LBB10_68
; %bb.67:
	v_lshlrev_b32_e32 v36, 2, v0
	ds_load_b32 v37, v36
	s_waitcnt lgkmcnt(0)
	v_mov_b32_dpp v38, v37 row_shr:1 row_mask:0xf bank_mask:0xf
	s_delay_alu instid0(VALU_DEP_1) | instskip(NEXT) | instid1(VALU_DEP_1)
	v_cndmask_b32_e64 v38, v38, 0, s4
	v_add_nc_u32_e32 v37, v38, v37
	s_delay_alu instid0(VALU_DEP_1) | instskip(NEXT) | instid1(VALU_DEP_1)
	v_mov_b32_dpp v38, v37 row_shr:2 row_mask:0xf bank_mask:0xf
	v_cndmask_b32_e64 v38, 0, v38, s2
	s_delay_alu instid0(VALU_DEP_1) | instskip(NEXT) | instid1(VALU_DEP_1)
	v_add_nc_u32_e32 v37, v37, v38
	v_mov_b32_dpp v38, v37 row_shr:4 row_mask:0xf bank_mask:0xf
	s_delay_alu instid0(VALU_DEP_1) | instskip(NEXT) | instid1(VALU_DEP_1)
	v_cndmask_b32_e64 v38, 0, v38, s5
	v_add_nc_u32_e32 v37, v37, v38
	s_delay_alu instid0(VALU_DEP_1) | instskip(NEXT) | instid1(VALU_DEP_1)
	v_mov_b32_dpp v38, v37 row_shr:8 row_mask:0xf bank_mask:0xf
	v_cndmask_b32_e64 v38, 0, v38, s3
	s_delay_alu instid0(VALU_DEP_1)
	v_add_nc_u32_e32 v37, v37, v38
	ds_store_b32 v36, v37
.LBB10_68:
	s_or_b32 exec_lo, exec_lo, s8
	v_cmp_gt_u32_e32 vcc_lo, 32, v0
	s_mov_b32 s9, exec_lo
	s_waitcnt lgkmcnt(0)
	s_barrier
	buffer_gl0_inv
                                        ; implicit-def: $vgpr43
	v_cmpx_lt_u32_e32 31, v0
	s_cbranch_execz .LBB10_70
; %bb.69:
	v_lshl_add_u32 v36, v59, 2, -4
	ds_load_b32 v43, v36
	s_waitcnt lgkmcnt(0)
	v_add_nc_u32_e32 v35, v43, v35
.LBB10_70:
	s_or_b32 exec_lo, exec_lo, s9
	v_add_nc_u32_e32 v36, -1, v58
	s_delay_alu instid0(VALU_DEP_1) | instskip(NEXT) | instid1(VALU_DEP_1)
	v_cmp_gt_i32_e64 s8, 0, v36
	v_cndmask_b32_e64 v36, v36, v58, s8
	v_cmp_eq_u32_e64 s8, 0, v58
	s_delay_alu instid0(VALU_DEP_2)
	v_lshlrev_b32_e32 v36, 2, v36
	ds_bpermute_b32 v45, v36, v35
	s_and_saveexec_b32 s9, vcc_lo
	s_cbranch_execz .LBB10_88
; %bb.71:
	v_mov_b32_e32 v39, 0
	ds_load_b32 v35, v39 offset:60
	s_and_saveexec_b32 s12, s8
	s_cbranch_execz .LBB10_73
; %bb.72:
	s_add_i32 s24, s15, 32
	s_mov_b32 s25, 0
	v_mov_b32_e32 v36, 1
	s_lshl_b64 s[24:25], s[24:25], 3
	s_delay_alu instid0(SALU_CYCLE_1)
	s_add_u32 s24, s10, s24
	s_addc_u32 s25, s11, s25
	s_waitcnt lgkmcnt(0)
	global_store_b64 v39, v[35:36], s[24:25]
.LBB10_73:
	s_or_b32 exec_lo, exec_lo, s12
	v_xad_u32 v37, v58, -1, s15
	s_mov_b32 s13, 0
	s_mov_b32 s12, exec_lo
	s_delay_alu instid0(VALU_DEP_1) | instskip(NEXT) | instid1(VALU_DEP_1)
	v_add_nc_u32_e32 v38, 32, v37
	v_lshlrev_b64 v[38:39], 3, v[38:39]
	s_delay_alu instid0(VALU_DEP_1) | instskip(NEXT) | instid1(VALU_DEP_2)
	v_add_co_u32 v41, vcc_lo, s10, v38
	v_add_co_ci_u32_e32 v42, vcc_lo, s11, v39, vcc_lo
	global_load_b64 v[39:40], v[41:42], off glc
	s_waitcnt vmcnt(0)
	v_and_b32_e32 v36, 0xff, v40
	s_delay_alu instid0(VALU_DEP_1)
	v_cmpx_eq_u16_e32 0, v36
	s_cbranch_execz .LBB10_76
.LBB10_74:                              ; =>This Inner Loop Header: Depth=1
	global_load_b64 v[39:40], v[41:42], off glc
	s_waitcnt vmcnt(0)
	v_and_b32_e32 v36, 0xff, v40
	s_delay_alu instid0(VALU_DEP_1) | instskip(SKIP_1) | instid1(SALU_CYCLE_1)
	v_cmp_ne_u16_e32 vcc_lo, 0, v36
	s_or_b32 s13, vcc_lo, s13
	s_and_not1_b32 exec_lo, exec_lo, s13
	s_cbranch_execnz .LBB10_74
; %bb.75:
	s_or_b32 exec_lo, exec_lo, s13
.LBB10_76:
	s_delay_alu instid0(SALU_CYCLE_1)
	s_or_b32 exec_lo, exec_lo, s12
	v_cmp_ne_u32_e32 vcc_lo, 31, v58
	v_lshlrev_b32_e64 v49, v58, -1
	v_add_nc_u32_e32 v53, 2, v58
	v_add_nc_u32_e32 v66, 16, v58
	v_add_co_ci_u32_e32 v36, vcc_lo, 0, v58, vcc_lo
	s_delay_alu instid0(VALU_DEP_1)
	v_lshlrev_b32_e32 v47, 2, v36
	v_and_b32_e32 v36, 0xff, v40
	ds_bpermute_b32 v38, v47, v39
	v_cmp_eq_u16_e32 vcc_lo, 2, v36
	v_and_or_b32 v36, vcc_lo, v49, 0x80000000
	v_cmp_gt_u32_e32 vcc_lo, 30, v58
	s_delay_alu instid0(VALU_DEP_2) | instskip(SKIP_1) | instid1(VALU_DEP_2)
	v_ctz_i32_b32_e32 v36, v36
	v_cndmask_b32_e64 v41, 0, 1, vcc_lo
	v_cmp_lt_u32_e32 vcc_lo, v58, v36
	s_waitcnt lgkmcnt(0)
	s_delay_alu instid0(VALU_DEP_2) | instskip(NEXT) | instid1(VALU_DEP_1)
	v_dual_cndmask_b32 v38, 0, v38 :: v_dual_lshlrev_b32 v41, 1, v41
	v_add_lshl_u32 v51, v41, v58, 2
	v_cmp_gt_u32_e32 vcc_lo, 28, v58
	s_delay_alu instid0(VALU_DEP_3) | instskip(SKIP_4) | instid1(VALU_DEP_1)
	v_add_nc_u32_e32 v38, v38, v39
	v_cndmask_b32_e64 v41, 0, 1, vcc_lo
	v_cmp_le_u32_e32 vcc_lo, v53, v36
	ds_bpermute_b32 v39, v51, v38
	v_lshlrev_b32_e32 v41, 2, v41
	v_add_lshl_u32 v61, v41, v58, 2
	s_waitcnt lgkmcnt(0)
	v_cndmask_b32_e32 v39, 0, v39, vcc_lo
	v_cmp_gt_u32_e32 vcc_lo, 24, v58
	s_delay_alu instid0(VALU_DEP_2) | instskip(SKIP_4) | instid1(VALU_DEP_2)
	v_add_nc_u32_e32 v38, v38, v39
	v_cndmask_b32_e64 v41, 0, 1, vcc_lo
	ds_bpermute_b32 v39, v61, v38
	v_add_nc_u32_e32 v62, 4, v58
	v_lshlrev_b32_e32 v41, 3, v41
	v_cmp_le_u32_e32 vcc_lo, v62, v36
	s_delay_alu instid0(VALU_DEP_2) | instskip(SKIP_3) | instid1(VALU_DEP_2)
	v_add_lshl_u32 v63, v41, v58, 2
	s_waitcnt lgkmcnt(0)
	v_cndmask_b32_e32 v39, 0, v39, vcc_lo
	v_cmp_gt_u32_e32 vcc_lo, 16, v58
	v_add_nc_u32_e32 v38, v38, v39
	v_cndmask_b32_e64 v41, 0, 1, vcc_lo
	ds_bpermute_b32 v39, v63, v38
	v_add_nc_u32_e32 v64, 8, v58
	v_lshlrev_b32_e32 v41, 4, v41
	s_delay_alu instid0(VALU_DEP_2) | instskip(NEXT) | instid1(VALU_DEP_2)
	v_cmp_le_u32_e32 vcc_lo, v64, v36
	v_add_lshl_u32 v65, v41, v58, 2
	s_waitcnt lgkmcnt(0)
	v_cndmask_b32_e32 v39, 0, v39, vcc_lo
	v_cmp_le_u32_e32 vcc_lo, v66, v36
	s_delay_alu instid0(VALU_DEP_2) | instskip(SKIP_3) | instid1(VALU_DEP_1)
	v_add_nc_u32_e32 v38, v38, v39
	ds_bpermute_b32 v39, v65, v38
	s_waitcnt lgkmcnt(0)
	v_cndmask_b32_e32 v36, 0, v39, vcc_lo
	v_dual_mov_b32 v38, 0 :: v_dual_add_nc_u32 v39, v38, v36
	s_branch .LBB10_78
.LBB10_77:                              ;   in Loop: Header=BB10_78 Depth=1
	s_or_b32 exec_lo, exec_lo, s12
	ds_bpermute_b32 v42, v47, v39
	v_and_b32_e32 v41, 0xff, v40
	v_subrev_nc_u32_e32 v37, 32, v37
	s_delay_alu instid0(VALU_DEP_2) | instskip(SKIP_1) | instid1(VALU_DEP_1)
	v_cmp_eq_u16_e32 vcc_lo, 2, v41
	v_and_or_b32 v41, vcc_lo, v49, 0x80000000
	v_ctz_i32_b32_e32 v41, v41
	s_delay_alu instid0(VALU_DEP_1) | instskip(SKIP_3) | instid1(VALU_DEP_2)
	v_cmp_lt_u32_e32 vcc_lo, v58, v41
	s_waitcnt lgkmcnt(0)
	v_cndmask_b32_e32 v42, 0, v42, vcc_lo
	v_cmp_le_u32_e32 vcc_lo, v53, v41
	v_add_nc_u32_e32 v39, v42, v39
	ds_bpermute_b32 v42, v51, v39
	s_waitcnt lgkmcnt(0)
	v_cndmask_b32_e32 v42, 0, v42, vcc_lo
	v_cmp_le_u32_e32 vcc_lo, v62, v41
	s_delay_alu instid0(VALU_DEP_2) | instskip(SKIP_4) | instid1(VALU_DEP_2)
	v_add_nc_u32_e32 v39, v39, v42
	ds_bpermute_b32 v42, v61, v39
	s_waitcnt lgkmcnt(0)
	v_cndmask_b32_e32 v42, 0, v42, vcc_lo
	v_cmp_le_u32_e32 vcc_lo, v64, v41
	v_add_nc_u32_e32 v39, v39, v42
	ds_bpermute_b32 v42, v63, v39
	s_waitcnt lgkmcnt(0)
	v_cndmask_b32_e32 v42, 0, v42, vcc_lo
	v_cmp_le_u32_e32 vcc_lo, v66, v41
	s_delay_alu instid0(VALU_DEP_2) | instskip(SKIP_3) | instid1(VALU_DEP_1)
	v_add_nc_u32_e32 v39, v39, v42
	ds_bpermute_b32 v42, v65, v39
	s_waitcnt lgkmcnt(0)
	v_cndmask_b32_e32 v41, 0, v42, vcc_lo
	v_add3_u32 v39, v41, v36, v39
.LBB10_78:                              ; =>This Loop Header: Depth=1
                                        ;     Child Loop BB10_81 Depth 2
	v_and_b32_e32 v36, 0xff, v40
	s_delay_alu instid0(VALU_DEP_1) | instskip(SKIP_2) | instid1(VALU_DEP_1)
	v_cmp_ne_u16_e32 vcc_lo, 2, v36
	v_cndmask_b32_e64 v36, 0, 1, vcc_lo
	;;#ASMSTART
	;;#ASMEND
	v_cmp_ne_u32_e32 vcc_lo, 0, v36
	v_mov_b32_e32 v36, v39
	s_cmp_lg_u32 vcc_lo, exec_lo
	s_cbranch_scc1 .LBB10_83
; %bb.79:                               ;   in Loop: Header=BB10_78 Depth=1
	v_lshlrev_b64 v[39:40], 3, v[37:38]
	s_mov_b32 s12, exec_lo
	s_delay_alu instid0(VALU_DEP_1) | instskip(NEXT) | instid1(VALU_DEP_2)
	v_add_co_u32 v41, vcc_lo, s10, v39
	v_add_co_ci_u32_e32 v42, vcc_lo, s11, v40, vcc_lo
	global_load_b64 v[39:40], v[41:42], off glc
	s_waitcnt vmcnt(0)
	v_and_b32_e32 v67, 0xff, v40
	s_delay_alu instid0(VALU_DEP_1)
	v_cmpx_eq_u16_e32 0, v67
	s_cbranch_execz .LBB10_77
; %bb.80:                               ;   in Loop: Header=BB10_78 Depth=1
	s_mov_b32 s13, 0
.LBB10_81:                              ;   Parent Loop BB10_78 Depth=1
                                        ; =>  This Inner Loop Header: Depth=2
	global_load_b64 v[39:40], v[41:42], off glc
	s_waitcnt vmcnt(0)
	v_and_b32_e32 v67, 0xff, v40
	s_delay_alu instid0(VALU_DEP_1) | instskip(SKIP_1) | instid1(SALU_CYCLE_1)
	v_cmp_ne_u16_e32 vcc_lo, 0, v67
	s_or_b32 s13, vcc_lo, s13
	s_and_not1_b32 exec_lo, exec_lo, s13
	s_cbranch_execnz .LBB10_81
; %bb.82:                               ;   in Loop: Header=BB10_78 Depth=1
	s_or_b32 exec_lo, exec_lo, s13
	s_branch .LBB10_77
.LBB10_83:                              ;   in Loop: Header=BB10_78 Depth=1
                                        ; implicit-def: $vgpr39
                                        ; implicit-def: $vgpr40
	s_cbranch_execz .LBB10_78
; %bb.84:
	s_and_saveexec_b32 s12, s8
	s_cbranch_execz .LBB10_86
; %bb.85:
	s_add_i32 s14, s15, 32
	s_mov_b32 s15, 0
	v_dual_mov_b32 v38, 2 :: v_dual_add_nc_u32 v37, v36, v35
	s_lshl_b64 s[14:15], s[14:15], 3
	v_mov_b32_e32 v39, 0
	s_add_u32 s14, s10, s14
	s_addc_u32 s15, s11, s15
	global_store_b64 v39, v[37:38], s[14:15]
	ds_store_b64 v39, v[35:36] offset:33792
.LBB10_86:
	s_or_b32 exec_lo, exec_lo, s12
	v_cmp_eq_u32_e32 vcc_lo, 0, v0
	s_and_b32 exec_lo, exec_lo, vcc_lo
	s_cbranch_execz .LBB10_88
; %bb.87:
	v_mov_b32_e32 v35, 0
	ds_store_b32 v35, v36 offset:60
.LBB10_88:
	s_or_b32 exec_lo, exec_lo, s9
	v_mov_b32_e32 v35, 0
	s_waitcnt lgkmcnt(0)
	s_waitcnt_vscnt null, 0x0
	s_barrier
	buffer_gl0_inv
	v_cndmask_b32_e64 v37, v45, v43, s8
	ds_load_b32 v36, v35 offset:60
	v_cmp_ne_u32_e32 vcc_lo, 0, v0
	s_waitcnt lgkmcnt(0)
	s_barrier
	buffer_gl0_inv
	v_cndmask_b32_e32 v37, 0, v37, vcc_lo
	s_delay_alu instid0(VALU_DEP_1) | instskip(SKIP_2) | instid1(VALU_DEP_1)
	v_add_nc_u32_e32 v53, v36, v37
	ds_load_b64 v[35:36], v35 offset:33792
	v_add_nc_u32_e32 v51, v53, v44
	v_add_nc_u32_e32 v49, v51, v46
	s_delay_alu instid0(VALU_DEP_1) | instskip(NEXT) | instid1(VALU_DEP_1)
	v_add_nc_u32_e32 v47, v49, v48
	v_add_nc_u32_e32 v45, v47, v50
	s_waitcnt lgkmcnt(0)
	v_readfirstlane_b32 s8, v36
	s_delay_alu instid0(VALU_DEP_2) | instskip(NEXT) | instid1(VALU_DEP_1)
	v_add_nc_u32_e32 v43, v45, v52
	v_add_nc_u32_e32 v41, v43, v54
	s_delay_alu instid0(VALU_DEP_1)
	v_add_nc_u32_e32 v39, v41, v57
	v_lshrrev_b64 v[37:38], 24, v[33:34]
	s_branch .LBB10_99
.LBB10_89:
                                        ; implicit-def: $vgpr39
                                        ; implicit-def: $vgpr41
                                        ; implicit-def: $vgpr43
                                        ; implicit-def: $vgpr45
                                        ; implicit-def: $vgpr47
                                        ; implicit-def: $vgpr49
                                        ; implicit-def: $vgpr51
                                        ; implicit-def: $vgpr53
                                        ; implicit-def: $sgpr8
                                        ; implicit-def: $vgpr35
	v_lshrrev_b64 v[37:38], 24, v[33:34]
	s_and_b32 vcc_lo, exec_lo, s9
	s_cbranch_vccz .LBB10_99
; %bb.90:
	v_mov_b32_dpp v35, v60 row_shr:1 row_mask:0xf bank_mask:0xf
	s_delay_alu instid0(VALU_DEP_1) | instskip(NEXT) | instid1(VALU_DEP_1)
	v_cndmask_b32_e64 v35, v35, 0, s4
	v_add_nc_u32_e32 v35, v35, v60
	s_delay_alu instid0(VALU_DEP_1) | instskip(NEXT) | instid1(VALU_DEP_1)
	v_mov_b32_dpp v36, v35 row_shr:2 row_mask:0xf bank_mask:0xf
	v_cndmask_b32_e64 v36, 0, v36, s2
	s_delay_alu instid0(VALU_DEP_1) | instskip(NEXT) | instid1(VALU_DEP_1)
	v_add_nc_u32_e32 v35, v35, v36
	v_mov_b32_dpp v36, v35 row_shr:4 row_mask:0xf bank_mask:0xf
	s_delay_alu instid0(VALU_DEP_1) | instskip(NEXT) | instid1(VALU_DEP_1)
	v_cndmask_b32_e64 v36, 0, v36, s5
	v_add_nc_u32_e32 v35, v35, v36
	s_delay_alu instid0(VALU_DEP_1) | instskip(NEXT) | instid1(VALU_DEP_1)
	v_mov_b32_dpp v36, v35 row_shr:8 row_mask:0xf bank_mask:0xf
	v_cndmask_b32_e64 v36, 0, v36, s3
	s_delay_alu instid0(VALU_DEP_1) | instskip(SKIP_3) | instid1(VALU_DEP_1)
	v_add_nc_u32_e32 v35, v35, v36
	ds_swizzle_b32 v36, v35 offset:swizzle(BROADCAST,32,15)
	s_waitcnt lgkmcnt(0)
	v_cndmask_b32_e64 v36, v36, 0, s7
	v_add_nc_u32_e32 v35, v35, v36
	s_and_saveexec_b32 s7, s6
	s_cbranch_execz .LBB10_92
; %bb.91:
	v_lshlrev_b32_e32 v36, 2, v59
	ds_store_b32 v36, v35
.LBB10_92:
	s_or_b32 exec_lo, exec_lo, s7
	s_delay_alu instid0(SALU_CYCLE_1)
	s_mov_b32 s6, exec_lo
	s_waitcnt lgkmcnt(0)
	s_barrier
	buffer_gl0_inv
	v_cmpx_gt_u32_e32 16, v0
	s_cbranch_execz .LBB10_94
; %bb.93:
	v_lshlrev_b32_e32 v36, 2, v0
	ds_load_b32 v38, v36
	s_waitcnt lgkmcnt(0)
	v_mov_b32_dpp v39, v38 row_shr:1 row_mask:0xf bank_mask:0xf
	s_delay_alu instid0(VALU_DEP_1) | instskip(NEXT) | instid1(VALU_DEP_1)
	v_cndmask_b32_e64 v39, v39, 0, s4
	v_add_nc_u32_e32 v38, v39, v38
	s_delay_alu instid0(VALU_DEP_1) | instskip(NEXT) | instid1(VALU_DEP_1)
	v_mov_b32_dpp v39, v38 row_shr:2 row_mask:0xf bank_mask:0xf
	v_cndmask_b32_e64 v39, 0, v39, s2
	s_delay_alu instid0(VALU_DEP_1) | instskip(NEXT) | instid1(VALU_DEP_1)
	v_add_nc_u32_e32 v38, v38, v39
	v_mov_b32_dpp v39, v38 row_shr:4 row_mask:0xf bank_mask:0xf
	s_delay_alu instid0(VALU_DEP_1) | instskip(NEXT) | instid1(VALU_DEP_1)
	v_cndmask_b32_e64 v39, 0, v39, s5
	v_add_nc_u32_e32 v38, v38, v39
	s_delay_alu instid0(VALU_DEP_1) | instskip(NEXT) | instid1(VALU_DEP_1)
	v_mov_b32_dpp v39, v38 row_shr:8 row_mask:0xf bank_mask:0xf
	v_cndmask_b32_e64 v39, 0, v39, s3
	s_delay_alu instid0(VALU_DEP_1)
	v_add_nc_u32_e32 v38, v38, v39
	ds_store_b32 v36, v38
.LBB10_94:
	s_or_b32 exec_lo, exec_lo, s6
	v_mov_b32_e32 v36, 0
	v_mov_b32_e32 v38, 0
	s_mov_b32 s2, exec_lo
	s_waitcnt lgkmcnt(0)
	s_barrier
	buffer_gl0_inv
	v_cmpx_lt_u32_e32 31, v0
	s_cbranch_execz .LBB10_96
; %bb.95:
	v_lshl_add_u32 v38, v59, 2, -4
	ds_load_b32 v38, v38
.LBB10_96:
	s_or_b32 exec_lo, exec_lo, s2
	v_add_nc_u32_e32 v39, -1, v58
	s_waitcnt lgkmcnt(0)
	v_add_nc_u32_e32 v35, v38, v35
	s_mov_b32 s8, 0
	s_delay_alu instid0(VALU_DEP_2) | instskip(SKIP_2) | instid1(VALU_DEP_2)
	v_cmp_gt_i32_e32 vcc_lo, 0, v39
	v_cndmask_b32_e32 v39, v39, v58, vcc_lo
	v_cmp_eq_u32_e32 vcc_lo, 0, v0
	v_lshlrev_b32_e32 v39, 2, v39
	ds_bpermute_b32 v39, v39, v35
	ds_load_b32 v35, v36 offset:60
	s_and_saveexec_b32 s2, vcc_lo
	s_cbranch_execz .LBB10_98
; %bb.97:
	v_mov_b32_e32 v40, 0
	v_mov_b32_e32 v36, 2
	s_waitcnt lgkmcnt(0)
	global_store_b64 v40, v[35:36], s[10:11] offset:256
.LBB10_98:
	s_or_b32 exec_lo, exec_lo, s2
	v_cmp_eq_u32_e64 s2, 0, v58
	s_waitcnt lgkmcnt(0)
	s_waitcnt_vscnt null, 0x0
	s_barrier
	buffer_gl0_inv
	v_cndmask_b32_e64 v36, v39, v38, s2
	s_delay_alu instid0(VALU_DEP_1) | instskip(NEXT) | instid1(VALU_DEP_1)
	v_cndmask_b32_e64 v53, v36, 0, vcc_lo
	v_add_nc_u32_e32 v51, v53, v44
	s_delay_alu instid0(VALU_DEP_1) | instskip(NEXT) | instid1(VALU_DEP_1)
	v_add_nc_u32_e32 v49, v51, v46
	v_add_nc_u32_e32 v47, v49, v48
	s_delay_alu instid0(VALU_DEP_1) | instskip(NEXT) | instid1(VALU_DEP_1)
	v_add_nc_u32_e32 v45, v47, v50
	;; [unrolled: 3-line block ×3, first 2 shown]
	v_add_nc_u32_e32 v39, v41, v57
.LBB10_99:
	s_load_b128 s[4:7], s[0:1], 0x28
	v_add_nc_u32_e32 v59, s8, v35
	v_cmp_gt_u32_e64 s0, 0x201, v35
	v_lshrrev_b32_e32 v58, 8, v33
	v_lshrrev_b32_e32 v57, 16, v33
	;; [unrolled: 1-line block ×4, first 2 shown]
	v_cmp_lt_u32_e64 s1, v53, v59
	s_and_b32 vcc_lo, exec_lo, s0
	s_mov_b32 s2, -1
	s_cbranch_vccz .LBB10_125
; %bb.100:
	s_lshl_b64 s[2:3], s[18:19], 3
	s_waitcnt lgkmcnt(0)
	s_add_u32 s2, s4, s2
	s_addc_u32 s3, s5, s3
	s_or_b32 s9, s22, s1
	s_delay_alu instid0(SALU_CYCLE_1)
	s_and_saveexec_b32 s1, s9
	s_cbranch_execz .LBB10_103
; %bb.101:
	v_and_b32_e32 v40, 1, v33
	s_delay_alu instid0(VALU_DEP_1)
	v_cmp_eq_u32_e32 vcc_lo, 1, v40
	s_and_b32 exec_lo, exec_lo, vcc_lo
	s_cbranch_execz .LBB10_103
; %bb.102:
	v_mov_b32_e32 v54, 0
	s_delay_alu instid0(VALU_DEP_1) | instskip(NEXT) | instid1(VALU_DEP_1)
	v_lshlrev_b64 v[60:61], 3, v[53:54]
	v_add_co_u32 v60, vcc_lo, s2, v60
	s_delay_alu instid0(VALU_DEP_2)
	v_add_co_ci_u32_e32 v61, vcc_lo, s3, v61, vcc_lo
	global_store_b64 v[60:61], v[29:30], off
.LBB10_103:
	s_or_b32 exec_lo, exec_lo, s1
	v_cmp_lt_u32_e32 vcc_lo, v51, v59
	s_or_b32 s9, s22, vcc_lo
	s_delay_alu instid0(SALU_CYCLE_1)
	s_and_saveexec_b32 s1, s9
	s_cbranch_execz .LBB10_106
; %bb.104:
	v_and_b32_e32 v40, 1, v58
	s_delay_alu instid0(VALU_DEP_1)
	v_cmp_eq_u32_e32 vcc_lo, 1, v40
	s_and_b32 exec_lo, exec_lo, vcc_lo
	s_cbranch_execz .LBB10_106
; %bb.105:
	v_mov_b32_e32 v52, 0
	s_delay_alu instid0(VALU_DEP_1) | instskip(NEXT) | instid1(VALU_DEP_1)
	v_lshlrev_b64 v[60:61], 3, v[51:52]
	v_add_co_u32 v60, vcc_lo, s2, v60
	s_delay_alu instid0(VALU_DEP_2)
	v_add_co_ci_u32_e32 v61, vcc_lo, s3, v61, vcc_lo
	global_store_b64 v[60:61], v[31:32], off
.LBB10_106:
	s_or_b32 exec_lo, exec_lo, s1
	v_cmp_lt_u32_e32 vcc_lo, v49, v59
	s_or_b32 s9, s22, vcc_lo
	s_delay_alu instid0(SALU_CYCLE_1)
	s_and_saveexec_b32 s1, s9
	s_cbranch_execz .LBB10_109
; %bb.107:
	v_and_b32_e32 v40, 1, v57
	s_delay_alu instid0(VALU_DEP_1)
	v_cmp_eq_u32_e32 vcc_lo, 1, v40
	s_and_b32 exec_lo, exec_lo, vcc_lo
	s_cbranch_execz .LBB10_109
; %bb.108:
	v_mov_b32_e32 v50, 0
	s_delay_alu instid0(VALU_DEP_1) | instskip(NEXT) | instid1(VALU_DEP_1)
	v_lshlrev_b64 v[60:61], 3, v[49:50]
	v_add_co_u32 v60, vcc_lo, s2, v60
	s_delay_alu instid0(VALU_DEP_2)
	v_add_co_ci_u32_e32 v61, vcc_lo, s3, v61, vcc_lo
	global_store_b64 v[60:61], v[25:26], off
.LBB10_109:
	s_or_b32 exec_lo, exec_lo, s1
	v_cmp_lt_u32_e32 vcc_lo, v47, v59
	s_or_b32 s9, s22, vcc_lo
	s_delay_alu instid0(SALU_CYCLE_1)
	s_and_saveexec_b32 s1, s9
	s_cbranch_execz .LBB10_112
; %bb.110:
	v_and_b32_e32 v40, 1, v37
	s_delay_alu instid0(VALU_DEP_1)
	v_cmp_eq_u32_e32 vcc_lo, 1, v40
	s_and_b32 exec_lo, exec_lo, vcc_lo
	s_cbranch_execz .LBB10_112
; %bb.111:
	v_mov_b32_e32 v48, 0
	s_delay_alu instid0(VALU_DEP_1) | instskip(NEXT) | instid1(VALU_DEP_1)
	v_lshlrev_b64 v[60:61], 3, v[47:48]
	v_add_co_u32 v60, vcc_lo, s2, v60
	s_delay_alu instid0(VALU_DEP_2)
	v_add_co_ci_u32_e32 v61, vcc_lo, s3, v61, vcc_lo
	global_store_b64 v[60:61], v[27:28], off
.LBB10_112:
	s_or_b32 exec_lo, exec_lo, s1
	v_cmp_lt_u32_e32 vcc_lo, v45, v59
	s_or_b32 s9, s22, vcc_lo
	s_delay_alu instid0(SALU_CYCLE_1)
	s_and_saveexec_b32 s1, s9
	s_cbranch_execz .LBB10_115
; %bb.113:
	v_and_b32_e32 v40, 1, v34
	s_delay_alu instid0(VALU_DEP_1)
	v_cmp_eq_u32_e32 vcc_lo, 1, v40
	s_and_b32 exec_lo, exec_lo, vcc_lo
	s_cbranch_execz .LBB10_115
; %bb.114:
	v_mov_b32_e32 v46, 0
	s_delay_alu instid0(VALU_DEP_1) | instskip(NEXT) | instid1(VALU_DEP_1)
	v_lshlrev_b64 v[60:61], 3, v[45:46]
	v_add_co_u32 v60, vcc_lo, s2, v60
	s_delay_alu instid0(VALU_DEP_2)
	v_add_co_ci_u32_e32 v61, vcc_lo, s3, v61, vcc_lo
	global_store_b64 v[60:61], v[21:22], off
.LBB10_115:
	s_or_b32 exec_lo, exec_lo, s1
	v_cmp_lt_u32_e32 vcc_lo, v43, v59
	s_or_b32 s9, s22, vcc_lo
	s_delay_alu instid0(SALU_CYCLE_1)
	s_and_saveexec_b32 s1, s9
	s_cbranch_execz .LBB10_118
; %bb.116:
	v_and_b32_e32 v40, 1, v38
	s_delay_alu instid0(VALU_DEP_1)
	v_cmp_eq_u32_e32 vcc_lo, 1, v40
	s_and_b32 exec_lo, exec_lo, vcc_lo
	s_cbranch_execz .LBB10_118
; %bb.117:
	v_mov_b32_e32 v44, 0
	s_delay_alu instid0(VALU_DEP_1) | instskip(NEXT) | instid1(VALU_DEP_1)
	v_lshlrev_b64 v[60:61], 3, v[43:44]
	v_add_co_u32 v60, vcc_lo, s2, v60
	s_delay_alu instid0(VALU_DEP_2)
	v_add_co_ci_u32_e32 v61, vcc_lo, s3, v61, vcc_lo
	global_store_b64 v[60:61], v[23:24], off
.LBB10_118:
	s_or_b32 exec_lo, exec_lo, s1
	v_cmp_lt_u32_e32 vcc_lo, v41, v59
	s_or_b32 s9, s22, vcc_lo
	s_delay_alu instid0(SALU_CYCLE_1)
	s_and_saveexec_b32 s1, s9
	s_cbranch_execz .LBB10_121
; %bb.119:
	v_and_b32_e32 v40, 1, v36
	s_delay_alu instid0(VALU_DEP_1)
	v_cmp_eq_u32_e32 vcc_lo, 1, v40
	s_and_b32 exec_lo, exec_lo, vcc_lo
	s_cbranch_execz .LBB10_121
; %bb.120:
	v_mov_b32_e32 v42, 0
	s_delay_alu instid0(VALU_DEP_1) | instskip(NEXT) | instid1(VALU_DEP_1)
	v_lshlrev_b64 v[60:61], 3, v[41:42]
	v_add_co_u32 v60, vcc_lo, s2, v60
	s_delay_alu instid0(VALU_DEP_2)
	v_add_co_ci_u32_e32 v61, vcc_lo, s3, v61, vcc_lo
	global_store_b64 v[60:61], v[17:18], off
.LBB10_121:
	s_or_b32 exec_lo, exec_lo, s1
	v_cmp_lt_u32_e32 vcc_lo, v39, v59
	s_or_b32 s9, s22, vcc_lo
	s_delay_alu instid0(SALU_CYCLE_1)
	s_and_saveexec_b32 s1, s9
	s_cbranch_execz .LBB10_124
; %bb.122:
	v_and_b32_e32 v40, 1, v56
	s_delay_alu instid0(VALU_DEP_1)
	v_cmp_eq_u32_e32 vcc_lo, 1, v40
	s_and_b32 exec_lo, exec_lo, vcc_lo
	s_cbranch_execz .LBB10_124
; %bb.123:
	v_mov_b32_e32 v40, 0
	s_delay_alu instid0(VALU_DEP_1) | instskip(NEXT) | instid1(VALU_DEP_1)
	v_lshlrev_b64 v[60:61], 3, v[39:40]
	v_add_co_u32 v60, vcc_lo, s2, v60
	s_delay_alu instid0(VALU_DEP_2)
	v_add_co_ci_u32_e32 v61, vcc_lo, s3, v61, vcc_lo
	global_store_b64 v[60:61], v[19:20], off
.LBB10_124:
	s_or_b32 exec_lo, exec_lo, s1
	s_mov_b32 s2, 0
.LBB10_125:
	v_and_b32_e32 v33, 1, v33
	s_and_b32 vcc_lo, exec_lo, s2
	s_delay_alu instid0(VALU_DEP_1)
	v_cmp_eq_u32_e64 s1, 1, v33
	s_cbranch_vccz .LBB10_146
; %bb.126:
	s_delay_alu instid0(VALU_DEP_1)
	s_and_saveexec_b32 s2, s1
	s_cbranch_execz .LBB10_128
; %bb.127:
	v_subrev_nc_u32_e32 v40, s8, v53
	s_delay_alu instid0(VALU_DEP_1)
	v_lshlrev_b32_e32 v40, 3, v40
	ds_store_b64 v40, v[29:30]
.LBB10_128:
	s_or_b32 exec_lo, exec_lo, s2
	v_and_b32_e32 v29, 1, v58
	s_mov_b32 s1, exec_lo
	s_delay_alu instid0(VALU_DEP_1)
	v_cmpx_eq_u32_e32 1, v29
	s_cbranch_execz .LBB10_130
; %bb.129:
	v_subrev_nc_u32_e32 v29, s8, v51
	s_delay_alu instid0(VALU_DEP_1)
	v_lshlrev_b32_e32 v29, 3, v29
	ds_store_b64 v29, v[31:32]
.LBB10_130:
	s_or_b32 exec_lo, exec_lo, s1
	v_and_b32_e32 v29, 1, v57
	s_mov_b32 s1, exec_lo
	s_delay_alu instid0(VALU_DEP_1)
	v_cmpx_eq_u32_e32 1, v29
	;; [unrolled: 12-line block ×7, first 2 shown]
	s_cbranch_execz .LBB10_142
; %bb.141:
	v_subrev_nc_u32_e32 v17, s8, v39
	s_delay_alu instid0(VALU_DEP_1)
	v_lshlrev_b32_e32 v17, 3, v17
	ds_store_b64 v17, v[19:20]
.LBB10_142:
	s_or_b32 exec_lo, exec_lo, s1
	s_delay_alu instid0(SALU_CYCLE_1)
	s_mov_b32 s2, exec_lo
	s_waitcnt lgkmcnt(0)
	s_waitcnt_vscnt null, 0x0
	s_barrier
	buffer_gl0_inv
	v_cmpx_lt_u32_e64 v0, v35
	s_cbranch_execz .LBB10_145
; %bb.143:
	s_mov_b32 s9, 0
	s_lshl_b64 s[10:11], s[18:19], 3
	s_lshl_b64 s[12:13], s[8:9], 3
	v_dual_mov_b32 v19, v55 :: v_dual_mov_b32 v20, v0
	s_add_u32 s1, s10, s12
	s_addc_u32 s3, s11, s13
	s_add_u32 s1, s4, s1
	s_addc_u32 s3, s5, s3
	v_add_co_u32 v17, s1, s1, v55
	s_delay_alu instid0(VALU_DEP_1)
	v_add_co_ci_u32_e64 v18, null, s3, 0, s1
	.p2align	6
.LBB10_144:                             ; =>This Inner Loop Header: Depth=1
	ds_load_b64 v[21:22], v19
	v_add_nc_u32_e32 v20, 0x200, v20
	v_add_nc_u32_e32 v19, 0x1000, v19
	s_delay_alu instid0(VALU_DEP_2) | instskip(SKIP_4) | instid1(VALU_DEP_1)
	v_cmp_ge_u32_e32 vcc_lo, v20, v35
	s_or_b32 s9, vcc_lo, s9
	s_waitcnt lgkmcnt(0)
	global_store_b64 v[17:18], v[21:22], off
	v_add_co_u32 v17, s1, 0x1000, v17
	v_add_co_ci_u32_e64 v18, s1, 0, v18, s1
	s_and_not1_b32 exec_lo, exec_lo, s9
	s_cbranch_execnz .LBB10_144
.LBB10_145:
	s_or_b32 exec_lo, exec_lo, s2
.LBB10_146:
	s_delay_alu instid0(SALU_CYCLE_1)
	s_and_b32 vcc_lo, exec_lo, s0
	s_mov_b32 s0, -1
	s_waitcnt lgkmcnt(0)
	s_waitcnt_vscnt null, 0x0
	s_barrier
	buffer_gl0_inv
	s_cbranch_vccz .LBB10_174
; %bb.147:
	v_cmp_lt_u32_e32 vcc_lo, v53, v59
	s_lshl_b64 s[0:1], s[18:19], 3
	s_delay_alu instid0(SALU_CYCLE_1) | instskip(SKIP_2) | instid1(SALU_CYCLE_1)
	s_add_u32 s0, s6, s0
	s_addc_u32 s1, s7, s1
	s_or_b32 s3, s22, vcc_lo
	s_and_saveexec_b32 s2, s3
	s_cbranch_execz .LBB10_150
; %bb.148:
	v_cmp_eq_u32_e32 vcc_lo, 1, v33
	s_and_b32 exec_lo, exec_lo, vcc_lo
	s_cbranch_execz .LBB10_150
; %bb.149:
	v_mov_b32_e32 v54, 0
	s_delay_alu instid0(VALU_DEP_1) | instskip(NEXT) | instid1(VALU_DEP_1)
	v_lshlrev_b64 v[17:18], 3, v[53:54]
	v_add_co_u32 v17, vcc_lo, s0, v17
	s_delay_alu instid0(VALU_DEP_2)
	v_add_co_ci_u32_e32 v18, vcc_lo, s1, v18, vcc_lo
	global_store_b64 v[17:18], v[13:14], off
.LBB10_150:
	s_or_b32 exec_lo, exec_lo, s2
	v_cmp_lt_u32_e32 vcc_lo, v51, v59
	s_or_b32 s3, s22, vcc_lo
	s_delay_alu instid0(SALU_CYCLE_1)
	s_and_saveexec_b32 s2, s3
	s_cbranch_execz .LBB10_153
; %bb.151:
	v_and_b32_e32 v17, 1, v58
	s_delay_alu instid0(VALU_DEP_1)
	v_cmp_eq_u32_e32 vcc_lo, 1, v17
	s_and_b32 exec_lo, exec_lo, vcc_lo
	s_cbranch_execz .LBB10_153
; %bb.152:
	v_mov_b32_e32 v52, 0
	s_delay_alu instid0(VALU_DEP_1) | instskip(NEXT) | instid1(VALU_DEP_1)
	v_lshlrev_b64 v[17:18], 3, v[51:52]
	v_add_co_u32 v17, vcc_lo, s0, v17
	s_delay_alu instid0(VALU_DEP_2)
	v_add_co_ci_u32_e32 v18, vcc_lo, s1, v18, vcc_lo
	global_store_b64 v[17:18], v[15:16], off
.LBB10_153:
	s_or_b32 exec_lo, exec_lo, s2
	v_cmp_lt_u32_e32 vcc_lo, v49, v59
	s_or_b32 s3, s22, vcc_lo
	s_delay_alu instid0(SALU_CYCLE_1)
	s_and_saveexec_b32 s2, s3
	s_cbranch_execz .LBB10_156
; %bb.154:
	v_and_b32_e32 v17, 1, v57
	s_delay_alu instid0(VALU_DEP_1)
	v_cmp_eq_u32_e32 vcc_lo, 1, v17
	s_and_b32 exec_lo, exec_lo, vcc_lo
	s_cbranch_execz .LBB10_156
; %bb.155:
	v_mov_b32_e32 v50, 0
	s_delay_alu instid0(VALU_DEP_1) | instskip(NEXT) | instid1(VALU_DEP_1)
	v_lshlrev_b64 v[17:18], 3, v[49:50]
	v_add_co_u32 v17, vcc_lo, s0, v17
	s_delay_alu instid0(VALU_DEP_2)
	v_add_co_ci_u32_e32 v18, vcc_lo, s1, v18, vcc_lo
	global_store_b64 v[17:18], v[9:10], off
.LBB10_156:
	;; [unrolled: 21-line block ×7, first 2 shown]
	s_or_b32 exec_lo, exec_lo, s2
.LBB10_172:
	v_cmp_eq_u32_e32 vcc_lo, 0, v0
	s_and_b32 s0, vcc_lo, s17
	s_delay_alu instid0(SALU_CYCLE_1)
	s_and_saveexec_b32 s1, s0
	s_cbranch_execz .LBB10_195
.LBB10_173:
	v_add_co_u32 v0, s0, s18, v35
	s_delay_alu instid0(VALU_DEP_1) | instskip(SKIP_1) | instid1(VALU_DEP_3)
	v_add_co_ci_u32_e64 v1, null, s19, 0, s0
	v_mov_b32_e32 v2, 0
	v_add_co_u32 v0, vcc_lo, v0, s8
	s_delay_alu instid0(VALU_DEP_3)
	v_add_co_ci_u32_e32 v1, vcc_lo, 0, v1, vcc_lo
	global_store_b64 v2, v[0:1], s[20:21]
	s_nop 0
	s_sendmsg sendmsg(MSG_DEALLOC_VGPRS)
	s_endpgm
.LBB10_174:
	s_and_b32 vcc_lo, exec_lo, s0
	s_cbranch_vccz .LBB10_172
; %bb.175:
	s_mov_b32 s0, exec_lo
	v_cmpx_eq_u32_e32 1, v33
	s_cbranch_execz .LBB10_177
; %bb.176:
	v_subrev_nc_u32_e32 v17, s8, v53
	s_delay_alu instid0(VALU_DEP_1)
	v_lshlrev_b32_e32 v17, 3, v17
	ds_store_b64 v17, v[13:14]
.LBB10_177:
	s_or_b32 exec_lo, exec_lo, s0
	v_and_b32_e32 v13, 1, v58
	s_mov_b32 s0, exec_lo
	s_delay_alu instid0(VALU_DEP_1)
	v_cmpx_eq_u32_e32 1, v13
	s_cbranch_execz .LBB10_179
; %bb.178:
	v_subrev_nc_u32_e32 v13, s8, v51
	s_delay_alu instid0(VALU_DEP_1)
	v_lshlrev_b32_e32 v13, 3, v13
	ds_store_b64 v13, v[15:16]
.LBB10_179:
	s_or_b32 exec_lo, exec_lo, s0
	v_and_b32_e32 v13, 1, v57
	s_mov_b32 s0, exec_lo
	s_delay_alu instid0(VALU_DEP_1)
	;; [unrolled: 12-line block ×7, first 2 shown]
	v_cmpx_eq_u32_e32 1, v1
	s_cbranch_execz .LBB10_191
; %bb.190:
	v_subrev_nc_u32_e32 v1, s8, v39
	s_delay_alu instid0(VALU_DEP_1)
	v_lshlrev_b32_e32 v1, 3, v1
	ds_store_b64 v1, v[3:4]
.LBB10_191:
	s_or_b32 exec_lo, exec_lo, s0
	s_delay_alu instid0(SALU_CYCLE_1)
	s_mov_b32 s1, exec_lo
	s_waitcnt lgkmcnt(0)
	s_waitcnt_vscnt null, 0x0
	s_barrier
	buffer_gl0_inv
	v_cmpx_lt_u32_e64 v0, v35
	s_cbranch_execz .LBB10_194
; %bb.192:
	s_mov_b32 s9, 0
	s_lshl_b64 s[2:3], s[18:19], 3
	s_lshl_b64 s[4:5], s[8:9], 3
	v_mov_b32_e32 v3, v0
	s_add_u32 s0, s2, s4
	s_addc_u32 s2, s3, s5
	s_add_u32 s0, s6, s0
	s_addc_u32 s2, s7, s2
	v_add_co_u32 v1, s0, s0, v55
	s_delay_alu instid0(VALU_DEP_1)
	v_add_co_ci_u32_e64 v2, null, s2, 0, s0
	.p2align	6
.LBB10_193:                             ; =>This Inner Loop Header: Depth=1
	ds_load_b64 v[4:5], v55
	v_add_nc_u32_e32 v3, 0x200, v3
	v_add_nc_u32_e32 v55, 0x1000, v55
	s_delay_alu instid0(VALU_DEP_2) | instskip(SKIP_4) | instid1(VALU_DEP_1)
	v_cmp_ge_u32_e32 vcc_lo, v3, v35
	s_or_b32 s9, vcc_lo, s9
	s_waitcnt lgkmcnt(0)
	global_store_b64 v[1:2], v[4:5], off
	v_add_co_u32 v1, s0, 0x1000, v1
	v_add_co_ci_u32_e64 v2, s0, 0, v2, s0
	s_and_not1_b32 exec_lo, exec_lo, s9
	s_cbranch_execnz .LBB10_193
.LBB10_194:
	s_or_b32 exec_lo, exec_lo, s1
	v_cmp_eq_u32_e32 vcc_lo, 0, v0
	s_and_b32 s0, vcc_lo, s17
	s_delay_alu instid0(SALU_CYCLE_1)
	s_and_saveexec_b32 s1, s0
	s_cbranch_execnz .LBB10_173
.LBB10_195:
	s_nop 0
	s_sendmsg sendmsg(MSG_DEALLOC_VGPRS)
	s_endpgm
	.section	.rodata,"a",@progbits
	.p2align	6, 0x0
	.amdhsa_kernel _ZN7rocprim17ROCPRIM_400000_NS6detail17trampoline_kernelINS0_14default_configENS1_25partition_config_selectorILNS1_17partition_subalgoE9EddbEEZZNS1_14partition_implILS5_9ELb0ES3_jN6thrust23THRUST_200600_302600_NS6detail15normal_iteratorINS9_10device_ptrIdEEEESE_PNS0_10empty_typeENS0_5tupleIJSE_SF_EEENSH_IJSE_SG_EEENS0_18inequality_wrapperINS9_8equal_toIdEEEEPmJSF_EEE10hipError_tPvRmT3_T4_T5_T6_T7_T9_mT8_P12ihipStream_tbDpT10_ENKUlT_T0_E_clISt17integral_constantIbLb0EES18_EEDaS13_S14_EUlS13_E_NS1_11comp_targetILNS1_3genE9ELNS1_11target_archE1100ELNS1_3gpuE3ELNS1_3repE0EEENS1_30default_config_static_selectorELNS0_4arch9wavefront6targetE0EEEvT1_
		.amdhsa_group_segment_fixed_size 33800
		.amdhsa_private_segment_fixed_size 0
		.amdhsa_kernarg_size 112
		.amdhsa_user_sgpr_count 15
		.amdhsa_user_sgpr_dispatch_ptr 0
		.amdhsa_user_sgpr_queue_ptr 0
		.amdhsa_user_sgpr_kernarg_segment_ptr 1
		.amdhsa_user_sgpr_dispatch_id 0
		.amdhsa_user_sgpr_private_segment_size 0
		.amdhsa_wavefront_size32 1
		.amdhsa_uses_dynamic_stack 0
		.amdhsa_enable_private_segment 0
		.amdhsa_system_sgpr_workgroup_id_x 1
		.amdhsa_system_sgpr_workgroup_id_y 0
		.amdhsa_system_sgpr_workgroup_id_z 0
		.amdhsa_system_sgpr_workgroup_info 0
		.amdhsa_system_vgpr_workitem_id 0
		.amdhsa_next_free_vgpr 68
		.amdhsa_next_free_sgpr 26
		.amdhsa_reserve_vcc 1
		.amdhsa_float_round_mode_32 0
		.amdhsa_float_round_mode_16_64 0
		.amdhsa_float_denorm_mode_32 3
		.amdhsa_float_denorm_mode_16_64 3
		.amdhsa_dx10_clamp 1
		.amdhsa_ieee_mode 1
		.amdhsa_fp16_overflow 0
		.amdhsa_workgroup_processor_mode 1
		.amdhsa_memory_ordered 1
		.amdhsa_forward_progress 0
		.amdhsa_shared_vgpr_count 0
		.amdhsa_exception_fp_ieee_invalid_op 0
		.amdhsa_exception_fp_denorm_src 0
		.amdhsa_exception_fp_ieee_div_zero 0
		.amdhsa_exception_fp_ieee_overflow 0
		.amdhsa_exception_fp_ieee_underflow 0
		.amdhsa_exception_fp_ieee_inexact 0
		.amdhsa_exception_int_div_zero 0
	.end_amdhsa_kernel
	.section	.text._ZN7rocprim17ROCPRIM_400000_NS6detail17trampoline_kernelINS0_14default_configENS1_25partition_config_selectorILNS1_17partition_subalgoE9EddbEEZZNS1_14partition_implILS5_9ELb0ES3_jN6thrust23THRUST_200600_302600_NS6detail15normal_iteratorINS9_10device_ptrIdEEEESE_PNS0_10empty_typeENS0_5tupleIJSE_SF_EEENSH_IJSE_SG_EEENS0_18inequality_wrapperINS9_8equal_toIdEEEEPmJSF_EEE10hipError_tPvRmT3_T4_T5_T6_T7_T9_mT8_P12ihipStream_tbDpT10_ENKUlT_T0_E_clISt17integral_constantIbLb0EES18_EEDaS13_S14_EUlS13_E_NS1_11comp_targetILNS1_3genE9ELNS1_11target_archE1100ELNS1_3gpuE3ELNS1_3repE0EEENS1_30default_config_static_selectorELNS0_4arch9wavefront6targetE0EEEvT1_,"axG",@progbits,_ZN7rocprim17ROCPRIM_400000_NS6detail17trampoline_kernelINS0_14default_configENS1_25partition_config_selectorILNS1_17partition_subalgoE9EddbEEZZNS1_14partition_implILS5_9ELb0ES3_jN6thrust23THRUST_200600_302600_NS6detail15normal_iteratorINS9_10device_ptrIdEEEESE_PNS0_10empty_typeENS0_5tupleIJSE_SF_EEENSH_IJSE_SG_EEENS0_18inequality_wrapperINS9_8equal_toIdEEEEPmJSF_EEE10hipError_tPvRmT3_T4_T5_T6_T7_T9_mT8_P12ihipStream_tbDpT10_ENKUlT_T0_E_clISt17integral_constantIbLb0EES18_EEDaS13_S14_EUlS13_E_NS1_11comp_targetILNS1_3genE9ELNS1_11target_archE1100ELNS1_3gpuE3ELNS1_3repE0EEENS1_30default_config_static_selectorELNS0_4arch9wavefront6targetE0EEEvT1_,comdat
.Lfunc_end10:
	.size	_ZN7rocprim17ROCPRIM_400000_NS6detail17trampoline_kernelINS0_14default_configENS1_25partition_config_selectorILNS1_17partition_subalgoE9EddbEEZZNS1_14partition_implILS5_9ELb0ES3_jN6thrust23THRUST_200600_302600_NS6detail15normal_iteratorINS9_10device_ptrIdEEEESE_PNS0_10empty_typeENS0_5tupleIJSE_SF_EEENSH_IJSE_SG_EEENS0_18inequality_wrapperINS9_8equal_toIdEEEEPmJSF_EEE10hipError_tPvRmT3_T4_T5_T6_T7_T9_mT8_P12ihipStream_tbDpT10_ENKUlT_T0_E_clISt17integral_constantIbLb0EES18_EEDaS13_S14_EUlS13_E_NS1_11comp_targetILNS1_3genE9ELNS1_11target_archE1100ELNS1_3gpuE3ELNS1_3repE0EEENS1_30default_config_static_selectorELNS0_4arch9wavefront6targetE0EEEvT1_, .Lfunc_end10-_ZN7rocprim17ROCPRIM_400000_NS6detail17trampoline_kernelINS0_14default_configENS1_25partition_config_selectorILNS1_17partition_subalgoE9EddbEEZZNS1_14partition_implILS5_9ELb0ES3_jN6thrust23THRUST_200600_302600_NS6detail15normal_iteratorINS9_10device_ptrIdEEEESE_PNS0_10empty_typeENS0_5tupleIJSE_SF_EEENSH_IJSE_SG_EEENS0_18inequality_wrapperINS9_8equal_toIdEEEEPmJSF_EEE10hipError_tPvRmT3_T4_T5_T6_T7_T9_mT8_P12ihipStream_tbDpT10_ENKUlT_T0_E_clISt17integral_constantIbLb0EES18_EEDaS13_S14_EUlS13_E_NS1_11comp_targetILNS1_3genE9ELNS1_11target_archE1100ELNS1_3gpuE3ELNS1_3repE0EEENS1_30default_config_static_selectorELNS0_4arch9wavefront6targetE0EEEvT1_
                                        ; -- End function
	.section	.AMDGPU.csdata,"",@progbits
; Kernel info:
; codeLenInByte = 9364
; NumSgprs: 28
; NumVgprs: 68
; ScratchSize: 0
; MemoryBound: 0
; FloatMode: 240
; IeeeMode: 1
; LDSByteSize: 33800 bytes/workgroup (compile time only)
; SGPRBlocks: 3
; VGPRBlocks: 8
; NumSGPRsForWavesPerEU: 28
; NumVGPRsForWavesPerEU: 68
; Occupancy: 12
; WaveLimiterHint : 1
; COMPUTE_PGM_RSRC2:SCRATCH_EN: 0
; COMPUTE_PGM_RSRC2:USER_SGPR: 15
; COMPUTE_PGM_RSRC2:TRAP_HANDLER: 0
; COMPUTE_PGM_RSRC2:TGID_X_EN: 1
; COMPUTE_PGM_RSRC2:TGID_Y_EN: 0
; COMPUTE_PGM_RSRC2:TGID_Z_EN: 0
; COMPUTE_PGM_RSRC2:TIDIG_COMP_CNT: 0
	.section	.text._ZN7rocprim17ROCPRIM_400000_NS6detail17trampoline_kernelINS0_14default_configENS1_25partition_config_selectorILNS1_17partition_subalgoE9EddbEEZZNS1_14partition_implILS5_9ELb0ES3_jN6thrust23THRUST_200600_302600_NS6detail15normal_iteratorINS9_10device_ptrIdEEEESE_PNS0_10empty_typeENS0_5tupleIJSE_SF_EEENSH_IJSE_SG_EEENS0_18inequality_wrapperINS9_8equal_toIdEEEEPmJSF_EEE10hipError_tPvRmT3_T4_T5_T6_T7_T9_mT8_P12ihipStream_tbDpT10_ENKUlT_T0_E_clISt17integral_constantIbLb0EES18_EEDaS13_S14_EUlS13_E_NS1_11comp_targetILNS1_3genE8ELNS1_11target_archE1030ELNS1_3gpuE2ELNS1_3repE0EEENS1_30default_config_static_selectorELNS0_4arch9wavefront6targetE0EEEvT1_,"axG",@progbits,_ZN7rocprim17ROCPRIM_400000_NS6detail17trampoline_kernelINS0_14default_configENS1_25partition_config_selectorILNS1_17partition_subalgoE9EddbEEZZNS1_14partition_implILS5_9ELb0ES3_jN6thrust23THRUST_200600_302600_NS6detail15normal_iteratorINS9_10device_ptrIdEEEESE_PNS0_10empty_typeENS0_5tupleIJSE_SF_EEENSH_IJSE_SG_EEENS0_18inequality_wrapperINS9_8equal_toIdEEEEPmJSF_EEE10hipError_tPvRmT3_T4_T5_T6_T7_T9_mT8_P12ihipStream_tbDpT10_ENKUlT_T0_E_clISt17integral_constantIbLb0EES18_EEDaS13_S14_EUlS13_E_NS1_11comp_targetILNS1_3genE8ELNS1_11target_archE1030ELNS1_3gpuE2ELNS1_3repE0EEENS1_30default_config_static_selectorELNS0_4arch9wavefront6targetE0EEEvT1_,comdat
	.protected	_ZN7rocprim17ROCPRIM_400000_NS6detail17trampoline_kernelINS0_14default_configENS1_25partition_config_selectorILNS1_17partition_subalgoE9EddbEEZZNS1_14partition_implILS5_9ELb0ES3_jN6thrust23THRUST_200600_302600_NS6detail15normal_iteratorINS9_10device_ptrIdEEEESE_PNS0_10empty_typeENS0_5tupleIJSE_SF_EEENSH_IJSE_SG_EEENS0_18inequality_wrapperINS9_8equal_toIdEEEEPmJSF_EEE10hipError_tPvRmT3_T4_T5_T6_T7_T9_mT8_P12ihipStream_tbDpT10_ENKUlT_T0_E_clISt17integral_constantIbLb0EES18_EEDaS13_S14_EUlS13_E_NS1_11comp_targetILNS1_3genE8ELNS1_11target_archE1030ELNS1_3gpuE2ELNS1_3repE0EEENS1_30default_config_static_selectorELNS0_4arch9wavefront6targetE0EEEvT1_ ; -- Begin function _ZN7rocprim17ROCPRIM_400000_NS6detail17trampoline_kernelINS0_14default_configENS1_25partition_config_selectorILNS1_17partition_subalgoE9EddbEEZZNS1_14partition_implILS5_9ELb0ES3_jN6thrust23THRUST_200600_302600_NS6detail15normal_iteratorINS9_10device_ptrIdEEEESE_PNS0_10empty_typeENS0_5tupleIJSE_SF_EEENSH_IJSE_SG_EEENS0_18inequality_wrapperINS9_8equal_toIdEEEEPmJSF_EEE10hipError_tPvRmT3_T4_T5_T6_T7_T9_mT8_P12ihipStream_tbDpT10_ENKUlT_T0_E_clISt17integral_constantIbLb0EES18_EEDaS13_S14_EUlS13_E_NS1_11comp_targetILNS1_3genE8ELNS1_11target_archE1030ELNS1_3gpuE2ELNS1_3repE0EEENS1_30default_config_static_selectorELNS0_4arch9wavefront6targetE0EEEvT1_
	.globl	_ZN7rocprim17ROCPRIM_400000_NS6detail17trampoline_kernelINS0_14default_configENS1_25partition_config_selectorILNS1_17partition_subalgoE9EddbEEZZNS1_14partition_implILS5_9ELb0ES3_jN6thrust23THRUST_200600_302600_NS6detail15normal_iteratorINS9_10device_ptrIdEEEESE_PNS0_10empty_typeENS0_5tupleIJSE_SF_EEENSH_IJSE_SG_EEENS0_18inequality_wrapperINS9_8equal_toIdEEEEPmJSF_EEE10hipError_tPvRmT3_T4_T5_T6_T7_T9_mT8_P12ihipStream_tbDpT10_ENKUlT_T0_E_clISt17integral_constantIbLb0EES18_EEDaS13_S14_EUlS13_E_NS1_11comp_targetILNS1_3genE8ELNS1_11target_archE1030ELNS1_3gpuE2ELNS1_3repE0EEENS1_30default_config_static_selectorELNS0_4arch9wavefront6targetE0EEEvT1_
	.p2align	8
	.type	_ZN7rocprim17ROCPRIM_400000_NS6detail17trampoline_kernelINS0_14default_configENS1_25partition_config_selectorILNS1_17partition_subalgoE9EddbEEZZNS1_14partition_implILS5_9ELb0ES3_jN6thrust23THRUST_200600_302600_NS6detail15normal_iteratorINS9_10device_ptrIdEEEESE_PNS0_10empty_typeENS0_5tupleIJSE_SF_EEENSH_IJSE_SG_EEENS0_18inequality_wrapperINS9_8equal_toIdEEEEPmJSF_EEE10hipError_tPvRmT3_T4_T5_T6_T7_T9_mT8_P12ihipStream_tbDpT10_ENKUlT_T0_E_clISt17integral_constantIbLb0EES18_EEDaS13_S14_EUlS13_E_NS1_11comp_targetILNS1_3genE8ELNS1_11target_archE1030ELNS1_3gpuE2ELNS1_3repE0EEENS1_30default_config_static_selectorELNS0_4arch9wavefront6targetE0EEEvT1_,@function
_ZN7rocprim17ROCPRIM_400000_NS6detail17trampoline_kernelINS0_14default_configENS1_25partition_config_selectorILNS1_17partition_subalgoE9EddbEEZZNS1_14partition_implILS5_9ELb0ES3_jN6thrust23THRUST_200600_302600_NS6detail15normal_iteratorINS9_10device_ptrIdEEEESE_PNS0_10empty_typeENS0_5tupleIJSE_SF_EEENSH_IJSE_SG_EEENS0_18inequality_wrapperINS9_8equal_toIdEEEEPmJSF_EEE10hipError_tPvRmT3_T4_T5_T6_T7_T9_mT8_P12ihipStream_tbDpT10_ENKUlT_T0_E_clISt17integral_constantIbLb0EES18_EEDaS13_S14_EUlS13_E_NS1_11comp_targetILNS1_3genE8ELNS1_11target_archE1030ELNS1_3gpuE2ELNS1_3repE0EEENS1_30default_config_static_selectorELNS0_4arch9wavefront6targetE0EEEvT1_: ; @_ZN7rocprim17ROCPRIM_400000_NS6detail17trampoline_kernelINS0_14default_configENS1_25partition_config_selectorILNS1_17partition_subalgoE9EddbEEZZNS1_14partition_implILS5_9ELb0ES3_jN6thrust23THRUST_200600_302600_NS6detail15normal_iteratorINS9_10device_ptrIdEEEESE_PNS0_10empty_typeENS0_5tupleIJSE_SF_EEENSH_IJSE_SG_EEENS0_18inequality_wrapperINS9_8equal_toIdEEEEPmJSF_EEE10hipError_tPvRmT3_T4_T5_T6_T7_T9_mT8_P12ihipStream_tbDpT10_ENKUlT_T0_E_clISt17integral_constantIbLb0EES18_EEDaS13_S14_EUlS13_E_NS1_11comp_targetILNS1_3genE8ELNS1_11target_archE1030ELNS1_3gpuE2ELNS1_3repE0EEENS1_30default_config_static_selectorELNS0_4arch9wavefront6targetE0EEEvT1_
; %bb.0:
	.section	.rodata,"a",@progbits
	.p2align	6, 0x0
	.amdhsa_kernel _ZN7rocprim17ROCPRIM_400000_NS6detail17trampoline_kernelINS0_14default_configENS1_25partition_config_selectorILNS1_17partition_subalgoE9EddbEEZZNS1_14partition_implILS5_9ELb0ES3_jN6thrust23THRUST_200600_302600_NS6detail15normal_iteratorINS9_10device_ptrIdEEEESE_PNS0_10empty_typeENS0_5tupleIJSE_SF_EEENSH_IJSE_SG_EEENS0_18inequality_wrapperINS9_8equal_toIdEEEEPmJSF_EEE10hipError_tPvRmT3_T4_T5_T6_T7_T9_mT8_P12ihipStream_tbDpT10_ENKUlT_T0_E_clISt17integral_constantIbLb0EES18_EEDaS13_S14_EUlS13_E_NS1_11comp_targetILNS1_3genE8ELNS1_11target_archE1030ELNS1_3gpuE2ELNS1_3repE0EEENS1_30default_config_static_selectorELNS0_4arch9wavefront6targetE0EEEvT1_
		.amdhsa_group_segment_fixed_size 0
		.amdhsa_private_segment_fixed_size 0
		.amdhsa_kernarg_size 112
		.amdhsa_user_sgpr_count 15
		.amdhsa_user_sgpr_dispatch_ptr 0
		.amdhsa_user_sgpr_queue_ptr 0
		.amdhsa_user_sgpr_kernarg_segment_ptr 1
		.amdhsa_user_sgpr_dispatch_id 0
		.amdhsa_user_sgpr_private_segment_size 0
		.amdhsa_wavefront_size32 1
		.amdhsa_uses_dynamic_stack 0
		.amdhsa_enable_private_segment 0
		.amdhsa_system_sgpr_workgroup_id_x 1
		.amdhsa_system_sgpr_workgroup_id_y 0
		.amdhsa_system_sgpr_workgroup_id_z 0
		.amdhsa_system_sgpr_workgroup_info 0
		.amdhsa_system_vgpr_workitem_id 0
		.amdhsa_next_free_vgpr 1
		.amdhsa_next_free_sgpr 1
		.amdhsa_reserve_vcc 0
		.amdhsa_float_round_mode_32 0
		.amdhsa_float_round_mode_16_64 0
		.amdhsa_float_denorm_mode_32 3
		.amdhsa_float_denorm_mode_16_64 3
		.amdhsa_dx10_clamp 1
		.amdhsa_ieee_mode 1
		.amdhsa_fp16_overflow 0
		.amdhsa_workgroup_processor_mode 1
		.amdhsa_memory_ordered 1
		.amdhsa_forward_progress 0
		.amdhsa_shared_vgpr_count 0
		.amdhsa_exception_fp_ieee_invalid_op 0
		.amdhsa_exception_fp_denorm_src 0
		.amdhsa_exception_fp_ieee_div_zero 0
		.amdhsa_exception_fp_ieee_overflow 0
		.amdhsa_exception_fp_ieee_underflow 0
		.amdhsa_exception_fp_ieee_inexact 0
		.amdhsa_exception_int_div_zero 0
	.end_amdhsa_kernel
	.section	.text._ZN7rocprim17ROCPRIM_400000_NS6detail17trampoline_kernelINS0_14default_configENS1_25partition_config_selectorILNS1_17partition_subalgoE9EddbEEZZNS1_14partition_implILS5_9ELb0ES3_jN6thrust23THRUST_200600_302600_NS6detail15normal_iteratorINS9_10device_ptrIdEEEESE_PNS0_10empty_typeENS0_5tupleIJSE_SF_EEENSH_IJSE_SG_EEENS0_18inequality_wrapperINS9_8equal_toIdEEEEPmJSF_EEE10hipError_tPvRmT3_T4_T5_T6_T7_T9_mT8_P12ihipStream_tbDpT10_ENKUlT_T0_E_clISt17integral_constantIbLb0EES18_EEDaS13_S14_EUlS13_E_NS1_11comp_targetILNS1_3genE8ELNS1_11target_archE1030ELNS1_3gpuE2ELNS1_3repE0EEENS1_30default_config_static_selectorELNS0_4arch9wavefront6targetE0EEEvT1_,"axG",@progbits,_ZN7rocprim17ROCPRIM_400000_NS6detail17trampoline_kernelINS0_14default_configENS1_25partition_config_selectorILNS1_17partition_subalgoE9EddbEEZZNS1_14partition_implILS5_9ELb0ES3_jN6thrust23THRUST_200600_302600_NS6detail15normal_iteratorINS9_10device_ptrIdEEEESE_PNS0_10empty_typeENS0_5tupleIJSE_SF_EEENSH_IJSE_SG_EEENS0_18inequality_wrapperINS9_8equal_toIdEEEEPmJSF_EEE10hipError_tPvRmT3_T4_T5_T6_T7_T9_mT8_P12ihipStream_tbDpT10_ENKUlT_T0_E_clISt17integral_constantIbLb0EES18_EEDaS13_S14_EUlS13_E_NS1_11comp_targetILNS1_3genE8ELNS1_11target_archE1030ELNS1_3gpuE2ELNS1_3repE0EEENS1_30default_config_static_selectorELNS0_4arch9wavefront6targetE0EEEvT1_,comdat
.Lfunc_end11:
	.size	_ZN7rocprim17ROCPRIM_400000_NS6detail17trampoline_kernelINS0_14default_configENS1_25partition_config_selectorILNS1_17partition_subalgoE9EddbEEZZNS1_14partition_implILS5_9ELb0ES3_jN6thrust23THRUST_200600_302600_NS6detail15normal_iteratorINS9_10device_ptrIdEEEESE_PNS0_10empty_typeENS0_5tupleIJSE_SF_EEENSH_IJSE_SG_EEENS0_18inequality_wrapperINS9_8equal_toIdEEEEPmJSF_EEE10hipError_tPvRmT3_T4_T5_T6_T7_T9_mT8_P12ihipStream_tbDpT10_ENKUlT_T0_E_clISt17integral_constantIbLb0EES18_EEDaS13_S14_EUlS13_E_NS1_11comp_targetILNS1_3genE8ELNS1_11target_archE1030ELNS1_3gpuE2ELNS1_3repE0EEENS1_30default_config_static_selectorELNS0_4arch9wavefront6targetE0EEEvT1_, .Lfunc_end11-_ZN7rocprim17ROCPRIM_400000_NS6detail17trampoline_kernelINS0_14default_configENS1_25partition_config_selectorILNS1_17partition_subalgoE9EddbEEZZNS1_14partition_implILS5_9ELb0ES3_jN6thrust23THRUST_200600_302600_NS6detail15normal_iteratorINS9_10device_ptrIdEEEESE_PNS0_10empty_typeENS0_5tupleIJSE_SF_EEENSH_IJSE_SG_EEENS0_18inequality_wrapperINS9_8equal_toIdEEEEPmJSF_EEE10hipError_tPvRmT3_T4_T5_T6_T7_T9_mT8_P12ihipStream_tbDpT10_ENKUlT_T0_E_clISt17integral_constantIbLb0EES18_EEDaS13_S14_EUlS13_E_NS1_11comp_targetILNS1_3genE8ELNS1_11target_archE1030ELNS1_3gpuE2ELNS1_3repE0EEENS1_30default_config_static_selectorELNS0_4arch9wavefront6targetE0EEEvT1_
                                        ; -- End function
	.section	.AMDGPU.csdata,"",@progbits
; Kernel info:
; codeLenInByte = 0
; NumSgprs: 0
; NumVgprs: 0
; ScratchSize: 0
; MemoryBound: 0
; FloatMode: 240
; IeeeMode: 1
; LDSByteSize: 0 bytes/workgroup (compile time only)
; SGPRBlocks: 0
; VGPRBlocks: 0
; NumSGPRsForWavesPerEU: 1
; NumVGPRsForWavesPerEU: 1
; Occupancy: 16
; WaveLimiterHint : 0
; COMPUTE_PGM_RSRC2:SCRATCH_EN: 0
; COMPUTE_PGM_RSRC2:USER_SGPR: 15
; COMPUTE_PGM_RSRC2:TRAP_HANDLER: 0
; COMPUTE_PGM_RSRC2:TGID_X_EN: 1
; COMPUTE_PGM_RSRC2:TGID_Y_EN: 0
; COMPUTE_PGM_RSRC2:TGID_Z_EN: 0
; COMPUTE_PGM_RSRC2:TIDIG_COMP_CNT: 0
	.section	.text._ZN7rocprim17ROCPRIM_400000_NS6detail17trampoline_kernelINS0_14default_configENS1_25transform_config_selectorImLb1EEEZNS1_14transform_implILb1ES3_S5_PmS7_NS0_8identityIvEEEE10hipError_tT2_T3_mT4_P12ihipStream_tbEUlT_E_NS1_11comp_targetILNS1_3genE0ELNS1_11target_archE4294967295ELNS1_3gpuE0ELNS1_3repE0EEENS1_30default_config_static_selectorELNS0_4arch9wavefront6targetE0EEEvT1_,"axG",@progbits,_ZN7rocprim17ROCPRIM_400000_NS6detail17trampoline_kernelINS0_14default_configENS1_25transform_config_selectorImLb1EEEZNS1_14transform_implILb1ES3_S5_PmS7_NS0_8identityIvEEEE10hipError_tT2_T3_mT4_P12ihipStream_tbEUlT_E_NS1_11comp_targetILNS1_3genE0ELNS1_11target_archE4294967295ELNS1_3gpuE0ELNS1_3repE0EEENS1_30default_config_static_selectorELNS0_4arch9wavefront6targetE0EEEvT1_,comdat
	.protected	_ZN7rocprim17ROCPRIM_400000_NS6detail17trampoline_kernelINS0_14default_configENS1_25transform_config_selectorImLb1EEEZNS1_14transform_implILb1ES3_S5_PmS7_NS0_8identityIvEEEE10hipError_tT2_T3_mT4_P12ihipStream_tbEUlT_E_NS1_11comp_targetILNS1_3genE0ELNS1_11target_archE4294967295ELNS1_3gpuE0ELNS1_3repE0EEENS1_30default_config_static_selectorELNS0_4arch9wavefront6targetE0EEEvT1_ ; -- Begin function _ZN7rocprim17ROCPRIM_400000_NS6detail17trampoline_kernelINS0_14default_configENS1_25transform_config_selectorImLb1EEEZNS1_14transform_implILb1ES3_S5_PmS7_NS0_8identityIvEEEE10hipError_tT2_T3_mT4_P12ihipStream_tbEUlT_E_NS1_11comp_targetILNS1_3genE0ELNS1_11target_archE4294967295ELNS1_3gpuE0ELNS1_3repE0EEENS1_30default_config_static_selectorELNS0_4arch9wavefront6targetE0EEEvT1_
	.globl	_ZN7rocprim17ROCPRIM_400000_NS6detail17trampoline_kernelINS0_14default_configENS1_25transform_config_selectorImLb1EEEZNS1_14transform_implILb1ES3_S5_PmS7_NS0_8identityIvEEEE10hipError_tT2_T3_mT4_P12ihipStream_tbEUlT_E_NS1_11comp_targetILNS1_3genE0ELNS1_11target_archE4294967295ELNS1_3gpuE0ELNS1_3repE0EEENS1_30default_config_static_selectorELNS0_4arch9wavefront6targetE0EEEvT1_
	.p2align	8
	.type	_ZN7rocprim17ROCPRIM_400000_NS6detail17trampoline_kernelINS0_14default_configENS1_25transform_config_selectorImLb1EEEZNS1_14transform_implILb1ES3_S5_PmS7_NS0_8identityIvEEEE10hipError_tT2_T3_mT4_P12ihipStream_tbEUlT_E_NS1_11comp_targetILNS1_3genE0ELNS1_11target_archE4294967295ELNS1_3gpuE0ELNS1_3repE0EEENS1_30default_config_static_selectorELNS0_4arch9wavefront6targetE0EEEvT1_,@function
_ZN7rocprim17ROCPRIM_400000_NS6detail17trampoline_kernelINS0_14default_configENS1_25transform_config_selectorImLb1EEEZNS1_14transform_implILb1ES3_S5_PmS7_NS0_8identityIvEEEE10hipError_tT2_T3_mT4_P12ihipStream_tbEUlT_E_NS1_11comp_targetILNS1_3genE0ELNS1_11target_archE4294967295ELNS1_3gpuE0ELNS1_3repE0EEENS1_30default_config_static_selectorELNS0_4arch9wavefront6targetE0EEEvT1_: ; @_ZN7rocprim17ROCPRIM_400000_NS6detail17trampoline_kernelINS0_14default_configENS1_25transform_config_selectorImLb1EEEZNS1_14transform_implILb1ES3_S5_PmS7_NS0_8identityIvEEEE10hipError_tT2_T3_mT4_P12ihipStream_tbEUlT_E_NS1_11comp_targetILNS1_3genE0ELNS1_11target_archE4294967295ELNS1_3gpuE0ELNS1_3repE0EEENS1_30default_config_static_selectorELNS0_4arch9wavefront6targetE0EEEvT1_
; %bb.0:
	.section	.rodata,"a",@progbits
	.p2align	6, 0x0
	.amdhsa_kernel _ZN7rocprim17ROCPRIM_400000_NS6detail17trampoline_kernelINS0_14default_configENS1_25transform_config_selectorImLb1EEEZNS1_14transform_implILb1ES3_S5_PmS7_NS0_8identityIvEEEE10hipError_tT2_T3_mT4_P12ihipStream_tbEUlT_E_NS1_11comp_targetILNS1_3genE0ELNS1_11target_archE4294967295ELNS1_3gpuE0ELNS1_3repE0EEENS1_30default_config_static_selectorELNS0_4arch9wavefront6targetE0EEEvT1_
		.amdhsa_group_segment_fixed_size 0
		.amdhsa_private_segment_fixed_size 0
		.amdhsa_kernarg_size 40
		.amdhsa_user_sgpr_count 15
		.amdhsa_user_sgpr_dispatch_ptr 0
		.amdhsa_user_sgpr_queue_ptr 0
		.amdhsa_user_sgpr_kernarg_segment_ptr 1
		.amdhsa_user_sgpr_dispatch_id 0
		.amdhsa_user_sgpr_private_segment_size 0
		.amdhsa_wavefront_size32 1
		.amdhsa_uses_dynamic_stack 0
		.amdhsa_enable_private_segment 0
		.amdhsa_system_sgpr_workgroup_id_x 1
		.amdhsa_system_sgpr_workgroup_id_y 0
		.amdhsa_system_sgpr_workgroup_id_z 0
		.amdhsa_system_sgpr_workgroup_info 0
		.amdhsa_system_vgpr_workitem_id 0
		.amdhsa_next_free_vgpr 1
		.amdhsa_next_free_sgpr 1
		.amdhsa_reserve_vcc 0
		.amdhsa_float_round_mode_32 0
		.amdhsa_float_round_mode_16_64 0
		.amdhsa_float_denorm_mode_32 3
		.amdhsa_float_denorm_mode_16_64 3
		.amdhsa_dx10_clamp 1
		.amdhsa_ieee_mode 1
		.amdhsa_fp16_overflow 0
		.amdhsa_workgroup_processor_mode 1
		.amdhsa_memory_ordered 1
		.amdhsa_forward_progress 0
		.amdhsa_shared_vgpr_count 0
		.amdhsa_exception_fp_ieee_invalid_op 0
		.amdhsa_exception_fp_denorm_src 0
		.amdhsa_exception_fp_ieee_div_zero 0
		.amdhsa_exception_fp_ieee_overflow 0
		.amdhsa_exception_fp_ieee_underflow 0
		.amdhsa_exception_fp_ieee_inexact 0
		.amdhsa_exception_int_div_zero 0
	.end_amdhsa_kernel
	.section	.text._ZN7rocprim17ROCPRIM_400000_NS6detail17trampoline_kernelINS0_14default_configENS1_25transform_config_selectorImLb1EEEZNS1_14transform_implILb1ES3_S5_PmS7_NS0_8identityIvEEEE10hipError_tT2_T3_mT4_P12ihipStream_tbEUlT_E_NS1_11comp_targetILNS1_3genE0ELNS1_11target_archE4294967295ELNS1_3gpuE0ELNS1_3repE0EEENS1_30default_config_static_selectorELNS0_4arch9wavefront6targetE0EEEvT1_,"axG",@progbits,_ZN7rocprim17ROCPRIM_400000_NS6detail17trampoline_kernelINS0_14default_configENS1_25transform_config_selectorImLb1EEEZNS1_14transform_implILb1ES3_S5_PmS7_NS0_8identityIvEEEE10hipError_tT2_T3_mT4_P12ihipStream_tbEUlT_E_NS1_11comp_targetILNS1_3genE0ELNS1_11target_archE4294967295ELNS1_3gpuE0ELNS1_3repE0EEENS1_30default_config_static_selectorELNS0_4arch9wavefront6targetE0EEEvT1_,comdat
.Lfunc_end12:
	.size	_ZN7rocprim17ROCPRIM_400000_NS6detail17trampoline_kernelINS0_14default_configENS1_25transform_config_selectorImLb1EEEZNS1_14transform_implILb1ES3_S5_PmS7_NS0_8identityIvEEEE10hipError_tT2_T3_mT4_P12ihipStream_tbEUlT_E_NS1_11comp_targetILNS1_3genE0ELNS1_11target_archE4294967295ELNS1_3gpuE0ELNS1_3repE0EEENS1_30default_config_static_selectorELNS0_4arch9wavefront6targetE0EEEvT1_, .Lfunc_end12-_ZN7rocprim17ROCPRIM_400000_NS6detail17trampoline_kernelINS0_14default_configENS1_25transform_config_selectorImLb1EEEZNS1_14transform_implILb1ES3_S5_PmS7_NS0_8identityIvEEEE10hipError_tT2_T3_mT4_P12ihipStream_tbEUlT_E_NS1_11comp_targetILNS1_3genE0ELNS1_11target_archE4294967295ELNS1_3gpuE0ELNS1_3repE0EEENS1_30default_config_static_selectorELNS0_4arch9wavefront6targetE0EEEvT1_
                                        ; -- End function
	.section	.AMDGPU.csdata,"",@progbits
; Kernel info:
; codeLenInByte = 0
; NumSgprs: 0
; NumVgprs: 0
; ScratchSize: 0
; MemoryBound: 0
; FloatMode: 240
; IeeeMode: 1
; LDSByteSize: 0 bytes/workgroup (compile time only)
; SGPRBlocks: 0
; VGPRBlocks: 0
; NumSGPRsForWavesPerEU: 1
; NumVGPRsForWavesPerEU: 1
; Occupancy: 16
; WaveLimiterHint : 0
; COMPUTE_PGM_RSRC2:SCRATCH_EN: 0
; COMPUTE_PGM_RSRC2:USER_SGPR: 15
; COMPUTE_PGM_RSRC2:TRAP_HANDLER: 0
; COMPUTE_PGM_RSRC2:TGID_X_EN: 1
; COMPUTE_PGM_RSRC2:TGID_Y_EN: 0
; COMPUTE_PGM_RSRC2:TGID_Z_EN: 0
; COMPUTE_PGM_RSRC2:TIDIG_COMP_CNT: 0
	.section	.text._ZN7rocprim17ROCPRIM_400000_NS6detail17trampoline_kernelINS0_14default_configENS1_25transform_config_selectorImLb1EEEZNS1_14transform_implILb1ES3_S5_PmS7_NS0_8identityIvEEEE10hipError_tT2_T3_mT4_P12ihipStream_tbEUlT_E_NS1_11comp_targetILNS1_3genE10ELNS1_11target_archE1201ELNS1_3gpuE5ELNS1_3repE0EEENS1_30default_config_static_selectorELNS0_4arch9wavefront6targetE0EEEvT1_,"axG",@progbits,_ZN7rocprim17ROCPRIM_400000_NS6detail17trampoline_kernelINS0_14default_configENS1_25transform_config_selectorImLb1EEEZNS1_14transform_implILb1ES3_S5_PmS7_NS0_8identityIvEEEE10hipError_tT2_T3_mT4_P12ihipStream_tbEUlT_E_NS1_11comp_targetILNS1_3genE10ELNS1_11target_archE1201ELNS1_3gpuE5ELNS1_3repE0EEENS1_30default_config_static_selectorELNS0_4arch9wavefront6targetE0EEEvT1_,comdat
	.protected	_ZN7rocprim17ROCPRIM_400000_NS6detail17trampoline_kernelINS0_14default_configENS1_25transform_config_selectorImLb1EEEZNS1_14transform_implILb1ES3_S5_PmS7_NS0_8identityIvEEEE10hipError_tT2_T3_mT4_P12ihipStream_tbEUlT_E_NS1_11comp_targetILNS1_3genE10ELNS1_11target_archE1201ELNS1_3gpuE5ELNS1_3repE0EEENS1_30default_config_static_selectorELNS0_4arch9wavefront6targetE0EEEvT1_ ; -- Begin function _ZN7rocprim17ROCPRIM_400000_NS6detail17trampoline_kernelINS0_14default_configENS1_25transform_config_selectorImLb1EEEZNS1_14transform_implILb1ES3_S5_PmS7_NS0_8identityIvEEEE10hipError_tT2_T3_mT4_P12ihipStream_tbEUlT_E_NS1_11comp_targetILNS1_3genE10ELNS1_11target_archE1201ELNS1_3gpuE5ELNS1_3repE0EEENS1_30default_config_static_selectorELNS0_4arch9wavefront6targetE0EEEvT1_
	.globl	_ZN7rocprim17ROCPRIM_400000_NS6detail17trampoline_kernelINS0_14default_configENS1_25transform_config_selectorImLb1EEEZNS1_14transform_implILb1ES3_S5_PmS7_NS0_8identityIvEEEE10hipError_tT2_T3_mT4_P12ihipStream_tbEUlT_E_NS1_11comp_targetILNS1_3genE10ELNS1_11target_archE1201ELNS1_3gpuE5ELNS1_3repE0EEENS1_30default_config_static_selectorELNS0_4arch9wavefront6targetE0EEEvT1_
	.p2align	8
	.type	_ZN7rocprim17ROCPRIM_400000_NS6detail17trampoline_kernelINS0_14default_configENS1_25transform_config_selectorImLb1EEEZNS1_14transform_implILb1ES3_S5_PmS7_NS0_8identityIvEEEE10hipError_tT2_T3_mT4_P12ihipStream_tbEUlT_E_NS1_11comp_targetILNS1_3genE10ELNS1_11target_archE1201ELNS1_3gpuE5ELNS1_3repE0EEENS1_30default_config_static_selectorELNS0_4arch9wavefront6targetE0EEEvT1_,@function
_ZN7rocprim17ROCPRIM_400000_NS6detail17trampoline_kernelINS0_14default_configENS1_25transform_config_selectorImLb1EEEZNS1_14transform_implILb1ES3_S5_PmS7_NS0_8identityIvEEEE10hipError_tT2_T3_mT4_P12ihipStream_tbEUlT_E_NS1_11comp_targetILNS1_3genE10ELNS1_11target_archE1201ELNS1_3gpuE5ELNS1_3repE0EEENS1_30default_config_static_selectorELNS0_4arch9wavefront6targetE0EEEvT1_: ; @_ZN7rocprim17ROCPRIM_400000_NS6detail17trampoline_kernelINS0_14default_configENS1_25transform_config_selectorImLb1EEEZNS1_14transform_implILb1ES3_S5_PmS7_NS0_8identityIvEEEE10hipError_tT2_T3_mT4_P12ihipStream_tbEUlT_E_NS1_11comp_targetILNS1_3genE10ELNS1_11target_archE1201ELNS1_3gpuE5ELNS1_3repE0EEENS1_30default_config_static_selectorELNS0_4arch9wavefront6targetE0EEEvT1_
; %bb.0:
	.section	.rodata,"a",@progbits
	.p2align	6, 0x0
	.amdhsa_kernel _ZN7rocprim17ROCPRIM_400000_NS6detail17trampoline_kernelINS0_14default_configENS1_25transform_config_selectorImLb1EEEZNS1_14transform_implILb1ES3_S5_PmS7_NS0_8identityIvEEEE10hipError_tT2_T3_mT4_P12ihipStream_tbEUlT_E_NS1_11comp_targetILNS1_3genE10ELNS1_11target_archE1201ELNS1_3gpuE5ELNS1_3repE0EEENS1_30default_config_static_selectorELNS0_4arch9wavefront6targetE0EEEvT1_
		.amdhsa_group_segment_fixed_size 0
		.amdhsa_private_segment_fixed_size 0
		.amdhsa_kernarg_size 40
		.amdhsa_user_sgpr_count 15
		.amdhsa_user_sgpr_dispatch_ptr 0
		.amdhsa_user_sgpr_queue_ptr 0
		.amdhsa_user_sgpr_kernarg_segment_ptr 1
		.amdhsa_user_sgpr_dispatch_id 0
		.amdhsa_user_sgpr_private_segment_size 0
		.amdhsa_wavefront_size32 1
		.amdhsa_uses_dynamic_stack 0
		.amdhsa_enable_private_segment 0
		.amdhsa_system_sgpr_workgroup_id_x 1
		.amdhsa_system_sgpr_workgroup_id_y 0
		.amdhsa_system_sgpr_workgroup_id_z 0
		.amdhsa_system_sgpr_workgroup_info 0
		.amdhsa_system_vgpr_workitem_id 0
		.amdhsa_next_free_vgpr 1
		.amdhsa_next_free_sgpr 1
		.amdhsa_reserve_vcc 0
		.amdhsa_float_round_mode_32 0
		.amdhsa_float_round_mode_16_64 0
		.amdhsa_float_denorm_mode_32 3
		.amdhsa_float_denorm_mode_16_64 3
		.amdhsa_dx10_clamp 1
		.amdhsa_ieee_mode 1
		.amdhsa_fp16_overflow 0
		.amdhsa_workgroup_processor_mode 1
		.amdhsa_memory_ordered 1
		.amdhsa_forward_progress 0
		.amdhsa_shared_vgpr_count 0
		.amdhsa_exception_fp_ieee_invalid_op 0
		.amdhsa_exception_fp_denorm_src 0
		.amdhsa_exception_fp_ieee_div_zero 0
		.amdhsa_exception_fp_ieee_overflow 0
		.amdhsa_exception_fp_ieee_underflow 0
		.amdhsa_exception_fp_ieee_inexact 0
		.amdhsa_exception_int_div_zero 0
	.end_amdhsa_kernel
	.section	.text._ZN7rocprim17ROCPRIM_400000_NS6detail17trampoline_kernelINS0_14default_configENS1_25transform_config_selectorImLb1EEEZNS1_14transform_implILb1ES3_S5_PmS7_NS0_8identityIvEEEE10hipError_tT2_T3_mT4_P12ihipStream_tbEUlT_E_NS1_11comp_targetILNS1_3genE10ELNS1_11target_archE1201ELNS1_3gpuE5ELNS1_3repE0EEENS1_30default_config_static_selectorELNS0_4arch9wavefront6targetE0EEEvT1_,"axG",@progbits,_ZN7rocprim17ROCPRIM_400000_NS6detail17trampoline_kernelINS0_14default_configENS1_25transform_config_selectorImLb1EEEZNS1_14transform_implILb1ES3_S5_PmS7_NS0_8identityIvEEEE10hipError_tT2_T3_mT4_P12ihipStream_tbEUlT_E_NS1_11comp_targetILNS1_3genE10ELNS1_11target_archE1201ELNS1_3gpuE5ELNS1_3repE0EEENS1_30default_config_static_selectorELNS0_4arch9wavefront6targetE0EEEvT1_,comdat
.Lfunc_end13:
	.size	_ZN7rocprim17ROCPRIM_400000_NS6detail17trampoline_kernelINS0_14default_configENS1_25transform_config_selectorImLb1EEEZNS1_14transform_implILb1ES3_S5_PmS7_NS0_8identityIvEEEE10hipError_tT2_T3_mT4_P12ihipStream_tbEUlT_E_NS1_11comp_targetILNS1_3genE10ELNS1_11target_archE1201ELNS1_3gpuE5ELNS1_3repE0EEENS1_30default_config_static_selectorELNS0_4arch9wavefront6targetE0EEEvT1_, .Lfunc_end13-_ZN7rocprim17ROCPRIM_400000_NS6detail17trampoline_kernelINS0_14default_configENS1_25transform_config_selectorImLb1EEEZNS1_14transform_implILb1ES3_S5_PmS7_NS0_8identityIvEEEE10hipError_tT2_T3_mT4_P12ihipStream_tbEUlT_E_NS1_11comp_targetILNS1_3genE10ELNS1_11target_archE1201ELNS1_3gpuE5ELNS1_3repE0EEENS1_30default_config_static_selectorELNS0_4arch9wavefront6targetE0EEEvT1_
                                        ; -- End function
	.section	.AMDGPU.csdata,"",@progbits
; Kernel info:
; codeLenInByte = 0
; NumSgprs: 0
; NumVgprs: 0
; ScratchSize: 0
; MemoryBound: 0
; FloatMode: 240
; IeeeMode: 1
; LDSByteSize: 0 bytes/workgroup (compile time only)
; SGPRBlocks: 0
; VGPRBlocks: 0
; NumSGPRsForWavesPerEU: 1
; NumVGPRsForWavesPerEU: 1
; Occupancy: 16
; WaveLimiterHint : 0
; COMPUTE_PGM_RSRC2:SCRATCH_EN: 0
; COMPUTE_PGM_RSRC2:USER_SGPR: 15
; COMPUTE_PGM_RSRC2:TRAP_HANDLER: 0
; COMPUTE_PGM_RSRC2:TGID_X_EN: 1
; COMPUTE_PGM_RSRC2:TGID_Y_EN: 0
; COMPUTE_PGM_RSRC2:TGID_Z_EN: 0
; COMPUTE_PGM_RSRC2:TIDIG_COMP_CNT: 0
	.section	.text._ZN7rocprim17ROCPRIM_400000_NS6detail17trampoline_kernelINS0_14default_configENS1_25transform_config_selectorImLb1EEEZNS1_14transform_implILb1ES3_S5_PmS7_NS0_8identityIvEEEE10hipError_tT2_T3_mT4_P12ihipStream_tbEUlT_E_NS1_11comp_targetILNS1_3genE5ELNS1_11target_archE942ELNS1_3gpuE9ELNS1_3repE0EEENS1_30default_config_static_selectorELNS0_4arch9wavefront6targetE0EEEvT1_,"axG",@progbits,_ZN7rocprim17ROCPRIM_400000_NS6detail17trampoline_kernelINS0_14default_configENS1_25transform_config_selectorImLb1EEEZNS1_14transform_implILb1ES3_S5_PmS7_NS0_8identityIvEEEE10hipError_tT2_T3_mT4_P12ihipStream_tbEUlT_E_NS1_11comp_targetILNS1_3genE5ELNS1_11target_archE942ELNS1_3gpuE9ELNS1_3repE0EEENS1_30default_config_static_selectorELNS0_4arch9wavefront6targetE0EEEvT1_,comdat
	.protected	_ZN7rocprim17ROCPRIM_400000_NS6detail17trampoline_kernelINS0_14default_configENS1_25transform_config_selectorImLb1EEEZNS1_14transform_implILb1ES3_S5_PmS7_NS0_8identityIvEEEE10hipError_tT2_T3_mT4_P12ihipStream_tbEUlT_E_NS1_11comp_targetILNS1_3genE5ELNS1_11target_archE942ELNS1_3gpuE9ELNS1_3repE0EEENS1_30default_config_static_selectorELNS0_4arch9wavefront6targetE0EEEvT1_ ; -- Begin function _ZN7rocprim17ROCPRIM_400000_NS6detail17trampoline_kernelINS0_14default_configENS1_25transform_config_selectorImLb1EEEZNS1_14transform_implILb1ES3_S5_PmS7_NS0_8identityIvEEEE10hipError_tT2_T3_mT4_P12ihipStream_tbEUlT_E_NS1_11comp_targetILNS1_3genE5ELNS1_11target_archE942ELNS1_3gpuE9ELNS1_3repE0EEENS1_30default_config_static_selectorELNS0_4arch9wavefront6targetE0EEEvT1_
	.globl	_ZN7rocprim17ROCPRIM_400000_NS6detail17trampoline_kernelINS0_14default_configENS1_25transform_config_selectorImLb1EEEZNS1_14transform_implILb1ES3_S5_PmS7_NS0_8identityIvEEEE10hipError_tT2_T3_mT4_P12ihipStream_tbEUlT_E_NS1_11comp_targetILNS1_3genE5ELNS1_11target_archE942ELNS1_3gpuE9ELNS1_3repE0EEENS1_30default_config_static_selectorELNS0_4arch9wavefront6targetE0EEEvT1_
	.p2align	8
	.type	_ZN7rocprim17ROCPRIM_400000_NS6detail17trampoline_kernelINS0_14default_configENS1_25transform_config_selectorImLb1EEEZNS1_14transform_implILb1ES3_S5_PmS7_NS0_8identityIvEEEE10hipError_tT2_T3_mT4_P12ihipStream_tbEUlT_E_NS1_11comp_targetILNS1_3genE5ELNS1_11target_archE942ELNS1_3gpuE9ELNS1_3repE0EEENS1_30default_config_static_selectorELNS0_4arch9wavefront6targetE0EEEvT1_,@function
_ZN7rocprim17ROCPRIM_400000_NS6detail17trampoline_kernelINS0_14default_configENS1_25transform_config_selectorImLb1EEEZNS1_14transform_implILb1ES3_S5_PmS7_NS0_8identityIvEEEE10hipError_tT2_T3_mT4_P12ihipStream_tbEUlT_E_NS1_11comp_targetILNS1_3genE5ELNS1_11target_archE942ELNS1_3gpuE9ELNS1_3repE0EEENS1_30default_config_static_selectorELNS0_4arch9wavefront6targetE0EEEvT1_: ; @_ZN7rocprim17ROCPRIM_400000_NS6detail17trampoline_kernelINS0_14default_configENS1_25transform_config_selectorImLb1EEEZNS1_14transform_implILb1ES3_S5_PmS7_NS0_8identityIvEEEE10hipError_tT2_T3_mT4_P12ihipStream_tbEUlT_E_NS1_11comp_targetILNS1_3genE5ELNS1_11target_archE942ELNS1_3gpuE9ELNS1_3repE0EEENS1_30default_config_static_selectorELNS0_4arch9wavefront6targetE0EEEvT1_
; %bb.0:
	.section	.rodata,"a",@progbits
	.p2align	6, 0x0
	.amdhsa_kernel _ZN7rocprim17ROCPRIM_400000_NS6detail17trampoline_kernelINS0_14default_configENS1_25transform_config_selectorImLb1EEEZNS1_14transform_implILb1ES3_S5_PmS7_NS0_8identityIvEEEE10hipError_tT2_T3_mT4_P12ihipStream_tbEUlT_E_NS1_11comp_targetILNS1_3genE5ELNS1_11target_archE942ELNS1_3gpuE9ELNS1_3repE0EEENS1_30default_config_static_selectorELNS0_4arch9wavefront6targetE0EEEvT1_
		.amdhsa_group_segment_fixed_size 0
		.amdhsa_private_segment_fixed_size 0
		.amdhsa_kernarg_size 40
		.amdhsa_user_sgpr_count 15
		.amdhsa_user_sgpr_dispatch_ptr 0
		.amdhsa_user_sgpr_queue_ptr 0
		.amdhsa_user_sgpr_kernarg_segment_ptr 1
		.amdhsa_user_sgpr_dispatch_id 0
		.amdhsa_user_sgpr_private_segment_size 0
		.amdhsa_wavefront_size32 1
		.amdhsa_uses_dynamic_stack 0
		.amdhsa_enable_private_segment 0
		.amdhsa_system_sgpr_workgroup_id_x 1
		.amdhsa_system_sgpr_workgroup_id_y 0
		.amdhsa_system_sgpr_workgroup_id_z 0
		.amdhsa_system_sgpr_workgroup_info 0
		.amdhsa_system_vgpr_workitem_id 0
		.amdhsa_next_free_vgpr 1
		.amdhsa_next_free_sgpr 1
		.amdhsa_reserve_vcc 0
		.amdhsa_float_round_mode_32 0
		.amdhsa_float_round_mode_16_64 0
		.amdhsa_float_denorm_mode_32 3
		.amdhsa_float_denorm_mode_16_64 3
		.amdhsa_dx10_clamp 1
		.amdhsa_ieee_mode 1
		.amdhsa_fp16_overflow 0
		.amdhsa_workgroup_processor_mode 1
		.amdhsa_memory_ordered 1
		.amdhsa_forward_progress 0
		.amdhsa_shared_vgpr_count 0
		.amdhsa_exception_fp_ieee_invalid_op 0
		.amdhsa_exception_fp_denorm_src 0
		.amdhsa_exception_fp_ieee_div_zero 0
		.amdhsa_exception_fp_ieee_overflow 0
		.amdhsa_exception_fp_ieee_underflow 0
		.amdhsa_exception_fp_ieee_inexact 0
		.amdhsa_exception_int_div_zero 0
	.end_amdhsa_kernel
	.section	.text._ZN7rocprim17ROCPRIM_400000_NS6detail17trampoline_kernelINS0_14default_configENS1_25transform_config_selectorImLb1EEEZNS1_14transform_implILb1ES3_S5_PmS7_NS0_8identityIvEEEE10hipError_tT2_T3_mT4_P12ihipStream_tbEUlT_E_NS1_11comp_targetILNS1_3genE5ELNS1_11target_archE942ELNS1_3gpuE9ELNS1_3repE0EEENS1_30default_config_static_selectorELNS0_4arch9wavefront6targetE0EEEvT1_,"axG",@progbits,_ZN7rocprim17ROCPRIM_400000_NS6detail17trampoline_kernelINS0_14default_configENS1_25transform_config_selectorImLb1EEEZNS1_14transform_implILb1ES3_S5_PmS7_NS0_8identityIvEEEE10hipError_tT2_T3_mT4_P12ihipStream_tbEUlT_E_NS1_11comp_targetILNS1_3genE5ELNS1_11target_archE942ELNS1_3gpuE9ELNS1_3repE0EEENS1_30default_config_static_selectorELNS0_4arch9wavefront6targetE0EEEvT1_,comdat
.Lfunc_end14:
	.size	_ZN7rocprim17ROCPRIM_400000_NS6detail17trampoline_kernelINS0_14default_configENS1_25transform_config_selectorImLb1EEEZNS1_14transform_implILb1ES3_S5_PmS7_NS0_8identityIvEEEE10hipError_tT2_T3_mT4_P12ihipStream_tbEUlT_E_NS1_11comp_targetILNS1_3genE5ELNS1_11target_archE942ELNS1_3gpuE9ELNS1_3repE0EEENS1_30default_config_static_selectorELNS0_4arch9wavefront6targetE0EEEvT1_, .Lfunc_end14-_ZN7rocprim17ROCPRIM_400000_NS6detail17trampoline_kernelINS0_14default_configENS1_25transform_config_selectorImLb1EEEZNS1_14transform_implILb1ES3_S5_PmS7_NS0_8identityIvEEEE10hipError_tT2_T3_mT4_P12ihipStream_tbEUlT_E_NS1_11comp_targetILNS1_3genE5ELNS1_11target_archE942ELNS1_3gpuE9ELNS1_3repE0EEENS1_30default_config_static_selectorELNS0_4arch9wavefront6targetE0EEEvT1_
                                        ; -- End function
	.section	.AMDGPU.csdata,"",@progbits
; Kernel info:
; codeLenInByte = 0
; NumSgprs: 0
; NumVgprs: 0
; ScratchSize: 0
; MemoryBound: 0
; FloatMode: 240
; IeeeMode: 1
; LDSByteSize: 0 bytes/workgroup (compile time only)
; SGPRBlocks: 0
; VGPRBlocks: 0
; NumSGPRsForWavesPerEU: 1
; NumVGPRsForWavesPerEU: 1
; Occupancy: 16
; WaveLimiterHint : 0
; COMPUTE_PGM_RSRC2:SCRATCH_EN: 0
; COMPUTE_PGM_RSRC2:USER_SGPR: 15
; COMPUTE_PGM_RSRC2:TRAP_HANDLER: 0
; COMPUTE_PGM_RSRC2:TGID_X_EN: 1
; COMPUTE_PGM_RSRC2:TGID_Y_EN: 0
; COMPUTE_PGM_RSRC2:TGID_Z_EN: 0
; COMPUTE_PGM_RSRC2:TIDIG_COMP_CNT: 0
	.section	.text._ZN7rocprim17ROCPRIM_400000_NS6detail17trampoline_kernelINS0_14default_configENS1_25transform_config_selectorImLb1EEEZNS1_14transform_implILb1ES3_S5_PmS7_NS0_8identityIvEEEE10hipError_tT2_T3_mT4_P12ihipStream_tbEUlT_E_NS1_11comp_targetILNS1_3genE4ELNS1_11target_archE910ELNS1_3gpuE8ELNS1_3repE0EEENS1_30default_config_static_selectorELNS0_4arch9wavefront6targetE0EEEvT1_,"axG",@progbits,_ZN7rocprim17ROCPRIM_400000_NS6detail17trampoline_kernelINS0_14default_configENS1_25transform_config_selectorImLb1EEEZNS1_14transform_implILb1ES3_S5_PmS7_NS0_8identityIvEEEE10hipError_tT2_T3_mT4_P12ihipStream_tbEUlT_E_NS1_11comp_targetILNS1_3genE4ELNS1_11target_archE910ELNS1_3gpuE8ELNS1_3repE0EEENS1_30default_config_static_selectorELNS0_4arch9wavefront6targetE0EEEvT1_,comdat
	.protected	_ZN7rocprim17ROCPRIM_400000_NS6detail17trampoline_kernelINS0_14default_configENS1_25transform_config_selectorImLb1EEEZNS1_14transform_implILb1ES3_S5_PmS7_NS0_8identityIvEEEE10hipError_tT2_T3_mT4_P12ihipStream_tbEUlT_E_NS1_11comp_targetILNS1_3genE4ELNS1_11target_archE910ELNS1_3gpuE8ELNS1_3repE0EEENS1_30default_config_static_selectorELNS0_4arch9wavefront6targetE0EEEvT1_ ; -- Begin function _ZN7rocprim17ROCPRIM_400000_NS6detail17trampoline_kernelINS0_14default_configENS1_25transform_config_selectorImLb1EEEZNS1_14transform_implILb1ES3_S5_PmS7_NS0_8identityIvEEEE10hipError_tT2_T3_mT4_P12ihipStream_tbEUlT_E_NS1_11comp_targetILNS1_3genE4ELNS1_11target_archE910ELNS1_3gpuE8ELNS1_3repE0EEENS1_30default_config_static_selectorELNS0_4arch9wavefront6targetE0EEEvT1_
	.globl	_ZN7rocprim17ROCPRIM_400000_NS6detail17trampoline_kernelINS0_14default_configENS1_25transform_config_selectorImLb1EEEZNS1_14transform_implILb1ES3_S5_PmS7_NS0_8identityIvEEEE10hipError_tT2_T3_mT4_P12ihipStream_tbEUlT_E_NS1_11comp_targetILNS1_3genE4ELNS1_11target_archE910ELNS1_3gpuE8ELNS1_3repE0EEENS1_30default_config_static_selectorELNS0_4arch9wavefront6targetE0EEEvT1_
	.p2align	8
	.type	_ZN7rocprim17ROCPRIM_400000_NS6detail17trampoline_kernelINS0_14default_configENS1_25transform_config_selectorImLb1EEEZNS1_14transform_implILb1ES3_S5_PmS7_NS0_8identityIvEEEE10hipError_tT2_T3_mT4_P12ihipStream_tbEUlT_E_NS1_11comp_targetILNS1_3genE4ELNS1_11target_archE910ELNS1_3gpuE8ELNS1_3repE0EEENS1_30default_config_static_selectorELNS0_4arch9wavefront6targetE0EEEvT1_,@function
_ZN7rocprim17ROCPRIM_400000_NS6detail17trampoline_kernelINS0_14default_configENS1_25transform_config_selectorImLb1EEEZNS1_14transform_implILb1ES3_S5_PmS7_NS0_8identityIvEEEE10hipError_tT2_T3_mT4_P12ihipStream_tbEUlT_E_NS1_11comp_targetILNS1_3genE4ELNS1_11target_archE910ELNS1_3gpuE8ELNS1_3repE0EEENS1_30default_config_static_selectorELNS0_4arch9wavefront6targetE0EEEvT1_: ; @_ZN7rocprim17ROCPRIM_400000_NS6detail17trampoline_kernelINS0_14default_configENS1_25transform_config_selectorImLb1EEEZNS1_14transform_implILb1ES3_S5_PmS7_NS0_8identityIvEEEE10hipError_tT2_T3_mT4_P12ihipStream_tbEUlT_E_NS1_11comp_targetILNS1_3genE4ELNS1_11target_archE910ELNS1_3gpuE8ELNS1_3repE0EEENS1_30default_config_static_selectorELNS0_4arch9wavefront6targetE0EEEvT1_
; %bb.0:
	.section	.rodata,"a",@progbits
	.p2align	6, 0x0
	.amdhsa_kernel _ZN7rocprim17ROCPRIM_400000_NS6detail17trampoline_kernelINS0_14default_configENS1_25transform_config_selectorImLb1EEEZNS1_14transform_implILb1ES3_S5_PmS7_NS0_8identityIvEEEE10hipError_tT2_T3_mT4_P12ihipStream_tbEUlT_E_NS1_11comp_targetILNS1_3genE4ELNS1_11target_archE910ELNS1_3gpuE8ELNS1_3repE0EEENS1_30default_config_static_selectorELNS0_4arch9wavefront6targetE0EEEvT1_
		.amdhsa_group_segment_fixed_size 0
		.amdhsa_private_segment_fixed_size 0
		.amdhsa_kernarg_size 40
		.amdhsa_user_sgpr_count 15
		.amdhsa_user_sgpr_dispatch_ptr 0
		.amdhsa_user_sgpr_queue_ptr 0
		.amdhsa_user_sgpr_kernarg_segment_ptr 1
		.amdhsa_user_sgpr_dispatch_id 0
		.amdhsa_user_sgpr_private_segment_size 0
		.amdhsa_wavefront_size32 1
		.amdhsa_uses_dynamic_stack 0
		.amdhsa_enable_private_segment 0
		.amdhsa_system_sgpr_workgroup_id_x 1
		.amdhsa_system_sgpr_workgroup_id_y 0
		.amdhsa_system_sgpr_workgroup_id_z 0
		.amdhsa_system_sgpr_workgroup_info 0
		.amdhsa_system_vgpr_workitem_id 0
		.amdhsa_next_free_vgpr 1
		.amdhsa_next_free_sgpr 1
		.amdhsa_reserve_vcc 0
		.amdhsa_float_round_mode_32 0
		.amdhsa_float_round_mode_16_64 0
		.amdhsa_float_denorm_mode_32 3
		.amdhsa_float_denorm_mode_16_64 3
		.amdhsa_dx10_clamp 1
		.amdhsa_ieee_mode 1
		.amdhsa_fp16_overflow 0
		.amdhsa_workgroup_processor_mode 1
		.amdhsa_memory_ordered 1
		.amdhsa_forward_progress 0
		.amdhsa_shared_vgpr_count 0
		.amdhsa_exception_fp_ieee_invalid_op 0
		.amdhsa_exception_fp_denorm_src 0
		.amdhsa_exception_fp_ieee_div_zero 0
		.amdhsa_exception_fp_ieee_overflow 0
		.amdhsa_exception_fp_ieee_underflow 0
		.amdhsa_exception_fp_ieee_inexact 0
		.amdhsa_exception_int_div_zero 0
	.end_amdhsa_kernel
	.section	.text._ZN7rocprim17ROCPRIM_400000_NS6detail17trampoline_kernelINS0_14default_configENS1_25transform_config_selectorImLb1EEEZNS1_14transform_implILb1ES3_S5_PmS7_NS0_8identityIvEEEE10hipError_tT2_T3_mT4_P12ihipStream_tbEUlT_E_NS1_11comp_targetILNS1_3genE4ELNS1_11target_archE910ELNS1_3gpuE8ELNS1_3repE0EEENS1_30default_config_static_selectorELNS0_4arch9wavefront6targetE0EEEvT1_,"axG",@progbits,_ZN7rocprim17ROCPRIM_400000_NS6detail17trampoline_kernelINS0_14default_configENS1_25transform_config_selectorImLb1EEEZNS1_14transform_implILb1ES3_S5_PmS7_NS0_8identityIvEEEE10hipError_tT2_T3_mT4_P12ihipStream_tbEUlT_E_NS1_11comp_targetILNS1_3genE4ELNS1_11target_archE910ELNS1_3gpuE8ELNS1_3repE0EEENS1_30default_config_static_selectorELNS0_4arch9wavefront6targetE0EEEvT1_,comdat
.Lfunc_end15:
	.size	_ZN7rocprim17ROCPRIM_400000_NS6detail17trampoline_kernelINS0_14default_configENS1_25transform_config_selectorImLb1EEEZNS1_14transform_implILb1ES3_S5_PmS7_NS0_8identityIvEEEE10hipError_tT2_T3_mT4_P12ihipStream_tbEUlT_E_NS1_11comp_targetILNS1_3genE4ELNS1_11target_archE910ELNS1_3gpuE8ELNS1_3repE0EEENS1_30default_config_static_selectorELNS0_4arch9wavefront6targetE0EEEvT1_, .Lfunc_end15-_ZN7rocprim17ROCPRIM_400000_NS6detail17trampoline_kernelINS0_14default_configENS1_25transform_config_selectorImLb1EEEZNS1_14transform_implILb1ES3_S5_PmS7_NS0_8identityIvEEEE10hipError_tT2_T3_mT4_P12ihipStream_tbEUlT_E_NS1_11comp_targetILNS1_3genE4ELNS1_11target_archE910ELNS1_3gpuE8ELNS1_3repE0EEENS1_30default_config_static_selectorELNS0_4arch9wavefront6targetE0EEEvT1_
                                        ; -- End function
	.section	.AMDGPU.csdata,"",@progbits
; Kernel info:
; codeLenInByte = 0
; NumSgprs: 0
; NumVgprs: 0
; ScratchSize: 0
; MemoryBound: 0
; FloatMode: 240
; IeeeMode: 1
; LDSByteSize: 0 bytes/workgroup (compile time only)
; SGPRBlocks: 0
; VGPRBlocks: 0
; NumSGPRsForWavesPerEU: 1
; NumVGPRsForWavesPerEU: 1
; Occupancy: 16
; WaveLimiterHint : 0
; COMPUTE_PGM_RSRC2:SCRATCH_EN: 0
; COMPUTE_PGM_RSRC2:USER_SGPR: 15
; COMPUTE_PGM_RSRC2:TRAP_HANDLER: 0
; COMPUTE_PGM_RSRC2:TGID_X_EN: 1
; COMPUTE_PGM_RSRC2:TGID_Y_EN: 0
; COMPUTE_PGM_RSRC2:TGID_Z_EN: 0
; COMPUTE_PGM_RSRC2:TIDIG_COMP_CNT: 0
	.section	.text._ZN7rocprim17ROCPRIM_400000_NS6detail17trampoline_kernelINS0_14default_configENS1_25transform_config_selectorImLb1EEEZNS1_14transform_implILb1ES3_S5_PmS7_NS0_8identityIvEEEE10hipError_tT2_T3_mT4_P12ihipStream_tbEUlT_E_NS1_11comp_targetILNS1_3genE3ELNS1_11target_archE908ELNS1_3gpuE7ELNS1_3repE0EEENS1_30default_config_static_selectorELNS0_4arch9wavefront6targetE0EEEvT1_,"axG",@progbits,_ZN7rocprim17ROCPRIM_400000_NS6detail17trampoline_kernelINS0_14default_configENS1_25transform_config_selectorImLb1EEEZNS1_14transform_implILb1ES3_S5_PmS7_NS0_8identityIvEEEE10hipError_tT2_T3_mT4_P12ihipStream_tbEUlT_E_NS1_11comp_targetILNS1_3genE3ELNS1_11target_archE908ELNS1_3gpuE7ELNS1_3repE0EEENS1_30default_config_static_selectorELNS0_4arch9wavefront6targetE0EEEvT1_,comdat
	.protected	_ZN7rocprim17ROCPRIM_400000_NS6detail17trampoline_kernelINS0_14default_configENS1_25transform_config_selectorImLb1EEEZNS1_14transform_implILb1ES3_S5_PmS7_NS0_8identityIvEEEE10hipError_tT2_T3_mT4_P12ihipStream_tbEUlT_E_NS1_11comp_targetILNS1_3genE3ELNS1_11target_archE908ELNS1_3gpuE7ELNS1_3repE0EEENS1_30default_config_static_selectorELNS0_4arch9wavefront6targetE0EEEvT1_ ; -- Begin function _ZN7rocprim17ROCPRIM_400000_NS6detail17trampoline_kernelINS0_14default_configENS1_25transform_config_selectorImLb1EEEZNS1_14transform_implILb1ES3_S5_PmS7_NS0_8identityIvEEEE10hipError_tT2_T3_mT4_P12ihipStream_tbEUlT_E_NS1_11comp_targetILNS1_3genE3ELNS1_11target_archE908ELNS1_3gpuE7ELNS1_3repE0EEENS1_30default_config_static_selectorELNS0_4arch9wavefront6targetE0EEEvT1_
	.globl	_ZN7rocprim17ROCPRIM_400000_NS6detail17trampoline_kernelINS0_14default_configENS1_25transform_config_selectorImLb1EEEZNS1_14transform_implILb1ES3_S5_PmS7_NS0_8identityIvEEEE10hipError_tT2_T3_mT4_P12ihipStream_tbEUlT_E_NS1_11comp_targetILNS1_3genE3ELNS1_11target_archE908ELNS1_3gpuE7ELNS1_3repE0EEENS1_30default_config_static_selectorELNS0_4arch9wavefront6targetE0EEEvT1_
	.p2align	8
	.type	_ZN7rocprim17ROCPRIM_400000_NS6detail17trampoline_kernelINS0_14default_configENS1_25transform_config_selectorImLb1EEEZNS1_14transform_implILb1ES3_S5_PmS7_NS0_8identityIvEEEE10hipError_tT2_T3_mT4_P12ihipStream_tbEUlT_E_NS1_11comp_targetILNS1_3genE3ELNS1_11target_archE908ELNS1_3gpuE7ELNS1_3repE0EEENS1_30default_config_static_selectorELNS0_4arch9wavefront6targetE0EEEvT1_,@function
_ZN7rocprim17ROCPRIM_400000_NS6detail17trampoline_kernelINS0_14default_configENS1_25transform_config_selectorImLb1EEEZNS1_14transform_implILb1ES3_S5_PmS7_NS0_8identityIvEEEE10hipError_tT2_T3_mT4_P12ihipStream_tbEUlT_E_NS1_11comp_targetILNS1_3genE3ELNS1_11target_archE908ELNS1_3gpuE7ELNS1_3repE0EEENS1_30default_config_static_selectorELNS0_4arch9wavefront6targetE0EEEvT1_: ; @_ZN7rocprim17ROCPRIM_400000_NS6detail17trampoline_kernelINS0_14default_configENS1_25transform_config_selectorImLb1EEEZNS1_14transform_implILb1ES3_S5_PmS7_NS0_8identityIvEEEE10hipError_tT2_T3_mT4_P12ihipStream_tbEUlT_E_NS1_11comp_targetILNS1_3genE3ELNS1_11target_archE908ELNS1_3gpuE7ELNS1_3repE0EEENS1_30default_config_static_selectorELNS0_4arch9wavefront6targetE0EEEvT1_
; %bb.0:
	.section	.rodata,"a",@progbits
	.p2align	6, 0x0
	.amdhsa_kernel _ZN7rocprim17ROCPRIM_400000_NS6detail17trampoline_kernelINS0_14default_configENS1_25transform_config_selectorImLb1EEEZNS1_14transform_implILb1ES3_S5_PmS7_NS0_8identityIvEEEE10hipError_tT2_T3_mT4_P12ihipStream_tbEUlT_E_NS1_11comp_targetILNS1_3genE3ELNS1_11target_archE908ELNS1_3gpuE7ELNS1_3repE0EEENS1_30default_config_static_selectorELNS0_4arch9wavefront6targetE0EEEvT1_
		.amdhsa_group_segment_fixed_size 0
		.amdhsa_private_segment_fixed_size 0
		.amdhsa_kernarg_size 40
		.amdhsa_user_sgpr_count 15
		.amdhsa_user_sgpr_dispatch_ptr 0
		.amdhsa_user_sgpr_queue_ptr 0
		.amdhsa_user_sgpr_kernarg_segment_ptr 1
		.amdhsa_user_sgpr_dispatch_id 0
		.amdhsa_user_sgpr_private_segment_size 0
		.amdhsa_wavefront_size32 1
		.amdhsa_uses_dynamic_stack 0
		.amdhsa_enable_private_segment 0
		.amdhsa_system_sgpr_workgroup_id_x 1
		.amdhsa_system_sgpr_workgroup_id_y 0
		.amdhsa_system_sgpr_workgroup_id_z 0
		.amdhsa_system_sgpr_workgroup_info 0
		.amdhsa_system_vgpr_workitem_id 0
		.amdhsa_next_free_vgpr 1
		.amdhsa_next_free_sgpr 1
		.amdhsa_reserve_vcc 0
		.amdhsa_float_round_mode_32 0
		.amdhsa_float_round_mode_16_64 0
		.amdhsa_float_denorm_mode_32 3
		.amdhsa_float_denorm_mode_16_64 3
		.amdhsa_dx10_clamp 1
		.amdhsa_ieee_mode 1
		.amdhsa_fp16_overflow 0
		.amdhsa_workgroup_processor_mode 1
		.amdhsa_memory_ordered 1
		.amdhsa_forward_progress 0
		.amdhsa_shared_vgpr_count 0
		.amdhsa_exception_fp_ieee_invalid_op 0
		.amdhsa_exception_fp_denorm_src 0
		.amdhsa_exception_fp_ieee_div_zero 0
		.amdhsa_exception_fp_ieee_overflow 0
		.amdhsa_exception_fp_ieee_underflow 0
		.amdhsa_exception_fp_ieee_inexact 0
		.amdhsa_exception_int_div_zero 0
	.end_amdhsa_kernel
	.section	.text._ZN7rocprim17ROCPRIM_400000_NS6detail17trampoline_kernelINS0_14default_configENS1_25transform_config_selectorImLb1EEEZNS1_14transform_implILb1ES3_S5_PmS7_NS0_8identityIvEEEE10hipError_tT2_T3_mT4_P12ihipStream_tbEUlT_E_NS1_11comp_targetILNS1_3genE3ELNS1_11target_archE908ELNS1_3gpuE7ELNS1_3repE0EEENS1_30default_config_static_selectorELNS0_4arch9wavefront6targetE0EEEvT1_,"axG",@progbits,_ZN7rocprim17ROCPRIM_400000_NS6detail17trampoline_kernelINS0_14default_configENS1_25transform_config_selectorImLb1EEEZNS1_14transform_implILb1ES3_S5_PmS7_NS0_8identityIvEEEE10hipError_tT2_T3_mT4_P12ihipStream_tbEUlT_E_NS1_11comp_targetILNS1_3genE3ELNS1_11target_archE908ELNS1_3gpuE7ELNS1_3repE0EEENS1_30default_config_static_selectorELNS0_4arch9wavefront6targetE0EEEvT1_,comdat
.Lfunc_end16:
	.size	_ZN7rocprim17ROCPRIM_400000_NS6detail17trampoline_kernelINS0_14default_configENS1_25transform_config_selectorImLb1EEEZNS1_14transform_implILb1ES3_S5_PmS7_NS0_8identityIvEEEE10hipError_tT2_T3_mT4_P12ihipStream_tbEUlT_E_NS1_11comp_targetILNS1_3genE3ELNS1_11target_archE908ELNS1_3gpuE7ELNS1_3repE0EEENS1_30default_config_static_selectorELNS0_4arch9wavefront6targetE0EEEvT1_, .Lfunc_end16-_ZN7rocprim17ROCPRIM_400000_NS6detail17trampoline_kernelINS0_14default_configENS1_25transform_config_selectorImLb1EEEZNS1_14transform_implILb1ES3_S5_PmS7_NS0_8identityIvEEEE10hipError_tT2_T3_mT4_P12ihipStream_tbEUlT_E_NS1_11comp_targetILNS1_3genE3ELNS1_11target_archE908ELNS1_3gpuE7ELNS1_3repE0EEENS1_30default_config_static_selectorELNS0_4arch9wavefront6targetE0EEEvT1_
                                        ; -- End function
	.section	.AMDGPU.csdata,"",@progbits
; Kernel info:
; codeLenInByte = 0
; NumSgprs: 0
; NumVgprs: 0
; ScratchSize: 0
; MemoryBound: 0
; FloatMode: 240
; IeeeMode: 1
; LDSByteSize: 0 bytes/workgroup (compile time only)
; SGPRBlocks: 0
; VGPRBlocks: 0
; NumSGPRsForWavesPerEU: 1
; NumVGPRsForWavesPerEU: 1
; Occupancy: 16
; WaveLimiterHint : 0
; COMPUTE_PGM_RSRC2:SCRATCH_EN: 0
; COMPUTE_PGM_RSRC2:USER_SGPR: 15
; COMPUTE_PGM_RSRC2:TRAP_HANDLER: 0
; COMPUTE_PGM_RSRC2:TGID_X_EN: 1
; COMPUTE_PGM_RSRC2:TGID_Y_EN: 0
; COMPUTE_PGM_RSRC2:TGID_Z_EN: 0
; COMPUTE_PGM_RSRC2:TIDIG_COMP_CNT: 0
	.section	.text._ZN7rocprim17ROCPRIM_400000_NS6detail17trampoline_kernelINS0_14default_configENS1_25transform_config_selectorImLb1EEEZNS1_14transform_implILb1ES3_S5_PmS7_NS0_8identityIvEEEE10hipError_tT2_T3_mT4_P12ihipStream_tbEUlT_E_NS1_11comp_targetILNS1_3genE2ELNS1_11target_archE906ELNS1_3gpuE6ELNS1_3repE0EEENS1_30default_config_static_selectorELNS0_4arch9wavefront6targetE0EEEvT1_,"axG",@progbits,_ZN7rocprim17ROCPRIM_400000_NS6detail17trampoline_kernelINS0_14default_configENS1_25transform_config_selectorImLb1EEEZNS1_14transform_implILb1ES3_S5_PmS7_NS0_8identityIvEEEE10hipError_tT2_T3_mT4_P12ihipStream_tbEUlT_E_NS1_11comp_targetILNS1_3genE2ELNS1_11target_archE906ELNS1_3gpuE6ELNS1_3repE0EEENS1_30default_config_static_selectorELNS0_4arch9wavefront6targetE0EEEvT1_,comdat
	.protected	_ZN7rocprim17ROCPRIM_400000_NS6detail17trampoline_kernelINS0_14default_configENS1_25transform_config_selectorImLb1EEEZNS1_14transform_implILb1ES3_S5_PmS7_NS0_8identityIvEEEE10hipError_tT2_T3_mT4_P12ihipStream_tbEUlT_E_NS1_11comp_targetILNS1_3genE2ELNS1_11target_archE906ELNS1_3gpuE6ELNS1_3repE0EEENS1_30default_config_static_selectorELNS0_4arch9wavefront6targetE0EEEvT1_ ; -- Begin function _ZN7rocprim17ROCPRIM_400000_NS6detail17trampoline_kernelINS0_14default_configENS1_25transform_config_selectorImLb1EEEZNS1_14transform_implILb1ES3_S5_PmS7_NS0_8identityIvEEEE10hipError_tT2_T3_mT4_P12ihipStream_tbEUlT_E_NS1_11comp_targetILNS1_3genE2ELNS1_11target_archE906ELNS1_3gpuE6ELNS1_3repE0EEENS1_30default_config_static_selectorELNS0_4arch9wavefront6targetE0EEEvT1_
	.globl	_ZN7rocprim17ROCPRIM_400000_NS6detail17trampoline_kernelINS0_14default_configENS1_25transform_config_selectorImLb1EEEZNS1_14transform_implILb1ES3_S5_PmS7_NS0_8identityIvEEEE10hipError_tT2_T3_mT4_P12ihipStream_tbEUlT_E_NS1_11comp_targetILNS1_3genE2ELNS1_11target_archE906ELNS1_3gpuE6ELNS1_3repE0EEENS1_30default_config_static_selectorELNS0_4arch9wavefront6targetE0EEEvT1_
	.p2align	8
	.type	_ZN7rocprim17ROCPRIM_400000_NS6detail17trampoline_kernelINS0_14default_configENS1_25transform_config_selectorImLb1EEEZNS1_14transform_implILb1ES3_S5_PmS7_NS0_8identityIvEEEE10hipError_tT2_T3_mT4_P12ihipStream_tbEUlT_E_NS1_11comp_targetILNS1_3genE2ELNS1_11target_archE906ELNS1_3gpuE6ELNS1_3repE0EEENS1_30default_config_static_selectorELNS0_4arch9wavefront6targetE0EEEvT1_,@function
_ZN7rocprim17ROCPRIM_400000_NS6detail17trampoline_kernelINS0_14default_configENS1_25transform_config_selectorImLb1EEEZNS1_14transform_implILb1ES3_S5_PmS7_NS0_8identityIvEEEE10hipError_tT2_T3_mT4_P12ihipStream_tbEUlT_E_NS1_11comp_targetILNS1_3genE2ELNS1_11target_archE906ELNS1_3gpuE6ELNS1_3repE0EEENS1_30default_config_static_selectorELNS0_4arch9wavefront6targetE0EEEvT1_: ; @_ZN7rocprim17ROCPRIM_400000_NS6detail17trampoline_kernelINS0_14default_configENS1_25transform_config_selectorImLb1EEEZNS1_14transform_implILb1ES3_S5_PmS7_NS0_8identityIvEEEE10hipError_tT2_T3_mT4_P12ihipStream_tbEUlT_E_NS1_11comp_targetILNS1_3genE2ELNS1_11target_archE906ELNS1_3gpuE6ELNS1_3repE0EEENS1_30default_config_static_selectorELNS0_4arch9wavefront6targetE0EEEvT1_
; %bb.0:
	.section	.rodata,"a",@progbits
	.p2align	6, 0x0
	.amdhsa_kernel _ZN7rocprim17ROCPRIM_400000_NS6detail17trampoline_kernelINS0_14default_configENS1_25transform_config_selectorImLb1EEEZNS1_14transform_implILb1ES3_S5_PmS7_NS0_8identityIvEEEE10hipError_tT2_T3_mT4_P12ihipStream_tbEUlT_E_NS1_11comp_targetILNS1_3genE2ELNS1_11target_archE906ELNS1_3gpuE6ELNS1_3repE0EEENS1_30default_config_static_selectorELNS0_4arch9wavefront6targetE0EEEvT1_
		.amdhsa_group_segment_fixed_size 0
		.amdhsa_private_segment_fixed_size 0
		.amdhsa_kernarg_size 40
		.amdhsa_user_sgpr_count 15
		.amdhsa_user_sgpr_dispatch_ptr 0
		.amdhsa_user_sgpr_queue_ptr 0
		.amdhsa_user_sgpr_kernarg_segment_ptr 1
		.amdhsa_user_sgpr_dispatch_id 0
		.amdhsa_user_sgpr_private_segment_size 0
		.amdhsa_wavefront_size32 1
		.amdhsa_uses_dynamic_stack 0
		.amdhsa_enable_private_segment 0
		.amdhsa_system_sgpr_workgroup_id_x 1
		.amdhsa_system_sgpr_workgroup_id_y 0
		.amdhsa_system_sgpr_workgroup_id_z 0
		.amdhsa_system_sgpr_workgroup_info 0
		.amdhsa_system_vgpr_workitem_id 0
		.amdhsa_next_free_vgpr 1
		.amdhsa_next_free_sgpr 1
		.amdhsa_reserve_vcc 0
		.amdhsa_float_round_mode_32 0
		.amdhsa_float_round_mode_16_64 0
		.amdhsa_float_denorm_mode_32 3
		.amdhsa_float_denorm_mode_16_64 3
		.amdhsa_dx10_clamp 1
		.amdhsa_ieee_mode 1
		.amdhsa_fp16_overflow 0
		.amdhsa_workgroup_processor_mode 1
		.amdhsa_memory_ordered 1
		.amdhsa_forward_progress 0
		.amdhsa_shared_vgpr_count 0
		.amdhsa_exception_fp_ieee_invalid_op 0
		.amdhsa_exception_fp_denorm_src 0
		.amdhsa_exception_fp_ieee_div_zero 0
		.amdhsa_exception_fp_ieee_overflow 0
		.amdhsa_exception_fp_ieee_underflow 0
		.amdhsa_exception_fp_ieee_inexact 0
		.amdhsa_exception_int_div_zero 0
	.end_amdhsa_kernel
	.section	.text._ZN7rocprim17ROCPRIM_400000_NS6detail17trampoline_kernelINS0_14default_configENS1_25transform_config_selectorImLb1EEEZNS1_14transform_implILb1ES3_S5_PmS7_NS0_8identityIvEEEE10hipError_tT2_T3_mT4_P12ihipStream_tbEUlT_E_NS1_11comp_targetILNS1_3genE2ELNS1_11target_archE906ELNS1_3gpuE6ELNS1_3repE0EEENS1_30default_config_static_selectorELNS0_4arch9wavefront6targetE0EEEvT1_,"axG",@progbits,_ZN7rocprim17ROCPRIM_400000_NS6detail17trampoline_kernelINS0_14default_configENS1_25transform_config_selectorImLb1EEEZNS1_14transform_implILb1ES3_S5_PmS7_NS0_8identityIvEEEE10hipError_tT2_T3_mT4_P12ihipStream_tbEUlT_E_NS1_11comp_targetILNS1_3genE2ELNS1_11target_archE906ELNS1_3gpuE6ELNS1_3repE0EEENS1_30default_config_static_selectorELNS0_4arch9wavefront6targetE0EEEvT1_,comdat
.Lfunc_end17:
	.size	_ZN7rocprim17ROCPRIM_400000_NS6detail17trampoline_kernelINS0_14default_configENS1_25transform_config_selectorImLb1EEEZNS1_14transform_implILb1ES3_S5_PmS7_NS0_8identityIvEEEE10hipError_tT2_T3_mT4_P12ihipStream_tbEUlT_E_NS1_11comp_targetILNS1_3genE2ELNS1_11target_archE906ELNS1_3gpuE6ELNS1_3repE0EEENS1_30default_config_static_selectorELNS0_4arch9wavefront6targetE0EEEvT1_, .Lfunc_end17-_ZN7rocprim17ROCPRIM_400000_NS6detail17trampoline_kernelINS0_14default_configENS1_25transform_config_selectorImLb1EEEZNS1_14transform_implILb1ES3_S5_PmS7_NS0_8identityIvEEEE10hipError_tT2_T3_mT4_P12ihipStream_tbEUlT_E_NS1_11comp_targetILNS1_3genE2ELNS1_11target_archE906ELNS1_3gpuE6ELNS1_3repE0EEENS1_30default_config_static_selectorELNS0_4arch9wavefront6targetE0EEEvT1_
                                        ; -- End function
	.section	.AMDGPU.csdata,"",@progbits
; Kernel info:
; codeLenInByte = 0
; NumSgprs: 0
; NumVgprs: 0
; ScratchSize: 0
; MemoryBound: 0
; FloatMode: 240
; IeeeMode: 1
; LDSByteSize: 0 bytes/workgroup (compile time only)
; SGPRBlocks: 0
; VGPRBlocks: 0
; NumSGPRsForWavesPerEU: 1
; NumVGPRsForWavesPerEU: 1
; Occupancy: 16
; WaveLimiterHint : 0
; COMPUTE_PGM_RSRC2:SCRATCH_EN: 0
; COMPUTE_PGM_RSRC2:USER_SGPR: 15
; COMPUTE_PGM_RSRC2:TRAP_HANDLER: 0
; COMPUTE_PGM_RSRC2:TGID_X_EN: 1
; COMPUTE_PGM_RSRC2:TGID_Y_EN: 0
; COMPUTE_PGM_RSRC2:TGID_Z_EN: 0
; COMPUTE_PGM_RSRC2:TIDIG_COMP_CNT: 0
	.section	.text._ZN7rocprim17ROCPRIM_400000_NS6detail17trampoline_kernelINS0_14default_configENS1_25transform_config_selectorImLb1EEEZNS1_14transform_implILb1ES3_S5_PmS7_NS0_8identityIvEEEE10hipError_tT2_T3_mT4_P12ihipStream_tbEUlT_E_NS1_11comp_targetILNS1_3genE9ELNS1_11target_archE1100ELNS1_3gpuE3ELNS1_3repE0EEENS1_30default_config_static_selectorELNS0_4arch9wavefront6targetE0EEEvT1_,"axG",@progbits,_ZN7rocprim17ROCPRIM_400000_NS6detail17trampoline_kernelINS0_14default_configENS1_25transform_config_selectorImLb1EEEZNS1_14transform_implILb1ES3_S5_PmS7_NS0_8identityIvEEEE10hipError_tT2_T3_mT4_P12ihipStream_tbEUlT_E_NS1_11comp_targetILNS1_3genE9ELNS1_11target_archE1100ELNS1_3gpuE3ELNS1_3repE0EEENS1_30default_config_static_selectorELNS0_4arch9wavefront6targetE0EEEvT1_,comdat
	.protected	_ZN7rocprim17ROCPRIM_400000_NS6detail17trampoline_kernelINS0_14default_configENS1_25transform_config_selectorImLb1EEEZNS1_14transform_implILb1ES3_S5_PmS7_NS0_8identityIvEEEE10hipError_tT2_T3_mT4_P12ihipStream_tbEUlT_E_NS1_11comp_targetILNS1_3genE9ELNS1_11target_archE1100ELNS1_3gpuE3ELNS1_3repE0EEENS1_30default_config_static_selectorELNS0_4arch9wavefront6targetE0EEEvT1_ ; -- Begin function _ZN7rocprim17ROCPRIM_400000_NS6detail17trampoline_kernelINS0_14default_configENS1_25transform_config_selectorImLb1EEEZNS1_14transform_implILb1ES3_S5_PmS7_NS0_8identityIvEEEE10hipError_tT2_T3_mT4_P12ihipStream_tbEUlT_E_NS1_11comp_targetILNS1_3genE9ELNS1_11target_archE1100ELNS1_3gpuE3ELNS1_3repE0EEENS1_30default_config_static_selectorELNS0_4arch9wavefront6targetE0EEEvT1_
	.globl	_ZN7rocprim17ROCPRIM_400000_NS6detail17trampoline_kernelINS0_14default_configENS1_25transform_config_selectorImLb1EEEZNS1_14transform_implILb1ES3_S5_PmS7_NS0_8identityIvEEEE10hipError_tT2_T3_mT4_P12ihipStream_tbEUlT_E_NS1_11comp_targetILNS1_3genE9ELNS1_11target_archE1100ELNS1_3gpuE3ELNS1_3repE0EEENS1_30default_config_static_selectorELNS0_4arch9wavefront6targetE0EEEvT1_
	.p2align	8
	.type	_ZN7rocprim17ROCPRIM_400000_NS6detail17trampoline_kernelINS0_14default_configENS1_25transform_config_selectorImLb1EEEZNS1_14transform_implILb1ES3_S5_PmS7_NS0_8identityIvEEEE10hipError_tT2_T3_mT4_P12ihipStream_tbEUlT_E_NS1_11comp_targetILNS1_3genE9ELNS1_11target_archE1100ELNS1_3gpuE3ELNS1_3repE0EEENS1_30default_config_static_selectorELNS0_4arch9wavefront6targetE0EEEvT1_,@function
_ZN7rocprim17ROCPRIM_400000_NS6detail17trampoline_kernelINS0_14default_configENS1_25transform_config_selectorImLb1EEEZNS1_14transform_implILb1ES3_S5_PmS7_NS0_8identityIvEEEE10hipError_tT2_T3_mT4_P12ihipStream_tbEUlT_E_NS1_11comp_targetILNS1_3genE9ELNS1_11target_archE1100ELNS1_3gpuE3ELNS1_3repE0EEENS1_30default_config_static_selectorELNS0_4arch9wavefront6targetE0EEEvT1_: ; @_ZN7rocprim17ROCPRIM_400000_NS6detail17trampoline_kernelINS0_14default_configENS1_25transform_config_selectorImLb1EEEZNS1_14transform_implILb1ES3_S5_PmS7_NS0_8identityIvEEEE10hipError_tT2_T3_mT4_P12ihipStream_tbEUlT_E_NS1_11comp_targetILNS1_3genE9ELNS1_11target_archE1100ELNS1_3gpuE3ELNS1_3repE0EEENS1_30default_config_static_selectorELNS0_4arch9wavefront6targetE0EEEvT1_
; %bb.0:
	s_load_b256 s[4:11], s[0:1], 0x0
	s_waitcnt lgkmcnt(0)
	s_load_b32 s9, s[0:1], 0x28
	s_lshl_b64 s[0:1], s[6:7], 3
	s_delay_alu instid0(SALU_CYCLE_1)
	s_add_u32 s4, s4, s0
	s_addc_u32 s5, s5, s1
	s_add_u32 s6, s10, s0
	s_addc_u32 s7, s11, s1
	s_lshl_b32 s0, s15, 11
	s_mov_b32 s1, 0
	s_waitcnt lgkmcnt(0)
	s_add_i32 s9, s9, -1
	s_lshl_b64 s[2:3], s[0:1], 3
	s_mov_b32 s1, -1
	s_add_u32 s4, s4, s2
	s_addc_u32 s5, s5, s3
	s_cmp_lg_u32 s15, s9
	s_cbranch_scc0 .LBB18_2
; %bb.1:
	v_lshlrev_b32_e32 v5, 4, v0
	s_add_u32 s10, s6, s2
	s_addc_u32 s11, s7, s3
	s_mov_b32 s1, 0
	global_load_b128 v[1:4], v5, s[4:5] slc dlc
	s_waitcnt vmcnt(0)
	global_store_b128 v5, v[1:4], s[10:11]
.LBB18_2:
	s_and_not1_b32 vcc_lo, exec_lo, s1
	s_cbranch_vccnz .LBB18_11
; %bb.3:
	s_sub_i32 s0, s8, s0
	v_lshlrev_b32_e32 v5, 3, v0
	v_cmp_gt_u32_e32 vcc_lo, s0, v0
                                        ; implicit-def: $vgpr1_vgpr2_vgpr3_vgpr4
	s_and_saveexec_b32 s1, vcc_lo
	s_cbranch_execz .LBB18_5
; %bb.4:
	global_load_b64 v[1:2], v5, s[4:5]
.LBB18_5:
	s_or_b32 exec_lo, exec_lo, s1
	v_or_b32_e32 v0, 0x400, v0
	s_delay_alu instid0(VALU_DEP_1) | instskip(NEXT) | instid1(VALU_DEP_1)
	v_cmp_gt_u32_e64 s0, s0, v0
	s_and_saveexec_b32 s1, s0
	s_cbranch_execz .LBB18_7
; %bb.6:
	v_lshlrev_b32_e32 v0, 3, v0
	global_load_b64 v[3:4], v0, s[4:5]
.LBB18_7:
	s_or_b32 exec_lo, exec_lo, s1
	s_add_u32 s1, s6, s2
	s_addc_u32 s2, s7, s3
	v_add_co_u32 v5, s1, s1, v5
	s_delay_alu instid0(VALU_DEP_1)
	v_add_co_ci_u32_e64 v6, null, s2, 0, s1
	s_and_saveexec_b32 s1, vcc_lo
	s_cbranch_execz .LBB18_9
; %bb.8:
	s_waitcnt vmcnt(0)
	global_store_b64 v[5:6], v[1:2], off
.LBB18_9:
	s_or_b32 exec_lo, exec_lo, s1
	s_and_saveexec_b32 s1, s0
	s_cbranch_execz .LBB18_11
; %bb.10:
	v_add_co_u32 v0, vcc_lo, 0x2000, v5
	s_waitcnt vmcnt(0)
	v_add_co_ci_u32_e32 v1, vcc_lo, 0, v6, vcc_lo
	global_store_b64 v[0:1], v[3:4], off
.LBB18_11:
	s_nop 0
	s_sendmsg sendmsg(MSG_DEALLOC_VGPRS)
	s_endpgm
	.section	.rodata,"a",@progbits
	.p2align	6, 0x0
	.amdhsa_kernel _ZN7rocprim17ROCPRIM_400000_NS6detail17trampoline_kernelINS0_14default_configENS1_25transform_config_selectorImLb1EEEZNS1_14transform_implILb1ES3_S5_PmS7_NS0_8identityIvEEEE10hipError_tT2_T3_mT4_P12ihipStream_tbEUlT_E_NS1_11comp_targetILNS1_3genE9ELNS1_11target_archE1100ELNS1_3gpuE3ELNS1_3repE0EEENS1_30default_config_static_selectorELNS0_4arch9wavefront6targetE0EEEvT1_
		.amdhsa_group_segment_fixed_size 0
		.amdhsa_private_segment_fixed_size 0
		.amdhsa_kernarg_size 296
		.amdhsa_user_sgpr_count 15
		.amdhsa_user_sgpr_dispatch_ptr 0
		.amdhsa_user_sgpr_queue_ptr 0
		.amdhsa_user_sgpr_kernarg_segment_ptr 1
		.amdhsa_user_sgpr_dispatch_id 0
		.amdhsa_user_sgpr_private_segment_size 0
		.amdhsa_wavefront_size32 1
		.amdhsa_uses_dynamic_stack 0
		.amdhsa_enable_private_segment 0
		.amdhsa_system_sgpr_workgroup_id_x 1
		.amdhsa_system_sgpr_workgroup_id_y 0
		.amdhsa_system_sgpr_workgroup_id_z 0
		.amdhsa_system_sgpr_workgroup_info 0
		.amdhsa_system_vgpr_workitem_id 0
		.amdhsa_next_free_vgpr 7
		.amdhsa_next_free_sgpr 16
		.amdhsa_reserve_vcc 1
		.amdhsa_float_round_mode_32 0
		.amdhsa_float_round_mode_16_64 0
		.amdhsa_float_denorm_mode_32 3
		.amdhsa_float_denorm_mode_16_64 3
		.amdhsa_dx10_clamp 1
		.amdhsa_ieee_mode 1
		.amdhsa_fp16_overflow 0
		.amdhsa_workgroup_processor_mode 1
		.amdhsa_memory_ordered 1
		.amdhsa_forward_progress 0
		.amdhsa_shared_vgpr_count 0
		.amdhsa_exception_fp_ieee_invalid_op 0
		.amdhsa_exception_fp_denorm_src 0
		.amdhsa_exception_fp_ieee_div_zero 0
		.amdhsa_exception_fp_ieee_overflow 0
		.amdhsa_exception_fp_ieee_underflow 0
		.amdhsa_exception_fp_ieee_inexact 0
		.amdhsa_exception_int_div_zero 0
	.end_amdhsa_kernel
	.section	.text._ZN7rocprim17ROCPRIM_400000_NS6detail17trampoline_kernelINS0_14default_configENS1_25transform_config_selectorImLb1EEEZNS1_14transform_implILb1ES3_S5_PmS7_NS0_8identityIvEEEE10hipError_tT2_T3_mT4_P12ihipStream_tbEUlT_E_NS1_11comp_targetILNS1_3genE9ELNS1_11target_archE1100ELNS1_3gpuE3ELNS1_3repE0EEENS1_30default_config_static_selectorELNS0_4arch9wavefront6targetE0EEEvT1_,"axG",@progbits,_ZN7rocprim17ROCPRIM_400000_NS6detail17trampoline_kernelINS0_14default_configENS1_25transform_config_selectorImLb1EEEZNS1_14transform_implILb1ES3_S5_PmS7_NS0_8identityIvEEEE10hipError_tT2_T3_mT4_P12ihipStream_tbEUlT_E_NS1_11comp_targetILNS1_3genE9ELNS1_11target_archE1100ELNS1_3gpuE3ELNS1_3repE0EEENS1_30default_config_static_selectorELNS0_4arch9wavefront6targetE0EEEvT1_,comdat
.Lfunc_end18:
	.size	_ZN7rocprim17ROCPRIM_400000_NS6detail17trampoline_kernelINS0_14default_configENS1_25transform_config_selectorImLb1EEEZNS1_14transform_implILb1ES3_S5_PmS7_NS0_8identityIvEEEE10hipError_tT2_T3_mT4_P12ihipStream_tbEUlT_E_NS1_11comp_targetILNS1_3genE9ELNS1_11target_archE1100ELNS1_3gpuE3ELNS1_3repE0EEENS1_30default_config_static_selectorELNS0_4arch9wavefront6targetE0EEEvT1_, .Lfunc_end18-_ZN7rocprim17ROCPRIM_400000_NS6detail17trampoline_kernelINS0_14default_configENS1_25transform_config_selectorImLb1EEEZNS1_14transform_implILb1ES3_S5_PmS7_NS0_8identityIvEEEE10hipError_tT2_T3_mT4_P12ihipStream_tbEUlT_E_NS1_11comp_targetILNS1_3genE9ELNS1_11target_archE1100ELNS1_3gpuE3ELNS1_3repE0EEENS1_30default_config_static_selectorELNS0_4arch9wavefront6targetE0EEEvT1_
                                        ; -- End function
	.section	.AMDGPU.csdata,"",@progbits
; Kernel info:
; codeLenInByte = 304
; NumSgprs: 18
; NumVgprs: 7
; ScratchSize: 0
; MemoryBound: 1
; FloatMode: 240
; IeeeMode: 1
; LDSByteSize: 0 bytes/workgroup (compile time only)
; SGPRBlocks: 2
; VGPRBlocks: 0
; NumSGPRsForWavesPerEU: 18
; NumVGPRsForWavesPerEU: 7
; Occupancy: 16
; WaveLimiterHint : 0
; COMPUTE_PGM_RSRC2:SCRATCH_EN: 0
; COMPUTE_PGM_RSRC2:USER_SGPR: 15
; COMPUTE_PGM_RSRC2:TRAP_HANDLER: 0
; COMPUTE_PGM_RSRC2:TGID_X_EN: 1
; COMPUTE_PGM_RSRC2:TGID_Y_EN: 0
; COMPUTE_PGM_RSRC2:TGID_Z_EN: 0
; COMPUTE_PGM_RSRC2:TIDIG_COMP_CNT: 0
	.section	.text._ZN7rocprim17ROCPRIM_400000_NS6detail17trampoline_kernelINS0_14default_configENS1_25transform_config_selectorImLb1EEEZNS1_14transform_implILb1ES3_S5_PmS7_NS0_8identityIvEEEE10hipError_tT2_T3_mT4_P12ihipStream_tbEUlT_E_NS1_11comp_targetILNS1_3genE8ELNS1_11target_archE1030ELNS1_3gpuE2ELNS1_3repE0EEENS1_30default_config_static_selectorELNS0_4arch9wavefront6targetE0EEEvT1_,"axG",@progbits,_ZN7rocprim17ROCPRIM_400000_NS6detail17trampoline_kernelINS0_14default_configENS1_25transform_config_selectorImLb1EEEZNS1_14transform_implILb1ES3_S5_PmS7_NS0_8identityIvEEEE10hipError_tT2_T3_mT4_P12ihipStream_tbEUlT_E_NS1_11comp_targetILNS1_3genE8ELNS1_11target_archE1030ELNS1_3gpuE2ELNS1_3repE0EEENS1_30default_config_static_selectorELNS0_4arch9wavefront6targetE0EEEvT1_,comdat
	.protected	_ZN7rocprim17ROCPRIM_400000_NS6detail17trampoline_kernelINS0_14default_configENS1_25transform_config_selectorImLb1EEEZNS1_14transform_implILb1ES3_S5_PmS7_NS0_8identityIvEEEE10hipError_tT2_T3_mT4_P12ihipStream_tbEUlT_E_NS1_11comp_targetILNS1_3genE8ELNS1_11target_archE1030ELNS1_3gpuE2ELNS1_3repE0EEENS1_30default_config_static_selectorELNS0_4arch9wavefront6targetE0EEEvT1_ ; -- Begin function _ZN7rocprim17ROCPRIM_400000_NS6detail17trampoline_kernelINS0_14default_configENS1_25transform_config_selectorImLb1EEEZNS1_14transform_implILb1ES3_S5_PmS7_NS0_8identityIvEEEE10hipError_tT2_T3_mT4_P12ihipStream_tbEUlT_E_NS1_11comp_targetILNS1_3genE8ELNS1_11target_archE1030ELNS1_3gpuE2ELNS1_3repE0EEENS1_30default_config_static_selectorELNS0_4arch9wavefront6targetE0EEEvT1_
	.globl	_ZN7rocprim17ROCPRIM_400000_NS6detail17trampoline_kernelINS0_14default_configENS1_25transform_config_selectorImLb1EEEZNS1_14transform_implILb1ES3_S5_PmS7_NS0_8identityIvEEEE10hipError_tT2_T3_mT4_P12ihipStream_tbEUlT_E_NS1_11comp_targetILNS1_3genE8ELNS1_11target_archE1030ELNS1_3gpuE2ELNS1_3repE0EEENS1_30default_config_static_selectorELNS0_4arch9wavefront6targetE0EEEvT1_
	.p2align	8
	.type	_ZN7rocprim17ROCPRIM_400000_NS6detail17trampoline_kernelINS0_14default_configENS1_25transform_config_selectorImLb1EEEZNS1_14transform_implILb1ES3_S5_PmS7_NS0_8identityIvEEEE10hipError_tT2_T3_mT4_P12ihipStream_tbEUlT_E_NS1_11comp_targetILNS1_3genE8ELNS1_11target_archE1030ELNS1_3gpuE2ELNS1_3repE0EEENS1_30default_config_static_selectorELNS0_4arch9wavefront6targetE0EEEvT1_,@function
_ZN7rocprim17ROCPRIM_400000_NS6detail17trampoline_kernelINS0_14default_configENS1_25transform_config_selectorImLb1EEEZNS1_14transform_implILb1ES3_S5_PmS7_NS0_8identityIvEEEE10hipError_tT2_T3_mT4_P12ihipStream_tbEUlT_E_NS1_11comp_targetILNS1_3genE8ELNS1_11target_archE1030ELNS1_3gpuE2ELNS1_3repE0EEENS1_30default_config_static_selectorELNS0_4arch9wavefront6targetE0EEEvT1_: ; @_ZN7rocprim17ROCPRIM_400000_NS6detail17trampoline_kernelINS0_14default_configENS1_25transform_config_selectorImLb1EEEZNS1_14transform_implILb1ES3_S5_PmS7_NS0_8identityIvEEEE10hipError_tT2_T3_mT4_P12ihipStream_tbEUlT_E_NS1_11comp_targetILNS1_3genE8ELNS1_11target_archE1030ELNS1_3gpuE2ELNS1_3repE0EEENS1_30default_config_static_selectorELNS0_4arch9wavefront6targetE0EEEvT1_
; %bb.0:
	.section	.rodata,"a",@progbits
	.p2align	6, 0x0
	.amdhsa_kernel _ZN7rocprim17ROCPRIM_400000_NS6detail17trampoline_kernelINS0_14default_configENS1_25transform_config_selectorImLb1EEEZNS1_14transform_implILb1ES3_S5_PmS7_NS0_8identityIvEEEE10hipError_tT2_T3_mT4_P12ihipStream_tbEUlT_E_NS1_11comp_targetILNS1_3genE8ELNS1_11target_archE1030ELNS1_3gpuE2ELNS1_3repE0EEENS1_30default_config_static_selectorELNS0_4arch9wavefront6targetE0EEEvT1_
		.amdhsa_group_segment_fixed_size 0
		.amdhsa_private_segment_fixed_size 0
		.amdhsa_kernarg_size 40
		.amdhsa_user_sgpr_count 15
		.amdhsa_user_sgpr_dispatch_ptr 0
		.amdhsa_user_sgpr_queue_ptr 0
		.amdhsa_user_sgpr_kernarg_segment_ptr 1
		.amdhsa_user_sgpr_dispatch_id 0
		.amdhsa_user_sgpr_private_segment_size 0
		.amdhsa_wavefront_size32 1
		.amdhsa_uses_dynamic_stack 0
		.amdhsa_enable_private_segment 0
		.amdhsa_system_sgpr_workgroup_id_x 1
		.amdhsa_system_sgpr_workgroup_id_y 0
		.amdhsa_system_sgpr_workgroup_id_z 0
		.amdhsa_system_sgpr_workgroup_info 0
		.amdhsa_system_vgpr_workitem_id 0
		.amdhsa_next_free_vgpr 1
		.amdhsa_next_free_sgpr 1
		.amdhsa_reserve_vcc 0
		.amdhsa_float_round_mode_32 0
		.amdhsa_float_round_mode_16_64 0
		.amdhsa_float_denorm_mode_32 3
		.amdhsa_float_denorm_mode_16_64 3
		.amdhsa_dx10_clamp 1
		.amdhsa_ieee_mode 1
		.amdhsa_fp16_overflow 0
		.amdhsa_workgroup_processor_mode 1
		.amdhsa_memory_ordered 1
		.amdhsa_forward_progress 0
		.amdhsa_shared_vgpr_count 0
		.amdhsa_exception_fp_ieee_invalid_op 0
		.amdhsa_exception_fp_denorm_src 0
		.amdhsa_exception_fp_ieee_div_zero 0
		.amdhsa_exception_fp_ieee_overflow 0
		.amdhsa_exception_fp_ieee_underflow 0
		.amdhsa_exception_fp_ieee_inexact 0
		.amdhsa_exception_int_div_zero 0
	.end_amdhsa_kernel
	.section	.text._ZN7rocprim17ROCPRIM_400000_NS6detail17trampoline_kernelINS0_14default_configENS1_25transform_config_selectorImLb1EEEZNS1_14transform_implILb1ES3_S5_PmS7_NS0_8identityIvEEEE10hipError_tT2_T3_mT4_P12ihipStream_tbEUlT_E_NS1_11comp_targetILNS1_3genE8ELNS1_11target_archE1030ELNS1_3gpuE2ELNS1_3repE0EEENS1_30default_config_static_selectorELNS0_4arch9wavefront6targetE0EEEvT1_,"axG",@progbits,_ZN7rocprim17ROCPRIM_400000_NS6detail17trampoline_kernelINS0_14default_configENS1_25transform_config_selectorImLb1EEEZNS1_14transform_implILb1ES3_S5_PmS7_NS0_8identityIvEEEE10hipError_tT2_T3_mT4_P12ihipStream_tbEUlT_E_NS1_11comp_targetILNS1_3genE8ELNS1_11target_archE1030ELNS1_3gpuE2ELNS1_3repE0EEENS1_30default_config_static_selectorELNS0_4arch9wavefront6targetE0EEEvT1_,comdat
.Lfunc_end19:
	.size	_ZN7rocprim17ROCPRIM_400000_NS6detail17trampoline_kernelINS0_14default_configENS1_25transform_config_selectorImLb1EEEZNS1_14transform_implILb1ES3_S5_PmS7_NS0_8identityIvEEEE10hipError_tT2_T3_mT4_P12ihipStream_tbEUlT_E_NS1_11comp_targetILNS1_3genE8ELNS1_11target_archE1030ELNS1_3gpuE2ELNS1_3repE0EEENS1_30default_config_static_selectorELNS0_4arch9wavefront6targetE0EEEvT1_, .Lfunc_end19-_ZN7rocprim17ROCPRIM_400000_NS6detail17trampoline_kernelINS0_14default_configENS1_25transform_config_selectorImLb1EEEZNS1_14transform_implILb1ES3_S5_PmS7_NS0_8identityIvEEEE10hipError_tT2_T3_mT4_P12ihipStream_tbEUlT_E_NS1_11comp_targetILNS1_3genE8ELNS1_11target_archE1030ELNS1_3gpuE2ELNS1_3repE0EEENS1_30default_config_static_selectorELNS0_4arch9wavefront6targetE0EEEvT1_
                                        ; -- End function
	.section	.AMDGPU.csdata,"",@progbits
; Kernel info:
; codeLenInByte = 0
; NumSgprs: 0
; NumVgprs: 0
; ScratchSize: 0
; MemoryBound: 0
; FloatMode: 240
; IeeeMode: 1
; LDSByteSize: 0 bytes/workgroup (compile time only)
; SGPRBlocks: 0
; VGPRBlocks: 0
; NumSGPRsForWavesPerEU: 1
; NumVGPRsForWavesPerEU: 1
; Occupancy: 16
; WaveLimiterHint : 0
; COMPUTE_PGM_RSRC2:SCRATCH_EN: 0
; COMPUTE_PGM_RSRC2:USER_SGPR: 15
; COMPUTE_PGM_RSRC2:TRAP_HANDLER: 0
; COMPUTE_PGM_RSRC2:TGID_X_EN: 1
; COMPUTE_PGM_RSRC2:TGID_Y_EN: 0
; COMPUTE_PGM_RSRC2:TGID_Z_EN: 0
; COMPUTE_PGM_RSRC2:TIDIG_COMP_CNT: 0
	.section	.text._ZN7rocprim17ROCPRIM_400000_NS6detail31init_lookback_scan_state_kernelINS1_19lookback_scan_stateIjLb1ELb1EEENS1_16block_id_wrapperIjLb1EEEEEvT_jT0_jPNS7_10value_typeE,"axG",@progbits,_ZN7rocprim17ROCPRIM_400000_NS6detail31init_lookback_scan_state_kernelINS1_19lookback_scan_stateIjLb1ELb1EEENS1_16block_id_wrapperIjLb1EEEEEvT_jT0_jPNS7_10value_typeE,comdat
	.protected	_ZN7rocprim17ROCPRIM_400000_NS6detail31init_lookback_scan_state_kernelINS1_19lookback_scan_stateIjLb1ELb1EEENS1_16block_id_wrapperIjLb1EEEEEvT_jT0_jPNS7_10value_typeE ; -- Begin function _ZN7rocprim17ROCPRIM_400000_NS6detail31init_lookback_scan_state_kernelINS1_19lookback_scan_stateIjLb1ELb1EEENS1_16block_id_wrapperIjLb1EEEEEvT_jT0_jPNS7_10value_typeE
	.globl	_ZN7rocprim17ROCPRIM_400000_NS6detail31init_lookback_scan_state_kernelINS1_19lookback_scan_stateIjLb1ELb1EEENS1_16block_id_wrapperIjLb1EEEEEvT_jT0_jPNS7_10value_typeE
	.p2align	8
	.type	_ZN7rocprim17ROCPRIM_400000_NS6detail31init_lookback_scan_state_kernelINS1_19lookback_scan_stateIjLb1ELb1EEENS1_16block_id_wrapperIjLb1EEEEEvT_jT0_jPNS7_10value_typeE,@function
_ZN7rocprim17ROCPRIM_400000_NS6detail31init_lookback_scan_state_kernelINS1_19lookback_scan_stateIjLb1ELb1EEENS1_16block_id_wrapperIjLb1EEEEEvT_jT0_jPNS7_10value_typeE: ; @_ZN7rocprim17ROCPRIM_400000_NS6detail31init_lookback_scan_state_kernelINS1_19lookback_scan_stateIjLb1ELb1EEENS1_16block_id_wrapperIjLb1EEEEEvT_jT0_jPNS7_10value_typeE
; %bb.0:
	s_clause 0x3
	s_load_b32 s6, s[0:1], 0x34
	s_load_b64 s[4:5], s[0:1], 0x20
	s_load_b64 s[2:3], s[0:1], 0x0
	s_load_b32 s8, s[0:1], 0x8
	s_waitcnt lgkmcnt(0)
	s_and_b32 s6, s6, 0xffff
	s_cmp_eq_u64 s[4:5], 0
	v_mad_u64_u32 v[1:2], null, s15, s6, v[0:1]
	s_cbranch_scc1 .LBB20_9
; %bb.1:
	s_load_b32 s6, s[0:1], 0x18
	s_waitcnt lgkmcnt(0)
	s_cmp_lt_u32 s6, s8
	s_cselect_b32 s7, s6, 0
	s_delay_alu instid0(VALU_DEP_1) | instid1(SALU_CYCLE_1)
	v_cmp_eq_u32_e32 vcc_lo, s7, v1
	s_mov_b32 s7, 0
	s_and_saveexec_b32 s9, vcc_lo
	s_cbranch_execz .LBB20_8
; %bb.2:
	s_add_i32 s6, s6, 32
	v_mov_b32_e32 v2, 0
	s_lshl_b64 s[6:7], s[6:7], 3
	s_delay_alu instid0(SALU_CYCLE_1) | instskip(SKIP_4) | instid1(VALU_DEP_1)
	s_add_u32 s6, s2, s6
	s_addc_u32 s7, s3, s7
	global_load_b64 v[4:5], v2, s[6:7] glc
	s_waitcnt vmcnt(0)
	v_and_b32_e32 v3, 0xff, v5
	v_cmp_ne_u64_e32 vcc_lo, 0, v[2:3]
	s_cbranch_vccnz .LBB20_7
; %bb.3:
	s_mov_b32 s10, 1
.LBB20_4:                               ; =>This Loop Header: Depth=1
                                        ;     Child Loop BB20_5 Depth 2
	s_delay_alu instid0(SALU_CYCLE_1)
	s_max_u32 s11, s10, 1
.LBB20_5:                               ;   Parent Loop BB20_4 Depth=1
                                        ; =>  This Inner Loop Header: Depth=2
	s_delay_alu instid0(SALU_CYCLE_1)
	s_add_i32 s11, s11, -1
	s_sleep 1
	s_cmp_eq_u32 s11, 0
	s_cbranch_scc0 .LBB20_5
; %bb.6:                                ;   in Loop: Header=BB20_4 Depth=1
	global_load_b64 v[4:5], v2, s[6:7] glc
	s_cmp_lt_u32 s10, 32
	s_cselect_b32 s11, -1, 0
	s_delay_alu instid0(SALU_CYCLE_1) | instskip(SKIP_3) | instid1(VALU_DEP_1)
	s_cmp_lg_u32 s11, 0
	s_addc_u32 s10, s10, 0
	s_waitcnt vmcnt(0)
	v_and_b32_e32 v3, 0xff, v5
	v_cmp_ne_u64_e32 vcc_lo, 0, v[2:3]
	s_cbranch_vccz .LBB20_4
.LBB20_7:
	v_mov_b32_e32 v0, 0
	global_store_b32 v0, v4, s[4:5]
.LBB20_8:
	s_or_b32 exec_lo, exec_lo, s9
.LBB20_9:
	s_delay_alu instid0(SALU_CYCLE_1) | instskip(NEXT) | instid1(VALU_DEP_1)
	s_mov_b32 s4, exec_lo
	v_cmpx_eq_u32_e32 0, v1
	s_cbranch_execz .LBB20_11
; %bb.10:
	s_load_b64 s[0:1], s[0:1], 0x10
	v_mov_b32_e32 v0, 0
	s_waitcnt lgkmcnt(0)
	global_store_b32 v0, v0, s[0:1]
.LBB20_11:
	s_or_b32 exec_lo, exec_lo, s4
	s_delay_alu instid0(SALU_CYCLE_1)
	s_mov_b32 s0, exec_lo
	v_cmpx_gt_u32_e64 s8, v1
	s_cbranch_execz .LBB20_13
; %bb.12:
	v_dual_mov_b32 v3, 0 :: v_dual_add_nc_u32 v2, 32, v1
	s_delay_alu instid0(VALU_DEP_1) | instskip(SKIP_1) | instid1(VALU_DEP_2)
	v_lshlrev_b64 v[4:5], 3, v[2:3]
	v_mov_b32_e32 v2, v3
	v_add_co_u32 v4, vcc_lo, s2, v4
	s_delay_alu instid0(VALU_DEP_3)
	v_add_co_ci_u32_e32 v5, vcc_lo, s3, v5, vcc_lo
	global_store_b64 v[4:5], v[2:3], off
.LBB20_13:
	s_or_b32 exec_lo, exec_lo, s0
	s_delay_alu instid0(SALU_CYCLE_1)
	s_mov_b32 s0, exec_lo
	v_cmpx_gt_u32_e32 32, v1
	s_cbranch_execz .LBB20_15
; %bb.14:
	v_dual_mov_b32 v2, 0 :: v_dual_mov_b32 v3, 0xff
	s_delay_alu instid0(VALU_DEP_1) | instskip(NEXT) | instid1(VALU_DEP_1)
	v_lshlrev_b64 v[0:1], 3, v[1:2]
	v_add_co_u32 v0, vcc_lo, s2, v0
	s_delay_alu instid0(VALU_DEP_2)
	v_add_co_ci_u32_e32 v1, vcc_lo, s3, v1, vcc_lo
	global_store_b64 v[0:1], v[2:3], off
.LBB20_15:
	s_nop 0
	s_sendmsg sendmsg(MSG_DEALLOC_VGPRS)
	s_endpgm
	.section	.rodata,"a",@progbits
	.p2align	6, 0x0
	.amdhsa_kernel _ZN7rocprim17ROCPRIM_400000_NS6detail31init_lookback_scan_state_kernelINS1_19lookback_scan_stateIjLb1ELb1EEENS1_16block_id_wrapperIjLb1EEEEEvT_jT0_jPNS7_10value_typeE
		.amdhsa_group_segment_fixed_size 0
		.amdhsa_private_segment_fixed_size 0
		.amdhsa_kernarg_size 296
		.amdhsa_user_sgpr_count 15
		.amdhsa_user_sgpr_dispatch_ptr 0
		.amdhsa_user_sgpr_queue_ptr 0
		.amdhsa_user_sgpr_kernarg_segment_ptr 1
		.amdhsa_user_sgpr_dispatch_id 0
		.amdhsa_user_sgpr_private_segment_size 0
		.amdhsa_wavefront_size32 1
		.amdhsa_uses_dynamic_stack 0
		.amdhsa_enable_private_segment 0
		.amdhsa_system_sgpr_workgroup_id_x 1
		.amdhsa_system_sgpr_workgroup_id_y 0
		.amdhsa_system_sgpr_workgroup_id_z 0
		.amdhsa_system_sgpr_workgroup_info 0
		.amdhsa_system_vgpr_workitem_id 0
		.amdhsa_next_free_vgpr 6
		.amdhsa_next_free_sgpr 16
		.amdhsa_reserve_vcc 1
		.amdhsa_float_round_mode_32 0
		.amdhsa_float_round_mode_16_64 0
		.amdhsa_float_denorm_mode_32 3
		.amdhsa_float_denorm_mode_16_64 3
		.amdhsa_dx10_clamp 1
		.amdhsa_ieee_mode 1
		.amdhsa_fp16_overflow 0
		.amdhsa_workgroup_processor_mode 1
		.amdhsa_memory_ordered 1
		.amdhsa_forward_progress 0
		.amdhsa_shared_vgpr_count 0
		.amdhsa_exception_fp_ieee_invalid_op 0
		.amdhsa_exception_fp_denorm_src 0
		.amdhsa_exception_fp_ieee_div_zero 0
		.amdhsa_exception_fp_ieee_overflow 0
		.amdhsa_exception_fp_ieee_underflow 0
		.amdhsa_exception_fp_ieee_inexact 0
		.amdhsa_exception_int_div_zero 0
	.end_amdhsa_kernel
	.section	.text._ZN7rocprim17ROCPRIM_400000_NS6detail31init_lookback_scan_state_kernelINS1_19lookback_scan_stateIjLb1ELb1EEENS1_16block_id_wrapperIjLb1EEEEEvT_jT0_jPNS7_10value_typeE,"axG",@progbits,_ZN7rocprim17ROCPRIM_400000_NS6detail31init_lookback_scan_state_kernelINS1_19lookback_scan_stateIjLb1ELb1EEENS1_16block_id_wrapperIjLb1EEEEEvT_jT0_jPNS7_10value_typeE,comdat
.Lfunc_end20:
	.size	_ZN7rocprim17ROCPRIM_400000_NS6detail31init_lookback_scan_state_kernelINS1_19lookback_scan_stateIjLb1ELb1EEENS1_16block_id_wrapperIjLb1EEEEEvT_jT0_jPNS7_10value_typeE, .Lfunc_end20-_ZN7rocprim17ROCPRIM_400000_NS6detail31init_lookback_scan_state_kernelINS1_19lookback_scan_stateIjLb1ELb1EEENS1_16block_id_wrapperIjLb1EEEEEvT_jT0_jPNS7_10value_typeE
                                        ; -- End function
	.section	.AMDGPU.csdata,"",@progbits
; Kernel info:
; codeLenInByte = 444
; NumSgprs: 18
; NumVgprs: 6
; ScratchSize: 0
; MemoryBound: 0
; FloatMode: 240
; IeeeMode: 1
; LDSByteSize: 0 bytes/workgroup (compile time only)
; SGPRBlocks: 2
; VGPRBlocks: 0
; NumSGPRsForWavesPerEU: 18
; NumVGPRsForWavesPerEU: 6
; Occupancy: 16
; WaveLimiterHint : 0
; COMPUTE_PGM_RSRC2:SCRATCH_EN: 0
; COMPUTE_PGM_RSRC2:USER_SGPR: 15
; COMPUTE_PGM_RSRC2:TRAP_HANDLER: 0
; COMPUTE_PGM_RSRC2:TGID_X_EN: 1
; COMPUTE_PGM_RSRC2:TGID_Y_EN: 0
; COMPUTE_PGM_RSRC2:TGID_Z_EN: 0
; COMPUTE_PGM_RSRC2:TIDIG_COMP_CNT: 0
	.section	.text._ZN7rocprim17ROCPRIM_400000_NS6detail17trampoline_kernelINS0_14default_configENS1_25partition_config_selectorILNS1_17partition_subalgoE9EddbEEZZNS1_14partition_implILS5_9ELb0ES3_jN6thrust23THRUST_200600_302600_NS6detail15normal_iteratorINS9_10device_ptrIdEEEESE_PNS0_10empty_typeENS0_5tupleIJSE_SF_EEENSH_IJSE_SG_EEENS0_18inequality_wrapperINS9_8equal_toIdEEEEPmJSF_EEE10hipError_tPvRmT3_T4_T5_T6_T7_T9_mT8_P12ihipStream_tbDpT10_ENKUlT_T0_E_clISt17integral_constantIbLb1EES18_EEDaS13_S14_EUlS13_E_NS1_11comp_targetILNS1_3genE0ELNS1_11target_archE4294967295ELNS1_3gpuE0ELNS1_3repE0EEENS1_30default_config_static_selectorELNS0_4arch9wavefront6targetE0EEEvT1_,"axG",@progbits,_ZN7rocprim17ROCPRIM_400000_NS6detail17trampoline_kernelINS0_14default_configENS1_25partition_config_selectorILNS1_17partition_subalgoE9EddbEEZZNS1_14partition_implILS5_9ELb0ES3_jN6thrust23THRUST_200600_302600_NS6detail15normal_iteratorINS9_10device_ptrIdEEEESE_PNS0_10empty_typeENS0_5tupleIJSE_SF_EEENSH_IJSE_SG_EEENS0_18inequality_wrapperINS9_8equal_toIdEEEEPmJSF_EEE10hipError_tPvRmT3_T4_T5_T6_T7_T9_mT8_P12ihipStream_tbDpT10_ENKUlT_T0_E_clISt17integral_constantIbLb1EES18_EEDaS13_S14_EUlS13_E_NS1_11comp_targetILNS1_3genE0ELNS1_11target_archE4294967295ELNS1_3gpuE0ELNS1_3repE0EEENS1_30default_config_static_selectorELNS0_4arch9wavefront6targetE0EEEvT1_,comdat
	.protected	_ZN7rocprim17ROCPRIM_400000_NS6detail17trampoline_kernelINS0_14default_configENS1_25partition_config_selectorILNS1_17partition_subalgoE9EddbEEZZNS1_14partition_implILS5_9ELb0ES3_jN6thrust23THRUST_200600_302600_NS6detail15normal_iteratorINS9_10device_ptrIdEEEESE_PNS0_10empty_typeENS0_5tupleIJSE_SF_EEENSH_IJSE_SG_EEENS0_18inequality_wrapperINS9_8equal_toIdEEEEPmJSF_EEE10hipError_tPvRmT3_T4_T5_T6_T7_T9_mT8_P12ihipStream_tbDpT10_ENKUlT_T0_E_clISt17integral_constantIbLb1EES18_EEDaS13_S14_EUlS13_E_NS1_11comp_targetILNS1_3genE0ELNS1_11target_archE4294967295ELNS1_3gpuE0ELNS1_3repE0EEENS1_30default_config_static_selectorELNS0_4arch9wavefront6targetE0EEEvT1_ ; -- Begin function _ZN7rocprim17ROCPRIM_400000_NS6detail17trampoline_kernelINS0_14default_configENS1_25partition_config_selectorILNS1_17partition_subalgoE9EddbEEZZNS1_14partition_implILS5_9ELb0ES3_jN6thrust23THRUST_200600_302600_NS6detail15normal_iteratorINS9_10device_ptrIdEEEESE_PNS0_10empty_typeENS0_5tupleIJSE_SF_EEENSH_IJSE_SG_EEENS0_18inequality_wrapperINS9_8equal_toIdEEEEPmJSF_EEE10hipError_tPvRmT3_T4_T5_T6_T7_T9_mT8_P12ihipStream_tbDpT10_ENKUlT_T0_E_clISt17integral_constantIbLb1EES18_EEDaS13_S14_EUlS13_E_NS1_11comp_targetILNS1_3genE0ELNS1_11target_archE4294967295ELNS1_3gpuE0ELNS1_3repE0EEENS1_30default_config_static_selectorELNS0_4arch9wavefront6targetE0EEEvT1_
	.globl	_ZN7rocprim17ROCPRIM_400000_NS6detail17trampoline_kernelINS0_14default_configENS1_25partition_config_selectorILNS1_17partition_subalgoE9EddbEEZZNS1_14partition_implILS5_9ELb0ES3_jN6thrust23THRUST_200600_302600_NS6detail15normal_iteratorINS9_10device_ptrIdEEEESE_PNS0_10empty_typeENS0_5tupleIJSE_SF_EEENSH_IJSE_SG_EEENS0_18inequality_wrapperINS9_8equal_toIdEEEEPmJSF_EEE10hipError_tPvRmT3_T4_T5_T6_T7_T9_mT8_P12ihipStream_tbDpT10_ENKUlT_T0_E_clISt17integral_constantIbLb1EES18_EEDaS13_S14_EUlS13_E_NS1_11comp_targetILNS1_3genE0ELNS1_11target_archE4294967295ELNS1_3gpuE0ELNS1_3repE0EEENS1_30default_config_static_selectorELNS0_4arch9wavefront6targetE0EEEvT1_
	.p2align	8
	.type	_ZN7rocprim17ROCPRIM_400000_NS6detail17trampoline_kernelINS0_14default_configENS1_25partition_config_selectorILNS1_17partition_subalgoE9EddbEEZZNS1_14partition_implILS5_9ELb0ES3_jN6thrust23THRUST_200600_302600_NS6detail15normal_iteratorINS9_10device_ptrIdEEEESE_PNS0_10empty_typeENS0_5tupleIJSE_SF_EEENSH_IJSE_SG_EEENS0_18inequality_wrapperINS9_8equal_toIdEEEEPmJSF_EEE10hipError_tPvRmT3_T4_T5_T6_T7_T9_mT8_P12ihipStream_tbDpT10_ENKUlT_T0_E_clISt17integral_constantIbLb1EES18_EEDaS13_S14_EUlS13_E_NS1_11comp_targetILNS1_3genE0ELNS1_11target_archE4294967295ELNS1_3gpuE0ELNS1_3repE0EEENS1_30default_config_static_selectorELNS0_4arch9wavefront6targetE0EEEvT1_,@function
_ZN7rocprim17ROCPRIM_400000_NS6detail17trampoline_kernelINS0_14default_configENS1_25partition_config_selectorILNS1_17partition_subalgoE9EddbEEZZNS1_14partition_implILS5_9ELb0ES3_jN6thrust23THRUST_200600_302600_NS6detail15normal_iteratorINS9_10device_ptrIdEEEESE_PNS0_10empty_typeENS0_5tupleIJSE_SF_EEENSH_IJSE_SG_EEENS0_18inequality_wrapperINS9_8equal_toIdEEEEPmJSF_EEE10hipError_tPvRmT3_T4_T5_T6_T7_T9_mT8_P12ihipStream_tbDpT10_ENKUlT_T0_E_clISt17integral_constantIbLb1EES18_EEDaS13_S14_EUlS13_E_NS1_11comp_targetILNS1_3genE0ELNS1_11target_archE4294967295ELNS1_3gpuE0ELNS1_3repE0EEENS1_30default_config_static_selectorELNS0_4arch9wavefront6targetE0EEEvT1_: ; @_ZN7rocprim17ROCPRIM_400000_NS6detail17trampoline_kernelINS0_14default_configENS1_25partition_config_selectorILNS1_17partition_subalgoE9EddbEEZZNS1_14partition_implILS5_9ELb0ES3_jN6thrust23THRUST_200600_302600_NS6detail15normal_iteratorINS9_10device_ptrIdEEEESE_PNS0_10empty_typeENS0_5tupleIJSE_SF_EEENSH_IJSE_SG_EEENS0_18inequality_wrapperINS9_8equal_toIdEEEEPmJSF_EEE10hipError_tPvRmT3_T4_T5_T6_T7_T9_mT8_P12ihipStream_tbDpT10_ENKUlT_T0_E_clISt17integral_constantIbLb1EES18_EEDaS13_S14_EUlS13_E_NS1_11comp_targetILNS1_3genE0ELNS1_11target_archE4294967295ELNS1_3gpuE0ELNS1_3repE0EEENS1_30default_config_static_selectorELNS0_4arch9wavefront6targetE0EEEvT1_
; %bb.0:
	.section	.rodata,"a",@progbits
	.p2align	6, 0x0
	.amdhsa_kernel _ZN7rocprim17ROCPRIM_400000_NS6detail17trampoline_kernelINS0_14default_configENS1_25partition_config_selectorILNS1_17partition_subalgoE9EddbEEZZNS1_14partition_implILS5_9ELb0ES3_jN6thrust23THRUST_200600_302600_NS6detail15normal_iteratorINS9_10device_ptrIdEEEESE_PNS0_10empty_typeENS0_5tupleIJSE_SF_EEENSH_IJSE_SG_EEENS0_18inequality_wrapperINS9_8equal_toIdEEEEPmJSF_EEE10hipError_tPvRmT3_T4_T5_T6_T7_T9_mT8_P12ihipStream_tbDpT10_ENKUlT_T0_E_clISt17integral_constantIbLb1EES18_EEDaS13_S14_EUlS13_E_NS1_11comp_targetILNS1_3genE0ELNS1_11target_archE4294967295ELNS1_3gpuE0ELNS1_3repE0EEENS1_30default_config_static_selectorELNS0_4arch9wavefront6targetE0EEEvT1_
		.amdhsa_group_segment_fixed_size 0
		.amdhsa_private_segment_fixed_size 0
		.amdhsa_kernarg_size 128
		.amdhsa_user_sgpr_count 15
		.amdhsa_user_sgpr_dispatch_ptr 0
		.amdhsa_user_sgpr_queue_ptr 0
		.amdhsa_user_sgpr_kernarg_segment_ptr 1
		.amdhsa_user_sgpr_dispatch_id 0
		.amdhsa_user_sgpr_private_segment_size 0
		.amdhsa_wavefront_size32 1
		.amdhsa_uses_dynamic_stack 0
		.amdhsa_enable_private_segment 0
		.amdhsa_system_sgpr_workgroup_id_x 1
		.amdhsa_system_sgpr_workgroup_id_y 0
		.amdhsa_system_sgpr_workgroup_id_z 0
		.amdhsa_system_sgpr_workgroup_info 0
		.amdhsa_system_vgpr_workitem_id 0
		.amdhsa_next_free_vgpr 1
		.amdhsa_next_free_sgpr 1
		.amdhsa_reserve_vcc 0
		.amdhsa_float_round_mode_32 0
		.amdhsa_float_round_mode_16_64 0
		.amdhsa_float_denorm_mode_32 3
		.amdhsa_float_denorm_mode_16_64 3
		.amdhsa_dx10_clamp 1
		.amdhsa_ieee_mode 1
		.amdhsa_fp16_overflow 0
		.amdhsa_workgroup_processor_mode 1
		.amdhsa_memory_ordered 1
		.amdhsa_forward_progress 0
		.amdhsa_shared_vgpr_count 0
		.amdhsa_exception_fp_ieee_invalid_op 0
		.amdhsa_exception_fp_denorm_src 0
		.amdhsa_exception_fp_ieee_div_zero 0
		.amdhsa_exception_fp_ieee_overflow 0
		.amdhsa_exception_fp_ieee_underflow 0
		.amdhsa_exception_fp_ieee_inexact 0
		.amdhsa_exception_int_div_zero 0
	.end_amdhsa_kernel
	.section	.text._ZN7rocprim17ROCPRIM_400000_NS6detail17trampoline_kernelINS0_14default_configENS1_25partition_config_selectorILNS1_17partition_subalgoE9EddbEEZZNS1_14partition_implILS5_9ELb0ES3_jN6thrust23THRUST_200600_302600_NS6detail15normal_iteratorINS9_10device_ptrIdEEEESE_PNS0_10empty_typeENS0_5tupleIJSE_SF_EEENSH_IJSE_SG_EEENS0_18inequality_wrapperINS9_8equal_toIdEEEEPmJSF_EEE10hipError_tPvRmT3_T4_T5_T6_T7_T9_mT8_P12ihipStream_tbDpT10_ENKUlT_T0_E_clISt17integral_constantIbLb1EES18_EEDaS13_S14_EUlS13_E_NS1_11comp_targetILNS1_3genE0ELNS1_11target_archE4294967295ELNS1_3gpuE0ELNS1_3repE0EEENS1_30default_config_static_selectorELNS0_4arch9wavefront6targetE0EEEvT1_,"axG",@progbits,_ZN7rocprim17ROCPRIM_400000_NS6detail17trampoline_kernelINS0_14default_configENS1_25partition_config_selectorILNS1_17partition_subalgoE9EddbEEZZNS1_14partition_implILS5_9ELb0ES3_jN6thrust23THRUST_200600_302600_NS6detail15normal_iteratorINS9_10device_ptrIdEEEESE_PNS0_10empty_typeENS0_5tupleIJSE_SF_EEENSH_IJSE_SG_EEENS0_18inequality_wrapperINS9_8equal_toIdEEEEPmJSF_EEE10hipError_tPvRmT3_T4_T5_T6_T7_T9_mT8_P12ihipStream_tbDpT10_ENKUlT_T0_E_clISt17integral_constantIbLb1EES18_EEDaS13_S14_EUlS13_E_NS1_11comp_targetILNS1_3genE0ELNS1_11target_archE4294967295ELNS1_3gpuE0ELNS1_3repE0EEENS1_30default_config_static_selectorELNS0_4arch9wavefront6targetE0EEEvT1_,comdat
.Lfunc_end21:
	.size	_ZN7rocprim17ROCPRIM_400000_NS6detail17trampoline_kernelINS0_14default_configENS1_25partition_config_selectorILNS1_17partition_subalgoE9EddbEEZZNS1_14partition_implILS5_9ELb0ES3_jN6thrust23THRUST_200600_302600_NS6detail15normal_iteratorINS9_10device_ptrIdEEEESE_PNS0_10empty_typeENS0_5tupleIJSE_SF_EEENSH_IJSE_SG_EEENS0_18inequality_wrapperINS9_8equal_toIdEEEEPmJSF_EEE10hipError_tPvRmT3_T4_T5_T6_T7_T9_mT8_P12ihipStream_tbDpT10_ENKUlT_T0_E_clISt17integral_constantIbLb1EES18_EEDaS13_S14_EUlS13_E_NS1_11comp_targetILNS1_3genE0ELNS1_11target_archE4294967295ELNS1_3gpuE0ELNS1_3repE0EEENS1_30default_config_static_selectorELNS0_4arch9wavefront6targetE0EEEvT1_, .Lfunc_end21-_ZN7rocprim17ROCPRIM_400000_NS6detail17trampoline_kernelINS0_14default_configENS1_25partition_config_selectorILNS1_17partition_subalgoE9EddbEEZZNS1_14partition_implILS5_9ELb0ES3_jN6thrust23THRUST_200600_302600_NS6detail15normal_iteratorINS9_10device_ptrIdEEEESE_PNS0_10empty_typeENS0_5tupleIJSE_SF_EEENSH_IJSE_SG_EEENS0_18inequality_wrapperINS9_8equal_toIdEEEEPmJSF_EEE10hipError_tPvRmT3_T4_T5_T6_T7_T9_mT8_P12ihipStream_tbDpT10_ENKUlT_T0_E_clISt17integral_constantIbLb1EES18_EEDaS13_S14_EUlS13_E_NS1_11comp_targetILNS1_3genE0ELNS1_11target_archE4294967295ELNS1_3gpuE0ELNS1_3repE0EEENS1_30default_config_static_selectorELNS0_4arch9wavefront6targetE0EEEvT1_
                                        ; -- End function
	.section	.AMDGPU.csdata,"",@progbits
; Kernel info:
; codeLenInByte = 0
; NumSgprs: 0
; NumVgprs: 0
; ScratchSize: 0
; MemoryBound: 0
; FloatMode: 240
; IeeeMode: 1
; LDSByteSize: 0 bytes/workgroup (compile time only)
; SGPRBlocks: 0
; VGPRBlocks: 0
; NumSGPRsForWavesPerEU: 1
; NumVGPRsForWavesPerEU: 1
; Occupancy: 16
; WaveLimiterHint : 0
; COMPUTE_PGM_RSRC2:SCRATCH_EN: 0
; COMPUTE_PGM_RSRC2:USER_SGPR: 15
; COMPUTE_PGM_RSRC2:TRAP_HANDLER: 0
; COMPUTE_PGM_RSRC2:TGID_X_EN: 1
; COMPUTE_PGM_RSRC2:TGID_Y_EN: 0
; COMPUTE_PGM_RSRC2:TGID_Z_EN: 0
; COMPUTE_PGM_RSRC2:TIDIG_COMP_CNT: 0
	.section	.text._ZN7rocprim17ROCPRIM_400000_NS6detail17trampoline_kernelINS0_14default_configENS1_25partition_config_selectorILNS1_17partition_subalgoE9EddbEEZZNS1_14partition_implILS5_9ELb0ES3_jN6thrust23THRUST_200600_302600_NS6detail15normal_iteratorINS9_10device_ptrIdEEEESE_PNS0_10empty_typeENS0_5tupleIJSE_SF_EEENSH_IJSE_SG_EEENS0_18inequality_wrapperINS9_8equal_toIdEEEEPmJSF_EEE10hipError_tPvRmT3_T4_T5_T6_T7_T9_mT8_P12ihipStream_tbDpT10_ENKUlT_T0_E_clISt17integral_constantIbLb1EES18_EEDaS13_S14_EUlS13_E_NS1_11comp_targetILNS1_3genE5ELNS1_11target_archE942ELNS1_3gpuE9ELNS1_3repE0EEENS1_30default_config_static_selectorELNS0_4arch9wavefront6targetE0EEEvT1_,"axG",@progbits,_ZN7rocprim17ROCPRIM_400000_NS6detail17trampoline_kernelINS0_14default_configENS1_25partition_config_selectorILNS1_17partition_subalgoE9EddbEEZZNS1_14partition_implILS5_9ELb0ES3_jN6thrust23THRUST_200600_302600_NS6detail15normal_iteratorINS9_10device_ptrIdEEEESE_PNS0_10empty_typeENS0_5tupleIJSE_SF_EEENSH_IJSE_SG_EEENS0_18inequality_wrapperINS9_8equal_toIdEEEEPmJSF_EEE10hipError_tPvRmT3_T4_T5_T6_T7_T9_mT8_P12ihipStream_tbDpT10_ENKUlT_T0_E_clISt17integral_constantIbLb1EES18_EEDaS13_S14_EUlS13_E_NS1_11comp_targetILNS1_3genE5ELNS1_11target_archE942ELNS1_3gpuE9ELNS1_3repE0EEENS1_30default_config_static_selectorELNS0_4arch9wavefront6targetE0EEEvT1_,comdat
	.protected	_ZN7rocprim17ROCPRIM_400000_NS6detail17trampoline_kernelINS0_14default_configENS1_25partition_config_selectorILNS1_17partition_subalgoE9EddbEEZZNS1_14partition_implILS5_9ELb0ES3_jN6thrust23THRUST_200600_302600_NS6detail15normal_iteratorINS9_10device_ptrIdEEEESE_PNS0_10empty_typeENS0_5tupleIJSE_SF_EEENSH_IJSE_SG_EEENS0_18inequality_wrapperINS9_8equal_toIdEEEEPmJSF_EEE10hipError_tPvRmT3_T4_T5_T6_T7_T9_mT8_P12ihipStream_tbDpT10_ENKUlT_T0_E_clISt17integral_constantIbLb1EES18_EEDaS13_S14_EUlS13_E_NS1_11comp_targetILNS1_3genE5ELNS1_11target_archE942ELNS1_3gpuE9ELNS1_3repE0EEENS1_30default_config_static_selectorELNS0_4arch9wavefront6targetE0EEEvT1_ ; -- Begin function _ZN7rocprim17ROCPRIM_400000_NS6detail17trampoline_kernelINS0_14default_configENS1_25partition_config_selectorILNS1_17partition_subalgoE9EddbEEZZNS1_14partition_implILS5_9ELb0ES3_jN6thrust23THRUST_200600_302600_NS6detail15normal_iteratorINS9_10device_ptrIdEEEESE_PNS0_10empty_typeENS0_5tupleIJSE_SF_EEENSH_IJSE_SG_EEENS0_18inequality_wrapperINS9_8equal_toIdEEEEPmJSF_EEE10hipError_tPvRmT3_T4_T5_T6_T7_T9_mT8_P12ihipStream_tbDpT10_ENKUlT_T0_E_clISt17integral_constantIbLb1EES18_EEDaS13_S14_EUlS13_E_NS1_11comp_targetILNS1_3genE5ELNS1_11target_archE942ELNS1_3gpuE9ELNS1_3repE0EEENS1_30default_config_static_selectorELNS0_4arch9wavefront6targetE0EEEvT1_
	.globl	_ZN7rocprim17ROCPRIM_400000_NS6detail17trampoline_kernelINS0_14default_configENS1_25partition_config_selectorILNS1_17partition_subalgoE9EddbEEZZNS1_14partition_implILS5_9ELb0ES3_jN6thrust23THRUST_200600_302600_NS6detail15normal_iteratorINS9_10device_ptrIdEEEESE_PNS0_10empty_typeENS0_5tupleIJSE_SF_EEENSH_IJSE_SG_EEENS0_18inequality_wrapperINS9_8equal_toIdEEEEPmJSF_EEE10hipError_tPvRmT3_T4_T5_T6_T7_T9_mT8_P12ihipStream_tbDpT10_ENKUlT_T0_E_clISt17integral_constantIbLb1EES18_EEDaS13_S14_EUlS13_E_NS1_11comp_targetILNS1_3genE5ELNS1_11target_archE942ELNS1_3gpuE9ELNS1_3repE0EEENS1_30default_config_static_selectorELNS0_4arch9wavefront6targetE0EEEvT1_
	.p2align	8
	.type	_ZN7rocprim17ROCPRIM_400000_NS6detail17trampoline_kernelINS0_14default_configENS1_25partition_config_selectorILNS1_17partition_subalgoE9EddbEEZZNS1_14partition_implILS5_9ELb0ES3_jN6thrust23THRUST_200600_302600_NS6detail15normal_iteratorINS9_10device_ptrIdEEEESE_PNS0_10empty_typeENS0_5tupleIJSE_SF_EEENSH_IJSE_SG_EEENS0_18inequality_wrapperINS9_8equal_toIdEEEEPmJSF_EEE10hipError_tPvRmT3_T4_T5_T6_T7_T9_mT8_P12ihipStream_tbDpT10_ENKUlT_T0_E_clISt17integral_constantIbLb1EES18_EEDaS13_S14_EUlS13_E_NS1_11comp_targetILNS1_3genE5ELNS1_11target_archE942ELNS1_3gpuE9ELNS1_3repE0EEENS1_30default_config_static_selectorELNS0_4arch9wavefront6targetE0EEEvT1_,@function
_ZN7rocprim17ROCPRIM_400000_NS6detail17trampoline_kernelINS0_14default_configENS1_25partition_config_selectorILNS1_17partition_subalgoE9EddbEEZZNS1_14partition_implILS5_9ELb0ES3_jN6thrust23THRUST_200600_302600_NS6detail15normal_iteratorINS9_10device_ptrIdEEEESE_PNS0_10empty_typeENS0_5tupleIJSE_SF_EEENSH_IJSE_SG_EEENS0_18inequality_wrapperINS9_8equal_toIdEEEEPmJSF_EEE10hipError_tPvRmT3_T4_T5_T6_T7_T9_mT8_P12ihipStream_tbDpT10_ENKUlT_T0_E_clISt17integral_constantIbLb1EES18_EEDaS13_S14_EUlS13_E_NS1_11comp_targetILNS1_3genE5ELNS1_11target_archE942ELNS1_3gpuE9ELNS1_3repE0EEENS1_30default_config_static_selectorELNS0_4arch9wavefront6targetE0EEEvT1_: ; @_ZN7rocprim17ROCPRIM_400000_NS6detail17trampoline_kernelINS0_14default_configENS1_25partition_config_selectorILNS1_17partition_subalgoE9EddbEEZZNS1_14partition_implILS5_9ELb0ES3_jN6thrust23THRUST_200600_302600_NS6detail15normal_iteratorINS9_10device_ptrIdEEEESE_PNS0_10empty_typeENS0_5tupleIJSE_SF_EEENSH_IJSE_SG_EEENS0_18inequality_wrapperINS9_8equal_toIdEEEEPmJSF_EEE10hipError_tPvRmT3_T4_T5_T6_T7_T9_mT8_P12ihipStream_tbDpT10_ENKUlT_T0_E_clISt17integral_constantIbLb1EES18_EEDaS13_S14_EUlS13_E_NS1_11comp_targetILNS1_3genE5ELNS1_11target_archE942ELNS1_3gpuE9ELNS1_3repE0EEENS1_30default_config_static_selectorELNS0_4arch9wavefront6targetE0EEEvT1_
; %bb.0:
	.section	.rodata,"a",@progbits
	.p2align	6, 0x0
	.amdhsa_kernel _ZN7rocprim17ROCPRIM_400000_NS6detail17trampoline_kernelINS0_14default_configENS1_25partition_config_selectorILNS1_17partition_subalgoE9EddbEEZZNS1_14partition_implILS5_9ELb0ES3_jN6thrust23THRUST_200600_302600_NS6detail15normal_iteratorINS9_10device_ptrIdEEEESE_PNS0_10empty_typeENS0_5tupleIJSE_SF_EEENSH_IJSE_SG_EEENS0_18inequality_wrapperINS9_8equal_toIdEEEEPmJSF_EEE10hipError_tPvRmT3_T4_T5_T6_T7_T9_mT8_P12ihipStream_tbDpT10_ENKUlT_T0_E_clISt17integral_constantIbLb1EES18_EEDaS13_S14_EUlS13_E_NS1_11comp_targetILNS1_3genE5ELNS1_11target_archE942ELNS1_3gpuE9ELNS1_3repE0EEENS1_30default_config_static_selectorELNS0_4arch9wavefront6targetE0EEEvT1_
		.amdhsa_group_segment_fixed_size 0
		.amdhsa_private_segment_fixed_size 0
		.amdhsa_kernarg_size 128
		.amdhsa_user_sgpr_count 15
		.amdhsa_user_sgpr_dispatch_ptr 0
		.amdhsa_user_sgpr_queue_ptr 0
		.amdhsa_user_sgpr_kernarg_segment_ptr 1
		.amdhsa_user_sgpr_dispatch_id 0
		.amdhsa_user_sgpr_private_segment_size 0
		.amdhsa_wavefront_size32 1
		.amdhsa_uses_dynamic_stack 0
		.amdhsa_enable_private_segment 0
		.amdhsa_system_sgpr_workgroup_id_x 1
		.amdhsa_system_sgpr_workgroup_id_y 0
		.amdhsa_system_sgpr_workgroup_id_z 0
		.amdhsa_system_sgpr_workgroup_info 0
		.amdhsa_system_vgpr_workitem_id 0
		.amdhsa_next_free_vgpr 1
		.amdhsa_next_free_sgpr 1
		.amdhsa_reserve_vcc 0
		.amdhsa_float_round_mode_32 0
		.amdhsa_float_round_mode_16_64 0
		.amdhsa_float_denorm_mode_32 3
		.amdhsa_float_denorm_mode_16_64 3
		.amdhsa_dx10_clamp 1
		.amdhsa_ieee_mode 1
		.amdhsa_fp16_overflow 0
		.amdhsa_workgroup_processor_mode 1
		.amdhsa_memory_ordered 1
		.amdhsa_forward_progress 0
		.amdhsa_shared_vgpr_count 0
		.amdhsa_exception_fp_ieee_invalid_op 0
		.amdhsa_exception_fp_denorm_src 0
		.amdhsa_exception_fp_ieee_div_zero 0
		.amdhsa_exception_fp_ieee_overflow 0
		.amdhsa_exception_fp_ieee_underflow 0
		.amdhsa_exception_fp_ieee_inexact 0
		.amdhsa_exception_int_div_zero 0
	.end_amdhsa_kernel
	.section	.text._ZN7rocprim17ROCPRIM_400000_NS6detail17trampoline_kernelINS0_14default_configENS1_25partition_config_selectorILNS1_17partition_subalgoE9EddbEEZZNS1_14partition_implILS5_9ELb0ES3_jN6thrust23THRUST_200600_302600_NS6detail15normal_iteratorINS9_10device_ptrIdEEEESE_PNS0_10empty_typeENS0_5tupleIJSE_SF_EEENSH_IJSE_SG_EEENS0_18inequality_wrapperINS9_8equal_toIdEEEEPmJSF_EEE10hipError_tPvRmT3_T4_T5_T6_T7_T9_mT8_P12ihipStream_tbDpT10_ENKUlT_T0_E_clISt17integral_constantIbLb1EES18_EEDaS13_S14_EUlS13_E_NS1_11comp_targetILNS1_3genE5ELNS1_11target_archE942ELNS1_3gpuE9ELNS1_3repE0EEENS1_30default_config_static_selectorELNS0_4arch9wavefront6targetE0EEEvT1_,"axG",@progbits,_ZN7rocprim17ROCPRIM_400000_NS6detail17trampoline_kernelINS0_14default_configENS1_25partition_config_selectorILNS1_17partition_subalgoE9EddbEEZZNS1_14partition_implILS5_9ELb0ES3_jN6thrust23THRUST_200600_302600_NS6detail15normal_iteratorINS9_10device_ptrIdEEEESE_PNS0_10empty_typeENS0_5tupleIJSE_SF_EEENSH_IJSE_SG_EEENS0_18inequality_wrapperINS9_8equal_toIdEEEEPmJSF_EEE10hipError_tPvRmT3_T4_T5_T6_T7_T9_mT8_P12ihipStream_tbDpT10_ENKUlT_T0_E_clISt17integral_constantIbLb1EES18_EEDaS13_S14_EUlS13_E_NS1_11comp_targetILNS1_3genE5ELNS1_11target_archE942ELNS1_3gpuE9ELNS1_3repE0EEENS1_30default_config_static_selectorELNS0_4arch9wavefront6targetE0EEEvT1_,comdat
.Lfunc_end22:
	.size	_ZN7rocprim17ROCPRIM_400000_NS6detail17trampoline_kernelINS0_14default_configENS1_25partition_config_selectorILNS1_17partition_subalgoE9EddbEEZZNS1_14partition_implILS5_9ELb0ES3_jN6thrust23THRUST_200600_302600_NS6detail15normal_iteratorINS9_10device_ptrIdEEEESE_PNS0_10empty_typeENS0_5tupleIJSE_SF_EEENSH_IJSE_SG_EEENS0_18inequality_wrapperINS9_8equal_toIdEEEEPmJSF_EEE10hipError_tPvRmT3_T4_T5_T6_T7_T9_mT8_P12ihipStream_tbDpT10_ENKUlT_T0_E_clISt17integral_constantIbLb1EES18_EEDaS13_S14_EUlS13_E_NS1_11comp_targetILNS1_3genE5ELNS1_11target_archE942ELNS1_3gpuE9ELNS1_3repE0EEENS1_30default_config_static_selectorELNS0_4arch9wavefront6targetE0EEEvT1_, .Lfunc_end22-_ZN7rocprim17ROCPRIM_400000_NS6detail17trampoline_kernelINS0_14default_configENS1_25partition_config_selectorILNS1_17partition_subalgoE9EddbEEZZNS1_14partition_implILS5_9ELb0ES3_jN6thrust23THRUST_200600_302600_NS6detail15normal_iteratorINS9_10device_ptrIdEEEESE_PNS0_10empty_typeENS0_5tupleIJSE_SF_EEENSH_IJSE_SG_EEENS0_18inequality_wrapperINS9_8equal_toIdEEEEPmJSF_EEE10hipError_tPvRmT3_T4_T5_T6_T7_T9_mT8_P12ihipStream_tbDpT10_ENKUlT_T0_E_clISt17integral_constantIbLb1EES18_EEDaS13_S14_EUlS13_E_NS1_11comp_targetILNS1_3genE5ELNS1_11target_archE942ELNS1_3gpuE9ELNS1_3repE0EEENS1_30default_config_static_selectorELNS0_4arch9wavefront6targetE0EEEvT1_
                                        ; -- End function
	.section	.AMDGPU.csdata,"",@progbits
; Kernel info:
; codeLenInByte = 0
; NumSgprs: 0
; NumVgprs: 0
; ScratchSize: 0
; MemoryBound: 0
; FloatMode: 240
; IeeeMode: 1
; LDSByteSize: 0 bytes/workgroup (compile time only)
; SGPRBlocks: 0
; VGPRBlocks: 0
; NumSGPRsForWavesPerEU: 1
; NumVGPRsForWavesPerEU: 1
; Occupancy: 16
; WaveLimiterHint : 0
; COMPUTE_PGM_RSRC2:SCRATCH_EN: 0
; COMPUTE_PGM_RSRC2:USER_SGPR: 15
; COMPUTE_PGM_RSRC2:TRAP_HANDLER: 0
; COMPUTE_PGM_RSRC2:TGID_X_EN: 1
; COMPUTE_PGM_RSRC2:TGID_Y_EN: 0
; COMPUTE_PGM_RSRC2:TGID_Z_EN: 0
; COMPUTE_PGM_RSRC2:TIDIG_COMP_CNT: 0
	.section	.text._ZN7rocprim17ROCPRIM_400000_NS6detail17trampoline_kernelINS0_14default_configENS1_25partition_config_selectorILNS1_17partition_subalgoE9EddbEEZZNS1_14partition_implILS5_9ELb0ES3_jN6thrust23THRUST_200600_302600_NS6detail15normal_iteratorINS9_10device_ptrIdEEEESE_PNS0_10empty_typeENS0_5tupleIJSE_SF_EEENSH_IJSE_SG_EEENS0_18inequality_wrapperINS9_8equal_toIdEEEEPmJSF_EEE10hipError_tPvRmT3_T4_T5_T6_T7_T9_mT8_P12ihipStream_tbDpT10_ENKUlT_T0_E_clISt17integral_constantIbLb1EES18_EEDaS13_S14_EUlS13_E_NS1_11comp_targetILNS1_3genE4ELNS1_11target_archE910ELNS1_3gpuE8ELNS1_3repE0EEENS1_30default_config_static_selectorELNS0_4arch9wavefront6targetE0EEEvT1_,"axG",@progbits,_ZN7rocprim17ROCPRIM_400000_NS6detail17trampoline_kernelINS0_14default_configENS1_25partition_config_selectorILNS1_17partition_subalgoE9EddbEEZZNS1_14partition_implILS5_9ELb0ES3_jN6thrust23THRUST_200600_302600_NS6detail15normal_iteratorINS9_10device_ptrIdEEEESE_PNS0_10empty_typeENS0_5tupleIJSE_SF_EEENSH_IJSE_SG_EEENS0_18inequality_wrapperINS9_8equal_toIdEEEEPmJSF_EEE10hipError_tPvRmT3_T4_T5_T6_T7_T9_mT8_P12ihipStream_tbDpT10_ENKUlT_T0_E_clISt17integral_constantIbLb1EES18_EEDaS13_S14_EUlS13_E_NS1_11comp_targetILNS1_3genE4ELNS1_11target_archE910ELNS1_3gpuE8ELNS1_3repE0EEENS1_30default_config_static_selectorELNS0_4arch9wavefront6targetE0EEEvT1_,comdat
	.protected	_ZN7rocprim17ROCPRIM_400000_NS6detail17trampoline_kernelINS0_14default_configENS1_25partition_config_selectorILNS1_17partition_subalgoE9EddbEEZZNS1_14partition_implILS5_9ELb0ES3_jN6thrust23THRUST_200600_302600_NS6detail15normal_iteratorINS9_10device_ptrIdEEEESE_PNS0_10empty_typeENS0_5tupleIJSE_SF_EEENSH_IJSE_SG_EEENS0_18inequality_wrapperINS9_8equal_toIdEEEEPmJSF_EEE10hipError_tPvRmT3_T4_T5_T6_T7_T9_mT8_P12ihipStream_tbDpT10_ENKUlT_T0_E_clISt17integral_constantIbLb1EES18_EEDaS13_S14_EUlS13_E_NS1_11comp_targetILNS1_3genE4ELNS1_11target_archE910ELNS1_3gpuE8ELNS1_3repE0EEENS1_30default_config_static_selectorELNS0_4arch9wavefront6targetE0EEEvT1_ ; -- Begin function _ZN7rocprim17ROCPRIM_400000_NS6detail17trampoline_kernelINS0_14default_configENS1_25partition_config_selectorILNS1_17partition_subalgoE9EddbEEZZNS1_14partition_implILS5_9ELb0ES3_jN6thrust23THRUST_200600_302600_NS6detail15normal_iteratorINS9_10device_ptrIdEEEESE_PNS0_10empty_typeENS0_5tupleIJSE_SF_EEENSH_IJSE_SG_EEENS0_18inequality_wrapperINS9_8equal_toIdEEEEPmJSF_EEE10hipError_tPvRmT3_T4_T5_T6_T7_T9_mT8_P12ihipStream_tbDpT10_ENKUlT_T0_E_clISt17integral_constantIbLb1EES18_EEDaS13_S14_EUlS13_E_NS1_11comp_targetILNS1_3genE4ELNS1_11target_archE910ELNS1_3gpuE8ELNS1_3repE0EEENS1_30default_config_static_selectorELNS0_4arch9wavefront6targetE0EEEvT1_
	.globl	_ZN7rocprim17ROCPRIM_400000_NS6detail17trampoline_kernelINS0_14default_configENS1_25partition_config_selectorILNS1_17partition_subalgoE9EddbEEZZNS1_14partition_implILS5_9ELb0ES3_jN6thrust23THRUST_200600_302600_NS6detail15normal_iteratorINS9_10device_ptrIdEEEESE_PNS0_10empty_typeENS0_5tupleIJSE_SF_EEENSH_IJSE_SG_EEENS0_18inequality_wrapperINS9_8equal_toIdEEEEPmJSF_EEE10hipError_tPvRmT3_T4_T5_T6_T7_T9_mT8_P12ihipStream_tbDpT10_ENKUlT_T0_E_clISt17integral_constantIbLb1EES18_EEDaS13_S14_EUlS13_E_NS1_11comp_targetILNS1_3genE4ELNS1_11target_archE910ELNS1_3gpuE8ELNS1_3repE0EEENS1_30default_config_static_selectorELNS0_4arch9wavefront6targetE0EEEvT1_
	.p2align	8
	.type	_ZN7rocprim17ROCPRIM_400000_NS6detail17trampoline_kernelINS0_14default_configENS1_25partition_config_selectorILNS1_17partition_subalgoE9EddbEEZZNS1_14partition_implILS5_9ELb0ES3_jN6thrust23THRUST_200600_302600_NS6detail15normal_iteratorINS9_10device_ptrIdEEEESE_PNS0_10empty_typeENS0_5tupleIJSE_SF_EEENSH_IJSE_SG_EEENS0_18inequality_wrapperINS9_8equal_toIdEEEEPmJSF_EEE10hipError_tPvRmT3_T4_T5_T6_T7_T9_mT8_P12ihipStream_tbDpT10_ENKUlT_T0_E_clISt17integral_constantIbLb1EES18_EEDaS13_S14_EUlS13_E_NS1_11comp_targetILNS1_3genE4ELNS1_11target_archE910ELNS1_3gpuE8ELNS1_3repE0EEENS1_30default_config_static_selectorELNS0_4arch9wavefront6targetE0EEEvT1_,@function
_ZN7rocprim17ROCPRIM_400000_NS6detail17trampoline_kernelINS0_14default_configENS1_25partition_config_selectorILNS1_17partition_subalgoE9EddbEEZZNS1_14partition_implILS5_9ELb0ES3_jN6thrust23THRUST_200600_302600_NS6detail15normal_iteratorINS9_10device_ptrIdEEEESE_PNS0_10empty_typeENS0_5tupleIJSE_SF_EEENSH_IJSE_SG_EEENS0_18inequality_wrapperINS9_8equal_toIdEEEEPmJSF_EEE10hipError_tPvRmT3_T4_T5_T6_T7_T9_mT8_P12ihipStream_tbDpT10_ENKUlT_T0_E_clISt17integral_constantIbLb1EES18_EEDaS13_S14_EUlS13_E_NS1_11comp_targetILNS1_3genE4ELNS1_11target_archE910ELNS1_3gpuE8ELNS1_3repE0EEENS1_30default_config_static_selectorELNS0_4arch9wavefront6targetE0EEEvT1_: ; @_ZN7rocprim17ROCPRIM_400000_NS6detail17trampoline_kernelINS0_14default_configENS1_25partition_config_selectorILNS1_17partition_subalgoE9EddbEEZZNS1_14partition_implILS5_9ELb0ES3_jN6thrust23THRUST_200600_302600_NS6detail15normal_iteratorINS9_10device_ptrIdEEEESE_PNS0_10empty_typeENS0_5tupleIJSE_SF_EEENSH_IJSE_SG_EEENS0_18inequality_wrapperINS9_8equal_toIdEEEEPmJSF_EEE10hipError_tPvRmT3_T4_T5_T6_T7_T9_mT8_P12ihipStream_tbDpT10_ENKUlT_T0_E_clISt17integral_constantIbLb1EES18_EEDaS13_S14_EUlS13_E_NS1_11comp_targetILNS1_3genE4ELNS1_11target_archE910ELNS1_3gpuE8ELNS1_3repE0EEENS1_30default_config_static_selectorELNS0_4arch9wavefront6targetE0EEEvT1_
; %bb.0:
	.section	.rodata,"a",@progbits
	.p2align	6, 0x0
	.amdhsa_kernel _ZN7rocprim17ROCPRIM_400000_NS6detail17trampoline_kernelINS0_14default_configENS1_25partition_config_selectorILNS1_17partition_subalgoE9EddbEEZZNS1_14partition_implILS5_9ELb0ES3_jN6thrust23THRUST_200600_302600_NS6detail15normal_iteratorINS9_10device_ptrIdEEEESE_PNS0_10empty_typeENS0_5tupleIJSE_SF_EEENSH_IJSE_SG_EEENS0_18inequality_wrapperINS9_8equal_toIdEEEEPmJSF_EEE10hipError_tPvRmT3_T4_T5_T6_T7_T9_mT8_P12ihipStream_tbDpT10_ENKUlT_T0_E_clISt17integral_constantIbLb1EES18_EEDaS13_S14_EUlS13_E_NS1_11comp_targetILNS1_3genE4ELNS1_11target_archE910ELNS1_3gpuE8ELNS1_3repE0EEENS1_30default_config_static_selectorELNS0_4arch9wavefront6targetE0EEEvT1_
		.amdhsa_group_segment_fixed_size 0
		.amdhsa_private_segment_fixed_size 0
		.amdhsa_kernarg_size 128
		.amdhsa_user_sgpr_count 15
		.amdhsa_user_sgpr_dispatch_ptr 0
		.amdhsa_user_sgpr_queue_ptr 0
		.amdhsa_user_sgpr_kernarg_segment_ptr 1
		.amdhsa_user_sgpr_dispatch_id 0
		.amdhsa_user_sgpr_private_segment_size 0
		.amdhsa_wavefront_size32 1
		.amdhsa_uses_dynamic_stack 0
		.amdhsa_enable_private_segment 0
		.amdhsa_system_sgpr_workgroup_id_x 1
		.amdhsa_system_sgpr_workgroup_id_y 0
		.amdhsa_system_sgpr_workgroup_id_z 0
		.amdhsa_system_sgpr_workgroup_info 0
		.amdhsa_system_vgpr_workitem_id 0
		.amdhsa_next_free_vgpr 1
		.amdhsa_next_free_sgpr 1
		.amdhsa_reserve_vcc 0
		.amdhsa_float_round_mode_32 0
		.amdhsa_float_round_mode_16_64 0
		.amdhsa_float_denorm_mode_32 3
		.amdhsa_float_denorm_mode_16_64 3
		.amdhsa_dx10_clamp 1
		.amdhsa_ieee_mode 1
		.amdhsa_fp16_overflow 0
		.amdhsa_workgroup_processor_mode 1
		.amdhsa_memory_ordered 1
		.amdhsa_forward_progress 0
		.amdhsa_shared_vgpr_count 0
		.amdhsa_exception_fp_ieee_invalid_op 0
		.amdhsa_exception_fp_denorm_src 0
		.amdhsa_exception_fp_ieee_div_zero 0
		.amdhsa_exception_fp_ieee_overflow 0
		.amdhsa_exception_fp_ieee_underflow 0
		.amdhsa_exception_fp_ieee_inexact 0
		.amdhsa_exception_int_div_zero 0
	.end_amdhsa_kernel
	.section	.text._ZN7rocprim17ROCPRIM_400000_NS6detail17trampoline_kernelINS0_14default_configENS1_25partition_config_selectorILNS1_17partition_subalgoE9EddbEEZZNS1_14partition_implILS5_9ELb0ES3_jN6thrust23THRUST_200600_302600_NS6detail15normal_iteratorINS9_10device_ptrIdEEEESE_PNS0_10empty_typeENS0_5tupleIJSE_SF_EEENSH_IJSE_SG_EEENS0_18inequality_wrapperINS9_8equal_toIdEEEEPmJSF_EEE10hipError_tPvRmT3_T4_T5_T6_T7_T9_mT8_P12ihipStream_tbDpT10_ENKUlT_T0_E_clISt17integral_constantIbLb1EES18_EEDaS13_S14_EUlS13_E_NS1_11comp_targetILNS1_3genE4ELNS1_11target_archE910ELNS1_3gpuE8ELNS1_3repE0EEENS1_30default_config_static_selectorELNS0_4arch9wavefront6targetE0EEEvT1_,"axG",@progbits,_ZN7rocprim17ROCPRIM_400000_NS6detail17trampoline_kernelINS0_14default_configENS1_25partition_config_selectorILNS1_17partition_subalgoE9EddbEEZZNS1_14partition_implILS5_9ELb0ES3_jN6thrust23THRUST_200600_302600_NS6detail15normal_iteratorINS9_10device_ptrIdEEEESE_PNS0_10empty_typeENS0_5tupleIJSE_SF_EEENSH_IJSE_SG_EEENS0_18inequality_wrapperINS9_8equal_toIdEEEEPmJSF_EEE10hipError_tPvRmT3_T4_T5_T6_T7_T9_mT8_P12ihipStream_tbDpT10_ENKUlT_T0_E_clISt17integral_constantIbLb1EES18_EEDaS13_S14_EUlS13_E_NS1_11comp_targetILNS1_3genE4ELNS1_11target_archE910ELNS1_3gpuE8ELNS1_3repE0EEENS1_30default_config_static_selectorELNS0_4arch9wavefront6targetE0EEEvT1_,comdat
.Lfunc_end23:
	.size	_ZN7rocprim17ROCPRIM_400000_NS6detail17trampoline_kernelINS0_14default_configENS1_25partition_config_selectorILNS1_17partition_subalgoE9EddbEEZZNS1_14partition_implILS5_9ELb0ES3_jN6thrust23THRUST_200600_302600_NS6detail15normal_iteratorINS9_10device_ptrIdEEEESE_PNS0_10empty_typeENS0_5tupleIJSE_SF_EEENSH_IJSE_SG_EEENS0_18inequality_wrapperINS9_8equal_toIdEEEEPmJSF_EEE10hipError_tPvRmT3_T4_T5_T6_T7_T9_mT8_P12ihipStream_tbDpT10_ENKUlT_T0_E_clISt17integral_constantIbLb1EES18_EEDaS13_S14_EUlS13_E_NS1_11comp_targetILNS1_3genE4ELNS1_11target_archE910ELNS1_3gpuE8ELNS1_3repE0EEENS1_30default_config_static_selectorELNS0_4arch9wavefront6targetE0EEEvT1_, .Lfunc_end23-_ZN7rocprim17ROCPRIM_400000_NS6detail17trampoline_kernelINS0_14default_configENS1_25partition_config_selectorILNS1_17partition_subalgoE9EddbEEZZNS1_14partition_implILS5_9ELb0ES3_jN6thrust23THRUST_200600_302600_NS6detail15normal_iteratorINS9_10device_ptrIdEEEESE_PNS0_10empty_typeENS0_5tupleIJSE_SF_EEENSH_IJSE_SG_EEENS0_18inequality_wrapperINS9_8equal_toIdEEEEPmJSF_EEE10hipError_tPvRmT3_T4_T5_T6_T7_T9_mT8_P12ihipStream_tbDpT10_ENKUlT_T0_E_clISt17integral_constantIbLb1EES18_EEDaS13_S14_EUlS13_E_NS1_11comp_targetILNS1_3genE4ELNS1_11target_archE910ELNS1_3gpuE8ELNS1_3repE0EEENS1_30default_config_static_selectorELNS0_4arch9wavefront6targetE0EEEvT1_
                                        ; -- End function
	.section	.AMDGPU.csdata,"",@progbits
; Kernel info:
; codeLenInByte = 0
; NumSgprs: 0
; NumVgprs: 0
; ScratchSize: 0
; MemoryBound: 0
; FloatMode: 240
; IeeeMode: 1
; LDSByteSize: 0 bytes/workgroup (compile time only)
; SGPRBlocks: 0
; VGPRBlocks: 0
; NumSGPRsForWavesPerEU: 1
; NumVGPRsForWavesPerEU: 1
; Occupancy: 16
; WaveLimiterHint : 0
; COMPUTE_PGM_RSRC2:SCRATCH_EN: 0
; COMPUTE_PGM_RSRC2:USER_SGPR: 15
; COMPUTE_PGM_RSRC2:TRAP_HANDLER: 0
; COMPUTE_PGM_RSRC2:TGID_X_EN: 1
; COMPUTE_PGM_RSRC2:TGID_Y_EN: 0
; COMPUTE_PGM_RSRC2:TGID_Z_EN: 0
; COMPUTE_PGM_RSRC2:TIDIG_COMP_CNT: 0
	.section	.text._ZN7rocprim17ROCPRIM_400000_NS6detail17trampoline_kernelINS0_14default_configENS1_25partition_config_selectorILNS1_17partition_subalgoE9EddbEEZZNS1_14partition_implILS5_9ELb0ES3_jN6thrust23THRUST_200600_302600_NS6detail15normal_iteratorINS9_10device_ptrIdEEEESE_PNS0_10empty_typeENS0_5tupleIJSE_SF_EEENSH_IJSE_SG_EEENS0_18inequality_wrapperINS9_8equal_toIdEEEEPmJSF_EEE10hipError_tPvRmT3_T4_T5_T6_T7_T9_mT8_P12ihipStream_tbDpT10_ENKUlT_T0_E_clISt17integral_constantIbLb1EES18_EEDaS13_S14_EUlS13_E_NS1_11comp_targetILNS1_3genE3ELNS1_11target_archE908ELNS1_3gpuE7ELNS1_3repE0EEENS1_30default_config_static_selectorELNS0_4arch9wavefront6targetE0EEEvT1_,"axG",@progbits,_ZN7rocprim17ROCPRIM_400000_NS6detail17trampoline_kernelINS0_14default_configENS1_25partition_config_selectorILNS1_17partition_subalgoE9EddbEEZZNS1_14partition_implILS5_9ELb0ES3_jN6thrust23THRUST_200600_302600_NS6detail15normal_iteratorINS9_10device_ptrIdEEEESE_PNS0_10empty_typeENS0_5tupleIJSE_SF_EEENSH_IJSE_SG_EEENS0_18inequality_wrapperINS9_8equal_toIdEEEEPmJSF_EEE10hipError_tPvRmT3_T4_T5_T6_T7_T9_mT8_P12ihipStream_tbDpT10_ENKUlT_T0_E_clISt17integral_constantIbLb1EES18_EEDaS13_S14_EUlS13_E_NS1_11comp_targetILNS1_3genE3ELNS1_11target_archE908ELNS1_3gpuE7ELNS1_3repE0EEENS1_30default_config_static_selectorELNS0_4arch9wavefront6targetE0EEEvT1_,comdat
	.protected	_ZN7rocprim17ROCPRIM_400000_NS6detail17trampoline_kernelINS0_14default_configENS1_25partition_config_selectorILNS1_17partition_subalgoE9EddbEEZZNS1_14partition_implILS5_9ELb0ES3_jN6thrust23THRUST_200600_302600_NS6detail15normal_iteratorINS9_10device_ptrIdEEEESE_PNS0_10empty_typeENS0_5tupleIJSE_SF_EEENSH_IJSE_SG_EEENS0_18inequality_wrapperINS9_8equal_toIdEEEEPmJSF_EEE10hipError_tPvRmT3_T4_T5_T6_T7_T9_mT8_P12ihipStream_tbDpT10_ENKUlT_T0_E_clISt17integral_constantIbLb1EES18_EEDaS13_S14_EUlS13_E_NS1_11comp_targetILNS1_3genE3ELNS1_11target_archE908ELNS1_3gpuE7ELNS1_3repE0EEENS1_30default_config_static_selectorELNS0_4arch9wavefront6targetE0EEEvT1_ ; -- Begin function _ZN7rocprim17ROCPRIM_400000_NS6detail17trampoline_kernelINS0_14default_configENS1_25partition_config_selectorILNS1_17partition_subalgoE9EddbEEZZNS1_14partition_implILS5_9ELb0ES3_jN6thrust23THRUST_200600_302600_NS6detail15normal_iteratorINS9_10device_ptrIdEEEESE_PNS0_10empty_typeENS0_5tupleIJSE_SF_EEENSH_IJSE_SG_EEENS0_18inequality_wrapperINS9_8equal_toIdEEEEPmJSF_EEE10hipError_tPvRmT3_T4_T5_T6_T7_T9_mT8_P12ihipStream_tbDpT10_ENKUlT_T0_E_clISt17integral_constantIbLb1EES18_EEDaS13_S14_EUlS13_E_NS1_11comp_targetILNS1_3genE3ELNS1_11target_archE908ELNS1_3gpuE7ELNS1_3repE0EEENS1_30default_config_static_selectorELNS0_4arch9wavefront6targetE0EEEvT1_
	.globl	_ZN7rocprim17ROCPRIM_400000_NS6detail17trampoline_kernelINS0_14default_configENS1_25partition_config_selectorILNS1_17partition_subalgoE9EddbEEZZNS1_14partition_implILS5_9ELb0ES3_jN6thrust23THRUST_200600_302600_NS6detail15normal_iteratorINS9_10device_ptrIdEEEESE_PNS0_10empty_typeENS0_5tupleIJSE_SF_EEENSH_IJSE_SG_EEENS0_18inequality_wrapperINS9_8equal_toIdEEEEPmJSF_EEE10hipError_tPvRmT3_T4_T5_T6_T7_T9_mT8_P12ihipStream_tbDpT10_ENKUlT_T0_E_clISt17integral_constantIbLb1EES18_EEDaS13_S14_EUlS13_E_NS1_11comp_targetILNS1_3genE3ELNS1_11target_archE908ELNS1_3gpuE7ELNS1_3repE0EEENS1_30default_config_static_selectorELNS0_4arch9wavefront6targetE0EEEvT1_
	.p2align	8
	.type	_ZN7rocprim17ROCPRIM_400000_NS6detail17trampoline_kernelINS0_14default_configENS1_25partition_config_selectorILNS1_17partition_subalgoE9EddbEEZZNS1_14partition_implILS5_9ELb0ES3_jN6thrust23THRUST_200600_302600_NS6detail15normal_iteratorINS9_10device_ptrIdEEEESE_PNS0_10empty_typeENS0_5tupleIJSE_SF_EEENSH_IJSE_SG_EEENS0_18inequality_wrapperINS9_8equal_toIdEEEEPmJSF_EEE10hipError_tPvRmT3_T4_T5_T6_T7_T9_mT8_P12ihipStream_tbDpT10_ENKUlT_T0_E_clISt17integral_constantIbLb1EES18_EEDaS13_S14_EUlS13_E_NS1_11comp_targetILNS1_3genE3ELNS1_11target_archE908ELNS1_3gpuE7ELNS1_3repE0EEENS1_30default_config_static_selectorELNS0_4arch9wavefront6targetE0EEEvT1_,@function
_ZN7rocprim17ROCPRIM_400000_NS6detail17trampoline_kernelINS0_14default_configENS1_25partition_config_selectorILNS1_17partition_subalgoE9EddbEEZZNS1_14partition_implILS5_9ELb0ES3_jN6thrust23THRUST_200600_302600_NS6detail15normal_iteratorINS9_10device_ptrIdEEEESE_PNS0_10empty_typeENS0_5tupleIJSE_SF_EEENSH_IJSE_SG_EEENS0_18inequality_wrapperINS9_8equal_toIdEEEEPmJSF_EEE10hipError_tPvRmT3_T4_T5_T6_T7_T9_mT8_P12ihipStream_tbDpT10_ENKUlT_T0_E_clISt17integral_constantIbLb1EES18_EEDaS13_S14_EUlS13_E_NS1_11comp_targetILNS1_3genE3ELNS1_11target_archE908ELNS1_3gpuE7ELNS1_3repE0EEENS1_30default_config_static_selectorELNS0_4arch9wavefront6targetE0EEEvT1_: ; @_ZN7rocprim17ROCPRIM_400000_NS6detail17trampoline_kernelINS0_14default_configENS1_25partition_config_selectorILNS1_17partition_subalgoE9EddbEEZZNS1_14partition_implILS5_9ELb0ES3_jN6thrust23THRUST_200600_302600_NS6detail15normal_iteratorINS9_10device_ptrIdEEEESE_PNS0_10empty_typeENS0_5tupleIJSE_SF_EEENSH_IJSE_SG_EEENS0_18inequality_wrapperINS9_8equal_toIdEEEEPmJSF_EEE10hipError_tPvRmT3_T4_T5_T6_T7_T9_mT8_P12ihipStream_tbDpT10_ENKUlT_T0_E_clISt17integral_constantIbLb1EES18_EEDaS13_S14_EUlS13_E_NS1_11comp_targetILNS1_3genE3ELNS1_11target_archE908ELNS1_3gpuE7ELNS1_3repE0EEENS1_30default_config_static_selectorELNS0_4arch9wavefront6targetE0EEEvT1_
; %bb.0:
	.section	.rodata,"a",@progbits
	.p2align	6, 0x0
	.amdhsa_kernel _ZN7rocprim17ROCPRIM_400000_NS6detail17trampoline_kernelINS0_14default_configENS1_25partition_config_selectorILNS1_17partition_subalgoE9EddbEEZZNS1_14partition_implILS5_9ELb0ES3_jN6thrust23THRUST_200600_302600_NS6detail15normal_iteratorINS9_10device_ptrIdEEEESE_PNS0_10empty_typeENS0_5tupleIJSE_SF_EEENSH_IJSE_SG_EEENS0_18inequality_wrapperINS9_8equal_toIdEEEEPmJSF_EEE10hipError_tPvRmT3_T4_T5_T6_T7_T9_mT8_P12ihipStream_tbDpT10_ENKUlT_T0_E_clISt17integral_constantIbLb1EES18_EEDaS13_S14_EUlS13_E_NS1_11comp_targetILNS1_3genE3ELNS1_11target_archE908ELNS1_3gpuE7ELNS1_3repE0EEENS1_30default_config_static_selectorELNS0_4arch9wavefront6targetE0EEEvT1_
		.amdhsa_group_segment_fixed_size 0
		.amdhsa_private_segment_fixed_size 0
		.amdhsa_kernarg_size 128
		.amdhsa_user_sgpr_count 15
		.amdhsa_user_sgpr_dispatch_ptr 0
		.amdhsa_user_sgpr_queue_ptr 0
		.amdhsa_user_sgpr_kernarg_segment_ptr 1
		.amdhsa_user_sgpr_dispatch_id 0
		.amdhsa_user_sgpr_private_segment_size 0
		.amdhsa_wavefront_size32 1
		.amdhsa_uses_dynamic_stack 0
		.amdhsa_enable_private_segment 0
		.amdhsa_system_sgpr_workgroup_id_x 1
		.amdhsa_system_sgpr_workgroup_id_y 0
		.amdhsa_system_sgpr_workgroup_id_z 0
		.amdhsa_system_sgpr_workgroup_info 0
		.amdhsa_system_vgpr_workitem_id 0
		.amdhsa_next_free_vgpr 1
		.amdhsa_next_free_sgpr 1
		.amdhsa_reserve_vcc 0
		.amdhsa_float_round_mode_32 0
		.amdhsa_float_round_mode_16_64 0
		.amdhsa_float_denorm_mode_32 3
		.amdhsa_float_denorm_mode_16_64 3
		.amdhsa_dx10_clamp 1
		.amdhsa_ieee_mode 1
		.amdhsa_fp16_overflow 0
		.amdhsa_workgroup_processor_mode 1
		.amdhsa_memory_ordered 1
		.amdhsa_forward_progress 0
		.amdhsa_shared_vgpr_count 0
		.amdhsa_exception_fp_ieee_invalid_op 0
		.amdhsa_exception_fp_denorm_src 0
		.amdhsa_exception_fp_ieee_div_zero 0
		.amdhsa_exception_fp_ieee_overflow 0
		.amdhsa_exception_fp_ieee_underflow 0
		.amdhsa_exception_fp_ieee_inexact 0
		.amdhsa_exception_int_div_zero 0
	.end_amdhsa_kernel
	.section	.text._ZN7rocprim17ROCPRIM_400000_NS6detail17trampoline_kernelINS0_14default_configENS1_25partition_config_selectorILNS1_17partition_subalgoE9EddbEEZZNS1_14partition_implILS5_9ELb0ES3_jN6thrust23THRUST_200600_302600_NS6detail15normal_iteratorINS9_10device_ptrIdEEEESE_PNS0_10empty_typeENS0_5tupleIJSE_SF_EEENSH_IJSE_SG_EEENS0_18inequality_wrapperINS9_8equal_toIdEEEEPmJSF_EEE10hipError_tPvRmT3_T4_T5_T6_T7_T9_mT8_P12ihipStream_tbDpT10_ENKUlT_T0_E_clISt17integral_constantIbLb1EES18_EEDaS13_S14_EUlS13_E_NS1_11comp_targetILNS1_3genE3ELNS1_11target_archE908ELNS1_3gpuE7ELNS1_3repE0EEENS1_30default_config_static_selectorELNS0_4arch9wavefront6targetE0EEEvT1_,"axG",@progbits,_ZN7rocprim17ROCPRIM_400000_NS6detail17trampoline_kernelINS0_14default_configENS1_25partition_config_selectorILNS1_17partition_subalgoE9EddbEEZZNS1_14partition_implILS5_9ELb0ES3_jN6thrust23THRUST_200600_302600_NS6detail15normal_iteratorINS9_10device_ptrIdEEEESE_PNS0_10empty_typeENS0_5tupleIJSE_SF_EEENSH_IJSE_SG_EEENS0_18inequality_wrapperINS9_8equal_toIdEEEEPmJSF_EEE10hipError_tPvRmT3_T4_T5_T6_T7_T9_mT8_P12ihipStream_tbDpT10_ENKUlT_T0_E_clISt17integral_constantIbLb1EES18_EEDaS13_S14_EUlS13_E_NS1_11comp_targetILNS1_3genE3ELNS1_11target_archE908ELNS1_3gpuE7ELNS1_3repE0EEENS1_30default_config_static_selectorELNS0_4arch9wavefront6targetE0EEEvT1_,comdat
.Lfunc_end24:
	.size	_ZN7rocprim17ROCPRIM_400000_NS6detail17trampoline_kernelINS0_14default_configENS1_25partition_config_selectorILNS1_17partition_subalgoE9EddbEEZZNS1_14partition_implILS5_9ELb0ES3_jN6thrust23THRUST_200600_302600_NS6detail15normal_iteratorINS9_10device_ptrIdEEEESE_PNS0_10empty_typeENS0_5tupleIJSE_SF_EEENSH_IJSE_SG_EEENS0_18inequality_wrapperINS9_8equal_toIdEEEEPmJSF_EEE10hipError_tPvRmT3_T4_T5_T6_T7_T9_mT8_P12ihipStream_tbDpT10_ENKUlT_T0_E_clISt17integral_constantIbLb1EES18_EEDaS13_S14_EUlS13_E_NS1_11comp_targetILNS1_3genE3ELNS1_11target_archE908ELNS1_3gpuE7ELNS1_3repE0EEENS1_30default_config_static_selectorELNS0_4arch9wavefront6targetE0EEEvT1_, .Lfunc_end24-_ZN7rocprim17ROCPRIM_400000_NS6detail17trampoline_kernelINS0_14default_configENS1_25partition_config_selectorILNS1_17partition_subalgoE9EddbEEZZNS1_14partition_implILS5_9ELb0ES3_jN6thrust23THRUST_200600_302600_NS6detail15normal_iteratorINS9_10device_ptrIdEEEESE_PNS0_10empty_typeENS0_5tupleIJSE_SF_EEENSH_IJSE_SG_EEENS0_18inequality_wrapperINS9_8equal_toIdEEEEPmJSF_EEE10hipError_tPvRmT3_T4_T5_T6_T7_T9_mT8_P12ihipStream_tbDpT10_ENKUlT_T0_E_clISt17integral_constantIbLb1EES18_EEDaS13_S14_EUlS13_E_NS1_11comp_targetILNS1_3genE3ELNS1_11target_archE908ELNS1_3gpuE7ELNS1_3repE0EEENS1_30default_config_static_selectorELNS0_4arch9wavefront6targetE0EEEvT1_
                                        ; -- End function
	.section	.AMDGPU.csdata,"",@progbits
; Kernel info:
; codeLenInByte = 0
; NumSgprs: 0
; NumVgprs: 0
; ScratchSize: 0
; MemoryBound: 0
; FloatMode: 240
; IeeeMode: 1
; LDSByteSize: 0 bytes/workgroup (compile time only)
; SGPRBlocks: 0
; VGPRBlocks: 0
; NumSGPRsForWavesPerEU: 1
; NumVGPRsForWavesPerEU: 1
; Occupancy: 16
; WaveLimiterHint : 0
; COMPUTE_PGM_RSRC2:SCRATCH_EN: 0
; COMPUTE_PGM_RSRC2:USER_SGPR: 15
; COMPUTE_PGM_RSRC2:TRAP_HANDLER: 0
; COMPUTE_PGM_RSRC2:TGID_X_EN: 1
; COMPUTE_PGM_RSRC2:TGID_Y_EN: 0
; COMPUTE_PGM_RSRC2:TGID_Z_EN: 0
; COMPUTE_PGM_RSRC2:TIDIG_COMP_CNT: 0
	.section	.text._ZN7rocprim17ROCPRIM_400000_NS6detail17trampoline_kernelINS0_14default_configENS1_25partition_config_selectorILNS1_17partition_subalgoE9EddbEEZZNS1_14partition_implILS5_9ELb0ES3_jN6thrust23THRUST_200600_302600_NS6detail15normal_iteratorINS9_10device_ptrIdEEEESE_PNS0_10empty_typeENS0_5tupleIJSE_SF_EEENSH_IJSE_SG_EEENS0_18inequality_wrapperINS9_8equal_toIdEEEEPmJSF_EEE10hipError_tPvRmT3_T4_T5_T6_T7_T9_mT8_P12ihipStream_tbDpT10_ENKUlT_T0_E_clISt17integral_constantIbLb1EES18_EEDaS13_S14_EUlS13_E_NS1_11comp_targetILNS1_3genE2ELNS1_11target_archE906ELNS1_3gpuE6ELNS1_3repE0EEENS1_30default_config_static_selectorELNS0_4arch9wavefront6targetE0EEEvT1_,"axG",@progbits,_ZN7rocprim17ROCPRIM_400000_NS6detail17trampoline_kernelINS0_14default_configENS1_25partition_config_selectorILNS1_17partition_subalgoE9EddbEEZZNS1_14partition_implILS5_9ELb0ES3_jN6thrust23THRUST_200600_302600_NS6detail15normal_iteratorINS9_10device_ptrIdEEEESE_PNS0_10empty_typeENS0_5tupleIJSE_SF_EEENSH_IJSE_SG_EEENS0_18inequality_wrapperINS9_8equal_toIdEEEEPmJSF_EEE10hipError_tPvRmT3_T4_T5_T6_T7_T9_mT8_P12ihipStream_tbDpT10_ENKUlT_T0_E_clISt17integral_constantIbLb1EES18_EEDaS13_S14_EUlS13_E_NS1_11comp_targetILNS1_3genE2ELNS1_11target_archE906ELNS1_3gpuE6ELNS1_3repE0EEENS1_30default_config_static_selectorELNS0_4arch9wavefront6targetE0EEEvT1_,comdat
	.protected	_ZN7rocprim17ROCPRIM_400000_NS6detail17trampoline_kernelINS0_14default_configENS1_25partition_config_selectorILNS1_17partition_subalgoE9EddbEEZZNS1_14partition_implILS5_9ELb0ES3_jN6thrust23THRUST_200600_302600_NS6detail15normal_iteratorINS9_10device_ptrIdEEEESE_PNS0_10empty_typeENS0_5tupleIJSE_SF_EEENSH_IJSE_SG_EEENS0_18inequality_wrapperINS9_8equal_toIdEEEEPmJSF_EEE10hipError_tPvRmT3_T4_T5_T6_T7_T9_mT8_P12ihipStream_tbDpT10_ENKUlT_T0_E_clISt17integral_constantIbLb1EES18_EEDaS13_S14_EUlS13_E_NS1_11comp_targetILNS1_3genE2ELNS1_11target_archE906ELNS1_3gpuE6ELNS1_3repE0EEENS1_30default_config_static_selectorELNS0_4arch9wavefront6targetE0EEEvT1_ ; -- Begin function _ZN7rocprim17ROCPRIM_400000_NS6detail17trampoline_kernelINS0_14default_configENS1_25partition_config_selectorILNS1_17partition_subalgoE9EddbEEZZNS1_14partition_implILS5_9ELb0ES3_jN6thrust23THRUST_200600_302600_NS6detail15normal_iteratorINS9_10device_ptrIdEEEESE_PNS0_10empty_typeENS0_5tupleIJSE_SF_EEENSH_IJSE_SG_EEENS0_18inequality_wrapperINS9_8equal_toIdEEEEPmJSF_EEE10hipError_tPvRmT3_T4_T5_T6_T7_T9_mT8_P12ihipStream_tbDpT10_ENKUlT_T0_E_clISt17integral_constantIbLb1EES18_EEDaS13_S14_EUlS13_E_NS1_11comp_targetILNS1_3genE2ELNS1_11target_archE906ELNS1_3gpuE6ELNS1_3repE0EEENS1_30default_config_static_selectorELNS0_4arch9wavefront6targetE0EEEvT1_
	.globl	_ZN7rocprim17ROCPRIM_400000_NS6detail17trampoline_kernelINS0_14default_configENS1_25partition_config_selectorILNS1_17partition_subalgoE9EddbEEZZNS1_14partition_implILS5_9ELb0ES3_jN6thrust23THRUST_200600_302600_NS6detail15normal_iteratorINS9_10device_ptrIdEEEESE_PNS0_10empty_typeENS0_5tupleIJSE_SF_EEENSH_IJSE_SG_EEENS0_18inequality_wrapperINS9_8equal_toIdEEEEPmJSF_EEE10hipError_tPvRmT3_T4_T5_T6_T7_T9_mT8_P12ihipStream_tbDpT10_ENKUlT_T0_E_clISt17integral_constantIbLb1EES18_EEDaS13_S14_EUlS13_E_NS1_11comp_targetILNS1_3genE2ELNS1_11target_archE906ELNS1_3gpuE6ELNS1_3repE0EEENS1_30default_config_static_selectorELNS0_4arch9wavefront6targetE0EEEvT1_
	.p2align	8
	.type	_ZN7rocprim17ROCPRIM_400000_NS6detail17trampoline_kernelINS0_14default_configENS1_25partition_config_selectorILNS1_17partition_subalgoE9EddbEEZZNS1_14partition_implILS5_9ELb0ES3_jN6thrust23THRUST_200600_302600_NS6detail15normal_iteratorINS9_10device_ptrIdEEEESE_PNS0_10empty_typeENS0_5tupleIJSE_SF_EEENSH_IJSE_SG_EEENS0_18inequality_wrapperINS9_8equal_toIdEEEEPmJSF_EEE10hipError_tPvRmT3_T4_T5_T6_T7_T9_mT8_P12ihipStream_tbDpT10_ENKUlT_T0_E_clISt17integral_constantIbLb1EES18_EEDaS13_S14_EUlS13_E_NS1_11comp_targetILNS1_3genE2ELNS1_11target_archE906ELNS1_3gpuE6ELNS1_3repE0EEENS1_30default_config_static_selectorELNS0_4arch9wavefront6targetE0EEEvT1_,@function
_ZN7rocprim17ROCPRIM_400000_NS6detail17trampoline_kernelINS0_14default_configENS1_25partition_config_selectorILNS1_17partition_subalgoE9EddbEEZZNS1_14partition_implILS5_9ELb0ES3_jN6thrust23THRUST_200600_302600_NS6detail15normal_iteratorINS9_10device_ptrIdEEEESE_PNS0_10empty_typeENS0_5tupleIJSE_SF_EEENSH_IJSE_SG_EEENS0_18inequality_wrapperINS9_8equal_toIdEEEEPmJSF_EEE10hipError_tPvRmT3_T4_T5_T6_T7_T9_mT8_P12ihipStream_tbDpT10_ENKUlT_T0_E_clISt17integral_constantIbLb1EES18_EEDaS13_S14_EUlS13_E_NS1_11comp_targetILNS1_3genE2ELNS1_11target_archE906ELNS1_3gpuE6ELNS1_3repE0EEENS1_30default_config_static_selectorELNS0_4arch9wavefront6targetE0EEEvT1_: ; @_ZN7rocprim17ROCPRIM_400000_NS6detail17trampoline_kernelINS0_14default_configENS1_25partition_config_selectorILNS1_17partition_subalgoE9EddbEEZZNS1_14partition_implILS5_9ELb0ES3_jN6thrust23THRUST_200600_302600_NS6detail15normal_iteratorINS9_10device_ptrIdEEEESE_PNS0_10empty_typeENS0_5tupleIJSE_SF_EEENSH_IJSE_SG_EEENS0_18inequality_wrapperINS9_8equal_toIdEEEEPmJSF_EEE10hipError_tPvRmT3_T4_T5_T6_T7_T9_mT8_P12ihipStream_tbDpT10_ENKUlT_T0_E_clISt17integral_constantIbLb1EES18_EEDaS13_S14_EUlS13_E_NS1_11comp_targetILNS1_3genE2ELNS1_11target_archE906ELNS1_3gpuE6ELNS1_3repE0EEENS1_30default_config_static_selectorELNS0_4arch9wavefront6targetE0EEEvT1_
; %bb.0:
	.section	.rodata,"a",@progbits
	.p2align	6, 0x0
	.amdhsa_kernel _ZN7rocprim17ROCPRIM_400000_NS6detail17trampoline_kernelINS0_14default_configENS1_25partition_config_selectorILNS1_17partition_subalgoE9EddbEEZZNS1_14partition_implILS5_9ELb0ES3_jN6thrust23THRUST_200600_302600_NS6detail15normal_iteratorINS9_10device_ptrIdEEEESE_PNS0_10empty_typeENS0_5tupleIJSE_SF_EEENSH_IJSE_SG_EEENS0_18inequality_wrapperINS9_8equal_toIdEEEEPmJSF_EEE10hipError_tPvRmT3_T4_T5_T6_T7_T9_mT8_P12ihipStream_tbDpT10_ENKUlT_T0_E_clISt17integral_constantIbLb1EES18_EEDaS13_S14_EUlS13_E_NS1_11comp_targetILNS1_3genE2ELNS1_11target_archE906ELNS1_3gpuE6ELNS1_3repE0EEENS1_30default_config_static_selectorELNS0_4arch9wavefront6targetE0EEEvT1_
		.amdhsa_group_segment_fixed_size 0
		.amdhsa_private_segment_fixed_size 0
		.amdhsa_kernarg_size 128
		.amdhsa_user_sgpr_count 15
		.amdhsa_user_sgpr_dispatch_ptr 0
		.amdhsa_user_sgpr_queue_ptr 0
		.amdhsa_user_sgpr_kernarg_segment_ptr 1
		.amdhsa_user_sgpr_dispatch_id 0
		.amdhsa_user_sgpr_private_segment_size 0
		.amdhsa_wavefront_size32 1
		.amdhsa_uses_dynamic_stack 0
		.amdhsa_enable_private_segment 0
		.amdhsa_system_sgpr_workgroup_id_x 1
		.amdhsa_system_sgpr_workgroup_id_y 0
		.amdhsa_system_sgpr_workgroup_id_z 0
		.amdhsa_system_sgpr_workgroup_info 0
		.amdhsa_system_vgpr_workitem_id 0
		.amdhsa_next_free_vgpr 1
		.amdhsa_next_free_sgpr 1
		.amdhsa_reserve_vcc 0
		.amdhsa_float_round_mode_32 0
		.amdhsa_float_round_mode_16_64 0
		.amdhsa_float_denorm_mode_32 3
		.amdhsa_float_denorm_mode_16_64 3
		.amdhsa_dx10_clamp 1
		.amdhsa_ieee_mode 1
		.amdhsa_fp16_overflow 0
		.amdhsa_workgroup_processor_mode 1
		.amdhsa_memory_ordered 1
		.amdhsa_forward_progress 0
		.amdhsa_shared_vgpr_count 0
		.amdhsa_exception_fp_ieee_invalid_op 0
		.amdhsa_exception_fp_denorm_src 0
		.amdhsa_exception_fp_ieee_div_zero 0
		.amdhsa_exception_fp_ieee_overflow 0
		.amdhsa_exception_fp_ieee_underflow 0
		.amdhsa_exception_fp_ieee_inexact 0
		.amdhsa_exception_int_div_zero 0
	.end_amdhsa_kernel
	.section	.text._ZN7rocprim17ROCPRIM_400000_NS6detail17trampoline_kernelINS0_14default_configENS1_25partition_config_selectorILNS1_17partition_subalgoE9EddbEEZZNS1_14partition_implILS5_9ELb0ES3_jN6thrust23THRUST_200600_302600_NS6detail15normal_iteratorINS9_10device_ptrIdEEEESE_PNS0_10empty_typeENS0_5tupleIJSE_SF_EEENSH_IJSE_SG_EEENS0_18inequality_wrapperINS9_8equal_toIdEEEEPmJSF_EEE10hipError_tPvRmT3_T4_T5_T6_T7_T9_mT8_P12ihipStream_tbDpT10_ENKUlT_T0_E_clISt17integral_constantIbLb1EES18_EEDaS13_S14_EUlS13_E_NS1_11comp_targetILNS1_3genE2ELNS1_11target_archE906ELNS1_3gpuE6ELNS1_3repE0EEENS1_30default_config_static_selectorELNS0_4arch9wavefront6targetE0EEEvT1_,"axG",@progbits,_ZN7rocprim17ROCPRIM_400000_NS6detail17trampoline_kernelINS0_14default_configENS1_25partition_config_selectorILNS1_17partition_subalgoE9EddbEEZZNS1_14partition_implILS5_9ELb0ES3_jN6thrust23THRUST_200600_302600_NS6detail15normal_iteratorINS9_10device_ptrIdEEEESE_PNS0_10empty_typeENS0_5tupleIJSE_SF_EEENSH_IJSE_SG_EEENS0_18inequality_wrapperINS9_8equal_toIdEEEEPmJSF_EEE10hipError_tPvRmT3_T4_T5_T6_T7_T9_mT8_P12ihipStream_tbDpT10_ENKUlT_T0_E_clISt17integral_constantIbLb1EES18_EEDaS13_S14_EUlS13_E_NS1_11comp_targetILNS1_3genE2ELNS1_11target_archE906ELNS1_3gpuE6ELNS1_3repE0EEENS1_30default_config_static_selectorELNS0_4arch9wavefront6targetE0EEEvT1_,comdat
.Lfunc_end25:
	.size	_ZN7rocprim17ROCPRIM_400000_NS6detail17trampoline_kernelINS0_14default_configENS1_25partition_config_selectorILNS1_17partition_subalgoE9EddbEEZZNS1_14partition_implILS5_9ELb0ES3_jN6thrust23THRUST_200600_302600_NS6detail15normal_iteratorINS9_10device_ptrIdEEEESE_PNS0_10empty_typeENS0_5tupleIJSE_SF_EEENSH_IJSE_SG_EEENS0_18inequality_wrapperINS9_8equal_toIdEEEEPmJSF_EEE10hipError_tPvRmT3_T4_T5_T6_T7_T9_mT8_P12ihipStream_tbDpT10_ENKUlT_T0_E_clISt17integral_constantIbLb1EES18_EEDaS13_S14_EUlS13_E_NS1_11comp_targetILNS1_3genE2ELNS1_11target_archE906ELNS1_3gpuE6ELNS1_3repE0EEENS1_30default_config_static_selectorELNS0_4arch9wavefront6targetE0EEEvT1_, .Lfunc_end25-_ZN7rocprim17ROCPRIM_400000_NS6detail17trampoline_kernelINS0_14default_configENS1_25partition_config_selectorILNS1_17partition_subalgoE9EddbEEZZNS1_14partition_implILS5_9ELb0ES3_jN6thrust23THRUST_200600_302600_NS6detail15normal_iteratorINS9_10device_ptrIdEEEESE_PNS0_10empty_typeENS0_5tupleIJSE_SF_EEENSH_IJSE_SG_EEENS0_18inequality_wrapperINS9_8equal_toIdEEEEPmJSF_EEE10hipError_tPvRmT3_T4_T5_T6_T7_T9_mT8_P12ihipStream_tbDpT10_ENKUlT_T0_E_clISt17integral_constantIbLb1EES18_EEDaS13_S14_EUlS13_E_NS1_11comp_targetILNS1_3genE2ELNS1_11target_archE906ELNS1_3gpuE6ELNS1_3repE0EEENS1_30default_config_static_selectorELNS0_4arch9wavefront6targetE0EEEvT1_
                                        ; -- End function
	.section	.AMDGPU.csdata,"",@progbits
; Kernel info:
; codeLenInByte = 0
; NumSgprs: 0
; NumVgprs: 0
; ScratchSize: 0
; MemoryBound: 0
; FloatMode: 240
; IeeeMode: 1
; LDSByteSize: 0 bytes/workgroup (compile time only)
; SGPRBlocks: 0
; VGPRBlocks: 0
; NumSGPRsForWavesPerEU: 1
; NumVGPRsForWavesPerEU: 1
; Occupancy: 16
; WaveLimiterHint : 0
; COMPUTE_PGM_RSRC2:SCRATCH_EN: 0
; COMPUTE_PGM_RSRC2:USER_SGPR: 15
; COMPUTE_PGM_RSRC2:TRAP_HANDLER: 0
; COMPUTE_PGM_RSRC2:TGID_X_EN: 1
; COMPUTE_PGM_RSRC2:TGID_Y_EN: 0
; COMPUTE_PGM_RSRC2:TGID_Z_EN: 0
; COMPUTE_PGM_RSRC2:TIDIG_COMP_CNT: 0
	.section	.text._ZN7rocprim17ROCPRIM_400000_NS6detail17trampoline_kernelINS0_14default_configENS1_25partition_config_selectorILNS1_17partition_subalgoE9EddbEEZZNS1_14partition_implILS5_9ELb0ES3_jN6thrust23THRUST_200600_302600_NS6detail15normal_iteratorINS9_10device_ptrIdEEEESE_PNS0_10empty_typeENS0_5tupleIJSE_SF_EEENSH_IJSE_SG_EEENS0_18inequality_wrapperINS9_8equal_toIdEEEEPmJSF_EEE10hipError_tPvRmT3_T4_T5_T6_T7_T9_mT8_P12ihipStream_tbDpT10_ENKUlT_T0_E_clISt17integral_constantIbLb1EES18_EEDaS13_S14_EUlS13_E_NS1_11comp_targetILNS1_3genE10ELNS1_11target_archE1200ELNS1_3gpuE4ELNS1_3repE0EEENS1_30default_config_static_selectorELNS0_4arch9wavefront6targetE0EEEvT1_,"axG",@progbits,_ZN7rocprim17ROCPRIM_400000_NS6detail17trampoline_kernelINS0_14default_configENS1_25partition_config_selectorILNS1_17partition_subalgoE9EddbEEZZNS1_14partition_implILS5_9ELb0ES3_jN6thrust23THRUST_200600_302600_NS6detail15normal_iteratorINS9_10device_ptrIdEEEESE_PNS0_10empty_typeENS0_5tupleIJSE_SF_EEENSH_IJSE_SG_EEENS0_18inequality_wrapperINS9_8equal_toIdEEEEPmJSF_EEE10hipError_tPvRmT3_T4_T5_T6_T7_T9_mT8_P12ihipStream_tbDpT10_ENKUlT_T0_E_clISt17integral_constantIbLb1EES18_EEDaS13_S14_EUlS13_E_NS1_11comp_targetILNS1_3genE10ELNS1_11target_archE1200ELNS1_3gpuE4ELNS1_3repE0EEENS1_30default_config_static_selectorELNS0_4arch9wavefront6targetE0EEEvT1_,comdat
	.protected	_ZN7rocprim17ROCPRIM_400000_NS6detail17trampoline_kernelINS0_14default_configENS1_25partition_config_selectorILNS1_17partition_subalgoE9EddbEEZZNS1_14partition_implILS5_9ELb0ES3_jN6thrust23THRUST_200600_302600_NS6detail15normal_iteratorINS9_10device_ptrIdEEEESE_PNS0_10empty_typeENS0_5tupleIJSE_SF_EEENSH_IJSE_SG_EEENS0_18inequality_wrapperINS9_8equal_toIdEEEEPmJSF_EEE10hipError_tPvRmT3_T4_T5_T6_T7_T9_mT8_P12ihipStream_tbDpT10_ENKUlT_T0_E_clISt17integral_constantIbLb1EES18_EEDaS13_S14_EUlS13_E_NS1_11comp_targetILNS1_3genE10ELNS1_11target_archE1200ELNS1_3gpuE4ELNS1_3repE0EEENS1_30default_config_static_selectorELNS0_4arch9wavefront6targetE0EEEvT1_ ; -- Begin function _ZN7rocprim17ROCPRIM_400000_NS6detail17trampoline_kernelINS0_14default_configENS1_25partition_config_selectorILNS1_17partition_subalgoE9EddbEEZZNS1_14partition_implILS5_9ELb0ES3_jN6thrust23THRUST_200600_302600_NS6detail15normal_iteratorINS9_10device_ptrIdEEEESE_PNS0_10empty_typeENS0_5tupleIJSE_SF_EEENSH_IJSE_SG_EEENS0_18inequality_wrapperINS9_8equal_toIdEEEEPmJSF_EEE10hipError_tPvRmT3_T4_T5_T6_T7_T9_mT8_P12ihipStream_tbDpT10_ENKUlT_T0_E_clISt17integral_constantIbLb1EES18_EEDaS13_S14_EUlS13_E_NS1_11comp_targetILNS1_3genE10ELNS1_11target_archE1200ELNS1_3gpuE4ELNS1_3repE0EEENS1_30default_config_static_selectorELNS0_4arch9wavefront6targetE0EEEvT1_
	.globl	_ZN7rocprim17ROCPRIM_400000_NS6detail17trampoline_kernelINS0_14default_configENS1_25partition_config_selectorILNS1_17partition_subalgoE9EddbEEZZNS1_14partition_implILS5_9ELb0ES3_jN6thrust23THRUST_200600_302600_NS6detail15normal_iteratorINS9_10device_ptrIdEEEESE_PNS0_10empty_typeENS0_5tupleIJSE_SF_EEENSH_IJSE_SG_EEENS0_18inequality_wrapperINS9_8equal_toIdEEEEPmJSF_EEE10hipError_tPvRmT3_T4_T5_T6_T7_T9_mT8_P12ihipStream_tbDpT10_ENKUlT_T0_E_clISt17integral_constantIbLb1EES18_EEDaS13_S14_EUlS13_E_NS1_11comp_targetILNS1_3genE10ELNS1_11target_archE1200ELNS1_3gpuE4ELNS1_3repE0EEENS1_30default_config_static_selectorELNS0_4arch9wavefront6targetE0EEEvT1_
	.p2align	8
	.type	_ZN7rocprim17ROCPRIM_400000_NS6detail17trampoline_kernelINS0_14default_configENS1_25partition_config_selectorILNS1_17partition_subalgoE9EddbEEZZNS1_14partition_implILS5_9ELb0ES3_jN6thrust23THRUST_200600_302600_NS6detail15normal_iteratorINS9_10device_ptrIdEEEESE_PNS0_10empty_typeENS0_5tupleIJSE_SF_EEENSH_IJSE_SG_EEENS0_18inequality_wrapperINS9_8equal_toIdEEEEPmJSF_EEE10hipError_tPvRmT3_T4_T5_T6_T7_T9_mT8_P12ihipStream_tbDpT10_ENKUlT_T0_E_clISt17integral_constantIbLb1EES18_EEDaS13_S14_EUlS13_E_NS1_11comp_targetILNS1_3genE10ELNS1_11target_archE1200ELNS1_3gpuE4ELNS1_3repE0EEENS1_30default_config_static_selectorELNS0_4arch9wavefront6targetE0EEEvT1_,@function
_ZN7rocprim17ROCPRIM_400000_NS6detail17trampoline_kernelINS0_14default_configENS1_25partition_config_selectorILNS1_17partition_subalgoE9EddbEEZZNS1_14partition_implILS5_9ELb0ES3_jN6thrust23THRUST_200600_302600_NS6detail15normal_iteratorINS9_10device_ptrIdEEEESE_PNS0_10empty_typeENS0_5tupleIJSE_SF_EEENSH_IJSE_SG_EEENS0_18inequality_wrapperINS9_8equal_toIdEEEEPmJSF_EEE10hipError_tPvRmT3_T4_T5_T6_T7_T9_mT8_P12ihipStream_tbDpT10_ENKUlT_T0_E_clISt17integral_constantIbLb1EES18_EEDaS13_S14_EUlS13_E_NS1_11comp_targetILNS1_3genE10ELNS1_11target_archE1200ELNS1_3gpuE4ELNS1_3repE0EEENS1_30default_config_static_selectorELNS0_4arch9wavefront6targetE0EEEvT1_: ; @_ZN7rocprim17ROCPRIM_400000_NS6detail17trampoline_kernelINS0_14default_configENS1_25partition_config_selectorILNS1_17partition_subalgoE9EddbEEZZNS1_14partition_implILS5_9ELb0ES3_jN6thrust23THRUST_200600_302600_NS6detail15normal_iteratorINS9_10device_ptrIdEEEESE_PNS0_10empty_typeENS0_5tupleIJSE_SF_EEENSH_IJSE_SG_EEENS0_18inequality_wrapperINS9_8equal_toIdEEEEPmJSF_EEE10hipError_tPvRmT3_T4_T5_T6_T7_T9_mT8_P12ihipStream_tbDpT10_ENKUlT_T0_E_clISt17integral_constantIbLb1EES18_EEDaS13_S14_EUlS13_E_NS1_11comp_targetILNS1_3genE10ELNS1_11target_archE1200ELNS1_3gpuE4ELNS1_3repE0EEENS1_30default_config_static_selectorELNS0_4arch9wavefront6targetE0EEEvT1_
; %bb.0:
	.section	.rodata,"a",@progbits
	.p2align	6, 0x0
	.amdhsa_kernel _ZN7rocprim17ROCPRIM_400000_NS6detail17trampoline_kernelINS0_14default_configENS1_25partition_config_selectorILNS1_17partition_subalgoE9EddbEEZZNS1_14partition_implILS5_9ELb0ES3_jN6thrust23THRUST_200600_302600_NS6detail15normal_iteratorINS9_10device_ptrIdEEEESE_PNS0_10empty_typeENS0_5tupleIJSE_SF_EEENSH_IJSE_SG_EEENS0_18inequality_wrapperINS9_8equal_toIdEEEEPmJSF_EEE10hipError_tPvRmT3_T4_T5_T6_T7_T9_mT8_P12ihipStream_tbDpT10_ENKUlT_T0_E_clISt17integral_constantIbLb1EES18_EEDaS13_S14_EUlS13_E_NS1_11comp_targetILNS1_3genE10ELNS1_11target_archE1200ELNS1_3gpuE4ELNS1_3repE0EEENS1_30default_config_static_selectorELNS0_4arch9wavefront6targetE0EEEvT1_
		.amdhsa_group_segment_fixed_size 0
		.amdhsa_private_segment_fixed_size 0
		.amdhsa_kernarg_size 128
		.amdhsa_user_sgpr_count 15
		.amdhsa_user_sgpr_dispatch_ptr 0
		.amdhsa_user_sgpr_queue_ptr 0
		.amdhsa_user_sgpr_kernarg_segment_ptr 1
		.amdhsa_user_sgpr_dispatch_id 0
		.amdhsa_user_sgpr_private_segment_size 0
		.amdhsa_wavefront_size32 1
		.amdhsa_uses_dynamic_stack 0
		.amdhsa_enable_private_segment 0
		.amdhsa_system_sgpr_workgroup_id_x 1
		.amdhsa_system_sgpr_workgroup_id_y 0
		.amdhsa_system_sgpr_workgroup_id_z 0
		.amdhsa_system_sgpr_workgroup_info 0
		.amdhsa_system_vgpr_workitem_id 0
		.amdhsa_next_free_vgpr 1
		.amdhsa_next_free_sgpr 1
		.amdhsa_reserve_vcc 0
		.amdhsa_float_round_mode_32 0
		.amdhsa_float_round_mode_16_64 0
		.amdhsa_float_denorm_mode_32 3
		.amdhsa_float_denorm_mode_16_64 3
		.amdhsa_dx10_clamp 1
		.amdhsa_ieee_mode 1
		.amdhsa_fp16_overflow 0
		.amdhsa_workgroup_processor_mode 1
		.amdhsa_memory_ordered 1
		.amdhsa_forward_progress 0
		.amdhsa_shared_vgpr_count 0
		.amdhsa_exception_fp_ieee_invalid_op 0
		.amdhsa_exception_fp_denorm_src 0
		.amdhsa_exception_fp_ieee_div_zero 0
		.amdhsa_exception_fp_ieee_overflow 0
		.amdhsa_exception_fp_ieee_underflow 0
		.amdhsa_exception_fp_ieee_inexact 0
		.amdhsa_exception_int_div_zero 0
	.end_amdhsa_kernel
	.section	.text._ZN7rocprim17ROCPRIM_400000_NS6detail17trampoline_kernelINS0_14default_configENS1_25partition_config_selectorILNS1_17partition_subalgoE9EddbEEZZNS1_14partition_implILS5_9ELb0ES3_jN6thrust23THRUST_200600_302600_NS6detail15normal_iteratorINS9_10device_ptrIdEEEESE_PNS0_10empty_typeENS0_5tupleIJSE_SF_EEENSH_IJSE_SG_EEENS0_18inequality_wrapperINS9_8equal_toIdEEEEPmJSF_EEE10hipError_tPvRmT3_T4_T5_T6_T7_T9_mT8_P12ihipStream_tbDpT10_ENKUlT_T0_E_clISt17integral_constantIbLb1EES18_EEDaS13_S14_EUlS13_E_NS1_11comp_targetILNS1_3genE10ELNS1_11target_archE1200ELNS1_3gpuE4ELNS1_3repE0EEENS1_30default_config_static_selectorELNS0_4arch9wavefront6targetE0EEEvT1_,"axG",@progbits,_ZN7rocprim17ROCPRIM_400000_NS6detail17trampoline_kernelINS0_14default_configENS1_25partition_config_selectorILNS1_17partition_subalgoE9EddbEEZZNS1_14partition_implILS5_9ELb0ES3_jN6thrust23THRUST_200600_302600_NS6detail15normal_iteratorINS9_10device_ptrIdEEEESE_PNS0_10empty_typeENS0_5tupleIJSE_SF_EEENSH_IJSE_SG_EEENS0_18inequality_wrapperINS9_8equal_toIdEEEEPmJSF_EEE10hipError_tPvRmT3_T4_T5_T6_T7_T9_mT8_P12ihipStream_tbDpT10_ENKUlT_T0_E_clISt17integral_constantIbLb1EES18_EEDaS13_S14_EUlS13_E_NS1_11comp_targetILNS1_3genE10ELNS1_11target_archE1200ELNS1_3gpuE4ELNS1_3repE0EEENS1_30default_config_static_selectorELNS0_4arch9wavefront6targetE0EEEvT1_,comdat
.Lfunc_end26:
	.size	_ZN7rocprim17ROCPRIM_400000_NS6detail17trampoline_kernelINS0_14default_configENS1_25partition_config_selectorILNS1_17partition_subalgoE9EddbEEZZNS1_14partition_implILS5_9ELb0ES3_jN6thrust23THRUST_200600_302600_NS6detail15normal_iteratorINS9_10device_ptrIdEEEESE_PNS0_10empty_typeENS0_5tupleIJSE_SF_EEENSH_IJSE_SG_EEENS0_18inequality_wrapperINS9_8equal_toIdEEEEPmJSF_EEE10hipError_tPvRmT3_T4_T5_T6_T7_T9_mT8_P12ihipStream_tbDpT10_ENKUlT_T0_E_clISt17integral_constantIbLb1EES18_EEDaS13_S14_EUlS13_E_NS1_11comp_targetILNS1_3genE10ELNS1_11target_archE1200ELNS1_3gpuE4ELNS1_3repE0EEENS1_30default_config_static_selectorELNS0_4arch9wavefront6targetE0EEEvT1_, .Lfunc_end26-_ZN7rocprim17ROCPRIM_400000_NS6detail17trampoline_kernelINS0_14default_configENS1_25partition_config_selectorILNS1_17partition_subalgoE9EddbEEZZNS1_14partition_implILS5_9ELb0ES3_jN6thrust23THRUST_200600_302600_NS6detail15normal_iteratorINS9_10device_ptrIdEEEESE_PNS0_10empty_typeENS0_5tupleIJSE_SF_EEENSH_IJSE_SG_EEENS0_18inequality_wrapperINS9_8equal_toIdEEEEPmJSF_EEE10hipError_tPvRmT3_T4_T5_T6_T7_T9_mT8_P12ihipStream_tbDpT10_ENKUlT_T0_E_clISt17integral_constantIbLb1EES18_EEDaS13_S14_EUlS13_E_NS1_11comp_targetILNS1_3genE10ELNS1_11target_archE1200ELNS1_3gpuE4ELNS1_3repE0EEENS1_30default_config_static_selectorELNS0_4arch9wavefront6targetE0EEEvT1_
                                        ; -- End function
	.section	.AMDGPU.csdata,"",@progbits
; Kernel info:
; codeLenInByte = 0
; NumSgprs: 0
; NumVgprs: 0
; ScratchSize: 0
; MemoryBound: 0
; FloatMode: 240
; IeeeMode: 1
; LDSByteSize: 0 bytes/workgroup (compile time only)
; SGPRBlocks: 0
; VGPRBlocks: 0
; NumSGPRsForWavesPerEU: 1
; NumVGPRsForWavesPerEU: 1
; Occupancy: 15
; WaveLimiterHint : 0
; COMPUTE_PGM_RSRC2:SCRATCH_EN: 0
; COMPUTE_PGM_RSRC2:USER_SGPR: 15
; COMPUTE_PGM_RSRC2:TRAP_HANDLER: 0
; COMPUTE_PGM_RSRC2:TGID_X_EN: 1
; COMPUTE_PGM_RSRC2:TGID_Y_EN: 0
; COMPUTE_PGM_RSRC2:TGID_Z_EN: 0
; COMPUTE_PGM_RSRC2:TIDIG_COMP_CNT: 0
	.section	.text._ZN7rocprim17ROCPRIM_400000_NS6detail17trampoline_kernelINS0_14default_configENS1_25partition_config_selectorILNS1_17partition_subalgoE9EddbEEZZNS1_14partition_implILS5_9ELb0ES3_jN6thrust23THRUST_200600_302600_NS6detail15normal_iteratorINS9_10device_ptrIdEEEESE_PNS0_10empty_typeENS0_5tupleIJSE_SF_EEENSH_IJSE_SG_EEENS0_18inequality_wrapperINS9_8equal_toIdEEEEPmJSF_EEE10hipError_tPvRmT3_T4_T5_T6_T7_T9_mT8_P12ihipStream_tbDpT10_ENKUlT_T0_E_clISt17integral_constantIbLb1EES18_EEDaS13_S14_EUlS13_E_NS1_11comp_targetILNS1_3genE9ELNS1_11target_archE1100ELNS1_3gpuE3ELNS1_3repE0EEENS1_30default_config_static_selectorELNS0_4arch9wavefront6targetE0EEEvT1_,"axG",@progbits,_ZN7rocprim17ROCPRIM_400000_NS6detail17trampoline_kernelINS0_14default_configENS1_25partition_config_selectorILNS1_17partition_subalgoE9EddbEEZZNS1_14partition_implILS5_9ELb0ES3_jN6thrust23THRUST_200600_302600_NS6detail15normal_iteratorINS9_10device_ptrIdEEEESE_PNS0_10empty_typeENS0_5tupleIJSE_SF_EEENSH_IJSE_SG_EEENS0_18inequality_wrapperINS9_8equal_toIdEEEEPmJSF_EEE10hipError_tPvRmT3_T4_T5_T6_T7_T9_mT8_P12ihipStream_tbDpT10_ENKUlT_T0_E_clISt17integral_constantIbLb1EES18_EEDaS13_S14_EUlS13_E_NS1_11comp_targetILNS1_3genE9ELNS1_11target_archE1100ELNS1_3gpuE3ELNS1_3repE0EEENS1_30default_config_static_selectorELNS0_4arch9wavefront6targetE0EEEvT1_,comdat
	.protected	_ZN7rocprim17ROCPRIM_400000_NS6detail17trampoline_kernelINS0_14default_configENS1_25partition_config_selectorILNS1_17partition_subalgoE9EddbEEZZNS1_14partition_implILS5_9ELb0ES3_jN6thrust23THRUST_200600_302600_NS6detail15normal_iteratorINS9_10device_ptrIdEEEESE_PNS0_10empty_typeENS0_5tupleIJSE_SF_EEENSH_IJSE_SG_EEENS0_18inequality_wrapperINS9_8equal_toIdEEEEPmJSF_EEE10hipError_tPvRmT3_T4_T5_T6_T7_T9_mT8_P12ihipStream_tbDpT10_ENKUlT_T0_E_clISt17integral_constantIbLb1EES18_EEDaS13_S14_EUlS13_E_NS1_11comp_targetILNS1_3genE9ELNS1_11target_archE1100ELNS1_3gpuE3ELNS1_3repE0EEENS1_30default_config_static_selectorELNS0_4arch9wavefront6targetE0EEEvT1_ ; -- Begin function _ZN7rocprim17ROCPRIM_400000_NS6detail17trampoline_kernelINS0_14default_configENS1_25partition_config_selectorILNS1_17partition_subalgoE9EddbEEZZNS1_14partition_implILS5_9ELb0ES3_jN6thrust23THRUST_200600_302600_NS6detail15normal_iteratorINS9_10device_ptrIdEEEESE_PNS0_10empty_typeENS0_5tupleIJSE_SF_EEENSH_IJSE_SG_EEENS0_18inequality_wrapperINS9_8equal_toIdEEEEPmJSF_EEE10hipError_tPvRmT3_T4_T5_T6_T7_T9_mT8_P12ihipStream_tbDpT10_ENKUlT_T0_E_clISt17integral_constantIbLb1EES18_EEDaS13_S14_EUlS13_E_NS1_11comp_targetILNS1_3genE9ELNS1_11target_archE1100ELNS1_3gpuE3ELNS1_3repE0EEENS1_30default_config_static_selectorELNS0_4arch9wavefront6targetE0EEEvT1_
	.globl	_ZN7rocprim17ROCPRIM_400000_NS6detail17trampoline_kernelINS0_14default_configENS1_25partition_config_selectorILNS1_17partition_subalgoE9EddbEEZZNS1_14partition_implILS5_9ELb0ES3_jN6thrust23THRUST_200600_302600_NS6detail15normal_iteratorINS9_10device_ptrIdEEEESE_PNS0_10empty_typeENS0_5tupleIJSE_SF_EEENSH_IJSE_SG_EEENS0_18inequality_wrapperINS9_8equal_toIdEEEEPmJSF_EEE10hipError_tPvRmT3_T4_T5_T6_T7_T9_mT8_P12ihipStream_tbDpT10_ENKUlT_T0_E_clISt17integral_constantIbLb1EES18_EEDaS13_S14_EUlS13_E_NS1_11comp_targetILNS1_3genE9ELNS1_11target_archE1100ELNS1_3gpuE3ELNS1_3repE0EEENS1_30default_config_static_selectorELNS0_4arch9wavefront6targetE0EEEvT1_
	.p2align	8
	.type	_ZN7rocprim17ROCPRIM_400000_NS6detail17trampoline_kernelINS0_14default_configENS1_25partition_config_selectorILNS1_17partition_subalgoE9EddbEEZZNS1_14partition_implILS5_9ELb0ES3_jN6thrust23THRUST_200600_302600_NS6detail15normal_iteratorINS9_10device_ptrIdEEEESE_PNS0_10empty_typeENS0_5tupleIJSE_SF_EEENSH_IJSE_SG_EEENS0_18inequality_wrapperINS9_8equal_toIdEEEEPmJSF_EEE10hipError_tPvRmT3_T4_T5_T6_T7_T9_mT8_P12ihipStream_tbDpT10_ENKUlT_T0_E_clISt17integral_constantIbLb1EES18_EEDaS13_S14_EUlS13_E_NS1_11comp_targetILNS1_3genE9ELNS1_11target_archE1100ELNS1_3gpuE3ELNS1_3repE0EEENS1_30default_config_static_selectorELNS0_4arch9wavefront6targetE0EEEvT1_,@function
_ZN7rocprim17ROCPRIM_400000_NS6detail17trampoline_kernelINS0_14default_configENS1_25partition_config_selectorILNS1_17partition_subalgoE9EddbEEZZNS1_14partition_implILS5_9ELb0ES3_jN6thrust23THRUST_200600_302600_NS6detail15normal_iteratorINS9_10device_ptrIdEEEESE_PNS0_10empty_typeENS0_5tupleIJSE_SF_EEENSH_IJSE_SG_EEENS0_18inequality_wrapperINS9_8equal_toIdEEEEPmJSF_EEE10hipError_tPvRmT3_T4_T5_T6_T7_T9_mT8_P12ihipStream_tbDpT10_ENKUlT_T0_E_clISt17integral_constantIbLb1EES18_EEDaS13_S14_EUlS13_E_NS1_11comp_targetILNS1_3genE9ELNS1_11target_archE1100ELNS1_3gpuE3ELNS1_3repE0EEENS1_30default_config_static_selectorELNS0_4arch9wavefront6targetE0EEEvT1_: ; @_ZN7rocprim17ROCPRIM_400000_NS6detail17trampoline_kernelINS0_14default_configENS1_25partition_config_selectorILNS1_17partition_subalgoE9EddbEEZZNS1_14partition_implILS5_9ELb0ES3_jN6thrust23THRUST_200600_302600_NS6detail15normal_iteratorINS9_10device_ptrIdEEEESE_PNS0_10empty_typeENS0_5tupleIJSE_SF_EEENSH_IJSE_SG_EEENS0_18inequality_wrapperINS9_8equal_toIdEEEEPmJSF_EEE10hipError_tPvRmT3_T4_T5_T6_T7_T9_mT8_P12ihipStream_tbDpT10_ENKUlT_T0_E_clISt17integral_constantIbLb1EES18_EEDaS13_S14_EUlS13_E_NS1_11comp_targetILNS1_3genE9ELNS1_11target_archE1100ELNS1_3gpuE3ELNS1_3repE0EEENS1_30default_config_static_selectorELNS0_4arch9wavefront6targetE0EEEvT1_
; %bb.0:
	s_clause 0x4
	s_load_b128 s[4:7], s[0:1], 0x8
	s_load_b64 s[8:9], s[0:1], 0x18
	s_load_b128 s[16:19], s[0:1], 0x40
	s_load_b64 s[12:13], s[0:1], 0x50
	s_load_b64 s[24:25], s[0:1], 0x60
	v_cmp_ne_u32_e64 s3, 0, v0
	v_cmp_eq_u32_e64 s2, 0, v0
	s_delay_alu instid0(VALU_DEP_1)
	s_and_saveexec_b32 s10, s2
	s_cbranch_execz .LBB27_4
; %bb.1:
	s_mov_b32 s14, exec_lo
	s_mov_b32 s11, exec_lo
	v_mbcnt_lo_u32_b32 v1, s14, 0
                                        ; implicit-def: $vgpr2
	s_delay_alu instid0(VALU_DEP_1)
	v_cmpx_eq_u32_e32 0, v1
	s_cbranch_execz .LBB27_3
; %bb.2:
	s_load_b64 s[20:21], s[0:1], 0x70
	s_bcnt1_i32_b32 s14, s14
	s_delay_alu instid0(SALU_CYCLE_1)
	v_dual_mov_b32 v2, 0 :: v_dual_mov_b32 v3, s14
	s_waitcnt lgkmcnt(0)
	global_atomic_add_u32 v2, v2, v3, s[20:21] glc
.LBB27_3:
	s_or_b32 exec_lo, exec_lo, s11
	s_waitcnt vmcnt(0)
	v_readfirstlane_b32 s11, v2
	s_delay_alu instid0(VALU_DEP_1)
	v_dual_mov_b32 v2, 0 :: v_dual_add_nc_u32 v1, s11, v1
	ds_store_b32 v2, v1
.LBB27_4:
	s_or_b32 exec_lo, exec_lo, s10
	v_mov_b32_e32 v1, 0
	s_clause 0x1
	s_load_b128 s[20:23], s[0:1], 0x28
	s_load_b32 s0, s[0:1], 0x68
	s_waitcnt lgkmcnt(0)
	s_barrier
	buffer_gl0_inv
	ds_load_b32 v3, v1
	s_waitcnt lgkmcnt(0)
	s_barrier
	buffer_gl0_inv
	global_load_b64 v[1:2], v1, s[18:19]
	s_lshl_b64 s[10:11], s[6:7], 3
	s_mov_b32 s1, 0
	s_add_u32 s14, s4, s10
	s_addc_u32 s15, s5, s11
	v_lshlrev_b32_e32 v55, 3, v0
	v_lshrrev_b32_e32 v34, 2, v0
	v_or_b32_e32 v39, 0x200, v0
	v_or_b32_e32 v38, 0x400, v0
	;; [unrolled: 1-line block ×5, first 2 shown]
	s_add_i32 s18, s0, -1
	s_lshl_b32 s5, s0, 12
	s_lshl_b32 s4, s18, 12
	v_or_b32_e32 v33, 0xc00, v0
	v_readfirstlane_b32 s28, v3
	s_add_i32 s4, s6, s4
	v_or_b32_e32 v36, 0xe00, v0
	s_sub_i32 s29, s12, s4
	s_delay_alu instid0(VALU_DEP_2)
	s_lshl_b32 s0, s28, 12
	s_add_u32 s4, s6, s5
	s_addc_u32 s5, s7, 0
	s_cmp_eq_u32 s28, s18
	v_cmp_ge_u64_e64 s4, s[4:5], s[12:13]
	s_cselect_b32 s26, -1, 0
	s_mov_b32 s13, -1
	s_delay_alu instid0(VALU_DEP_1)
	s_and_b32 s30, s4, s26
	s_lshl_b64 s[4:5], s[0:1], 3
	s_xor_b32 s27, s30, -1
	s_add_u32 s12, s14, s4
	s_addc_u32 s1, s15, s5
	s_and_b32 vcc_lo, exec_lo, s27
	s_waitcnt vmcnt(0)
	v_readfirstlane_b32 s18, v1
	v_readfirstlane_b32 s19, v2
	s_cbranch_vccz .LBB27_6
; %bb.5:
	v_add_co_u32 v1, s0, s12, v55
	s_delay_alu instid0(VALU_DEP_1) | instskip(SKIP_1) | instid1(VALU_DEP_3)
	v_add_co_ci_u32_e64 v2, null, s1, 0, s0
	v_lshrrev_b32_e32 v18, 2, v39
	v_add_co_u32 v3, vcc_lo, 0x1000, v1
	s_delay_alu instid0(VALU_DEP_3)
	v_add_co_ci_u32_e32 v4, vcc_lo, 0, v2, vcc_lo
	v_add_co_u32 v5, vcc_lo, 0x2000, v1
	v_add_co_ci_u32_e32 v6, vcc_lo, 0, v2, vcc_lo
	v_add_co_u32 v7, vcc_lo, 0x3000, v1
	;; [unrolled: 2-line block ×6, first 2 shown]
	v_add_co_ci_u32_e32 v16, vcc_lo, 0, v2, vcc_lo
	s_clause 0x7
	flat_load_b64 v[1:2], v[1:2]
	flat_load_b64 v[3:4], v[3:4]
	;; [unrolled: 1-line block ×8, first 2 shown]
	v_lshrrev_b32_e32 v19, 2, v38
	v_lshrrev_b32_e32 v20, 2, v40
	v_lshrrev_b32_e32 v21, 2, v37
	v_and_b32_e32 v17, 0x78, v34
	v_lshrrev_b32_e32 v22, 2, v35
	v_lshrrev_b32_e32 v23, 2, v33
	;; [unrolled: 1-line block ×3, first 2 shown]
	v_and_b32_e32 v18, 0xf8, v18
	v_and_b32_e32 v19, 0x178, v19
	;; [unrolled: 1-line block ×4, first 2 shown]
	v_add_nc_u32_e32 v17, v17, v55
	v_and_b32_e32 v22, 0x2f8, v22
	v_and_b32_e32 v23, 0x378, v23
	;; [unrolled: 1-line block ×3, first 2 shown]
	v_add_nc_u32_e32 v18, v18, v55
	v_add_nc_u32_e32 v19, v19, v55
	;; [unrolled: 1-line block ×4, first 2 shown]
	s_mov_b32 s13, 0
	v_add_nc_u32_e32 v22, v22, v55
	v_add_nc_u32_e32 v23, v23, v55
	;; [unrolled: 1-line block ×3, first 2 shown]
	s_waitcnt vmcnt(7) lgkmcnt(7)
	ds_store_b64 v17, v[1:2]
	s_waitcnt vmcnt(6) lgkmcnt(7)
	ds_store_b64 v18, v[3:4] offset:4096
	s_waitcnt vmcnt(5) lgkmcnt(7)
	ds_store_b64 v19, v[5:6] offset:8192
	;; [unrolled: 2-line block ×7, first 2 shown]
	s_waitcnt lgkmcnt(0)
	s_barrier
.LBB27_6:
	v_cmp_gt_u32_e64 s0, s29, v0
	s_and_not1_b32 vcc_lo, exec_lo, s13
	s_cbranch_vccnz .LBB27_24
; %bb.7:
                                        ; implicit-def: $vgpr1_vgpr2_vgpr3_vgpr4_vgpr5_vgpr6_vgpr7_vgpr8_vgpr9_vgpr10_vgpr11_vgpr12_vgpr13_vgpr14_vgpr15_vgpr16
	s_delay_alu instid0(VALU_DEP_1)
	s_and_saveexec_b32 s13, s0
	s_cbranch_execz .LBB27_15
; %bb.8:
	v_add_co_u32 v1, s0, s12, v55
	s_delay_alu instid0(VALU_DEP_1) | instskip(SKIP_2) | instid1(SALU_CYCLE_1)
	v_add_co_ci_u32_e64 v2, null, s1, 0, s0
	flat_load_b64 v[1:2], v[1:2]
	s_or_b32 exec_lo, exec_lo, s13
	s_mov_b32 s0, exec_lo
	v_cmpx_gt_u32_e64 s29, v39
	s_cbranch_execnz .LBB27_16
.LBB27_9:
	s_or_b32 exec_lo, exec_lo, s0
	s_delay_alu instid0(SALU_CYCLE_1)
	s_mov_b32 s0, exec_lo
	v_cmpx_gt_u32_e64 s29, v38
	s_cbranch_execz .LBB27_17
.LBB27_10:
	v_lshlrev_b32_e32 v5, 3, v38
	s_delay_alu instid0(VALU_DEP_1) | instskip(NEXT) | instid1(VALU_DEP_1)
	v_add_co_u32 v5, s13, s12, v5
	v_add_co_ci_u32_e64 v6, null, s1, 0, s13
	flat_load_b64 v[5:6], v[5:6]
	s_or_b32 exec_lo, exec_lo, s0
	s_delay_alu instid0(SALU_CYCLE_1)
	s_mov_b32 s0, exec_lo
	v_cmpx_gt_u32_e64 s29, v40
	s_cbranch_execnz .LBB27_18
.LBB27_11:
	s_or_b32 exec_lo, exec_lo, s0
	s_delay_alu instid0(SALU_CYCLE_1)
	s_mov_b32 s0, exec_lo
	v_cmpx_gt_u32_e64 s29, v37
	s_cbranch_execz .LBB27_19
.LBB27_12:
	v_lshlrev_b32_e32 v9, 3, v37
	s_delay_alu instid0(VALU_DEP_1) | instskip(NEXT) | instid1(VALU_DEP_1)
	v_add_co_u32 v9, s13, s12, v9
	v_add_co_ci_u32_e64 v10, null, s1, 0, s13
	flat_load_b64 v[9:10], v[9:10]
	s_or_b32 exec_lo, exec_lo, s0
	s_delay_alu instid0(SALU_CYCLE_1)
	s_mov_b32 s0, exec_lo
	v_cmpx_gt_u32_e64 s29, v35
	s_cbranch_execnz .LBB27_20
.LBB27_13:
	s_or_b32 exec_lo, exec_lo, s0
	s_delay_alu instid0(SALU_CYCLE_1)
	s_mov_b32 s0, exec_lo
	v_cmpx_gt_u32_e64 s29, v33
	s_cbranch_execz .LBB27_21
.LBB27_14:
	v_lshlrev_b32_e32 v13, 3, v33
	s_delay_alu instid0(VALU_DEP_1) | instskip(NEXT) | instid1(VALU_DEP_1)
	v_add_co_u32 v13, s13, s12, v13
	v_add_co_ci_u32_e64 v14, null, s1, 0, s13
	flat_load_b64 v[13:14], v[13:14]
	s_or_b32 exec_lo, exec_lo, s0
	s_delay_alu instid0(SALU_CYCLE_1)
	s_mov_b32 s0, exec_lo
	v_cmpx_gt_u32_e64 s29, v36
	s_cbranch_execnz .LBB27_22
	s_branch .LBB27_23
.LBB27_15:
	s_or_b32 exec_lo, exec_lo, s13
	s_delay_alu instid0(SALU_CYCLE_1)
	s_mov_b32 s0, exec_lo
	v_cmpx_gt_u32_e64 s29, v39
	s_cbranch_execz .LBB27_9
.LBB27_16:
	v_lshlrev_b32_e32 v3, 3, v39
	s_delay_alu instid0(VALU_DEP_1) | instskip(NEXT) | instid1(VALU_DEP_1)
	v_add_co_u32 v3, s13, s12, v3
	v_add_co_ci_u32_e64 v4, null, s1, 0, s13
	flat_load_b64 v[3:4], v[3:4]
	s_or_b32 exec_lo, exec_lo, s0
	s_delay_alu instid0(SALU_CYCLE_1)
	s_mov_b32 s0, exec_lo
	v_cmpx_gt_u32_e64 s29, v38
	s_cbranch_execnz .LBB27_10
.LBB27_17:
	s_or_b32 exec_lo, exec_lo, s0
	s_delay_alu instid0(SALU_CYCLE_1)
	s_mov_b32 s0, exec_lo
	v_cmpx_gt_u32_e64 s29, v40
	s_cbranch_execz .LBB27_11
.LBB27_18:
	v_lshlrev_b32_e32 v7, 3, v40
	s_delay_alu instid0(VALU_DEP_1) | instskip(NEXT) | instid1(VALU_DEP_1)
	v_add_co_u32 v7, s13, s12, v7
	v_add_co_ci_u32_e64 v8, null, s1, 0, s13
	flat_load_b64 v[7:8], v[7:8]
	s_or_b32 exec_lo, exec_lo, s0
	s_delay_alu instid0(SALU_CYCLE_1)
	s_mov_b32 s0, exec_lo
	v_cmpx_gt_u32_e64 s29, v37
	s_cbranch_execnz .LBB27_12
.LBB27_19:
	s_or_b32 exec_lo, exec_lo, s0
	s_delay_alu instid0(SALU_CYCLE_1)
	s_mov_b32 s0, exec_lo
	v_cmpx_gt_u32_e64 s29, v35
	s_cbranch_execz .LBB27_13
.LBB27_20:
	v_lshlrev_b32_e32 v11, 3, v35
	s_delay_alu instid0(VALU_DEP_1) | instskip(NEXT) | instid1(VALU_DEP_1)
	v_add_co_u32 v11, s13, s12, v11
	v_add_co_ci_u32_e64 v12, null, s1, 0, s13
	flat_load_b64 v[11:12], v[11:12]
	s_or_b32 exec_lo, exec_lo, s0
	s_delay_alu instid0(SALU_CYCLE_1)
	s_mov_b32 s0, exec_lo
	v_cmpx_gt_u32_e64 s29, v33
	s_cbranch_execnz .LBB27_14
.LBB27_21:
	s_or_b32 exec_lo, exec_lo, s0
	s_delay_alu instid0(SALU_CYCLE_1)
	s_mov_b32 s0, exec_lo
	v_cmpx_gt_u32_e64 s29, v36
	s_cbranch_execz .LBB27_23
.LBB27_22:
	v_lshlrev_b32_e32 v15, 3, v36
	s_delay_alu instid0(VALU_DEP_1) | instskip(NEXT) | instid1(VALU_DEP_1)
	v_add_co_u32 v15, s13, s12, v15
	v_add_co_ci_u32_e64 v16, null, s1, 0, s13
	flat_load_b64 v[15:16], v[15:16]
.LBB27_23:
	s_or_b32 exec_lo, exec_lo, s0
	v_lshrrev_b32_e32 v17, 2, v39
	v_lshrrev_b32_e32 v18, 2, v38
	v_lshrrev_b32_e32 v20, 2, v40
	v_lshrrev_b32_e32 v21, 2, v37
	v_and_b32_e32 v19, 0x78, v34
	v_lshrrev_b32_e32 v22, 2, v35
	v_lshrrev_b32_e32 v23, 2, v33
	;; [unrolled: 1-line block ×3, first 2 shown]
	v_and_b32_e32 v17, 0xf8, v17
	v_and_b32_e32 v18, 0x1f8, v18
	;; [unrolled: 1-line block ×4, first 2 shown]
	v_add_nc_u32_e32 v19, v19, v55
	v_and_b32_e32 v22, 0x3f8, v22
	v_and_b32_e32 v23, 0x3f8, v23
	;; [unrolled: 1-line block ×3, first 2 shown]
	v_add_nc_u32_e32 v17, v17, v55
	v_add_nc_u32_e32 v18, v18, v55
	;; [unrolled: 1-line block ×7, first 2 shown]
	s_waitcnt vmcnt(0) lgkmcnt(0)
	ds_store_b64 v19, v[1:2]
	ds_store_b64 v17, v[3:4] offset:4096
	ds_store_b64 v18, v[5:6] offset:8192
	;; [unrolled: 1-line block ×7, first 2 shown]
	s_waitcnt lgkmcnt(0)
	s_barrier
.LBB27_24:
	v_add_lshl_u32 v41, v34, v55, 3
	buffer_gl0_inv
	s_add_u32 s0, s8, s10
	s_addc_u32 s8, s9, s11
	s_add_u32 s0, s0, s4
	ds_load_2addr_b64 v[29:32], v41 offset1:1
	ds_load_2addr_b64 v[25:28], v41 offset0:2 offset1:3
	ds_load_2addr_b64 v[21:24], v41 offset0:4 offset1:5
	;; [unrolled: 1-line block ×3, first 2 shown]
	s_addc_u32 s4, s8, s5
	s_and_b32 vcc_lo, exec_lo, s27
	s_mov_b32 s5, -1
	s_waitcnt lgkmcnt(0)
	s_barrier
	buffer_gl0_inv
	s_cbranch_vccz .LBB27_26
; %bb.25:
	v_add_co_u32 v1, s5, s0, v55
	s_delay_alu instid0(VALU_DEP_1) | instskip(SKIP_1) | instid1(VALU_DEP_3)
	v_add_co_ci_u32_e64 v2, null, s4, 0, s5
	v_lshrrev_b32_e32 v43, 2, v39
	v_add_co_u32 v3, vcc_lo, 0x1000, v1
	s_delay_alu instid0(VALU_DEP_3)
	v_add_co_ci_u32_e32 v4, vcc_lo, 0, v2, vcc_lo
	v_add_co_u32 v5, vcc_lo, 0x2000, v1
	v_add_co_ci_u32_e32 v6, vcc_lo, 0, v2, vcc_lo
	v_add_co_u32 v7, vcc_lo, 0x3000, v1
	v_add_co_ci_u32_e32 v8, vcc_lo, 0, v2, vcc_lo
	v_add_co_u32 v9, vcc_lo, 0x4000, v1
	v_add_co_ci_u32_e32 v10, vcc_lo, 0, v2, vcc_lo
	v_add_co_u32 v11, vcc_lo, 0x5000, v1
	v_add_co_ci_u32_e32 v12, vcc_lo, 0, v2, vcc_lo
	v_add_co_u32 v13, vcc_lo, 0x6000, v1
	v_add_co_ci_u32_e32 v14, vcc_lo, 0, v2, vcc_lo
	v_add_co_u32 v15, vcc_lo, 0x7000, v1
	v_add_co_ci_u32_e32 v16, vcc_lo, 0, v2, vcc_lo
	s_clause 0x7
	flat_load_b64 v[1:2], v[1:2]
	flat_load_b64 v[3:4], v[3:4]
	;; [unrolled: 1-line block ×8, first 2 shown]
	v_lshrrev_b32_e32 v44, 2, v38
	v_lshrrev_b32_e32 v45, 2, v40
	;; [unrolled: 1-line block ×3, first 2 shown]
	v_and_b32_e32 v42, 0x78, v34
	v_lshrrev_b32_e32 v47, 2, v35
	v_lshrrev_b32_e32 v48, 2, v33
	;; [unrolled: 1-line block ×3, first 2 shown]
	v_and_b32_e32 v43, 0xf8, v43
	v_and_b32_e32 v44, 0x178, v44
	;; [unrolled: 1-line block ×4, first 2 shown]
	v_add_nc_u32_e32 v42, v42, v55
	v_and_b32_e32 v47, 0x2f8, v47
	v_and_b32_e32 v48, 0x378, v48
	;; [unrolled: 1-line block ×3, first 2 shown]
	v_add_nc_u32_e32 v43, v43, v55
	v_add_nc_u32_e32 v44, v44, v55
	;; [unrolled: 1-line block ×4, first 2 shown]
	s_mov_b32 s5, 0
	v_add_nc_u32_e32 v47, v47, v55
	v_add_nc_u32_e32 v48, v48, v55
	;; [unrolled: 1-line block ×3, first 2 shown]
	s_waitcnt vmcnt(7) lgkmcnt(7)
	ds_store_b64 v42, v[1:2]
	s_waitcnt vmcnt(6) lgkmcnt(7)
	ds_store_b64 v43, v[3:4] offset:4096
	s_waitcnt vmcnt(5) lgkmcnt(7)
	ds_store_b64 v44, v[5:6] offset:8192
	;; [unrolled: 2-line block ×7, first 2 shown]
	s_waitcnt lgkmcnt(0)
	s_barrier
.LBB27_26:
	s_and_not1_b32 vcc_lo, exec_lo, s5
	s_cbranch_vccnz .LBB27_44
; %bb.27:
	s_mov_b32 s5, exec_lo
                                        ; implicit-def: $vgpr1_vgpr2
	v_cmpx_gt_u32_e64 s29, v0
	s_cbranch_execz .LBB27_29
; %bb.28:
	v_add_co_u32 v1, s8, s0, v55
	s_delay_alu instid0(VALU_DEP_1)
	v_add_co_ci_u32_e64 v2, null, s4, 0, s8
	flat_load_b64 v[1:2], v[1:2]
.LBB27_29:
	s_or_b32 exec_lo, exec_lo, s5
	s_delay_alu instid0(SALU_CYCLE_1)
	s_mov_b32 s5, exec_lo
                                        ; implicit-def: $vgpr3_vgpr4
	v_cmpx_gt_u32_e64 s29, v39
	s_cbranch_execz .LBB27_31
; %bb.30:
	v_lshlrev_b32_e32 v3, 3, v39
	s_delay_alu instid0(VALU_DEP_1) | instskip(NEXT) | instid1(VALU_DEP_1)
	v_add_co_u32 v3, s8, s0, v3
	v_add_co_ci_u32_e64 v4, null, s4, 0, s8
	flat_load_b64 v[3:4], v[3:4]
.LBB27_31:
	s_or_b32 exec_lo, exec_lo, s5
	s_delay_alu instid0(SALU_CYCLE_1)
	s_mov_b32 s5, exec_lo
                                        ; implicit-def: $vgpr5_vgpr6
	v_cmpx_gt_u32_e64 s29, v38
	s_cbranch_execz .LBB27_33
; %bb.32:
	v_lshlrev_b32_e32 v5, 3, v38
	s_delay_alu instid0(VALU_DEP_1) | instskip(NEXT) | instid1(VALU_DEP_1)
	v_add_co_u32 v5, s8, s0, v5
	v_add_co_ci_u32_e64 v6, null, s4, 0, s8
	flat_load_b64 v[5:6], v[5:6]
.LBB27_33:
	s_or_b32 exec_lo, exec_lo, s5
	s_delay_alu instid0(SALU_CYCLE_1)
	s_mov_b32 s5, exec_lo
                                        ; implicit-def: $vgpr7_vgpr8
	v_cmpx_gt_u32_e64 s29, v40
	s_cbranch_execz .LBB27_35
; %bb.34:
	v_lshlrev_b32_e32 v7, 3, v40
	s_delay_alu instid0(VALU_DEP_1) | instskip(NEXT) | instid1(VALU_DEP_1)
	v_add_co_u32 v7, s8, s0, v7
	v_add_co_ci_u32_e64 v8, null, s4, 0, s8
	flat_load_b64 v[7:8], v[7:8]
.LBB27_35:
	s_or_b32 exec_lo, exec_lo, s5
	s_delay_alu instid0(SALU_CYCLE_1)
	s_mov_b32 s5, exec_lo
                                        ; implicit-def: $vgpr9_vgpr10
	v_cmpx_gt_u32_e64 s29, v37
	s_cbranch_execz .LBB27_37
; %bb.36:
	v_lshlrev_b32_e32 v9, 3, v37
	s_delay_alu instid0(VALU_DEP_1) | instskip(NEXT) | instid1(VALU_DEP_1)
	v_add_co_u32 v9, s8, s0, v9
	v_add_co_ci_u32_e64 v10, null, s4, 0, s8
	flat_load_b64 v[9:10], v[9:10]
.LBB27_37:
	s_or_b32 exec_lo, exec_lo, s5
	s_delay_alu instid0(SALU_CYCLE_1)
	s_mov_b32 s5, exec_lo
                                        ; implicit-def: $vgpr11_vgpr12
	v_cmpx_gt_u32_e64 s29, v35
	s_cbranch_execz .LBB27_39
; %bb.38:
	v_lshlrev_b32_e32 v11, 3, v35
	s_delay_alu instid0(VALU_DEP_1) | instskip(NEXT) | instid1(VALU_DEP_1)
	v_add_co_u32 v11, s8, s0, v11
	v_add_co_ci_u32_e64 v12, null, s4, 0, s8
	flat_load_b64 v[11:12], v[11:12]
.LBB27_39:
	s_or_b32 exec_lo, exec_lo, s5
	s_delay_alu instid0(SALU_CYCLE_1)
	s_mov_b32 s5, exec_lo
                                        ; implicit-def: $vgpr13_vgpr14
	v_cmpx_gt_u32_e64 s29, v33
	s_cbranch_execz .LBB27_41
; %bb.40:
	v_lshlrev_b32_e32 v13, 3, v33
	s_delay_alu instid0(VALU_DEP_1) | instskip(NEXT) | instid1(VALU_DEP_1)
	v_add_co_u32 v13, s8, s0, v13
	v_add_co_ci_u32_e64 v14, null, s4, 0, s8
	flat_load_b64 v[13:14], v[13:14]
.LBB27_41:
	s_or_b32 exec_lo, exec_lo, s5
	s_delay_alu instid0(SALU_CYCLE_1)
	s_mov_b32 s5, exec_lo
                                        ; implicit-def: $vgpr15_vgpr16
	v_cmpx_gt_u32_e64 s29, v36
	s_cbranch_execz .LBB27_43
; %bb.42:
	v_lshlrev_b32_e32 v15, 3, v36
	s_delay_alu instid0(VALU_DEP_1) | instskip(NEXT) | instid1(VALU_DEP_1)
	v_add_co_u32 v15, s0, s0, v15
	v_add_co_ci_u32_e64 v16, null, s4, 0, s0
	flat_load_b64 v[15:16], v[15:16]
.LBB27_43:
	s_or_b32 exec_lo, exec_lo, s5
	v_lshrrev_b32_e32 v39, 2, v39
	v_lshrrev_b32_e32 v38, 2, v38
	;; [unrolled: 1-line block ×4, first 2 shown]
	v_and_b32_e32 v34, 0x78, v34
	v_lshrrev_b32_e32 v35, 2, v35
	v_lshrrev_b32_e32 v33, 2, v33
	;; [unrolled: 1-line block ×3, first 2 shown]
	v_and_b32_e32 v39, 0xf8, v39
	v_and_b32_e32 v38, 0x1f8, v38
	;; [unrolled: 1-line block ×4, first 2 shown]
	v_add_nc_u32_e32 v34, v34, v55
	v_and_b32_e32 v35, 0x3f8, v35
	v_and_b32_e32 v33, 0x3f8, v33
	;; [unrolled: 1-line block ×3, first 2 shown]
	v_add_nc_u32_e32 v39, v39, v55
	v_add_nc_u32_e32 v38, v38, v55
	;; [unrolled: 1-line block ×7, first 2 shown]
	s_waitcnt vmcnt(0) lgkmcnt(0)
	ds_store_b64 v34, v[1:2]
	ds_store_b64 v39, v[3:4] offset:4096
	ds_store_b64 v38, v[5:6] offset:8192
	;; [unrolled: 1-line block ×7, first 2 shown]
	s_waitcnt lgkmcnt(0)
	s_barrier
.LBB27_44:
	buffer_gl0_inv
	ds_load_2addr_b64 v[13:16], v41 offset1:1
	ds_load_2addr_b64 v[9:12], v41 offset0:2 offset1:3
	ds_load_2addr_b64 v[5:8], v41 offset0:4 offset1:5
	;; [unrolled: 1-line block ×3, first 2 shown]
	s_cmp_lg_u32 s28, 0
	s_mov_b32 s15, 0
	s_cselect_b32 s31, -1, 0
	s_cmp_lg_u64 s[6:7], 0
	s_waitcnt lgkmcnt(0)
	s_cselect_b32 s0, -1, 0
	s_barrier
	s_or_b32 s0, s0, s31
	buffer_gl0_inv
	s_and_b32 vcc_lo, exec_lo, s0
	s_cbranch_vccz .LBB27_49
; %bb.45:
	v_add_co_u32 v33, s0, -8, s12
	s_delay_alu instid0(VALU_DEP_1)
	v_add_co_ci_u32_e64 v34, null, -1, s1, s0
	s_mov_b32 s1, -1
	s_and_b32 vcc_lo, exec_lo, s27
	flat_load_b64 v[35:36], v[33:34]
	ds_store_b64 v55, v[19:20]
	s_cbranch_vccz .LBB27_50
; %bb.46:
	s_waitcnt vmcnt(0) lgkmcnt(1)
	v_dual_mov_b32 v33, v35 :: v_dual_mov_b32 v34, v36
	s_waitcnt lgkmcnt(0)
	s_barrier
	buffer_gl0_inv
	s_and_saveexec_b32 s0, s3
	s_cbranch_execz .LBB27_48
; %bb.47:
	v_add_nc_u32_e32 v33, -8, v55
	ds_load_b64 v[33:34], v33
.LBB27_48:
	s_or_b32 exec_lo, exec_lo, s0
	v_cmp_neq_f64_e32 vcc_lo, v[17:18], v[19:20]
	s_waitcnt lgkmcnt(0)
	v_cmp_neq_f64_e64 s0, v[33:34], v[29:30]
	v_cndmask_b32_e64 v33, 0, 1, vcc_lo
	v_cmp_neq_f64_e32 vcc_lo, v[23:24], v[17:18]
	s_delay_alu instid0(VALU_DEP_2) | instskip(SKIP_2) | instid1(VALU_DEP_2)
	v_lshlrev_b16 v33, 8, v33
	v_cndmask_b32_e64 v34, 0, 1, vcc_lo
	v_cmp_neq_f64_e32 vcc_lo, v[21:22], v[23:24]
	v_or_b32_e32 v33, v34, v33
	v_cndmask_b32_e64 v37, 0, 1, vcc_lo
	v_cmp_neq_f64_e32 vcc_lo, v[25:26], v[27:28]
	s_delay_alu instid0(VALU_DEP_2) | instskip(SKIP_2) | instid1(VALU_DEP_2)
	v_lshlrev_b16 v37, 8, v37
	v_cndmask_b32_e64 v38, 0, 1, vcc_lo
	v_cmp_neq_f64_e32 vcc_lo, v[27:28], v[21:22]
	v_lshlrev_b16 v38, 8, v38
	v_cndmask_b32_e64 v39, 0, 1, vcc_lo
	v_cmp_neq_f64_e32 vcc_lo, v[31:32], v[25:26]
	s_delay_alu instid0(VALU_DEP_2) | instskip(SKIP_1) | instid1(VALU_DEP_2)
	v_or_b32_e32 v37, v39, v37
	v_lshlrev_b32_e32 v39, 16, v33
	v_and_b32_e32 v37, 0xffff, v37
	v_cndmask_b32_e64 v40, 0, 1, vcc_lo
	v_cmp_neq_f64_e32 vcc_lo, v[29:30], v[31:32]
	s_delay_alu instid0(VALU_DEP_2) | instskip(NEXT) | instid1(VALU_DEP_1)
	v_or_b32_e32 v38, v40, v38
	v_lshlrev_b32_e32 v34, 16, v38
	v_cndmask_b32_e64 v41, 0, 1, vcc_lo
	s_delay_alu instid0(VALU_DEP_1) | instskip(NEXT) | instid1(VALU_DEP_1)
	v_lshlrev_b16 v40, 8, v41
	v_and_b32_e32 v38, 0xffff, v40
	s_delay_alu instid0(VALU_DEP_1)
	v_or_b32_e32 v33, v38, v34
	v_or_b32_e32 v34, v37, v39
	s_branch .LBB27_54
.LBB27_49:
                                        ; implicit-def: $sgpr0
                                        ; implicit-def: $vgpr34
	s_branch .LBB27_55
.LBB27_50:
                                        ; implicit-def: $sgpr0
                                        ; implicit-def: $vgpr34
	s_and_b32 vcc_lo, exec_lo, s1
	s_cbranch_vccz .LBB27_54
; %bb.51:
	s_waitcnt vmcnt(0) lgkmcnt(0)
	s_barrier
	buffer_gl0_inv
	s_and_saveexec_b32 s0, s3
	s_cbranch_execz .LBB27_53
; %bb.52:
	v_add_nc_u32_e32 v33, -8, v55
	ds_load_b64 v[35:36], v33
.LBB27_53:
	s_or_b32 exec_lo, exec_lo, s0
	v_cmp_neq_f64_e64 s0, v[23:24], v[17:18]
	v_cmp_neq_f64_e64 s1, v[21:22], v[23:24]
	;; [unrolled: 1-line block ×3, first 2 shown]
	v_cmp_neq_f64_e32 vcc_lo, v[17:18], v[19:20]
	v_cmp_neq_f64_e64 s5, v[25:26], v[27:28]
	v_cmp_neq_f64_e64 s6, v[31:32], v[25:26]
	;; [unrolled: 1-line block ×3, first 2 shown]
	v_or_b32_e32 v34, 6, v55
	v_or_b32_e32 v37, 5, v55
	s_waitcnt lgkmcnt(0)
	v_cmp_neq_f64_e64 s8, v[35:36], v[29:30]
	v_or_b32_e32 v38, 4, v55
	v_or_b32_e32 v33, 7, v55
	v_cmp_gt_u32_e64 s10, s29, v34
	v_or_b32_e32 v39, 3, v55
	v_cmp_gt_u32_e64 s11, s29, v37
	;; [unrolled: 2-line block ×4, first 2 shown]
	v_cmp_gt_u32_e64 s13, s29, v39
	v_cmp_gt_u32_e64 s14, s29, v40
	s_delay_alu instid0(VALU_DEP_4) | instskip(SKIP_1) | instid1(SALU_CYCLE_1)
	v_cmp_gt_u32_e64 s15, s29, v41
	s_and_b32 s0, s10, s0
	v_cndmask_b32_e64 v34, 0, 1, s0
	s_and_b32 s0, s11, s1
	s_and_b32 s9, s9, vcc_lo
	v_cndmask_b32_e64 v35, 0, 1, s0
	s_and_b32 s0, s12, s4
	v_cndmask_b32_e64 v33, 0, 1, s9
	v_cndmask_b32_e64 v36, 0, 1, s0
	s_and_b32 s0, s13, s5
	v_lshlrev_b16 v35, 8, v35
	v_cndmask_b32_e64 v37, 0, 1, s0
	s_and_b32 s0, s14, s6
	v_lshlrev_b16 v33, 8, v33
	;; [unrolled: 3-line block ×3, first 2 shown]
	v_cndmask_b32_e64 v39, 0, 1, s0
	v_or_b32_e32 v35, v36, v35
	v_or_b32_e32 v33, v34, v33
	v_cmp_gt_u32_e32 vcc_lo, s29, v55
	v_or_b32_e32 v37, v38, v37
	v_lshlrev_b16 v39, 8, v39
	v_and_b32_e32 v35, 0xffff, v35
	s_and_b32 s0, vcc_lo, s8
	s_delay_alu instid0(VALU_DEP_3) | instskip(NEXT) | instid1(VALU_DEP_3)
	v_lshlrev_b32_e32 v36, 16, v37
	v_and_b32_e32 v34, 0xffff, v39
	v_lshlrev_b32_e32 v37, 16, v33
	s_delay_alu instid0(VALU_DEP_2) | instskip(NEXT) | instid1(VALU_DEP_2)
	v_or_b32_e32 v33, v34, v36
	v_or_b32_e32 v34, v35, v37
.LBB27_54:
	s_mov_b32 s15, -1
	s_cbranch_execnz .LBB27_63
.LBB27_55:
	v_cmp_neq_f64_e64 s1, v[17:18], v[19:20]
	v_cmp_neq_f64_e64 s4, v[23:24], v[17:18]
	;; [unrolled: 1-line block ×7, first 2 shown]
	s_and_b32 vcc_lo, exec_lo, s27
	ds_store_b64 v55, v[19:20]
	s_cbranch_vccz .LBB27_59
; %bb.56:
	v_cndmask_b32_e64 v33, 0, 1, s1
	s_waitcnt vmcnt(0) lgkmcnt(2)
	v_cndmask_b32_e64 v35, 0, 1, s5
	v_cndmask_b32_e64 v37, 0, 1, s7
	;; [unrolled: 1-line block ×6, first 2 shown]
	v_lshlrev_b16 v35, 8, v35
	v_lshlrev_b16 v33, 8, v33
	;; [unrolled: 1-line block ×4, first 2 shown]
	s_waitcnt lgkmcnt(0)
	v_or_b32_e32 v35, v36, v35
	v_or_b32_e32 v33, v34, v33
	;; [unrolled: 1-line block ×4, first 2 shown]
	s_barrier
	v_and_b32_e32 v35, 0xffff, v35
	v_lshlrev_b32_e32 v33, 16, v33
	v_lshlrev_b32_e32 v37, 16, v34
	v_and_b32_e32 v36, 0xffff, v36
	buffer_gl0_inv
                                        ; implicit-def: $sgpr0
	v_or_b32_e32 v34, v35, v33
	v_or_b32_e32 v33, v36, v37
	s_and_saveexec_b32 s1, s3
	s_delay_alu instid0(SALU_CYCLE_1)
	s_xor_b32 s1, exec_lo, s1
	s_cbranch_execz .LBB27_58
; %bb.57:
	v_add_nc_u32_e32 v35, -8, v55
	s_or_b32 s15, s15, exec_lo
	ds_load_b64 v[35:36], v35
	s_waitcnt lgkmcnt(0)
	v_cmp_neq_f64_e32 vcc_lo, v[35:36], v[29:30]
	s_and_b32 s0, vcc_lo, exec_lo
.LBB27_58:
	s_or_b32 exec_lo, exec_lo, s1
	s_branch .LBB27_63
.LBB27_59:
                                        ; implicit-def: $sgpr0
                                        ; implicit-def: $vgpr34
	s_cbranch_execz .LBB27_63
; %bb.60:
	v_cmp_neq_f64_e64 s0, v[23:24], v[17:18]
	v_cmp_neq_f64_e64 s1, v[21:22], v[23:24]
	;; [unrolled: 1-line block ×4, first 2 shown]
	v_cmp_neq_f64_e32 vcc_lo, v[17:18], v[19:20]
	v_cmp_neq_f64_e64 s6, v[29:30], v[31:32]
	v_cmp_neq_f64_e64 s7, v[31:32], v[25:26]
	v_or_b32_e32 v34, 6, v55
	s_waitcnt vmcnt(0) lgkmcnt(2)
	v_or_b32_e32 v35, 5, v55
	v_or_b32_e32 v36, 4, v55
	;; [unrolled: 1-line block ×4, first 2 shown]
	v_cmp_gt_u32_e64 s9, s29, v34
	v_cmp_gt_u32_e64 s10, s29, v35
	v_or_b32_e32 v39, 1, v55
	v_cmp_gt_u32_e64 s11, s29, v36
	v_cmp_gt_u32_e64 s12, s29, v37
	v_or_b32_e32 v38, 2, v55
	v_cmp_gt_u32_e64 s8, s29, v33
	v_cmp_gt_u32_e64 s14, s29, v39
	s_waitcnt lgkmcnt(0)
	s_barrier
	v_cmp_gt_u32_e64 s13, s29, v38
	buffer_gl0_inv
	s_and_b32 s0, s9, s0
	s_delay_alu instid0(SALU_CYCLE_1)
	v_cndmask_b32_e64 v34, 0, 1, s0
	s_and_b32 s0, s10, s1
	s_and_b32 s8, s8, vcc_lo
	v_cndmask_b32_e64 v35, 0, 1, s0
	s_and_b32 s0, s11, s4
	v_cndmask_b32_e64 v33, 0, 1, s8
	v_cndmask_b32_e64 v36, 0, 1, s0
	s_and_b32 s0, s12, s5
	v_lshlrev_b16 v35, 8, v35
	v_cndmask_b32_e64 v37, 0, 1, s0
	s_and_b32 s0, s14, s6
	v_lshlrev_b16 v33, 8, v33
	;; [unrolled: 3-line block ×3, first 2 shown]
	v_cndmask_b32_e64 v39, 0, 1, s0
	v_or_b32_e32 v35, v36, v35
	v_lshlrev_b16 v38, 8, v38
	v_or_b32_e32 v33, v34, v33
                                        ; implicit-def: $sgpr0
	s_delay_alu instid0(VALU_DEP_4) | instskip(NEXT) | instid1(VALU_DEP_4)
	v_or_b32_e32 v34, v39, v37
	v_and_b32_e32 v35, 0xffff, v35
	s_delay_alu instid0(VALU_DEP_4) | instskip(NEXT) | instid1(VALU_DEP_4)
	v_or_b32_e32 v36, 1, v38
	v_lshlrev_b32_e32 v33, 16, v33
	s_delay_alu instid0(VALU_DEP_4) | instskip(NEXT) | instid1(VALU_DEP_3)
	v_lshlrev_b32_e32 v37, 16, v34
	v_and_b32_e32 v36, 0xffff, v36
	s_delay_alu instid0(VALU_DEP_3) | instskip(NEXT) | instid1(VALU_DEP_2)
	v_or_b32_e32 v34, v35, v33
	v_or_b32_e32 v33, v36, v37
	s_and_saveexec_b32 s1, s3
	s_cbranch_execz .LBB27_62
; %bb.61:
	v_add_nc_u32_e32 v35, -8, v55
	v_cmp_gt_u32_e64 s0, s29, v55
	s_or_b32 s15, s15, exec_lo
	ds_load_b64 v[35:36], v35
	s_waitcnt lgkmcnt(0)
	v_cmp_neq_f64_e32 vcc_lo, v[35:36], v[29:30]
	s_and_b32 s0, s0, vcc_lo
	s_delay_alu instid0(SALU_CYCLE_1)
	s_and_b32 s0, s0, exec_lo
.LBB27_62:
	s_or_b32 exec_lo, exec_lo, s1
.LBB27_63:
	s_and_saveexec_b32 s1, s15
	s_cbranch_execz .LBB27_65
; %bb.64:
	s_waitcnt vmcnt(0) lgkmcnt(1)
	v_and_b32_e32 v35, 0xffffff00, v33
	v_cndmask_b32_e64 v36, 0, 1, s0
	s_delay_alu instid0(VALU_DEP_1) | instskip(NEXT) | instid1(VALU_DEP_1)
	v_or_b32_e32 v35, v36, v35
	v_and_b32_e32 v35, 0xffff, v35
	s_delay_alu instid0(VALU_DEP_1)
	v_and_or_b32 v33, 0xffff0000, v33, v35
.LBB27_65:
	s_or_b32 exec_lo, exec_lo, s1
	s_delay_alu instid0(SALU_CYCLE_1)
	s_and_not1_b32 vcc_lo, exec_lo, s30
	s_cbranch_vccnz .LBB27_67
; %bb.66:
	v_cmp_gt_u32_e32 vcc_lo, s29, v55
	s_waitcnt vmcnt(0) lgkmcnt(1)
	v_or_b32_e32 v36, 1, v55
	v_and_b32_e32 v37, 0xffffff00, v34
	v_or_b32_e32 v38, 2, v55
	v_cndmask_b32_e32 v35, 0, v33, vcc_lo
	s_delay_alu instid0(VALU_DEP_4) | instskip(SKIP_1) | instid1(VALU_DEP_4)
	v_cmp_gt_u32_e32 vcc_lo, s29, v36
	v_or_b32_e32 v36, 4, v55
	v_cmp_gt_u32_e64 s0, s29, v38
	v_or_b32_e32 v38, 3, v55
	v_and_b32_e32 v35, 0xff, v35
	s_delay_alu instid0(VALU_DEP_2) | instskip(NEXT) | instid1(VALU_DEP_2)
	v_cmp_gt_u32_e64 s1, s29, v38
	v_cndmask_b32_e32 v35, v35, v33, vcc_lo
	v_cmp_gt_u32_e32 vcc_lo, s29, v36
	v_cndmask_b32_e32 v36, v37, v34, vcc_lo
	v_or_b32_e32 v37, 5, v55
	s_delay_alu instid0(VALU_DEP_2) | instskip(SKIP_1) | instid1(VALU_DEP_1)
	v_and_b32_e32 v36, 0xffff00ff, v36
	v_and_b32_e32 v35, 0xffff, v35
	v_cndmask_b32_e64 v35, v35, v33, s0
	s_delay_alu instid0(VALU_DEP_4) | instskip(SKIP_1) | instid1(VALU_DEP_3)
	v_cmp_gt_u32_e64 s0, s29, v37
	v_or_b32_e32 v37, 6, v55
	v_and_b32_e32 v35, 0xffffff, v35
	s_delay_alu instid0(VALU_DEP_3) | instskip(NEXT) | instid1(VALU_DEP_2)
	v_cndmask_b32_e64 v36, v36, v34, s0
	v_cndmask_b32_e64 v35, v35, v33, s1
	s_delay_alu instid0(VALU_DEP_1) | instskip(SKIP_2) | instid1(VALU_DEP_3)
	v_dual_cndmask_b32 v35, v35, v33 :: v_dual_and_b32 v36, 0xff00ffff, v36
	v_cmp_gt_u32_e32 vcc_lo, s29, v37
	v_or_b32_e32 v37, 7, v55
	v_cndmask_b32_e64 v35, v35, v33, s0
	s_delay_alu instid0(VALU_DEP_1) | instskip(NEXT) | instid1(VALU_DEP_1)
	v_dual_cndmask_b32 v36, v36, v34 :: v_dual_cndmask_b32 v35, v35, v33
	v_and_b32_e32 v36, 0xffffff, v36
	s_delay_alu instid0(VALU_DEP_4) | instskip(NEXT) | instid1(VALU_DEP_2)
	v_cmp_gt_u32_e32 vcc_lo, s29, v37
	v_dual_cndmask_b32 v34, v36, v34 :: v_dual_cndmask_b32 v33, v35, v33
.LBB27_67:
	s_delay_alu instid0(VALU_DEP_1) | instskip(SKIP_1) | instid1(VALU_DEP_2)
	v_and_b32_e32 v44, 0xff, v33
	s_waitcnt vmcnt(0) lgkmcnt(1)
	v_alignbit_b32 v35, v34, v33, 24
	v_bfe_u32 v46, v33, 8, 8
	v_bfe_u32 v48, v33, 16, 8
	v_and_b32_e32 v52, 0xff, v34
	v_bfe_u32 v54, v34, 8, 8
	v_and_b32_e32 v50, 0xff, v35
	v_add_nc_u32_e32 v35, v46, v44
	v_mbcnt_lo_u32_b32 v58, -1, 0
	v_bfe_u32 v57, v34, 16, 8
	v_lshrrev_b32_e32 v56, 24, v34
	v_lshrrev_b32_e32 v59, 5, v0
	v_add3_u32 v35, v35, v48, v50
	v_and_b32_e32 v36, 15, v58
	v_and_b32_e32 v37, 16, v58
	s_and_b32 vcc_lo, exec_lo, s31
	s_mov_b32 s7, -1
	v_add3_u32 v35, v35, v52, v54
	v_cmp_eq_u32_e64 s3, 0, v36
	v_cmp_lt_u32_e64 s0, 1, v36
	v_cmp_lt_u32_e64 s4, 3, v36
	;; [unrolled: 1-line block ×3, first 2 shown]
	v_add3_u32 v60, v35, v57, v56
	v_or_b32_e32 v35, 31, v0
	v_cmp_eq_u32_e64 s6, 0, v37
	s_waitcnt lgkmcnt(0)
	s_barrier
	buffer_gl0_inv
	v_cmp_eq_u32_e64 s5, v35, v0
	s_cbranch_vccz .LBB27_98
; %bb.68:
	v_mov_b32_dpp v35, v60 row_shr:1 row_mask:0xf bank_mask:0xf
	s_delay_alu instid0(VALU_DEP_1) | instskip(NEXT) | instid1(VALU_DEP_1)
	v_cndmask_b32_e64 v35, v35, 0, s3
	v_add_nc_u32_e32 v35, v35, v60
	s_delay_alu instid0(VALU_DEP_1) | instskip(NEXT) | instid1(VALU_DEP_1)
	v_mov_b32_dpp v36, v35 row_shr:2 row_mask:0xf bank_mask:0xf
	v_cndmask_b32_e64 v36, 0, v36, s0
	s_delay_alu instid0(VALU_DEP_1) | instskip(NEXT) | instid1(VALU_DEP_1)
	v_add_nc_u32_e32 v35, v35, v36
	v_mov_b32_dpp v36, v35 row_shr:4 row_mask:0xf bank_mask:0xf
	s_delay_alu instid0(VALU_DEP_1) | instskip(NEXT) | instid1(VALU_DEP_1)
	v_cndmask_b32_e64 v36, 0, v36, s4
	v_add_nc_u32_e32 v35, v35, v36
	s_delay_alu instid0(VALU_DEP_1) | instskip(NEXT) | instid1(VALU_DEP_1)
	v_mov_b32_dpp v36, v35 row_shr:8 row_mask:0xf bank_mask:0xf
	v_cndmask_b32_e64 v36, 0, v36, s1
	s_delay_alu instid0(VALU_DEP_1) | instskip(SKIP_3) | instid1(VALU_DEP_1)
	v_add_nc_u32_e32 v35, v35, v36
	ds_swizzle_b32 v36, v35 offset:swizzle(BROADCAST,32,15)
	s_waitcnt lgkmcnt(0)
	v_cndmask_b32_e64 v36, v36, 0, s6
	v_add_nc_u32_e32 v35, v35, v36
	s_and_saveexec_b32 s7, s5
	s_cbranch_execz .LBB27_70
; %bb.69:
	v_lshlrev_b32_e32 v36, 2, v59
	ds_store_b32 v36, v35
.LBB27_70:
	s_or_b32 exec_lo, exec_lo, s7
	s_delay_alu instid0(SALU_CYCLE_1)
	s_mov_b32 s7, exec_lo
	s_waitcnt lgkmcnt(0)
	s_barrier
	buffer_gl0_inv
	v_cmpx_gt_u32_e32 16, v0
	s_cbranch_execz .LBB27_72
; %bb.71:
	v_lshlrev_b32_e32 v36, 2, v0
	ds_load_b32 v37, v36
	s_waitcnt lgkmcnt(0)
	v_mov_b32_dpp v38, v37 row_shr:1 row_mask:0xf bank_mask:0xf
	s_delay_alu instid0(VALU_DEP_1) | instskip(NEXT) | instid1(VALU_DEP_1)
	v_cndmask_b32_e64 v38, v38, 0, s3
	v_add_nc_u32_e32 v37, v38, v37
	s_delay_alu instid0(VALU_DEP_1) | instskip(NEXT) | instid1(VALU_DEP_1)
	v_mov_b32_dpp v38, v37 row_shr:2 row_mask:0xf bank_mask:0xf
	v_cndmask_b32_e64 v38, 0, v38, s0
	s_delay_alu instid0(VALU_DEP_1) | instskip(NEXT) | instid1(VALU_DEP_1)
	v_add_nc_u32_e32 v37, v37, v38
	v_mov_b32_dpp v38, v37 row_shr:4 row_mask:0xf bank_mask:0xf
	s_delay_alu instid0(VALU_DEP_1) | instskip(NEXT) | instid1(VALU_DEP_1)
	v_cndmask_b32_e64 v38, 0, v38, s4
	v_add_nc_u32_e32 v37, v37, v38
	s_delay_alu instid0(VALU_DEP_1) | instskip(NEXT) | instid1(VALU_DEP_1)
	v_mov_b32_dpp v38, v37 row_shr:8 row_mask:0xf bank_mask:0xf
	v_cndmask_b32_e64 v38, 0, v38, s1
	s_delay_alu instid0(VALU_DEP_1)
	v_add_nc_u32_e32 v37, v37, v38
	ds_store_b32 v36, v37
.LBB27_72:
	s_or_b32 exec_lo, exec_lo, s7
	v_cmp_gt_u32_e32 vcc_lo, 32, v0
	s_mov_b32 s8, exec_lo
	s_waitcnt lgkmcnt(0)
	s_barrier
	buffer_gl0_inv
                                        ; implicit-def: $vgpr43
	v_cmpx_lt_u32_e32 31, v0
	s_cbranch_execz .LBB27_74
; %bb.73:
	v_lshl_add_u32 v36, v59, 2, -4
	ds_load_b32 v43, v36
	s_waitcnt lgkmcnt(0)
	v_add_nc_u32_e32 v35, v43, v35
.LBB27_74:
	s_or_b32 exec_lo, exec_lo, s8
	v_add_nc_u32_e32 v36, -1, v58
	s_delay_alu instid0(VALU_DEP_1) | instskip(NEXT) | instid1(VALU_DEP_1)
	v_cmp_gt_i32_e64 s7, 0, v36
	v_cndmask_b32_e64 v36, v36, v58, s7
	v_cmp_eq_u32_e64 s7, 0, v58
	s_delay_alu instid0(VALU_DEP_2)
	v_lshlrev_b32_e32 v36, 2, v36
	ds_bpermute_b32 v45, v36, v35
	s_and_saveexec_b32 s8, vcc_lo
	s_cbranch_execz .LBB27_97
; %bb.75:
	v_mov_b32_e32 v39, 0
	ds_load_b32 v35, v39 offset:60
	s_and_saveexec_b32 s9, s7
	s_cbranch_execz .LBB27_77
; %bb.76:
	s_add_i32 s10, s28, 32
	s_mov_b32 s11, 0
	v_mov_b32_e32 v36, 1
	s_lshl_b64 s[10:11], s[10:11], 3
	s_delay_alu instid0(SALU_CYCLE_1)
	s_add_u32 s10, s24, s10
	s_addc_u32 s11, s25, s11
	s_waitcnt lgkmcnt(0)
	global_store_b64 v39, v[35:36], s[10:11]
.LBB27_77:
	s_or_b32 exec_lo, exec_lo, s9
	v_xad_u32 v37, v58, -1, s28
	s_mov_b32 s10, 0
	s_mov_b32 s9, exec_lo
	s_delay_alu instid0(VALU_DEP_1) | instskip(NEXT) | instid1(VALU_DEP_1)
	v_add_nc_u32_e32 v38, 32, v37
	v_lshlrev_b64 v[38:39], 3, v[38:39]
	s_delay_alu instid0(VALU_DEP_1) | instskip(NEXT) | instid1(VALU_DEP_2)
	v_add_co_u32 v41, vcc_lo, s24, v38
	v_add_co_ci_u32_e32 v42, vcc_lo, s25, v39, vcc_lo
	global_load_b64 v[39:40], v[41:42], off glc
	s_waitcnt vmcnt(0)
	v_and_b32_e32 v36, 0xff, v40
	s_delay_alu instid0(VALU_DEP_1)
	v_cmpx_eq_u16_e32 0, v36
	s_cbranch_execz .LBB27_83
; %bb.78:
	s_mov_b32 s11, 1
	.p2align	6
.LBB27_79:                              ; =>This Loop Header: Depth=1
                                        ;     Child Loop BB27_80 Depth 2
	s_delay_alu instid0(SALU_CYCLE_1)
	s_max_u32 s12, s11, 1
.LBB27_80:                              ;   Parent Loop BB27_79 Depth=1
                                        ; =>  This Inner Loop Header: Depth=2
	s_delay_alu instid0(SALU_CYCLE_1)
	s_add_i32 s12, s12, -1
	s_sleep 1
	s_cmp_eq_u32 s12, 0
	s_cbranch_scc0 .LBB27_80
; %bb.81:                               ;   in Loop: Header=BB27_79 Depth=1
	global_load_b64 v[39:40], v[41:42], off glc
	s_cmp_lt_u32 s11, 32
	s_cselect_b32 s12, -1, 0
	s_delay_alu instid0(SALU_CYCLE_1) | instskip(SKIP_3) | instid1(VALU_DEP_1)
	s_cmp_lg_u32 s12, 0
	s_addc_u32 s11, s11, 0
	s_waitcnt vmcnt(0)
	v_and_b32_e32 v36, 0xff, v40
	v_cmp_ne_u16_e32 vcc_lo, 0, v36
	s_or_b32 s10, vcc_lo, s10
	s_delay_alu instid0(SALU_CYCLE_1)
	s_and_not1_b32 exec_lo, exec_lo, s10
	s_cbranch_execnz .LBB27_79
; %bb.82:
	s_or_b32 exec_lo, exec_lo, s10
.LBB27_83:
	s_delay_alu instid0(SALU_CYCLE_1)
	s_or_b32 exec_lo, exec_lo, s9
	v_cmp_ne_u32_e32 vcc_lo, 31, v58
	v_lshlrev_b32_e64 v49, v58, -1
	v_add_nc_u32_e32 v53, 2, v58
	v_add_nc_u32_e32 v66, 16, v58
	v_add_co_ci_u32_e32 v36, vcc_lo, 0, v58, vcc_lo
	s_delay_alu instid0(VALU_DEP_1)
	v_lshlrev_b32_e32 v47, 2, v36
	v_and_b32_e32 v36, 0xff, v40
	ds_bpermute_b32 v38, v47, v39
	v_cmp_eq_u16_e32 vcc_lo, 2, v36
	v_and_or_b32 v36, vcc_lo, v49, 0x80000000
	v_cmp_gt_u32_e32 vcc_lo, 30, v58
	s_delay_alu instid0(VALU_DEP_2) | instskip(SKIP_1) | instid1(VALU_DEP_2)
	v_ctz_i32_b32_e32 v36, v36
	v_cndmask_b32_e64 v41, 0, 1, vcc_lo
	v_cmp_lt_u32_e32 vcc_lo, v58, v36
	s_waitcnt lgkmcnt(0)
	s_delay_alu instid0(VALU_DEP_2) | instskip(NEXT) | instid1(VALU_DEP_1)
	v_dual_cndmask_b32 v38, 0, v38 :: v_dual_lshlrev_b32 v41, 1, v41
	v_add_lshl_u32 v51, v41, v58, 2
	v_cmp_gt_u32_e32 vcc_lo, 28, v58
	s_delay_alu instid0(VALU_DEP_3) | instskip(SKIP_4) | instid1(VALU_DEP_1)
	v_add_nc_u32_e32 v38, v38, v39
	v_cndmask_b32_e64 v41, 0, 1, vcc_lo
	v_cmp_le_u32_e32 vcc_lo, v53, v36
	ds_bpermute_b32 v39, v51, v38
	v_lshlrev_b32_e32 v41, 2, v41
	v_add_lshl_u32 v61, v41, v58, 2
	s_waitcnt lgkmcnt(0)
	v_cndmask_b32_e32 v39, 0, v39, vcc_lo
	v_cmp_gt_u32_e32 vcc_lo, 24, v58
	s_delay_alu instid0(VALU_DEP_2) | instskip(SKIP_4) | instid1(VALU_DEP_2)
	v_add_nc_u32_e32 v38, v38, v39
	v_cndmask_b32_e64 v41, 0, 1, vcc_lo
	ds_bpermute_b32 v39, v61, v38
	v_add_nc_u32_e32 v62, 4, v58
	v_lshlrev_b32_e32 v41, 3, v41
	v_cmp_le_u32_e32 vcc_lo, v62, v36
	s_delay_alu instid0(VALU_DEP_2) | instskip(SKIP_3) | instid1(VALU_DEP_2)
	v_add_lshl_u32 v63, v41, v58, 2
	s_waitcnt lgkmcnt(0)
	v_cndmask_b32_e32 v39, 0, v39, vcc_lo
	v_cmp_gt_u32_e32 vcc_lo, 16, v58
	v_add_nc_u32_e32 v38, v38, v39
	v_cndmask_b32_e64 v41, 0, 1, vcc_lo
	ds_bpermute_b32 v39, v63, v38
	v_add_nc_u32_e32 v64, 8, v58
	v_lshlrev_b32_e32 v41, 4, v41
	s_delay_alu instid0(VALU_DEP_2) | instskip(NEXT) | instid1(VALU_DEP_2)
	v_cmp_le_u32_e32 vcc_lo, v64, v36
	v_add_lshl_u32 v65, v41, v58, 2
	s_waitcnt lgkmcnt(0)
	v_cndmask_b32_e32 v39, 0, v39, vcc_lo
	v_cmp_le_u32_e32 vcc_lo, v66, v36
	s_delay_alu instid0(VALU_DEP_2) | instskip(SKIP_3) | instid1(VALU_DEP_1)
	v_add_nc_u32_e32 v38, v38, v39
	ds_bpermute_b32 v39, v65, v38
	s_waitcnt lgkmcnt(0)
	v_cndmask_b32_e32 v36, 0, v39, vcc_lo
	v_dual_mov_b32 v38, 0 :: v_dual_add_nc_u32 v39, v38, v36
	s_branch .LBB27_85
.LBB27_84:                              ;   in Loop: Header=BB27_85 Depth=1
	s_or_b32 exec_lo, exec_lo, s9
	ds_bpermute_b32 v42, v47, v39
	v_and_b32_e32 v41, 0xff, v40
	v_subrev_nc_u32_e32 v37, 32, v37
	s_delay_alu instid0(VALU_DEP_2) | instskip(SKIP_1) | instid1(VALU_DEP_1)
	v_cmp_eq_u16_e32 vcc_lo, 2, v41
	v_and_or_b32 v41, vcc_lo, v49, 0x80000000
	v_ctz_i32_b32_e32 v41, v41
	s_delay_alu instid0(VALU_DEP_1) | instskip(SKIP_3) | instid1(VALU_DEP_2)
	v_cmp_lt_u32_e32 vcc_lo, v58, v41
	s_waitcnt lgkmcnt(0)
	v_cndmask_b32_e32 v42, 0, v42, vcc_lo
	v_cmp_le_u32_e32 vcc_lo, v53, v41
	v_add_nc_u32_e32 v39, v42, v39
	ds_bpermute_b32 v42, v51, v39
	s_waitcnt lgkmcnt(0)
	v_cndmask_b32_e32 v42, 0, v42, vcc_lo
	v_cmp_le_u32_e32 vcc_lo, v62, v41
	s_delay_alu instid0(VALU_DEP_2) | instskip(SKIP_4) | instid1(VALU_DEP_2)
	v_add_nc_u32_e32 v39, v39, v42
	ds_bpermute_b32 v42, v61, v39
	s_waitcnt lgkmcnt(0)
	v_cndmask_b32_e32 v42, 0, v42, vcc_lo
	v_cmp_le_u32_e32 vcc_lo, v64, v41
	v_add_nc_u32_e32 v39, v39, v42
	ds_bpermute_b32 v42, v63, v39
	s_waitcnt lgkmcnt(0)
	v_cndmask_b32_e32 v42, 0, v42, vcc_lo
	v_cmp_le_u32_e32 vcc_lo, v66, v41
	s_delay_alu instid0(VALU_DEP_2) | instskip(SKIP_3) | instid1(VALU_DEP_1)
	v_add_nc_u32_e32 v39, v39, v42
	ds_bpermute_b32 v42, v65, v39
	s_waitcnt lgkmcnt(0)
	v_cndmask_b32_e32 v41, 0, v42, vcc_lo
	v_add3_u32 v39, v41, v36, v39
.LBB27_85:                              ; =>This Loop Header: Depth=1
                                        ;     Child Loop BB27_88 Depth 2
                                        ;       Child Loop BB27_89 Depth 3
	v_and_b32_e32 v36, 0xff, v40
	s_delay_alu instid0(VALU_DEP_1) | instskip(SKIP_2) | instid1(VALU_DEP_1)
	v_cmp_ne_u16_e32 vcc_lo, 2, v36
	v_cndmask_b32_e64 v36, 0, 1, vcc_lo
	;;#ASMSTART
	;;#ASMEND
	v_cmp_ne_u32_e32 vcc_lo, 0, v36
	v_mov_b32_e32 v36, v39
	s_cmp_lg_u32 vcc_lo, exec_lo
	s_cbranch_scc1 .LBB27_92
; %bb.86:                               ;   in Loop: Header=BB27_85 Depth=1
	v_lshlrev_b64 v[39:40], 3, v[37:38]
	s_mov_b32 s9, exec_lo
	s_delay_alu instid0(VALU_DEP_1) | instskip(NEXT) | instid1(VALU_DEP_2)
	v_add_co_u32 v41, vcc_lo, s24, v39
	v_add_co_ci_u32_e32 v42, vcc_lo, s25, v40, vcc_lo
	global_load_b64 v[39:40], v[41:42], off glc
	s_waitcnt vmcnt(0)
	v_and_b32_e32 v67, 0xff, v40
	s_delay_alu instid0(VALU_DEP_1)
	v_cmpx_eq_u16_e32 0, v67
	s_cbranch_execz .LBB27_84
; %bb.87:                               ;   in Loop: Header=BB27_85 Depth=1
	s_mov_b32 s11, 1
	s_mov_b32 s10, 0
	.p2align	6
.LBB27_88:                              ;   Parent Loop BB27_85 Depth=1
                                        ; =>  This Loop Header: Depth=2
                                        ;       Child Loop BB27_89 Depth 3
	s_max_u32 s12, s11, 1
.LBB27_89:                              ;   Parent Loop BB27_85 Depth=1
                                        ;     Parent Loop BB27_88 Depth=2
                                        ; =>    This Inner Loop Header: Depth=3
	s_delay_alu instid0(SALU_CYCLE_1)
	s_add_i32 s12, s12, -1
	s_sleep 1
	s_cmp_eq_u32 s12, 0
	s_cbranch_scc0 .LBB27_89
; %bb.90:                               ;   in Loop: Header=BB27_88 Depth=2
	global_load_b64 v[39:40], v[41:42], off glc
	s_cmp_lt_u32 s11, 32
	s_cselect_b32 s12, -1, 0
	s_delay_alu instid0(SALU_CYCLE_1) | instskip(SKIP_3) | instid1(VALU_DEP_1)
	s_cmp_lg_u32 s12, 0
	s_addc_u32 s11, s11, 0
	s_waitcnt vmcnt(0)
	v_and_b32_e32 v67, 0xff, v40
	v_cmp_ne_u16_e32 vcc_lo, 0, v67
	s_or_b32 s10, vcc_lo, s10
	s_delay_alu instid0(SALU_CYCLE_1)
	s_and_not1_b32 exec_lo, exec_lo, s10
	s_cbranch_execnz .LBB27_88
; %bb.91:                               ;   in Loop: Header=BB27_85 Depth=1
	s_or_b32 exec_lo, exec_lo, s10
	s_branch .LBB27_84
.LBB27_92:                              ;   in Loop: Header=BB27_85 Depth=1
                                        ; implicit-def: $vgpr39
                                        ; implicit-def: $vgpr40
	s_cbranch_execz .LBB27_85
; %bb.93:
	s_and_saveexec_b32 s9, s7
	s_cbranch_execz .LBB27_95
; %bb.94:
	s_add_i32 s10, s28, 32
	s_mov_b32 s11, 0
	v_dual_mov_b32 v38, 2 :: v_dual_add_nc_u32 v37, v36, v35
	s_lshl_b64 s[10:11], s[10:11], 3
	v_mov_b32_e32 v39, 0
	s_add_u32 s10, s24, s10
	s_addc_u32 s11, s25, s11
	global_store_b64 v39, v[37:38], s[10:11]
	ds_store_b64 v39, v[35:36] offset:33792
.LBB27_95:
	s_or_b32 exec_lo, exec_lo, s9
	s_delay_alu instid0(SALU_CYCLE_1)
	s_and_b32 exec_lo, exec_lo, s2
	s_cbranch_execz .LBB27_97
; %bb.96:
	v_mov_b32_e32 v35, 0
	ds_store_b32 v35, v36 offset:60
.LBB27_97:
	s_or_b32 exec_lo, exec_lo, s8
	v_mov_b32_e32 v35, 0
	s_waitcnt lgkmcnt(0)
	s_waitcnt_vscnt null, 0x0
	s_barrier
	buffer_gl0_inv
	v_cndmask_b32_e64 v37, v45, v43, s7
	ds_load_b32 v36, v35 offset:60
	s_waitcnt lgkmcnt(0)
	s_barrier
	buffer_gl0_inv
	v_cndmask_b32_e64 v37, v37, 0, s2
	s_delay_alu instid0(VALU_DEP_1) | instskip(SKIP_2) | instid1(VALU_DEP_1)
	v_add_nc_u32_e32 v53, v36, v37
	ds_load_b64 v[35:36], v35 offset:33792
	v_add_nc_u32_e32 v51, v53, v44
	v_add_nc_u32_e32 v49, v51, v46
	s_delay_alu instid0(VALU_DEP_1) | instskip(NEXT) | instid1(VALU_DEP_1)
	v_add_nc_u32_e32 v47, v49, v48
	v_add_nc_u32_e32 v45, v47, v50
	s_waitcnt lgkmcnt(0)
	v_readfirstlane_b32 s8, v36
	s_delay_alu instid0(VALU_DEP_2) | instskip(NEXT) | instid1(VALU_DEP_1)
	v_add_nc_u32_e32 v43, v45, v52
	v_add_nc_u32_e32 v41, v43, v54
	s_delay_alu instid0(VALU_DEP_1)
	v_add_nc_u32_e32 v39, v41, v57
	v_lshrrev_b64 v[37:38], 24, v[33:34]
	s_branch .LBB27_108
.LBB27_98:
                                        ; implicit-def: $vgpr39
                                        ; implicit-def: $vgpr41
                                        ; implicit-def: $vgpr43
                                        ; implicit-def: $vgpr45
                                        ; implicit-def: $vgpr47
                                        ; implicit-def: $vgpr49
                                        ; implicit-def: $vgpr51
                                        ; implicit-def: $vgpr53
                                        ; implicit-def: $sgpr8
                                        ; implicit-def: $vgpr35
	v_lshrrev_b64 v[37:38], 24, v[33:34]
	s_and_b32 vcc_lo, exec_lo, s7
	s_cbranch_vccz .LBB27_108
; %bb.99:
	v_mov_b32_dpp v35, v60 row_shr:1 row_mask:0xf bank_mask:0xf
	s_delay_alu instid0(VALU_DEP_1) | instskip(NEXT) | instid1(VALU_DEP_1)
	v_cndmask_b32_e64 v35, v35, 0, s3
	v_add_nc_u32_e32 v35, v35, v60
	s_delay_alu instid0(VALU_DEP_1) | instskip(NEXT) | instid1(VALU_DEP_1)
	v_mov_b32_dpp v36, v35 row_shr:2 row_mask:0xf bank_mask:0xf
	v_cndmask_b32_e64 v36, 0, v36, s0
	s_delay_alu instid0(VALU_DEP_1) | instskip(NEXT) | instid1(VALU_DEP_1)
	v_add_nc_u32_e32 v35, v35, v36
	v_mov_b32_dpp v36, v35 row_shr:4 row_mask:0xf bank_mask:0xf
	s_delay_alu instid0(VALU_DEP_1) | instskip(NEXT) | instid1(VALU_DEP_1)
	v_cndmask_b32_e64 v36, 0, v36, s4
	v_add_nc_u32_e32 v35, v35, v36
	s_delay_alu instid0(VALU_DEP_1) | instskip(NEXT) | instid1(VALU_DEP_1)
	v_mov_b32_dpp v36, v35 row_shr:8 row_mask:0xf bank_mask:0xf
	v_cndmask_b32_e64 v36, 0, v36, s1
	s_delay_alu instid0(VALU_DEP_1) | instskip(SKIP_3) | instid1(VALU_DEP_1)
	v_add_nc_u32_e32 v35, v35, v36
	ds_swizzle_b32 v36, v35 offset:swizzle(BROADCAST,32,15)
	s_waitcnt lgkmcnt(0)
	v_cndmask_b32_e64 v36, v36, 0, s6
	v_add_nc_u32_e32 v35, v35, v36
	s_and_saveexec_b32 s6, s5
	s_cbranch_execz .LBB27_101
; %bb.100:
	v_lshlrev_b32_e32 v36, 2, v59
	ds_store_b32 v36, v35
.LBB27_101:
	s_or_b32 exec_lo, exec_lo, s6
	s_delay_alu instid0(SALU_CYCLE_1)
	s_mov_b32 s5, exec_lo
	s_waitcnt lgkmcnt(0)
	s_barrier
	buffer_gl0_inv
	v_cmpx_gt_u32_e32 16, v0
	s_cbranch_execz .LBB27_103
; %bb.102:
	v_lshlrev_b32_e32 v36, 2, v0
	ds_load_b32 v38, v36
	s_waitcnt lgkmcnt(0)
	v_mov_b32_dpp v39, v38 row_shr:1 row_mask:0xf bank_mask:0xf
	s_delay_alu instid0(VALU_DEP_1) | instskip(NEXT) | instid1(VALU_DEP_1)
	v_cndmask_b32_e64 v39, v39, 0, s3
	v_add_nc_u32_e32 v38, v39, v38
	s_delay_alu instid0(VALU_DEP_1) | instskip(NEXT) | instid1(VALU_DEP_1)
	v_mov_b32_dpp v39, v38 row_shr:2 row_mask:0xf bank_mask:0xf
	v_cndmask_b32_e64 v39, 0, v39, s0
	s_delay_alu instid0(VALU_DEP_1) | instskip(NEXT) | instid1(VALU_DEP_1)
	v_add_nc_u32_e32 v38, v38, v39
	v_mov_b32_dpp v39, v38 row_shr:4 row_mask:0xf bank_mask:0xf
	s_delay_alu instid0(VALU_DEP_1) | instskip(NEXT) | instid1(VALU_DEP_1)
	v_cndmask_b32_e64 v39, 0, v39, s4
	v_add_nc_u32_e32 v38, v38, v39
	s_delay_alu instid0(VALU_DEP_1) | instskip(NEXT) | instid1(VALU_DEP_1)
	v_mov_b32_dpp v39, v38 row_shr:8 row_mask:0xf bank_mask:0xf
	v_cndmask_b32_e64 v39, 0, v39, s1
	s_delay_alu instid0(VALU_DEP_1)
	v_add_nc_u32_e32 v38, v38, v39
	ds_store_b32 v36, v38
.LBB27_103:
	s_or_b32 exec_lo, exec_lo, s5
	v_mov_b32_e32 v36, 0
	v_mov_b32_e32 v38, 0
	s_mov_b32 s0, exec_lo
	s_waitcnt lgkmcnt(0)
	s_barrier
	buffer_gl0_inv
	v_cmpx_lt_u32_e32 31, v0
	s_cbranch_execz .LBB27_105
; %bb.104:
	v_lshl_add_u32 v38, v59, 2, -4
	ds_load_b32 v38, v38
.LBB27_105:
	s_or_b32 exec_lo, exec_lo, s0
	v_add_nc_u32_e32 v39, -1, v58
	s_waitcnt lgkmcnt(0)
	v_add_nc_u32_e32 v35, v38, v35
	s_mov_b32 s8, 0
	s_delay_alu instid0(VALU_DEP_2) | instskip(SKIP_1) | instid1(VALU_DEP_1)
	v_cmp_gt_i32_e32 vcc_lo, 0, v39
	v_cndmask_b32_e32 v39, v39, v58, vcc_lo
	v_lshlrev_b32_e32 v39, 2, v39
	ds_bpermute_b32 v39, v39, v35
	ds_load_b32 v35, v36 offset:60
	s_and_saveexec_b32 s0, s2
	s_cbranch_execz .LBB27_107
; %bb.106:
	v_mov_b32_e32 v40, 0
	v_mov_b32_e32 v36, 2
	s_waitcnt lgkmcnt(0)
	global_store_b64 v40, v[35:36], s[24:25] offset:256
.LBB27_107:
	s_or_b32 exec_lo, exec_lo, s0
	v_cmp_eq_u32_e32 vcc_lo, 0, v58
	s_waitcnt lgkmcnt(0)
	s_waitcnt_vscnt null, 0x0
	s_barrier
	buffer_gl0_inv
	v_cndmask_b32_e32 v36, v39, v38, vcc_lo
	s_delay_alu instid0(VALU_DEP_1) | instskip(NEXT) | instid1(VALU_DEP_1)
	v_cndmask_b32_e64 v53, v36, 0, s2
	v_add_nc_u32_e32 v51, v53, v44
	s_delay_alu instid0(VALU_DEP_1) | instskip(NEXT) | instid1(VALU_DEP_1)
	v_add_nc_u32_e32 v49, v51, v46
	v_add_nc_u32_e32 v47, v49, v48
	s_delay_alu instid0(VALU_DEP_1) | instskip(NEXT) | instid1(VALU_DEP_1)
	v_add_nc_u32_e32 v45, v47, v50
	;; [unrolled: 3-line block ×3, first 2 shown]
	v_add_nc_u32_e32 v39, v41, v57
.LBB27_108:
	v_add_nc_u32_e32 v59, s8, v35
	v_cmp_gt_u32_e64 s0, 0x201, v35
	v_lshrrev_b32_e32 v58, 8, v33
	v_lshrrev_b32_e32 v57, 16, v33
	;; [unrolled: 1-line block ×4, first 2 shown]
	v_cmp_lt_u32_e64 s1, v53, v59
	s_and_b32 vcc_lo, exec_lo, s0
	s_mov_b32 s3, -1
	s_cbranch_vccz .LBB27_134
; %bb.109:
	s_lshl_b64 s[4:5], s[18:19], 3
	s_delay_alu instid0(SALU_CYCLE_1) | instskip(SKIP_2) | instid1(SALU_CYCLE_1)
	s_add_u32 s3, s20, s4
	s_addc_u32 s4, s21, s5
	s_or_b32 s5, s27, s1
	s_and_saveexec_b32 s1, s5
	s_cbranch_execz .LBB27_112
; %bb.110:
	v_and_b32_e32 v40, 1, v33
	s_delay_alu instid0(VALU_DEP_1)
	v_cmp_eq_u32_e32 vcc_lo, 1, v40
	s_and_b32 exec_lo, exec_lo, vcc_lo
	s_cbranch_execz .LBB27_112
; %bb.111:
	v_mov_b32_e32 v54, 0
	s_delay_alu instid0(VALU_DEP_1) | instskip(NEXT) | instid1(VALU_DEP_1)
	v_lshlrev_b64 v[60:61], 3, v[53:54]
	v_add_co_u32 v60, vcc_lo, s3, v60
	s_delay_alu instid0(VALU_DEP_2)
	v_add_co_ci_u32_e32 v61, vcc_lo, s4, v61, vcc_lo
	global_store_b64 v[60:61], v[29:30], off
.LBB27_112:
	s_or_b32 exec_lo, exec_lo, s1
	v_cmp_lt_u32_e32 vcc_lo, v51, v59
	s_or_b32 s5, s27, vcc_lo
	s_delay_alu instid0(SALU_CYCLE_1)
	s_and_saveexec_b32 s1, s5
	s_cbranch_execz .LBB27_115
; %bb.113:
	v_and_b32_e32 v40, 1, v58
	s_delay_alu instid0(VALU_DEP_1)
	v_cmp_eq_u32_e32 vcc_lo, 1, v40
	s_and_b32 exec_lo, exec_lo, vcc_lo
	s_cbranch_execz .LBB27_115
; %bb.114:
	v_mov_b32_e32 v52, 0
	s_delay_alu instid0(VALU_DEP_1) | instskip(NEXT) | instid1(VALU_DEP_1)
	v_lshlrev_b64 v[60:61], 3, v[51:52]
	v_add_co_u32 v60, vcc_lo, s3, v60
	s_delay_alu instid0(VALU_DEP_2)
	v_add_co_ci_u32_e32 v61, vcc_lo, s4, v61, vcc_lo
	global_store_b64 v[60:61], v[31:32], off
.LBB27_115:
	s_or_b32 exec_lo, exec_lo, s1
	v_cmp_lt_u32_e32 vcc_lo, v49, v59
	s_or_b32 s5, s27, vcc_lo
	s_delay_alu instid0(SALU_CYCLE_1)
	;; [unrolled: 21-line block ×7, first 2 shown]
	s_and_saveexec_b32 s1, s5
	s_cbranch_execz .LBB27_133
; %bb.131:
	v_and_b32_e32 v40, 1, v56
	s_delay_alu instid0(VALU_DEP_1)
	v_cmp_eq_u32_e32 vcc_lo, 1, v40
	s_and_b32 exec_lo, exec_lo, vcc_lo
	s_cbranch_execz .LBB27_133
; %bb.132:
	v_mov_b32_e32 v40, 0
	s_delay_alu instid0(VALU_DEP_1) | instskip(NEXT) | instid1(VALU_DEP_1)
	v_lshlrev_b64 v[60:61], 3, v[39:40]
	v_add_co_u32 v60, vcc_lo, s3, v60
	s_delay_alu instid0(VALU_DEP_2)
	v_add_co_ci_u32_e32 v61, vcc_lo, s4, v61, vcc_lo
	global_store_b64 v[60:61], v[19:20], off
.LBB27_133:
	s_or_b32 exec_lo, exec_lo, s1
	s_mov_b32 s3, 0
.LBB27_134:
	v_and_b32_e32 v33, 1, v33
	s_and_b32 vcc_lo, exec_lo, s3
	s_delay_alu instid0(VALU_DEP_1)
	v_cmp_eq_u32_e64 s1, 1, v33
	s_cbranch_vccz .LBB27_155
; %bb.135:
	s_delay_alu instid0(VALU_DEP_1)
	s_and_saveexec_b32 s3, s1
	s_cbranch_execz .LBB27_137
; %bb.136:
	v_subrev_nc_u32_e32 v40, s8, v53
	s_delay_alu instid0(VALU_DEP_1)
	v_lshlrev_b32_e32 v40, 3, v40
	ds_store_b64 v40, v[29:30]
.LBB27_137:
	s_or_b32 exec_lo, exec_lo, s3
	v_and_b32_e32 v29, 1, v58
	s_mov_b32 s1, exec_lo
	s_delay_alu instid0(VALU_DEP_1)
	v_cmpx_eq_u32_e32 1, v29
	s_cbranch_execz .LBB27_139
; %bb.138:
	v_subrev_nc_u32_e32 v29, s8, v51
	s_delay_alu instid0(VALU_DEP_1)
	v_lshlrev_b32_e32 v29, 3, v29
	ds_store_b64 v29, v[31:32]
.LBB27_139:
	s_or_b32 exec_lo, exec_lo, s1
	v_and_b32_e32 v29, 1, v57
	s_mov_b32 s1, exec_lo
	s_delay_alu instid0(VALU_DEP_1)
	v_cmpx_eq_u32_e32 1, v29
	;; [unrolled: 12-line block ×7, first 2 shown]
	s_cbranch_execz .LBB27_151
; %bb.150:
	v_subrev_nc_u32_e32 v17, s8, v39
	s_delay_alu instid0(VALU_DEP_1)
	v_lshlrev_b32_e32 v17, 3, v17
	ds_store_b64 v17, v[19:20]
.LBB27_151:
	s_or_b32 exec_lo, exec_lo, s1
	s_delay_alu instid0(SALU_CYCLE_1)
	s_mov_b32 s3, exec_lo
	s_waitcnt lgkmcnt(0)
	s_waitcnt_vscnt null, 0x0
	s_barrier
	buffer_gl0_inv
	v_cmpx_lt_u32_e64 v0, v35
	s_cbranch_execz .LBB27_154
; %bb.152:
	s_mov_b32 s9, 0
	s_lshl_b64 s[4:5], s[18:19], 3
	s_lshl_b64 s[6:7], s[8:9], 3
	v_dual_mov_b32 v19, v55 :: v_dual_mov_b32 v20, v0
	s_add_u32 s1, s4, s6
	s_addc_u32 s4, s5, s7
	s_add_u32 s1, s20, s1
	s_addc_u32 s4, s21, s4
	v_add_co_u32 v17, s1, s1, v55
	s_delay_alu instid0(VALU_DEP_1)
	v_add_co_ci_u32_e64 v18, null, s4, 0, s1
	.p2align	6
.LBB27_153:                             ; =>This Inner Loop Header: Depth=1
	ds_load_b64 v[21:22], v19
	v_add_nc_u32_e32 v20, 0x200, v20
	v_add_nc_u32_e32 v19, 0x1000, v19
	s_delay_alu instid0(VALU_DEP_2) | instskip(SKIP_4) | instid1(VALU_DEP_1)
	v_cmp_ge_u32_e32 vcc_lo, v20, v35
	s_or_b32 s9, vcc_lo, s9
	s_waitcnt lgkmcnt(0)
	global_store_b64 v[17:18], v[21:22], off
	v_add_co_u32 v17, s1, 0x1000, v17
	v_add_co_ci_u32_e64 v18, s1, 0, v18, s1
	s_and_not1_b32 exec_lo, exec_lo, s9
	s_cbranch_execnz .LBB27_153
.LBB27_154:
	s_or_b32 exec_lo, exec_lo, s3
.LBB27_155:
	s_delay_alu instid0(SALU_CYCLE_1)
	s_and_b32 vcc_lo, exec_lo, s0
	s_mov_b32 s0, -1
	s_waitcnt_vscnt null, 0x0
	s_barrier
	buffer_gl0_inv
	s_cbranch_vccz .LBB27_183
; %bb.156:
	v_cmp_lt_u32_e32 vcc_lo, v53, v59
	s_lshl_b64 s[0:1], s[18:19], 3
	s_delay_alu instid0(SALU_CYCLE_1) | instskip(SKIP_2) | instid1(SALU_CYCLE_1)
	s_add_u32 s0, s22, s0
	s_addc_u32 s1, s23, s1
	s_or_b32 s4, s27, vcc_lo
	s_and_saveexec_b32 s3, s4
	s_cbranch_execz .LBB27_159
; %bb.157:
	v_cmp_eq_u32_e32 vcc_lo, 1, v33
	s_and_b32 exec_lo, exec_lo, vcc_lo
	s_cbranch_execz .LBB27_159
; %bb.158:
	v_mov_b32_e32 v54, 0
	s_delay_alu instid0(VALU_DEP_1) | instskip(NEXT) | instid1(VALU_DEP_1)
	v_lshlrev_b64 v[17:18], 3, v[53:54]
	v_add_co_u32 v17, vcc_lo, s0, v17
	s_delay_alu instid0(VALU_DEP_2)
	v_add_co_ci_u32_e32 v18, vcc_lo, s1, v18, vcc_lo
	global_store_b64 v[17:18], v[13:14], off
.LBB27_159:
	s_or_b32 exec_lo, exec_lo, s3
	v_cmp_lt_u32_e32 vcc_lo, v51, v59
	s_or_b32 s4, s27, vcc_lo
	s_delay_alu instid0(SALU_CYCLE_1)
	s_and_saveexec_b32 s3, s4
	s_cbranch_execz .LBB27_162
; %bb.160:
	v_and_b32_e32 v17, 1, v58
	s_delay_alu instid0(VALU_DEP_1)
	v_cmp_eq_u32_e32 vcc_lo, 1, v17
	s_and_b32 exec_lo, exec_lo, vcc_lo
	s_cbranch_execz .LBB27_162
; %bb.161:
	v_mov_b32_e32 v52, 0
	s_delay_alu instid0(VALU_DEP_1) | instskip(NEXT) | instid1(VALU_DEP_1)
	v_lshlrev_b64 v[17:18], 3, v[51:52]
	v_add_co_u32 v17, vcc_lo, s0, v17
	s_delay_alu instid0(VALU_DEP_2)
	v_add_co_ci_u32_e32 v18, vcc_lo, s1, v18, vcc_lo
	global_store_b64 v[17:18], v[15:16], off
.LBB27_162:
	s_or_b32 exec_lo, exec_lo, s3
	v_cmp_lt_u32_e32 vcc_lo, v49, v59
	s_or_b32 s4, s27, vcc_lo
	s_delay_alu instid0(SALU_CYCLE_1)
	s_and_saveexec_b32 s3, s4
	s_cbranch_execz .LBB27_165
; %bb.163:
	v_and_b32_e32 v17, 1, v57
	s_delay_alu instid0(VALU_DEP_1)
	v_cmp_eq_u32_e32 vcc_lo, 1, v17
	s_and_b32 exec_lo, exec_lo, vcc_lo
	s_cbranch_execz .LBB27_165
; %bb.164:
	v_mov_b32_e32 v50, 0
	s_delay_alu instid0(VALU_DEP_1) | instskip(NEXT) | instid1(VALU_DEP_1)
	v_lshlrev_b64 v[17:18], 3, v[49:50]
	v_add_co_u32 v17, vcc_lo, s0, v17
	s_delay_alu instid0(VALU_DEP_2)
	v_add_co_ci_u32_e32 v18, vcc_lo, s1, v18, vcc_lo
	global_store_b64 v[17:18], v[9:10], off
.LBB27_165:
	;; [unrolled: 21-line block ×7, first 2 shown]
	s_or_b32 exec_lo, exec_lo, s3
.LBB27_181:
	s_and_b32 s0, s2, s26
	s_delay_alu instid0(SALU_CYCLE_1)
	s_and_saveexec_b32 s1, s0
	s_cbranch_execz .LBB27_204
.LBB27_182:
	v_add_co_u32 v0, s0, s18, v35
	s_delay_alu instid0(VALU_DEP_1) | instskip(SKIP_1) | instid1(VALU_DEP_3)
	v_add_co_ci_u32_e64 v1, null, s19, 0, s0
	v_mov_b32_e32 v2, 0
	v_add_co_u32 v0, vcc_lo, v0, s8
	s_delay_alu instid0(VALU_DEP_3)
	v_add_co_ci_u32_e32 v1, vcc_lo, 0, v1, vcc_lo
	global_store_b64 v2, v[0:1], s[16:17]
	s_nop 0
	s_sendmsg sendmsg(MSG_DEALLOC_VGPRS)
	s_endpgm
.LBB27_183:
	s_and_b32 vcc_lo, exec_lo, s0
	s_cbranch_vccz .LBB27_181
; %bb.184:
	s_mov_b32 s0, exec_lo
	v_cmpx_eq_u32_e32 1, v33
	s_cbranch_execz .LBB27_186
; %bb.185:
	v_subrev_nc_u32_e32 v17, s8, v53
	s_delay_alu instid0(VALU_DEP_1)
	v_lshlrev_b32_e32 v17, 3, v17
	ds_store_b64 v17, v[13:14]
.LBB27_186:
	s_or_b32 exec_lo, exec_lo, s0
	v_and_b32_e32 v13, 1, v58
	s_mov_b32 s0, exec_lo
	s_delay_alu instid0(VALU_DEP_1)
	v_cmpx_eq_u32_e32 1, v13
	s_cbranch_execz .LBB27_188
; %bb.187:
	v_subrev_nc_u32_e32 v13, s8, v51
	s_delay_alu instid0(VALU_DEP_1)
	v_lshlrev_b32_e32 v13, 3, v13
	ds_store_b64 v13, v[15:16]
.LBB27_188:
	s_or_b32 exec_lo, exec_lo, s0
	v_and_b32_e32 v13, 1, v57
	s_mov_b32 s0, exec_lo
	s_delay_alu instid0(VALU_DEP_1)
	;; [unrolled: 12-line block ×7, first 2 shown]
	v_cmpx_eq_u32_e32 1, v1
	s_cbranch_execz .LBB27_200
; %bb.199:
	v_subrev_nc_u32_e32 v1, s8, v39
	s_delay_alu instid0(VALU_DEP_1)
	v_lshlrev_b32_e32 v1, 3, v1
	ds_store_b64 v1, v[3:4]
.LBB27_200:
	s_or_b32 exec_lo, exec_lo, s0
	s_delay_alu instid0(SALU_CYCLE_1)
	s_mov_b32 s1, exec_lo
	s_waitcnt lgkmcnt(0)
	s_waitcnt_vscnt null, 0x0
	s_barrier
	buffer_gl0_inv
	v_cmpx_lt_u32_e64 v0, v35
	s_cbranch_execz .LBB27_203
; %bb.201:
	s_mov_b32 s9, 0
	s_lshl_b64 s[4:5], s[18:19], 3
	s_lshl_b64 s[6:7], s[8:9], 3
	s_delay_alu instid0(SALU_CYCLE_1) | instskip(SKIP_4) | instid1(VALU_DEP_1)
	s_add_u32 s0, s4, s6
	s_addc_u32 s3, s5, s7
	s_add_u32 s0, s22, s0
	s_addc_u32 s3, s23, s3
	v_add_co_u32 v1, s0, s0, v55
	v_add_co_ci_u32_e64 v2, null, s3, 0, s0
	.p2align	6
.LBB27_202:                             ; =>This Inner Loop Header: Depth=1
	ds_load_b64 v[3:4], v55
	v_add_nc_u32_e32 v0, 0x200, v0
	v_add_nc_u32_e32 v55, 0x1000, v55
	s_delay_alu instid0(VALU_DEP_2) | instskip(SKIP_4) | instid1(VALU_DEP_1)
	v_cmp_ge_u32_e32 vcc_lo, v0, v35
	s_or_b32 s9, vcc_lo, s9
	s_waitcnt lgkmcnt(0)
	global_store_b64 v[1:2], v[3:4], off
	v_add_co_u32 v1, s0, 0x1000, v1
	v_add_co_ci_u32_e64 v2, s0, 0, v2, s0
	s_and_not1_b32 exec_lo, exec_lo, s9
	s_cbranch_execnz .LBB27_202
.LBB27_203:
	s_or_b32 exec_lo, exec_lo, s1
	s_and_b32 s0, s2, s26
	s_delay_alu instid0(SALU_CYCLE_1)
	s_and_saveexec_b32 s1, s0
	s_cbranch_execnz .LBB27_182
.LBB27_204:
	s_nop 0
	s_sendmsg sendmsg(MSG_DEALLOC_VGPRS)
	s_endpgm
	.section	.rodata,"a",@progbits
	.p2align	6, 0x0
	.amdhsa_kernel _ZN7rocprim17ROCPRIM_400000_NS6detail17trampoline_kernelINS0_14default_configENS1_25partition_config_selectorILNS1_17partition_subalgoE9EddbEEZZNS1_14partition_implILS5_9ELb0ES3_jN6thrust23THRUST_200600_302600_NS6detail15normal_iteratorINS9_10device_ptrIdEEEESE_PNS0_10empty_typeENS0_5tupleIJSE_SF_EEENSH_IJSE_SG_EEENS0_18inequality_wrapperINS9_8equal_toIdEEEEPmJSF_EEE10hipError_tPvRmT3_T4_T5_T6_T7_T9_mT8_P12ihipStream_tbDpT10_ENKUlT_T0_E_clISt17integral_constantIbLb1EES18_EEDaS13_S14_EUlS13_E_NS1_11comp_targetILNS1_3genE9ELNS1_11target_archE1100ELNS1_3gpuE3ELNS1_3repE0EEENS1_30default_config_static_selectorELNS0_4arch9wavefront6targetE0EEEvT1_
		.amdhsa_group_segment_fixed_size 33800
		.amdhsa_private_segment_fixed_size 0
		.amdhsa_kernarg_size 128
		.amdhsa_user_sgpr_count 15
		.amdhsa_user_sgpr_dispatch_ptr 0
		.amdhsa_user_sgpr_queue_ptr 0
		.amdhsa_user_sgpr_kernarg_segment_ptr 1
		.amdhsa_user_sgpr_dispatch_id 0
		.amdhsa_user_sgpr_private_segment_size 0
		.amdhsa_wavefront_size32 1
		.amdhsa_uses_dynamic_stack 0
		.amdhsa_enable_private_segment 0
		.amdhsa_system_sgpr_workgroup_id_x 1
		.amdhsa_system_sgpr_workgroup_id_y 0
		.amdhsa_system_sgpr_workgroup_id_z 0
		.amdhsa_system_sgpr_workgroup_info 0
		.amdhsa_system_vgpr_workitem_id 0
		.amdhsa_next_free_vgpr 68
		.amdhsa_next_free_sgpr 32
		.amdhsa_reserve_vcc 1
		.amdhsa_float_round_mode_32 0
		.amdhsa_float_round_mode_16_64 0
		.amdhsa_float_denorm_mode_32 3
		.amdhsa_float_denorm_mode_16_64 3
		.amdhsa_dx10_clamp 1
		.amdhsa_ieee_mode 1
		.amdhsa_fp16_overflow 0
		.amdhsa_workgroup_processor_mode 1
		.amdhsa_memory_ordered 1
		.amdhsa_forward_progress 0
		.amdhsa_shared_vgpr_count 0
		.amdhsa_exception_fp_ieee_invalid_op 0
		.amdhsa_exception_fp_denorm_src 0
		.amdhsa_exception_fp_ieee_div_zero 0
		.amdhsa_exception_fp_ieee_overflow 0
		.amdhsa_exception_fp_ieee_underflow 0
		.amdhsa_exception_fp_ieee_inexact 0
		.amdhsa_exception_int_div_zero 0
	.end_amdhsa_kernel
	.section	.text._ZN7rocprim17ROCPRIM_400000_NS6detail17trampoline_kernelINS0_14default_configENS1_25partition_config_selectorILNS1_17partition_subalgoE9EddbEEZZNS1_14partition_implILS5_9ELb0ES3_jN6thrust23THRUST_200600_302600_NS6detail15normal_iteratorINS9_10device_ptrIdEEEESE_PNS0_10empty_typeENS0_5tupleIJSE_SF_EEENSH_IJSE_SG_EEENS0_18inequality_wrapperINS9_8equal_toIdEEEEPmJSF_EEE10hipError_tPvRmT3_T4_T5_T6_T7_T9_mT8_P12ihipStream_tbDpT10_ENKUlT_T0_E_clISt17integral_constantIbLb1EES18_EEDaS13_S14_EUlS13_E_NS1_11comp_targetILNS1_3genE9ELNS1_11target_archE1100ELNS1_3gpuE3ELNS1_3repE0EEENS1_30default_config_static_selectorELNS0_4arch9wavefront6targetE0EEEvT1_,"axG",@progbits,_ZN7rocprim17ROCPRIM_400000_NS6detail17trampoline_kernelINS0_14default_configENS1_25partition_config_selectorILNS1_17partition_subalgoE9EddbEEZZNS1_14partition_implILS5_9ELb0ES3_jN6thrust23THRUST_200600_302600_NS6detail15normal_iteratorINS9_10device_ptrIdEEEESE_PNS0_10empty_typeENS0_5tupleIJSE_SF_EEENSH_IJSE_SG_EEENS0_18inequality_wrapperINS9_8equal_toIdEEEEPmJSF_EEE10hipError_tPvRmT3_T4_T5_T6_T7_T9_mT8_P12ihipStream_tbDpT10_ENKUlT_T0_E_clISt17integral_constantIbLb1EES18_EEDaS13_S14_EUlS13_E_NS1_11comp_targetILNS1_3genE9ELNS1_11target_archE1100ELNS1_3gpuE3ELNS1_3repE0EEENS1_30default_config_static_selectorELNS0_4arch9wavefront6targetE0EEEvT1_,comdat
.Lfunc_end27:
	.size	_ZN7rocprim17ROCPRIM_400000_NS6detail17trampoline_kernelINS0_14default_configENS1_25partition_config_selectorILNS1_17partition_subalgoE9EddbEEZZNS1_14partition_implILS5_9ELb0ES3_jN6thrust23THRUST_200600_302600_NS6detail15normal_iteratorINS9_10device_ptrIdEEEESE_PNS0_10empty_typeENS0_5tupleIJSE_SF_EEENSH_IJSE_SG_EEENS0_18inequality_wrapperINS9_8equal_toIdEEEEPmJSF_EEE10hipError_tPvRmT3_T4_T5_T6_T7_T9_mT8_P12ihipStream_tbDpT10_ENKUlT_T0_E_clISt17integral_constantIbLb1EES18_EEDaS13_S14_EUlS13_E_NS1_11comp_targetILNS1_3genE9ELNS1_11target_archE1100ELNS1_3gpuE3ELNS1_3repE0EEENS1_30default_config_static_selectorELNS0_4arch9wavefront6targetE0EEEvT1_, .Lfunc_end27-_ZN7rocprim17ROCPRIM_400000_NS6detail17trampoline_kernelINS0_14default_configENS1_25partition_config_selectorILNS1_17partition_subalgoE9EddbEEZZNS1_14partition_implILS5_9ELb0ES3_jN6thrust23THRUST_200600_302600_NS6detail15normal_iteratorINS9_10device_ptrIdEEEESE_PNS0_10empty_typeENS0_5tupleIJSE_SF_EEENSH_IJSE_SG_EEENS0_18inequality_wrapperINS9_8equal_toIdEEEEPmJSF_EEE10hipError_tPvRmT3_T4_T5_T6_T7_T9_mT8_P12ihipStream_tbDpT10_ENKUlT_T0_E_clISt17integral_constantIbLb1EES18_EEDaS13_S14_EUlS13_E_NS1_11comp_targetILNS1_3genE9ELNS1_11target_archE1100ELNS1_3gpuE3ELNS1_3repE0EEENS1_30default_config_static_selectorELNS0_4arch9wavefront6targetE0EEEvT1_
                                        ; -- End function
	.section	.AMDGPU.csdata,"",@progbits
; Kernel info:
; codeLenInByte = 9592
; NumSgprs: 34
; NumVgprs: 68
; ScratchSize: 0
; MemoryBound: 0
; FloatMode: 240
; IeeeMode: 1
; LDSByteSize: 33800 bytes/workgroup (compile time only)
; SGPRBlocks: 4
; VGPRBlocks: 8
; NumSGPRsForWavesPerEU: 34
; NumVGPRsForWavesPerEU: 68
; Occupancy: 12
; WaveLimiterHint : 1
; COMPUTE_PGM_RSRC2:SCRATCH_EN: 0
; COMPUTE_PGM_RSRC2:USER_SGPR: 15
; COMPUTE_PGM_RSRC2:TRAP_HANDLER: 0
; COMPUTE_PGM_RSRC2:TGID_X_EN: 1
; COMPUTE_PGM_RSRC2:TGID_Y_EN: 0
; COMPUTE_PGM_RSRC2:TGID_Z_EN: 0
; COMPUTE_PGM_RSRC2:TIDIG_COMP_CNT: 0
	.section	.text._ZN7rocprim17ROCPRIM_400000_NS6detail17trampoline_kernelINS0_14default_configENS1_25partition_config_selectorILNS1_17partition_subalgoE9EddbEEZZNS1_14partition_implILS5_9ELb0ES3_jN6thrust23THRUST_200600_302600_NS6detail15normal_iteratorINS9_10device_ptrIdEEEESE_PNS0_10empty_typeENS0_5tupleIJSE_SF_EEENSH_IJSE_SG_EEENS0_18inequality_wrapperINS9_8equal_toIdEEEEPmJSF_EEE10hipError_tPvRmT3_T4_T5_T6_T7_T9_mT8_P12ihipStream_tbDpT10_ENKUlT_T0_E_clISt17integral_constantIbLb1EES18_EEDaS13_S14_EUlS13_E_NS1_11comp_targetILNS1_3genE8ELNS1_11target_archE1030ELNS1_3gpuE2ELNS1_3repE0EEENS1_30default_config_static_selectorELNS0_4arch9wavefront6targetE0EEEvT1_,"axG",@progbits,_ZN7rocprim17ROCPRIM_400000_NS6detail17trampoline_kernelINS0_14default_configENS1_25partition_config_selectorILNS1_17partition_subalgoE9EddbEEZZNS1_14partition_implILS5_9ELb0ES3_jN6thrust23THRUST_200600_302600_NS6detail15normal_iteratorINS9_10device_ptrIdEEEESE_PNS0_10empty_typeENS0_5tupleIJSE_SF_EEENSH_IJSE_SG_EEENS0_18inequality_wrapperINS9_8equal_toIdEEEEPmJSF_EEE10hipError_tPvRmT3_T4_T5_T6_T7_T9_mT8_P12ihipStream_tbDpT10_ENKUlT_T0_E_clISt17integral_constantIbLb1EES18_EEDaS13_S14_EUlS13_E_NS1_11comp_targetILNS1_3genE8ELNS1_11target_archE1030ELNS1_3gpuE2ELNS1_3repE0EEENS1_30default_config_static_selectorELNS0_4arch9wavefront6targetE0EEEvT1_,comdat
	.protected	_ZN7rocprim17ROCPRIM_400000_NS6detail17trampoline_kernelINS0_14default_configENS1_25partition_config_selectorILNS1_17partition_subalgoE9EddbEEZZNS1_14partition_implILS5_9ELb0ES3_jN6thrust23THRUST_200600_302600_NS6detail15normal_iteratorINS9_10device_ptrIdEEEESE_PNS0_10empty_typeENS0_5tupleIJSE_SF_EEENSH_IJSE_SG_EEENS0_18inequality_wrapperINS9_8equal_toIdEEEEPmJSF_EEE10hipError_tPvRmT3_T4_T5_T6_T7_T9_mT8_P12ihipStream_tbDpT10_ENKUlT_T0_E_clISt17integral_constantIbLb1EES18_EEDaS13_S14_EUlS13_E_NS1_11comp_targetILNS1_3genE8ELNS1_11target_archE1030ELNS1_3gpuE2ELNS1_3repE0EEENS1_30default_config_static_selectorELNS0_4arch9wavefront6targetE0EEEvT1_ ; -- Begin function _ZN7rocprim17ROCPRIM_400000_NS6detail17trampoline_kernelINS0_14default_configENS1_25partition_config_selectorILNS1_17partition_subalgoE9EddbEEZZNS1_14partition_implILS5_9ELb0ES3_jN6thrust23THRUST_200600_302600_NS6detail15normal_iteratorINS9_10device_ptrIdEEEESE_PNS0_10empty_typeENS0_5tupleIJSE_SF_EEENSH_IJSE_SG_EEENS0_18inequality_wrapperINS9_8equal_toIdEEEEPmJSF_EEE10hipError_tPvRmT3_T4_T5_T6_T7_T9_mT8_P12ihipStream_tbDpT10_ENKUlT_T0_E_clISt17integral_constantIbLb1EES18_EEDaS13_S14_EUlS13_E_NS1_11comp_targetILNS1_3genE8ELNS1_11target_archE1030ELNS1_3gpuE2ELNS1_3repE0EEENS1_30default_config_static_selectorELNS0_4arch9wavefront6targetE0EEEvT1_
	.globl	_ZN7rocprim17ROCPRIM_400000_NS6detail17trampoline_kernelINS0_14default_configENS1_25partition_config_selectorILNS1_17partition_subalgoE9EddbEEZZNS1_14partition_implILS5_9ELb0ES3_jN6thrust23THRUST_200600_302600_NS6detail15normal_iteratorINS9_10device_ptrIdEEEESE_PNS0_10empty_typeENS0_5tupleIJSE_SF_EEENSH_IJSE_SG_EEENS0_18inequality_wrapperINS9_8equal_toIdEEEEPmJSF_EEE10hipError_tPvRmT3_T4_T5_T6_T7_T9_mT8_P12ihipStream_tbDpT10_ENKUlT_T0_E_clISt17integral_constantIbLb1EES18_EEDaS13_S14_EUlS13_E_NS1_11comp_targetILNS1_3genE8ELNS1_11target_archE1030ELNS1_3gpuE2ELNS1_3repE0EEENS1_30default_config_static_selectorELNS0_4arch9wavefront6targetE0EEEvT1_
	.p2align	8
	.type	_ZN7rocprim17ROCPRIM_400000_NS6detail17trampoline_kernelINS0_14default_configENS1_25partition_config_selectorILNS1_17partition_subalgoE9EddbEEZZNS1_14partition_implILS5_9ELb0ES3_jN6thrust23THRUST_200600_302600_NS6detail15normal_iteratorINS9_10device_ptrIdEEEESE_PNS0_10empty_typeENS0_5tupleIJSE_SF_EEENSH_IJSE_SG_EEENS0_18inequality_wrapperINS9_8equal_toIdEEEEPmJSF_EEE10hipError_tPvRmT3_T4_T5_T6_T7_T9_mT8_P12ihipStream_tbDpT10_ENKUlT_T0_E_clISt17integral_constantIbLb1EES18_EEDaS13_S14_EUlS13_E_NS1_11comp_targetILNS1_3genE8ELNS1_11target_archE1030ELNS1_3gpuE2ELNS1_3repE0EEENS1_30default_config_static_selectorELNS0_4arch9wavefront6targetE0EEEvT1_,@function
_ZN7rocprim17ROCPRIM_400000_NS6detail17trampoline_kernelINS0_14default_configENS1_25partition_config_selectorILNS1_17partition_subalgoE9EddbEEZZNS1_14partition_implILS5_9ELb0ES3_jN6thrust23THRUST_200600_302600_NS6detail15normal_iteratorINS9_10device_ptrIdEEEESE_PNS0_10empty_typeENS0_5tupleIJSE_SF_EEENSH_IJSE_SG_EEENS0_18inequality_wrapperINS9_8equal_toIdEEEEPmJSF_EEE10hipError_tPvRmT3_T4_T5_T6_T7_T9_mT8_P12ihipStream_tbDpT10_ENKUlT_T0_E_clISt17integral_constantIbLb1EES18_EEDaS13_S14_EUlS13_E_NS1_11comp_targetILNS1_3genE8ELNS1_11target_archE1030ELNS1_3gpuE2ELNS1_3repE0EEENS1_30default_config_static_selectorELNS0_4arch9wavefront6targetE0EEEvT1_: ; @_ZN7rocprim17ROCPRIM_400000_NS6detail17trampoline_kernelINS0_14default_configENS1_25partition_config_selectorILNS1_17partition_subalgoE9EddbEEZZNS1_14partition_implILS5_9ELb0ES3_jN6thrust23THRUST_200600_302600_NS6detail15normal_iteratorINS9_10device_ptrIdEEEESE_PNS0_10empty_typeENS0_5tupleIJSE_SF_EEENSH_IJSE_SG_EEENS0_18inequality_wrapperINS9_8equal_toIdEEEEPmJSF_EEE10hipError_tPvRmT3_T4_T5_T6_T7_T9_mT8_P12ihipStream_tbDpT10_ENKUlT_T0_E_clISt17integral_constantIbLb1EES18_EEDaS13_S14_EUlS13_E_NS1_11comp_targetILNS1_3genE8ELNS1_11target_archE1030ELNS1_3gpuE2ELNS1_3repE0EEENS1_30default_config_static_selectorELNS0_4arch9wavefront6targetE0EEEvT1_
; %bb.0:
	.section	.rodata,"a",@progbits
	.p2align	6, 0x0
	.amdhsa_kernel _ZN7rocprim17ROCPRIM_400000_NS6detail17trampoline_kernelINS0_14default_configENS1_25partition_config_selectorILNS1_17partition_subalgoE9EddbEEZZNS1_14partition_implILS5_9ELb0ES3_jN6thrust23THRUST_200600_302600_NS6detail15normal_iteratorINS9_10device_ptrIdEEEESE_PNS0_10empty_typeENS0_5tupleIJSE_SF_EEENSH_IJSE_SG_EEENS0_18inequality_wrapperINS9_8equal_toIdEEEEPmJSF_EEE10hipError_tPvRmT3_T4_T5_T6_T7_T9_mT8_P12ihipStream_tbDpT10_ENKUlT_T0_E_clISt17integral_constantIbLb1EES18_EEDaS13_S14_EUlS13_E_NS1_11comp_targetILNS1_3genE8ELNS1_11target_archE1030ELNS1_3gpuE2ELNS1_3repE0EEENS1_30default_config_static_selectorELNS0_4arch9wavefront6targetE0EEEvT1_
		.amdhsa_group_segment_fixed_size 0
		.amdhsa_private_segment_fixed_size 0
		.amdhsa_kernarg_size 128
		.amdhsa_user_sgpr_count 15
		.amdhsa_user_sgpr_dispatch_ptr 0
		.amdhsa_user_sgpr_queue_ptr 0
		.amdhsa_user_sgpr_kernarg_segment_ptr 1
		.amdhsa_user_sgpr_dispatch_id 0
		.amdhsa_user_sgpr_private_segment_size 0
		.amdhsa_wavefront_size32 1
		.amdhsa_uses_dynamic_stack 0
		.amdhsa_enable_private_segment 0
		.amdhsa_system_sgpr_workgroup_id_x 1
		.amdhsa_system_sgpr_workgroup_id_y 0
		.amdhsa_system_sgpr_workgroup_id_z 0
		.amdhsa_system_sgpr_workgroup_info 0
		.amdhsa_system_vgpr_workitem_id 0
		.amdhsa_next_free_vgpr 1
		.amdhsa_next_free_sgpr 1
		.amdhsa_reserve_vcc 0
		.amdhsa_float_round_mode_32 0
		.amdhsa_float_round_mode_16_64 0
		.amdhsa_float_denorm_mode_32 3
		.amdhsa_float_denorm_mode_16_64 3
		.amdhsa_dx10_clamp 1
		.amdhsa_ieee_mode 1
		.amdhsa_fp16_overflow 0
		.amdhsa_workgroup_processor_mode 1
		.amdhsa_memory_ordered 1
		.amdhsa_forward_progress 0
		.amdhsa_shared_vgpr_count 0
		.amdhsa_exception_fp_ieee_invalid_op 0
		.amdhsa_exception_fp_denorm_src 0
		.amdhsa_exception_fp_ieee_div_zero 0
		.amdhsa_exception_fp_ieee_overflow 0
		.amdhsa_exception_fp_ieee_underflow 0
		.amdhsa_exception_fp_ieee_inexact 0
		.amdhsa_exception_int_div_zero 0
	.end_amdhsa_kernel
	.section	.text._ZN7rocprim17ROCPRIM_400000_NS6detail17trampoline_kernelINS0_14default_configENS1_25partition_config_selectorILNS1_17partition_subalgoE9EddbEEZZNS1_14partition_implILS5_9ELb0ES3_jN6thrust23THRUST_200600_302600_NS6detail15normal_iteratorINS9_10device_ptrIdEEEESE_PNS0_10empty_typeENS0_5tupleIJSE_SF_EEENSH_IJSE_SG_EEENS0_18inequality_wrapperINS9_8equal_toIdEEEEPmJSF_EEE10hipError_tPvRmT3_T4_T5_T6_T7_T9_mT8_P12ihipStream_tbDpT10_ENKUlT_T0_E_clISt17integral_constantIbLb1EES18_EEDaS13_S14_EUlS13_E_NS1_11comp_targetILNS1_3genE8ELNS1_11target_archE1030ELNS1_3gpuE2ELNS1_3repE0EEENS1_30default_config_static_selectorELNS0_4arch9wavefront6targetE0EEEvT1_,"axG",@progbits,_ZN7rocprim17ROCPRIM_400000_NS6detail17trampoline_kernelINS0_14default_configENS1_25partition_config_selectorILNS1_17partition_subalgoE9EddbEEZZNS1_14partition_implILS5_9ELb0ES3_jN6thrust23THRUST_200600_302600_NS6detail15normal_iteratorINS9_10device_ptrIdEEEESE_PNS0_10empty_typeENS0_5tupleIJSE_SF_EEENSH_IJSE_SG_EEENS0_18inequality_wrapperINS9_8equal_toIdEEEEPmJSF_EEE10hipError_tPvRmT3_T4_T5_T6_T7_T9_mT8_P12ihipStream_tbDpT10_ENKUlT_T0_E_clISt17integral_constantIbLb1EES18_EEDaS13_S14_EUlS13_E_NS1_11comp_targetILNS1_3genE8ELNS1_11target_archE1030ELNS1_3gpuE2ELNS1_3repE0EEENS1_30default_config_static_selectorELNS0_4arch9wavefront6targetE0EEEvT1_,comdat
.Lfunc_end28:
	.size	_ZN7rocprim17ROCPRIM_400000_NS6detail17trampoline_kernelINS0_14default_configENS1_25partition_config_selectorILNS1_17partition_subalgoE9EddbEEZZNS1_14partition_implILS5_9ELb0ES3_jN6thrust23THRUST_200600_302600_NS6detail15normal_iteratorINS9_10device_ptrIdEEEESE_PNS0_10empty_typeENS0_5tupleIJSE_SF_EEENSH_IJSE_SG_EEENS0_18inequality_wrapperINS9_8equal_toIdEEEEPmJSF_EEE10hipError_tPvRmT3_T4_T5_T6_T7_T9_mT8_P12ihipStream_tbDpT10_ENKUlT_T0_E_clISt17integral_constantIbLb1EES18_EEDaS13_S14_EUlS13_E_NS1_11comp_targetILNS1_3genE8ELNS1_11target_archE1030ELNS1_3gpuE2ELNS1_3repE0EEENS1_30default_config_static_selectorELNS0_4arch9wavefront6targetE0EEEvT1_, .Lfunc_end28-_ZN7rocprim17ROCPRIM_400000_NS6detail17trampoline_kernelINS0_14default_configENS1_25partition_config_selectorILNS1_17partition_subalgoE9EddbEEZZNS1_14partition_implILS5_9ELb0ES3_jN6thrust23THRUST_200600_302600_NS6detail15normal_iteratorINS9_10device_ptrIdEEEESE_PNS0_10empty_typeENS0_5tupleIJSE_SF_EEENSH_IJSE_SG_EEENS0_18inequality_wrapperINS9_8equal_toIdEEEEPmJSF_EEE10hipError_tPvRmT3_T4_T5_T6_T7_T9_mT8_P12ihipStream_tbDpT10_ENKUlT_T0_E_clISt17integral_constantIbLb1EES18_EEDaS13_S14_EUlS13_E_NS1_11comp_targetILNS1_3genE8ELNS1_11target_archE1030ELNS1_3gpuE2ELNS1_3repE0EEENS1_30default_config_static_selectorELNS0_4arch9wavefront6targetE0EEEvT1_
                                        ; -- End function
	.section	.AMDGPU.csdata,"",@progbits
; Kernel info:
; codeLenInByte = 0
; NumSgprs: 0
; NumVgprs: 0
; ScratchSize: 0
; MemoryBound: 0
; FloatMode: 240
; IeeeMode: 1
; LDSByteSize: 0 bytes/workgroup (compile time only)
; SGPRBlocks: 0
; VGPRBlocks: 0
; NumSGPRsForWavesPerEU: 1
; NumVGPRsForWavesPerEU: 1
; Occupancy: 16
; WaveLimiterHint : 0
; COMPUTE_PGM_RSRC2:SCRATCH_EN: 0
; COMPUTE_PGM_RSRC2:USER_SGPR: 15
; COMPUTE_PGM_RSRC2:TRAP_HANDLER: 0
; COMPUTE_PGM_RSRC2:TGID_X_EN: 1
; COMPUTE_PGM_RSRC2:TGID_Y_EN: 0
; COMPUTE_PGM_RSRC2:TGID_Z_EN: 0
; COMPUTE_PGM_RSRC2:TIDIG_COMP_CNT: 0
	.section	.text._ZN7rocprim17ROCPRIM_400000_NS6detail31init_lookback_scan_state_kernelINS1_19lookback_scan_stateIjLb1ELb1EEENS1_16block_id_wrapperIjLb0EEEEEvT_jT0_jPNS7_10value_typeE,"axG",@progbits,_ZN7rocprim17ROCPRIM_400000_NS6detail31init_lookback_scan_state_kernelINS1_19lookback_scan_stateIjLb1ELb1EEENS1_16block_id_wrapperIjLb0EEEEEvT_jT0_jPNS7_10value_typeE,comdat
	.protected	_ZN7rocprim17ROCPRIM_400000_NS6detail31init_lookback_scan_state_kernelINS1_19lookback_scan_stateIjLb1ELb1EEENS1_16block_id_wrapperIjLb0EEEEEvT_jT0_jPNS7_10value_typeE ; -- Begin function _ZN7rocprim17ROCPRIM_400000_NS6detail31init_lookback_scan_state_kernelINS1_19lookback_scan_stateIjLb1ELb1EEENS1_16block_id_wrapperIjLb0EEEEEvT_jT0_jPNS7_10value_typeE
	.globl	_ZN7rocprim17ROCPRIM_400000_NS6detail31init_lookback_scan_state_kernelINS1_19lookback_scan_stateIjLb1ELb1EEENS1_16block_id_wrapperIjLb0EEEEEvT_jT0_jPNS7_10value_typeE
	.p2align	8
	.type	_ZN7rocprim17ROCPRIM_400000_NS6detail31init_lookback_scan_state_kernelINS1_19lookback_scan_stateIjLb1ELb1EEENS1_16block_id_wrapperIjLb0EEEEEvT_jT0_jPNS7_10value_typeE,@function
_ZN7rocprim17ROCPRIM_400000_NS6detail31init_lookback_scan_state_kernelINS1_19lookback_scan_stateIjLb1ELb1EEENS1_16block_id_wrapperIjLb0EEEEEvT_jT0_jPNS7_10value_typeE: ; @_ZN7rocprim17ROCPRIM_400000_NS6detail31init_lookback_scan_state_kernelINS1_19lookback_scan_stateIjLb1ELb1EEENS1_16block_id_wrapperIjLb0EEEEEvT_jT0_jPNS7_10value_typeE
; %bb.0:
	s_clause 0x3
	s_load_b32 s7, s[0:1], 0x2c
	s_load_b64 s[4:5], s[0:1], 0x18
	s_load_b64 s[2:3], s[0:1], 0x0
	s_load_b32 s6, s[0:1], 0x8
	s_waitcnt lgkmcnt(0)
	s_and_b32 s7, s7, 0xffff
	s_cmp_eq_u64 s[4:5], 0
	v_mad_u64_u32 v[1:2], null, s15, s7, v[0:1]
	s_cbranch_scc1 .LBB29_9
; %bb.1:
	s_load_b32 s0, s[0:1], 0x10
	s_waitcnt lgkmcnt(0)
	s_cmp_lt_u32 s0, s6
	s_cselect_b32 s1, s0, 0
	s_delay_alu instid0(VALU_DEP_1) | instid1(SALU_CYCLE_1)
	v_cmp_eq_u32_e32 vcc_lo, s1, v1
	s_mov_b32 s1, 0
	s_and_saveexec_b32 s7, vcc_lo
	s_cbranch_execz .LBB29_8
; %bb.2:
	s_add_i32 s0, s0, 32
	v_mov_b32_e32 v2, 0
	s_lshl_b64 s[0:1], s[0:1], 3
	s_delay_alu instid0(SALU_CYCLE_1) | instskip(SKIP_4) | instid1(VALU_DEP_1)
	s_add_u32 s0, s2, s0
	s_addc_u32 s1, s3, s1
	global_load_b64 v[4:5], v2, s[0:1] glc
	s_waitcnt vmcnt(0)
	v_and_b32_e32 v3, 0xff, v5
	v_cmp_ne_u64_e32 vcc_lo, 0, v[2:3]
	s_cbranch_vccnz .LBB29_7
; %bb.3:
	s_mov_b32 s8, 1
.LBB29_4:                               ; =>This Loop Header: Depth=1
                                        ;     Child Loop BB29_5 Depth 2
	s_delay_alu instid0(SALU_CYCLE_1)
	s_max_u32 s9, s8, 1
.LBB29_5:                               ;   Parent Loop BB29_4 Depth=1
                                        ; =>  This Inner Loop Header: Depth=2
	s_delay_alu instid0(SALU_CYCLE_1)
	s_add_i32 s9, s9, -1
	s_sleep 1
	s_cmp_eq_u32 s9, 0
	s_cbranch_scc0 .LBB29_5
; %bb.6:                                ;   in Loop: Header=BB29_4 Depth=1
	global_load_b64 v[4:5], v2, s[0:1] glc
	s_cmp_lt_u32 s8, 32
	s_cselect_b32 s9, -1, 0
	s_delay_alu instid0(SALU_CYCLE_1) | instskip(SKIP_3) | instid1(VALU_DEP_1)
	s_cmp_lg_u32 s9, 0
	s_addc_u32 s8, s8, 0
	s_waitcnt vmcnt(0)
	v_and_b32_e32 v3, 0xff, v5
	v_cmp_ne_u64_e32 vcc_lo, 0, v[2:3]
	s_cbranch_vccz .LBB29_4
.LBB29_7:
	v_mov_b32_e32 v0, 0
	global_store_b32 v0, v4, s[4:5]
.LBB29_8:
	s_or_b32 exec_lo, exec_lo, s7
.LBB29_9:
	s_delay_alu instid0(SALU_CYCLE_1) | instskip(NEXT) | instid1(VALU_DEP_1)
	s_mov_b32 s0, exec_lo
	v_cmpx_gt_u32_e64 s6, v1
	s_cbranch_execz .LBB29_11
; %bb.10:
	v_dual_mov_b32 v3, 0 :: v_dual_add_nc_u32 v2, 32, v1
	s_delay_alu instid0(VALU_DEP_1) | instskip(SKIP_1) | instid1(VALU_DEP_2)
	v_lshlrev_b64 v[4:5], 3, v[2:3]
	v_mov_b32_e32 v2, v3
	v_add_co_u32 v4, vcc_lo, s2, v4
	s_delay_alu instid0(VALU_DEP_3)
	v_add_co_ci_u32_e32 v5, vcc_lo, s3, v5, vcc_lo
	global_store_b64 v[4:5], v[2:3], off
.LBB29_11:
	s_or_b32 exec_lo, exec_lo, s0
	s_delay_alu instid0(SALU_CYCLE_1)
	s_mov_b32 s0, exec_lo
	v_cmpx_gt_u32_e32 32, v1
	s_cbranch_execz .LBB29_13
; %bb.12:
	v_dual_mov_b32 v2, 0 :: v_dual_mov_b32 v3, 0xff
	s_delay_alu instid0(VALU_DEP_1) | instskip(NEXT) | instid1(VALU_DEP_1)
	v_lshlrev_b64 v[0:1], 3, v[1:2]
	v_add_co_u32 v0, vcc_lo, s2, v0
	s_delay_alu instid0(VALU_DEP_2)
	v_add_co_ci_u32_e32 v1, vcc_lo, s3, v1, vcc_lo
	global_store_b64 v[0:1], v[2:3], off
.LBB29_13:
	s_nop 0
	s_sendmsg sendmsg(MSG_DEALLOC_VGPRS)
	s_endpgm
	.section	.rodata,"a",@progbits
	.p2align	6, 0x0
	.amdhsa_kernel _ZN7rocprim17ROCPRIM_400000_NS6detail31init_lookback_scan_state_kernelINS1_19lookback_scan_stateIjLb1ELb1EEENS1_16block_id_wrapperIjLb0EEEEEvT_jT0_jPNS7_10value_typeE
		.amdhsa_group_segment_fixed_size 0
		.amdhsa_private_segment_fixed_size 0
		.amdhsa_kernarg_size 288
		.amdhsa_user_sgpr_count 15
		.amdhsa_user_sgpr_dispatch_ptr 0
		.amdhsa_user_sgpr_queue_ptr 0
		.amdhsa_user_sgpr_kernarg_segment_ptr 1
		.amdhsa_user_sgpr_dispatch_id 0
		.amdhsa_user_sgpr_private_segment_size 0
		.amdhsa_wavefront_size32 1
		.amdhsa_uses_dynamic_stack 0
		.amdhsa_enable_private_segment 0
		.amdhsa_system_sgpr_workgroup_id_x 1
		.amdhsa_system_sgpr_workgroup_id_y 0
		.amdhsa_system_sgpr_workgroup_id_z 0
		.amdhsa_system_sgpr_workgroup_info 0
		.amdhsa_system_vgpr_workitem_id 0
		.amdhsa_next_free_vgpr 6
		.amdhsa_next_free_sgpr 16
		.amdhsa_reserve_vcc 1
		.amdhsa_float_round_mode_32 0
		.amdhsa_float_round_mode_16_64 0
		.amdhsa_float_denorm_mode_32 3
		.amdhsa_float_denorm_mode_16_64 3
		.amdhsa_dx10_clamp 1
		.amdhsa_ieee_mode 1
		.amdhsa_fp16_overflow 0
		.amdhsa_workgroup_processor_mode 1
		.amdhsa_memory_ordered 1
		.amdhsa_forward_progress 0
		.amdhsa_shared_vgpr_count 0
		.amdhsa_exception_fp_ieee_invalid_op 0
		.amdhsa_exception_fp_denorm_src 0
		.amdhsa_exception_fp_ieee_div_zero 0
		.amdhsa_exception_fp_ieee_overflow 0
		.amdhsa_exception_fp_ieee_underflow 0
		.amdhsa_exception_fp_ieee_inexact 0
		.amdhsa_exception_int_div_zero 0
	.end_amdhsa_kernel
	.section	.text._ZN7rocprim17ROCPRIM_400000_NS6detail31init_lookback_scan_state_kernelINS1_19lookback_scan_stateIjLb1ELb1EEENS1_16block_id_wrapperIjLb0EEEEEvT_jT0_jPNS7_10value_typeE,"axG",@progbits,_ZN7rocprim17ROCPRIM_400000_NS6detail31init_lookback_scan_state_kernelINS1_19lookback_scan_stateIjLb1ELb1EEENS1_16block_id_wrapperIjLb0EEEEEvT_jT0_jPNS7_10value_typeE,comdat
.Lfunc_end29:
	.size	_ZN7rocprim17ROCPRIM_400000_NS6detail31init_lookback_scan_state_kernelINS1_19lookback_scan_stateIjLb1ELb1EEENS1_16block_id_wrapperIjLb0EEEEEvT_jT0_jPNS7_10value_typeE, .Lfunc_end29-_ZN7rocprim17ROCPRIM_400000_NS6detail31init_lookback_scan_state_kernelINS1_19lookback_scan_stateIjLb1ELb1EEENS1_16block_id_wrapperIjLb0EEEEEvT_jT0_jPNS7_10value_typeE
                                        ; -- End function
	.section	.AMDGPU.csdata,"",@progbits
; Kernel info:
; codeLenInByte = 400
; NumSgprs: 18
; NumVgprs: 6
; ScratchSize: 0
; MemoryBound: 0
; FloatMode: 240
; IeeeMode: 1
; LDSByteSize: 0 bytes/workgroup (compile time only)
; SGPRBlocks: 2
; VGPRBlocks: 0
; NumSGPRsForWavesPerEU: 18
; NumVGPRsForWavesPerEU: 6
; Occupancy: 16
; WaveLimiterHint : 0
; COMPUTE_PGM_RSRC2:SCRATCH_EN: 0
; COMPUTE_PGM_RSRC2:USER_SGPR: 15
; COMPUTE_PGM_RSRC2:TRAP_HANDLER: 0
; COMPUTE_PGM_RSRC2:TGID_X_EN: 1
; COMPUTE_PGM_RSRC2:TGID_Y_EN: 0
; COMPUTE_PGM_RSRC2:TGID_Z_EN: 0
; COMPUTE_PGM_RSRC2:TIDIG_COMP_CNT: 0
	.section	.text._ZN7rocprim17ROCPRIM_400000_NS6detail17trampoline_kernelINS0_14default_configENS1_25partition_config_selectorILNS1_17partition_subalgoE9EddbEEZZNS1_14partition_implILS5_9ELb0ES3_jN6thrust23THRUST_200600_302600_NS6detail15normal_iteratorINS9_10device_ptrIdEEEESE_PNS0_10empty_typeENS0_5tupleIJSE_SF_EEENSH_IJSE_SG_EEENS0_18inequality_wrapperINS9_8equal_toIdEEEEPmJSF_EEE10hipError_tPvRmT3_T4_T5_T6_T7_T9_mT8_P12ihipStream_tbDpT10_ENKUlT_T0_E_clISt17integral_constantIbLb1EES17_IbLb0EEEEDaS13_S14_EUlS13_E_NS1_11comp_targetILNS1_3genE0ELNS1_11target_archE4294967295ELNS1_3gpuE0ELNS1_3repE0EEENS1_30default_config_static_selectorELNS0_4arch9wavefront6targetE0EEEvT1_,"axG",@progbits,_ZN7rocprim17ROCPRIM_400000_NS6detail17trampoline_kernelINS0_14default_configENS1_25partition_config_selectorILNS1_17partition_subalgoE9EddbEEZZNS1_14partition_implILS5_9ELb0ES3_jN6thrust23THRUST_200600_302600_NS6detail15normal_iteratorINS9_10device_ptrIdEEEESE_PNS0_10empty_typeENS0_5tupleIJSE_SF_EEENSH_IJSE_SG_EEENS0_18inequality_wrapperINS9_8equal_toIdEEEEPmJSF_EEE10hipError_tPvRmT3_T4_T5_T6_T7_T9_mT8_P12ihipStream_tbDpT10_ENKUlT_T0_E_clISt17integral_constantIbLb1EES17_IbLb0EEEEDaS13_S14_EUlS13_E_NS1_11comp_targetILNS1_3genE0ELNS1_11target_archE4294967295ELNS1_3gpuE0ELNS1_3repE0EEENS1_30default_config_static_selectorELNS0_4arch9wavefront6targetE0EEEvT1_,comdat
	.protected	_ZN7rocprim17ROCPRIM_400000_NS6detail17trampoline_kernelINS0_14default_configENS1_25partition_config_selectorILNS1_17partition_subalgoE9EddbEEZZNS1_14partition_implILS5_9ELb0ES3_jN6thrust23THRUST_200600_302600_NS6detail15normal_iteratorINS9_10device_ptrIdEEEESE_PNS0_10empty_typeENS0_5tupleIJSE_SF_EEENSH_IJSE_SG_EEENS0_18inequality_wrapperINS9_8equal_toIdEEEEPmJSF_EEE10hipError_tPvRmT3_T4_T5_T6_T7_T9_mT8_P12ihipStream_tbDpT10_ENKUlT_T0_E_clISt17integral_constantIbLb1EES17_IbLb0EEEEDaS13_S14_EUlS13_E_NS1_11comp_targetILNS1_3genE0ELNS1_11target_archE4294967295ELNS1_3gpuE0ELNS1_3repE0EEENS1_30default_config_static_selectorELNS0_4arch9wavefront6targetE0EEEvT1_ ; -- Begin function _ZN7rocprim17ROCPRIM_400000_NS6detail17trampoline_kernelINS0_14default_configENS1_25partition_config_selectorILNS1_17partition_subalgoE9EddbEEZZNS1_14partition_implILS5_9ELb0ES3_jN6thrust23THRUST_200600_302600_NS6detail15normal_iteratorINS9_10device_ptrIdEEEESE_PNS0_10empty_typeENS0_5tupleIJSE_SF_EEENSH_IJSE_SG_EEENS0_18inequality_wrapperINS9_8equal_toIdEEEEPmJSF_EEE10hipError_tPvRmT3_T4_T5_T6_T7_T9_mT8_P12ihipStream_tbDpT10_ENKUlT_T0_E_clISt17integral_constantIbLb1EES17_IbLb0EEEEDaS13_S14_EUlS13_E_NS1_11comp_targetILNS1_3genE0ELNS1_11target_archE4294967295ELNS1_3gpuE0ELNS1_3repE0EEENS1_30default_config_static_selectorELNS0_4arch9wavefront6targetE0EEEvT1_
	.globl	_ZN7rocprim17ROCPRIM_400000_NS6detail17trampoline_kernelINS0_14default_configENS1_25partition_config_selectorILNS1_17partition_subalgoE9EddbEEZZNS1_14partition_implILS5_9ELb0ES3_jN6thrust23THRUST_200600_302600_NS6detail15normal_iteratorINS9_10device_ptrIdEEEESE_PNS0_10empty_typeENS0_5tupleIJSE_SF_EEENSH_IJSE_SG_EEENS0_18inequality_wrapperINS9_8equal_toIdEEEEPmJSF_EEE10hipError_tPvRmT3_T4_T5_T6_T7_T9_mT8_P12ihipStream_tbDpT10_ENKUlT_T0_E_clISt17integral_constantIbLb1EES17_IbLb0EEEEDaS13_S14_EUlS13_E_NS1_11comp_targetILNS1_3genE0ELNS1_11target_archE4294967295ELNS1_3gpuE0ELNS1_3repE0EEENS1_30default_config_static_selectorELNS0_4arch9wavefront6targetE0EEEvT1_
	.p2align	8
	.type	_ZN7rocprim17ROCPRIM_400000_NS6detail17trampoline_kernelINS0_14default_configENS1_25partition_config_selectorILNS1_17partition_subalgoE9EddbEEZZNS1_14partition_implILS5_9ELb0ES3_jN6thrust23THRUST_200600_302600_NS6detail15normal_iteratorINS9_10device_ptrIdEEEESE_PNS0_10empty_typeENS0_5tupleIJSE_SF_EEENSH_IJSE_SG_EEENS0_18inequality_wrapperINS9_8equal_toIdEEEEPmJSF_EEE10hipError_tPvRmT3_T4_T5_T6_T7_T9_mT8_P12ihipStream_tbDpT10_ENKUlT_T0_E_clISt17integral_constantIbLb1EES17_IbLb0EEEEDaS13_S14_EUlS13_E_NS1_11comp_targetILNS1_3genE0ELNS1_11target_archE4294967295ELNS1_3gpuE0ELNS1_3repE0EEENS1_30default_config_static_selectorELNS0_4arch9wavefront6targetE0EEEvT1_,@function
_ZN7rocprim17ROCPRIM_400000_NS6detail17trampoline_kernelINS0_14default_configENS1_25partition_config_selectorILNS1_17partition_subalgoE9EddbEEZZNS1_14partition_implILS5_9ELb0ES3_jN6thrust23THRUST_200600_302600_NS6detail15normal_iteratorINS9_10device_ptrIdEEEESE_PNS0_10empty_typeENS0_5tupleIJSE_SF_EEENSH_IJSE_SG_EEENS0_18inequality_wrapperINS9_8equal_toIdEEEEPmJSF_EEE10hipError_tPvRmT3_T4_T5_T6_T7_T9_mT8_P12ihipStream_tbDpT10_ENKUlT_T0_E_clISt17integral_constantIbLb1EES17_IbLb0EEEEDaS13_S14_EUlS13_E_NS1_11comp_targetILNS1_3genE0ELNS1_11target_archE4294967295ELNS1_3gpuE0ELNS1_3repE0EEENS1_30default_config_static_selectorELNS0_4arch9wavefront6targetE0EEEvT1_: ; @_ZN7rocprim17ROCPRIM_400000_NS6detail17trampoline_kernelINS0_14default_configENS1_25partition_config_selectorILNS1_17partition_subalgoE9EddbEEZZNS1_14partition_implILS5_9ELb0ES3_jN6thrust23THRUST_200600_302600_NS6detail15normal_iteratorINS9_10device_ptrIdEEEESE_PNS0_10empty_typeENS0_5tupleIJSE_SF_EEENSH_IJSE_SG_EEENS0_18inequality_wrapperINS9_8equal_toIdEEEEPmJSF_EEE10hipError_tPvRmT3_T4_T5_T6_T7_T9_mT8_P12ihipStream_tbDpT10_ENKUlT_T0_E_clISt17integral_constantIbLb1EES17_IbLb0EEEEDaS13_S14_EUlS13_E_NS1_11comp_targetILNS1_3genE0ELNS1_11target_archE4294967295ELNS1_3gpuE0ELNS1_3repE0EEENS1_30default_config_static_selectorELNS0_4arch9wavefront6targetE0EEEvT1_
; %bb.0:
	.section	.rodata,"a",@progbits
	.p2align	6, 0x0
	.amdhsa_kernel _ZN7rocprim17ROCPRIM_400000_NS6detail17trampoline_kernelINS0_14default_configENS1_25partition_config_selectorILNS1_17partition_subalgoE9EddbEEZZNS1_14partition_implILS5_9ELb0ES3_jN6thrust23THRUST_200600_302600_NS6detail15normal_iteratorINS9_10device_ptrIdEEEESE_PNS0_10empty_typeENS0_5tupleIJSE_SF_EEENSH_IJSE_SG_EEENS0_18inequality_wrapperINS9_8equal_toIdEEEEPmJSF_EEE10hipError_tPvRmT3_T4_T5_T6_T7_T9_mT8_P12ihipStream_tbDpT10_ENKUlT_T0_E_clISt17integral_constantIbLb1EES17_IbLb0EEEEDaS13_S14_EUlS13_E_NS1_11comp_targetILNS1_3genE0ELNS1_11target_archE4294967295ELNS1_3gpuE0ELNS1_3repE0EEENS1_30default_config_static_selectorELNS0_4arch9wavefront6targetE0EEEvT1_
		.amdhsa_group_segment_fixed_size 0
		.amdhsa_private_segment_fixed_size 0
		.amdhsa_kernarg_size 112
		.amdhsa_user_sgpr_count 15
		.amdhsa_user_sgpr_dispatch_ptr 0
		.amdhsa_user_sgpr_queue_ptr 0
		.amdhsa_user_sgpr_kernarg_segment_ptr 1
		.amdhsa_user_sgpr_dispatch_id 0
		.amdhsa_user_sgpr_private_segment_size 0
		.amdhsa_wavefront_size32 1
		.amdhsa_uses_dynamic_stack 0
		.amdhsa_enable_private_segment 0
		.amdhsa_system_sgpr_workgroup_id_x 1
		.amdhsa_system_sgpr_workgroup_id_y 0
		.amdhsa_system_sgpr_workgroup_id_z 0
		.amdhsa_system_sgpr_workgroup_info 0
		.amdhsa_system_vgpr_workitem_id 0
		.amdhsa_next_free_vgpr 1
		.amdhsa_next_free_sgpr 1
		.amdhsa_reserve_vcc 0
		.amdhsa_float_round_mode_32 0
		.amdhsa_float_round_mode_16_64 0
		.amdhsa_float_denorm_mode_32 3
		.amdhsa_float_denorm_mode_16_64 3
		.amdhsa_dx10_clamp 1
		.amdhsa_ieee_mode 1
		.amdhsa_fp16_overflow 0
		.amdhsa_workgroup_processor_mode 1
		.amdhsa_memory_ordered 1
		.amdhsa_forward_progress 0
		.amdhsa_shared_vgpr_count 0
		.amdhsa_exception_fp_ieee_invalid_op 0
		.amdhsa_exception_fp_denorm_src 0
		.amdhsa_exception_fp_ieee_div_zero 0
		.amdhsa_exception_fp_ieee_overflow 0
		.amdhsa_exception_fp_ieee_underflow 0
		.amdhsa_exception_fp_ieee_inexact 0
		.amdhsa_exception_int_div_zero 0
	.end_amdhsa_kernel
	.section	.text._ZN7rocprim17ROCPRIM_400000_NS6detail17trampoline_kernelINS0_14default_configENS1_25partition_config_selectorILNS1_17partition_subalgoE9EddbEEZZNS1_14partition_implILS5_9ELb0ES3_jN6thrust23THRUST_200600_302600_NS6detail15normal_iteratorINS9_10device_ptrIdEEEESE_PNS0_10empty_typeENS0_5tupleIJSE_SF_EEENSH_IJSE_SG_EEENS0_18inequality_wrapperINS9_8equal_toIdEEEEPmJSF_EEE10hipError_tPvRmT3_T4_T5_T6_T7_T9_mT8_P12ihipStream_tbDpT10_ENKUlT_T0_E_clISt17integral_constantIbLb1EES17_IbLb0EEEEDaS13_S14_EUlS13_E_NS1_11comp_targetILNS1_3genE0ELNS1_11target_archE4294967295ELNS1_3gpuE0ELNS1_3repE0EEENS1_30default_config_static_selectorELNS0_4arch9wavefront6targetE0EEEvT1_,"axG",@progbits,_ZN7rocprim17ROCPRIM_400000_NS6detail17trampoline_kernelINS0_14default_configENS1_25partition_config_selectorILNS1_17partition_subalgoE9EddbEEZZNS1_14partition_implILS5_9ELb0ES3_jN6thrust23THRUST_200600_302600_NS6detail15normal_iteratorINS9_10device_ptrIdEEEESE_PNS0_10empty_typeENS0_5tupleIJSE_SF_EEENSH_IJSE_SG_EEENS0_18inequality_wrapperINS9_8equal_toIdEEEEPmJSF_EEE10hipError_tPvRmT3_T4_T5_T6_T7_T9_mT8_P12ihipStream_tbDpT10_ENKUlT_T0_E_clISt17integral_constantIbLb1EES17_IbLb0EEEEDaS13_S14_EUlS13_E_NS1_11comp_targetILNS1_3genE0ELNS1_11target_archE4294967295ELNS1_3gpuE0ELNS1_3repE0EEENS1_30default_config_static_selectorELNS0_4arch9wavefront6targetE0EEEvT1_,comdat
.Lfunc_end30:
	.size	_ZN7rocprim17ROCPRIM_400000_NS6detail17trampoline_kernelINS0_14default_configENS1_25partition_config_selectorILNS1_17partition_subalgoE9EddbEEZZNS1_14partition_implILS5_9ELb0ES3_jN6thrust23THRUST_200600_302600_NS6detail15normal_iteratorINS9_10device_ptrIdEEEESE_PNS0_10empty_typeENS0_5tupleIJSE_SF_EEENSH_IJSE_SG_EEENS0_18inequality_wrapperINS9_8equal_toIdEEEEPmJSF_EEE10hipError_tPvRmT3_T4_T5_T6_T7_T9_mT8_P12ihipStream_tbDpT10_ENKUlT_T0_E_clISt17integral_constantIbLb1EES17_IbLb0EEEEDaS13_S14_EUlS13_E_NS1_11comp_targetILNS1_3genE0ELNS1_11target_archE4294967295ELNS1_3gpuE0ELNS1_3repE0EEENS1_30default_config_static_selectorELNS0_4arch9wavefront6targetE0EEEvT1_, .Lfunc_end30-_ZN7rocprim17ROCPRIM_400000_NS6detail17trampoline_kernelINS0_14default_configENS1_25partition_config_selectorILNS1_17partition_subalgoE9EddbEEZZNS1_14partition_implILS5_9ELb0ES3_jN6thrust23THRUST_200600_302600_NS6detail15normal_iteratorINS9_10device_ptrIdEEEESE_PNS0_10empty_typeENS0_5tupleIJSE_SF_EEENSH_IJSE_SG_EEENS0_18inequality_wrapperINS9_8equal_toIdEEEEPmJSF_EEE10hipError_tPvRmT3_T4_T5_T6_T7_T9_mT8_P12ihipStream_tbDpT10_ENKUlT_T0_E_clISt17integral_constantIbLb1EES17_IbLb0EEEEDaS13_S14_EUlS13_E_NS1_11comp_targetILNS1_3genE0ELNS1_11target_archE4294967295ELNS1_3gpuE0ELNS1_3repE0EEENS1_30default_config_static_selectorELNS0_4arch9wavefront6targetE0EEEvT1_
                                        ; -- End function
	.section	.AMDGPU.csdata,"",@progbits
; Kernel info:
; codeLenInByte = 0
; NumSgprs: 0
; NumVgprs: 0
; ScratchSize: 0
; MemoryBound: 0
; FloatMode: 240
; IeeeMode: 1
; LDSByteSize: 0 bytes/workgroup (compile time only)
; SGPRBlocks: 0
; VGPRBlocks: 0
; NumSGPRsForWavesPerEU: 1
; NumVGPRsForWavesPerEU: 1
; Occupancy: 16
; WaveLimiterHint : 0
; COMPUTE_PGM_RSRC2:SCRATCH_EN: 0
; COMPUTE_PGM_RSRC2:USER_SGPR: 15
; COMPUTE_PGM_RSRC2:TRAP_HANDLER: 0
; COMPUTE_PGM_RSRC2:TGID_X_EN: 1
; COMPUTE_PGM_RSRC2:TGID_Y_EN: 0
; COMPUTE_PGM_RSRC2:TGID_Z_EN: 0
; COMPUTE_PGM_RSRC2:TIDIG_COMP_CNT: 0
	.section	.text._ZN7rocprim17ROCPRIM_400000_NS6detail17trampoline_kernelINS0_14default_configENS1_25partition_config_selectorILNS1_17partition_subalgoE9EddbEEZZNS1_14partition_implILS5_9ELb0ES3_jN6thrust23THRUST_200600_302600_NS6detail15normal_iteratorINS9_10device_ptrIdEEEESE_PNS0_10empty_typeENS0_5tupleIJSE_SF_EEENSH_IJSE_SG_EEENS0_18inequality_wrapperINS9_8equal_toIdEEEEPmJSF_EEE10hipError_tPvRmT3_T4_T5_T6_T7_T9_mT8_P12ihipStream_tbDpT10_ENKUlT_T0_E_clISt17integral_constantIbLb1EES17_IbLb0EEEEDaS13_S14_EUlS13_E_NS1_11comp_targetILNS1_3genE5ELNS1_11target_archE942ELNS1_3gpuE9ELNS1_3repE0EEENS1_30default_config_static_selectorELNS0_4arch9wavefront6targetE0EEEvT1_,"axG",@progbits,_ZN7rocprim17ROCPRIM_400000_NS6detail17trampoline_kernelINS0_14default_configENS1_25partition_config_selectorILNS1_17partition_subalgoE9EddbEEZZNS1_14partition_implILS5_9ELb0ES3_jN6thrust23THRUST_200600_302600_NS6detail15normal_iteratorINS9_10device_ptrIdEEEESE_PNS0_10empty_typeENS0_5tupleIJSE_SF_EEENSH_IJSE_SG_EEENS0_18inequality_wrapperINS9_8equal_toIdEEEEPmJSF_EEE10hipError_tPvRmT3_T4_T5_T6_T7_T9_mT8_P12ihipStream_tbDpT10_ENKUlT_T0_E_clISt17integral_constantIbLb1EES17_IbLb0EEEEDaS13_S14_EUlS13_E_NS1_11comp_targetILNS1_3genE5ELNS1_11target_archE942ELNS1_3gpuE9ELNS1_3repE0EEENS1_30default_config_static_selectorELNS0_4arch9wavefront6targetE0EEEvT1_,comdat
	.protected	_ZN7rocprim17ROCPRIM_400000_NS6detail17trampoline_kernelINS0_14default_configENS1_25partition_config_selectorILNS1_17partition_subalgoE9EddbEEZZNS1_14partition_implILS5_9ELb0ES3_jN6thrust23THRUST_200600_302600_NS6detail15normal_iteratorINS9_10device_ptrIdEEEESE_PNS0_10empty_typeENS0_5tupleIJSE_SF_EEENSH_IJSE_SG_EEENS0_18inequality_wrapperINS9_8equal_toIdEEEEPmJSF_EEE10hipError_tPvRmT3_T4_T5_T6_T7_T9_mT8_P12ihipStream_tbDpT10_ENKUlT_T0_E_clISt17integral_constantIbLb1EES17_IbLb0EEEEDaS13_S14_EUlS13_E_NS1_11comp_targetILNS1_3genE5ELNS1_11target_archE942ELNS1_3gpuE9ELNS1_3repE0EEENS1_30default_config_static_selectorELNS0_4arch9wavefront6targetE0EEEvT1_ ; -- Begin function _ZN7rocprim17ROCPRIM_400000_NS6detail17trampoline_kernelINS0_14default_configENS1_25partition_config_selectorILNS1_17partition_subalgoE9EddbEEZZNS1_14partition_implILS5_9ELb0ES3_jN6thrust23THRUST_200600_302600_NS6detail15normal_iteratorINS9_10device_ptrIdEEEESE_PNS0_10empty_typeENS0_5tupleIJSE_SF_EEENSH_IJSE_SG_EEENS0_18inequality_wrapperINS9_8equal_toIdEEEEPmJSF_EEE10hipError_tPvRmT3_T4_T5_T6_T7_T9_mT8_P12ihipStream_tbDpT10_ENKUlT_T0_E_clISt17integral_constantIbLb1EES17_IbLb0EEEEDaS13_S14_EUlS13_E_NS1_11comp_targetILNS1_3genE5ELNS1_11target_archE942ELNS1_3gpuE9ELNS1_3repE0EEENS1_30default_config_static_selectorELNS0_4arch9wavefront6targetE0EEEvT1_
	.globl	_ZN7rocprim17ROCPRIM_400000_NS6detail17trampoline_kernelINS0_14default_configENS1_25partition_config_selectorILNS1_17partition_subalgoE9EddbEEZZNS1_14partition_implILS5_9ELb0ES3_jN6thrust23THRUST_200600_302600_NS6detail15normal_iteratorINS9_10device_ptrIdEEEESE_PNS0_10empty_typeENS0_5tupleIJSE_SF_EEENSH_IJSE_SG_EEENS0_18inequality_wrapperINS9_8equal_toIdEEEEPmJSF_EEE10hipError_tPvRmT3_T4_T5_T6_T7_T9_mT8_P12ihipStream_tbDpT10_ENKUlT_T0_E_clISt17integral_constantIbLb1EES17_IbLb0EEEEDaS13_S14_EUlS13_E_NS1_11comp_targetILNS1_3genE5ELNS1_11target_archE942ELNS1_3gpuE9ELNS1_3repE0EEENS1_30default_config_static_selectorELNS0_4arch9wavefront6targetE0EEEvT1_
	.p2align	8
	.type	_ZN7rocprim17ROCPRIM_400000_NS6detail17trampoline_kernelINS0_14default_configENS1_25partition_config_selectorILNS1_17partition_subalgoE9EddbEEZZNS1_14partition_implILS5_9ELb0ES3_jN6thrust23THRUST_200600_302600_NS6detail15normal_iteratorINS9_10device_ptrIdEEEESE_PNS0_10empty_typeENS0_5tupleIJSE_SF_EEENSH_IJSE_SG_EEENS0_18inequality_wrapperINS9_8equal_toIdEEEEPmJSF_EEE10hipError_tPvRmT3_T4_T5_T6_T7_T9_mT8_P12ihipStream_tbDpT10_ENKUlT_T0_E_clISt17integral_constantIbLb1EES17_IbLb0EEEEDaS13_S14_EUlS13_E_NS1_11comp_targetILNS1_3genE5ELNS1_11target_archE942ELNS1_3gpuE9ELNS1_3repE0EEENS1_30default_config_static_selectorELNS0_4arch9wavefront6targetE0EEEvT1_,@function
_ZN7rocprim17ROCPRIM_400000_NS6detail17trampoline_kernelINS0_14default_configENS1_25partition_config_selectorILNS1_17partition_subalgoE9EddbEEZZNS1_14partition_implILS5_9ELb0ES3_jN6thrust23THRUST_200600_302600_NS6detail15normal_iteratorINS9_10device_ptrIdEEEESE_PNS0_10empty_typeENS0_5tupleIJSE_SF_EEENSH_IJSE_SG_EEENS0_18inequality_wrapperINS9_8equal_toIdEEEEPmJSF_EEE10hipError_tPvRmT3_T4_T5_T6_T7_T9_mT8_P12ihipStream_tbDpT10_ENKUlT_T0_E_clISt17integral_constantIbLb1EES17_IbLb0EEEEDaS13_S14_EUlS13_E_NS1_11comp_targetILNS1_3genE5ELNS1_11target_archE942ELNS1_3gpuE9ELNS1_3repE0EEENS1_30default_config_static_selectorELNS0_4arch9wavefront6targetE0EEEvT1_: ; @_ZN7rocprim17ROCPRIM_400000_NS6detail17trampoline_kernelINS0_14default_configENS1_25partition_config_selectorILNS1_17partition_subalgoE9EddbEEZZNS1_14partition_implILS5_9ELb0ES3_jN6thrust23THRUST_200600_302600_NS6detail15normal_iteratorINS9_10device_ptrIdEEEESE_PNS0_10empty_typeENS0_5tupleIJSE_SF_EEENSH_IJSE_SG_EEENS0_18inequality_wrapperINS9_8equal_toIdEEEEPmJSF_EEE10hipError_tPvRmT3_T4_T5_T6_T7_T9_mT8_P12ihipStream_tbDpT10_ENKUlT_T0_E_clISt17integral_constantIbLb1EES17_IbLb0EEEEDaS13_S14_EUlS13_E_NS1_11comp_targetILNS1_3genE5ELNS1_11target_archE942ELNS1_3gpuE9ELNS1_3repE0EEENS1_30default_config_static_selectorELNS0_4arch9wavefront6targetE0EEEvT1_
; %bb.0:
	.section	.rodata,"a",@progbits
	.p2align	6, 0x0
	.amdhsa_kernel _ZN7rocprim17ROCPRIM_400000_NS6detail17trampoline_kernelINS0_14default_configENS1_25partition_config_selectorILNS1_17partition_subalgoE9EddbEEZZNS1_14partition_implILS5_9ELb0ES3_jN6thrust23THRUST_200600_302600_NS6detail15normal_iteratorINS9_10device_ptrIdEEEESE_PNS0_10empty_typeENS0_5tupleIJSE_SF_EEENSH_IJSE_SG_EEENS0_18inequality_wrapperINS9_8equal_toIdEEEEPmJSF_EEE10hipError_tPvRmT3_T4_T5_T6_T7_T9_mT8_P12ihipStream_tbDpT10_ENKUlT_T0_E_clISt17integral_constantIbLb1EES17_IbLb0EEEEDaS13_S14_EUlS13_E_NS1_11comp_targetILNS1_3genE5ELNS1_11target_archE942ELNS1_3gpuE9ELNS1_3repE0EEENS1_30default_config_static_selectorELNS0_4arch9wavefront6targetE0EEEvT1_
		.amdhsa_group_segment_fixed_size 0
		.amdhsa_private_segment_fixed_size 0
		.amdhsa_kernarg_size 112
		.amdhsa_user_sgpr_count 15
		.amdhsa_user_sgpr_dispatch_ptr 0
		.amdhsa_user_sgpr_queue_ptr 0
		.amdhsa_user_sgpr_kernarg_segment_ptr 1
		.amdhsa_user_sgpr_dispatch_id 0
		.amdhsa_user_sgpr_private_segment_size 0
		.amdhsa_wavefront_size32 1
		.amdhsa_uses_dynamic_stack 0
		.amdhsa_enable_private_segment 0
		.amdhsa_system_sgpr_workgroup_id_x 1
		.amdhsa_system_sgpr_workgroup_id_y 0
		.amdhsa_system_sgpr_workgroup_id_z 0
		.amdhsa_system_sgpr_workgroup_info 0
		.amdhsa_system_vgpr_workitem_id 0
		.amdhsa_next_free_vgpr 1
		.amdhsa_next_free_sgpr 1
		.amdhsa_reserve_vcc 0
		.amdhsa_float_round_mode_32 0
		.amdhsa_float_round_mode_16_64 0
		.amdhsa_float_denorm_mode_32 3
		.amdhsa_float_denorm_mode_16_64 3
		.amdhsa_dx10_clamp 1
		.amdhsa_ieee_mode 1
		.amdhsa_fp16_overflow 0
		.amdhsa_workgroup_processor_mode 1
		.amdhsa_memory_ordered 1
		.amdhsa_forward_progress 0
		.amdhsa_shared_vgpr_count 0
		.amdhsa_exception_fp_ieee_invalid_op 0
		.amdhsa_exception_fp_denorm_src 0
		.amdhsa_exception_fp_ieee_div_zero 0
		.amdhsa_exception_fp_ieee_overflow 0
		.amdhsa_exception_fp_ieee_underflow 0
		.amdhsa_exception_fp_ieee_inexact 0
		.amdhsa_exception_int_div_zero 0
	.end_amdhsa_kernel
	.section	.text._ZN7rocprim17ROCPRIM_400000_NS6detail17trampoline_kernelINS0_14default_configENS1_25partition_config_selectorILNS1_17partition_subalgoE9EddbEEZZNS1_14partition_implILS5_9ELb0ES3_jN6thrust23THRUST_200600_302600_NS6detail15normal_iteratorINS9_10device_ptrIdEEEESE_PNS0_10empty_typeENS0_5tupleIJSE_SF_EEENSH_IJSE_SG_EEENS0_18inequality_wrapperINS9_8equal_toIdEEEEPmJSF_EEE10hipError_tPvRmT3_T4_T5_T6_T7_T9_mT8_P12ihipStream_tbDpT10_ENKUlT_T0_E_clISt17integral_constantIbLb1EES17_IbLb0EEEEDaS13_S14_EUlS13_E_NS1_11comp_targetILNS1_3genE5ELNS1_11target_archE942ELNS1_3gpuE9ELNS1_3repE0EEENS1_30default_config_static_selectorELNS0_4arch9wavefront6targetE0EEEvT1_,"axG",@progbits,_ZN7rocprim17ROCPRIM_400000_NS6detail17trampoline_kernelINS0_14default_configENS1_25partition_config_selectorILNS1_17partition_subalgoE9EddbEEZZNS1_14partition_implILS5_9ELb0ES3_jN6thrust23THRUST_200600_302600_NS6detail15normal_iteratorINS9_10device_ptrIdEEEESE_PNS0_10empty_typeENS0_5tupleIJSE_SF_EEENSH_IJSE_SG_EEENS0_18inequality_wrapperINS9_8equal_toIdEEEEPmJSF_EEE10hipError_tPvRmT3_T4_T5_T6_T7_T9_mT8_P12ihipStream_tbDpT10_ENKUlT_T0_E_clISt17integral_constantIbLb1EES17_IbLb0EEEEDaS13_S14_EUlS13_E_NS1_11comp_targetILNS1_3genE5ELNS1_11target_archE942ELNS1_3gpuE9ELNS1_3repE0EEENS1_30default_config_static_selectorELNS0_4arch9wavefront6targetE0EEEvT1_,comdat
.Lfunc_end31:
	.size	_ZN7rocprim17ROCPRIM_400000_NS6detail17trampoline_kernelINS0_14default_configENS1_25partition_config_selectorILNS1_17partition_subalgoE9EddbEEZZNS1_14partition_implILS5_9ELb0ES3_jN6thrust23THRUST_200600_302600_NS6detail15normal_iteratorINS9_10device_ptrIdEEEESE_PNS0_10empty_typeENS0_5tupleIJSE_SF_EEENSH_IJSE_SG_EEENS0_18inequality_wrapperINS9_8equal_toIdEEEEPmJSF_EEE10hipError_tPvRmT3_T4_T5_T6_T7_T9_mT8_P12ihipStream_tbDpT10_ENKUlT_T0_E_clISt17integral_constantIbLb1EES17_IbLb0EEEEDaS13_S14_EUlS13_E_NS1_11comp_targetILNS1_3genE5ELNS1_11target_archE942ELNS1_3gpuE9ELNS1_3repE0EEENS1_30default_config_static_selectorELNS0_4arch9wavefront6targetE0EEEvT1_, .Lfunc_end31-_ZN7rocprim17ROCPRIM_400000_NS6detail17trampoline_kernelINS0_14default_configENS1_25partition_config_selectorILNS1_17partition_subalgoE9EddbEEZZNS1_14partition_implILS5_9ELb0ES3_jN6thrust23THRUST_200600_302600_NS6detail15normal_iteratorINS9_10device_ptrIdEEEESE_PNS0_10empty_typeENS0_5tupleIJSE_SF_EEENSH_IJSE_SG_EEENS0_18inequality_wrapperINS9_8equal_toIdEEEEPmJSF_EEE10hipError_tPvRmT3_T4_T5_T6_T7_T9_mT8_P12ihipStream_tbDpT10_ENKUlT_T0_E_clISt17integral_constantIbLb1EES17_IbLb0EEEEDaS13_S14_EUlS13_E_NS1_11comp_targetILNS1_3genE5ELNS1_11target_archE942ELNS1_3gpuE9ELNS1_3repE0EEENS1_30default_config_static_selectorELNS0_4arch9wavefront6targetE0EEEvT1_
                                        ; -- End function
	.section	.AMDGPU.csdata,"",@progbits
; Kernel info:
; codeLenInByte = 0
; NumSgprs: 0
; NumVgprs: 0
; ScratchSize: 0
; MemoryBound: 0
; FloatMode: 240
; IeeeMode: 1
; LDSByteSize: 0 bytes/workgroup (compile time only)
; SGPRBlocks: 0
; VGPRBlocks: 0
; NumSGPRsForWavesPerEU: 1
; NumVGPRsForWavesPerEU: 1
; Occupancy: 16
; WaveLimiterHint : 0
; COMPUTE_PGM_RSRC2:SCRATCH_EN: 0
; COMPUTE_PGM_RSRC2:USER_SGPR: 15
; COMPUTE_PGM_RSRC2:TRAP_HANDLER: 0
; COMPUTE_PGM_RSRC2:TGID_X_EN: 1
; COMPUTE_PGM_RSRC2:TGID_Y_EN: 0
; COMPUTE_PGM_RSRC2:TGID_Z_EN: 0
; COMPUTE_PGM_RSRC2:TIDIG_COMP_CNT: 0
	.section	.text._ZN7rocprim17ROCPRIM_400000_NS6detail17trampoline_kernelINS0_14default_configENS1_25partition_config_selectorILNS1_17partition_subalgoE9EddbEEZZNS1_14partition_implILS5_9ELb0ES3_jN6thrust23THRUST_200600_302600_NS6detail15normal_iteratorINS9_10device_ptrIdEEEESE_PNS0_10empty_typeENS0_5tupleIJSE_SF_EEENSH_IJSE_SG_EEENS0_18inequality_wrapperINS9_8equal_toIdEEEEPmJSF_EEE10hipError_tPvRmT3_T4_T5_T6_T7_T9_mT8_P12ihipStream_tbDpT10_ENKUlT_T0_E_clISt17integral_constantIbLb1EES17_IbLb0EEEEDaS13_S14_EUlS13_E_NS1_11comp_targetILNS1_3genE4ELNS1_11target_archE910ELNS1_3gpuE8ELNS1_3repE0EEENS1_30default_config_static_selectorELNS0_4arch9wavefront6targetE0EEEvT1_,"axG",@progbits,_ZN7rocprim17ROCPRIM_400000_NS6detail17trampoline_kernelINS0_14default_configENS1_25partition_config_selectorILNS1_17partition_subalgoE9EddbEEZZNS1_14partition_implILS5_9ELb0ES3_jN6thrust23THRUST_200600_302600_NS6detail15normal_iteratorINS9_10device_ptrIdEEEESE_PNS0_10empty_typeENS0_5tupleIJSE_SF_EEENSH_IJSE_SG_EEENS0_18inequality_wrapperINS9_8equal_toIdEEEEPmJSF_EEE10hipError_tPvRmT3_T4_T5_T6_T7_T9_mT8_P12ihipStream_tbDpT10_ENKUlT_T0_E_clISt17integral_constantIbLb1EES17_IbLb0EEEEDaS13_S14_EUlS13_E_NS1_11comp_targetILNS1_3genE4ELNS1_11target_archE910ELNS1_3gpuE8ELNS1_3repE0EEENS1_30default_config_static_selectorELNS0_4arch9wavefront6targetE0EEEvT1_,comdat
	.protected	_ZN7rocprim17ROCPRIM_400000_NS6detail17trampoline_kernelINS0_14default_configENS1_25partition_config_selectorILNS1_17partition_subalgoE9EddbEEZZNS1_14partition_implILS5_9ELb0ES3_jN6thrust23THRUST_200600_302600_NS6detail15normal_iteratorINS9_10device_ptrIdEEEESE_PNS0_10empty_typeENS0_5tupleIJSE_SF_EEENSH_IJSE_SG_EEENS0_18inequality_wrapperINS9_8equal_toIdEEEEPmJSF_EEE10hipError_tPvRmT3_T4_T5_T6_T7_T9_mT8_P12ihipStream_tbDpT10_ENKUlT_T0_E_clISt17integral_constantIbLb1EES17_IbLb0EEEEDaS13_S14_EUlS13_E_NS1_11comp_targetILNS1_3genE4ELNS1_11target_archE910ELNS1_3gpuE8ELNS1_3repE0EEENS1_30default_config_static_selectorELNS0_4arch9wavefront6targetE0EEEvT1_ ; -- Begin function _ZN7rocprim17ROCPRIM_400000_NS6detail17trampoline_kernelINS0_14default_configENS1_25partition_config_selectorILNS1_17partition_subalgoE9EddbEEZZNS1_14partition_implILS5_9ELb0ES3_jN6thrust23THRUST_200600_302600_NS6detail15normal_iteratorINS9_10device_ptrIdEEEESE_PNS0_10empty_typeENS0_5tupleIJSE_SF_EEENSH_IJSE_SG_EEENS0_18inequality_wrapperINS9_8equal_toIdEEEEPmJSF_EEE10hipError_tPvRmT3_T4_T5_T6_T7_T9_mT8_P12ihipStream_tbDpT10_ENKUlT_T0_E_clISt17integral_constantIbLb1EES17_IbLb0EEEEDaS13_S14_EUlS13_E_NS1_11comp_targetILNS1_3genE4ELNS1_11target_archE910ELNS1_3gpuE8ELNS1_3repE0EEENS1_30default_config_static_selectorELNS0_4arch9wavefront6targetE0EEEvT1_
	.globl	_ZN7rocprim17ROCPRIM_400000_NS6detail17trampoline_kernelINS0_14default_configENS1_25partition_config_selectorILNS1_17partition_subalgoE9EddbEEZZNS1_14partition_implILS5_9ELb0ES3_jN6thrust23THRUST_200600_302600_NS6detail15normal_iteratorINS9_10device_ptrIdEEEESE_PNS0_10empty_typeENS0_5tupleIJSE_SF_EEENSH_IJSE_SG_EEENS0_18inequality_wrapperINS9_8equal_toIdEEEEPmJSF_EEE10hipError_tPvRmT3_T4_T5_T6_T7_T9_mT8_P12ihipStream_tbDpT10_ENKUlT_T0_E_clISt17integral_constantIbLb1EES17_IbLb0EEEEDaS13_S14_EUlS13_E_NS1_11comp_targetILNS1_3genE4ELNS1_11target_archE910ELNS1_3gpuE8ELNS1_3repE0EEENS1_30default_config_static_selectorELNS0_4arch9wavefront6targetE0EEEvT1_
	.p2align	8
	.type	_ZN7rocprim17ROCPRIM_400000_NS6detail17trampoline_kernelINS0_14default_configENS1_25partition_config_selectorILNS1_17partition_subalgoE9EddbEEZZNS1_14partition_implILS5_9ELb0ES3_jN6thrust23THRUST_200600_302600_NS6detail15normal_iteratorINS9_10device_ptrIdEEEESE_PNS0_10empty_typeENS0_5tupleIJSE_SF_EEENSH_IJSE_SG_EEENS0_18inequality_wrapperINS9_8equal_toIdEEEEPmJSF_EEE10hipError_tPvRmT3_T4_T5_T6_T7_T9_mT8_P12ihipStream_tbDpT10_ENKUlT_T0_E_clISt17integral_constantIbLb1EES17_IbLb0EEEEDaS13_S14_EUlS13_E_NS1_11comp_targetILNS1_3genE4ELNS1_11target_archE910ELNS1_3gpuE8ELNS1_3repE0EEENS1_30default_config_static_selectorELNS0_4arch9wavefront6targetE0EEEvT1_,@function
_ZN7rocprim17ROCPRIM_400000_NS6detail17trampoline_kernelINS0_14default_configENS1_25partition_config_selectorILNS1_17partition_subalgoE9EddbEEZZNS1_14partition_implILS5_9ELb0ES3_jN6thrust23THRUST_200600_302600_NS6detail15normal_iteratorINS9_10device_ptrIdEEEESE_PNS0_10empty_typeENS0_5tupleIJSE_SF_EEENSH_IJSE_SG_EEENS0_18inequality_wrapperINS9_8equal_toIdEEEEPmJSF_EEE10hipError_tPvRmT3_T4_T5_T6_T7_T9_mT8_P12ihipStream_tbDpT10_ENKUlT_T0_E_clISt17integral_constantIbLb1EES17_IbLb0EEEEDaS13_S14_EUlS13_E_NS1_11comp_targetILNS1_3genE4ELNS1_11target_archE910ELNS1_3gpuE8ELNS1_3repE0EEENS1_30default_config_static_selectorELNS0_4arch9wavefront6targetE0EEEvT1_: ; @_ZN7rocprim17ROCPRIM_400000_NS6detail17trampoline_kernelINS0_14default_configENS1_25partition_config_selectorILNS1_17partition_subalgoE9EddbEEZZNS1_14partition_implILS5_9ELb0ES3_jN6thrust23THRUST_200600_302600_NS6detail15normal_iteratorINS9_10device_ptrIdEEEESE_PNS0_10empty_typeENS0_5tupleIJSE_SF_EEENSH_IJSE_SG_EEENS0_18inequality_wrapperINS9_8equal_toIdEEEEPmJSF_EEE10hipError_tPvRmT3_T4_T5_T6_T7_T9_mT8_P12ihipStream_tbDpT10_ENKUlT_T0_E_clISt17integral_constantIbLb1EES17_IbLb0EEEEDaS13_S14_EUlS13_E_NS1_11comp_targetILNS1_3genE4ELNS1_11target_archE910ELNS1_3gpuE8ELNS1_3repE0EEENS1_30default_config_static_selectorELNS0_4arch9wavefront6targetE0EEEvT1_
; %bb.0:
	.section	.rodata,"a",@progbits
	.p2align	6, 0x0
	.amdhsa_kernel _ZN7rocprim17ROCPRIM_400000_NS6detail17trampoline_kernelINS0_14default_configENS1_25partition_config_selectorILNS1_17partition_subalgoE9EddbEEZZNS1_14partition_implILS5_9ELb0ES3_jN6thrust23THRUST_200600_302600_NS6detail15normal_iteratorINS9_10device_ptrIdEEEESE_PNS0_10empty_typeENS0_5tupleIJSE_SF_EEENSH_IJSE_SG_EEENS0_18inequality_wrapperINS9_8equal_toIdEEEEPmJSF_EEE10hipError_tPvRmT3_T4_T5_T6_T7_T9_mT8_P12ihipStream_tbDpT10_ENKUlT_T0_E_clISt17integral_constantIbLb1EES17_IbLb0EEEEDaS13_S14_EUlS13_E_NS1_11comp_targetILNS1_3genE4ELNS1_11target_archE910ELNS1_3gpuE8ELNS1_3repE0EEENS1_30default_config_static_selectorELNS0_4arch9wavefront6targetE0EEEvT1_
		.amdhsa_group_segment_fixed_size 0
		.amdhsa_private_segment_fixed_size 0
		.amdhsa_kernarg_size 112
		.amdhsa_user_sgpr_count 15
		.amdhsa_user_sgpr_dispatch_ptr 0
		.amdhsa_user_sgpr_queue_ptr 0
		.amdhsa_user_sgpr_kernarg_segment_ptr 1
		.amdhsa_user_sgpr_dispatch_id 0
		.amdhsa_user_sgpr_private_segment_size 0
		.amdhsa_wavefront_size32 1
		.amdhsa_uses_dynamic_stack 0
		.amdhsa_enable_private_segment 0
		.amdhsa_system_sgpr_workgroup_id_x 1
		.amdhsa_system_sgpr_workgroup_id_y 0
		.amdhsa_system_sgpr_workgroup_id_z 0
		.amdhsa_system_sgpr_workgroup_info 0
		.amdhsa_system_vgpr_workitem_id 0
		.amdhsa_next_free_vgpr 1
		.amdhsa_next_free_sgpr 1
		.amdhsa_reserve_vcc 0
		.amdhsa_float_round_mode_32 0
		.amdhsa_float_round_mode_16_64 0
		.amdhsa_float_denorm_mode_32 3
		.amdhsa_float_denorm_mode_16_64 3
		.amdhsa_dx10_clamp 1
		.amdhsa_ieee_mode 1
		.amdhsa_fp16_overflow 0
		.amdhsa_workgroup_processor_mode 1
		.amdhsa_memory_ordered 1
		.amdhsa_forward_progress 0
		.amdhsa_shared_vgpr_count 0
		.amdhsa_exception_fp_ieee_invalid_op 0
		.amdhsa_exception_fp_denorm_src 0
		.amdhsa_exception_fp_ieee_div_zero 0
		.amdhsa_exception_fp_ieee_overflow 0
		.amdhsa_exception_fp_ieee_underflow 0
		.amdhsa_exception_fp_ieee_inexact 0
		.amdhsa_exception_int_div_zero 0
	.end_amdhsa_kernel
	.section	.text._ZN7rocprim17ROCPRIM_400000_NS6detail17trampoline_kernelINS0_14default_configENS1_25partition_config_selectorILNS1_17partition_subalgoE9EddbEEZZNS1_14partition_implILS5_9ELb0ES3_jN6thrust23THRUST_200600_302600_NS6detail15normal_iteratorINS9_10device_ptrIdEEEESE_PNS0_10empty_typeENS0_5tupleIJSE_SF_EEENSH_IJSE_SG_EEENS0_18inequality_wrapperINS9_8equal_toIdEEEEPmJSF_EEE10hipError_tPvRmT3_T4_T5_T6_T7_T9_mT8_P12ihipStream_tbDpT10_ENKUlT_T0_E_clISt17integral_constantIbLb1EES17_IbLb0EEEEDaS13_S14_EUlS13_E_NS1_11comp_targetILNS1_3genE4ELNS1_11target_archE910ELNS1_3gpuE8ELNS1_3repE0EEENS1_30default_config_static_selectorELNS0_4arch9wavefront6targetE0EEEvT1_,"axG",@progbits,_ZN7rocprim17ROCPRIM_400000_NS6detail17trampoline_kernelINS0_14default_configENS1_25partition_config_selectorILNS1_17partition_subalgoE9EddbEEZZNS1_14partition_implILS5_9ELb0ES3_jN6thrust23THRUST_200600_302600_NS6detail15normal_iteratorINS9_10device_ptrIdEEEESE_PNS0_10empty_typeENS0_5tupleIJSE_SF_EEENSH_IJSE_SG_EEENS0_18inequality_wrapperINS9_8equal_toIdEEEEPmJSF_EEE10hipError_tPvRmT3_T4_T5_T6_T7_T9_mT8_P12ihipStream_tbDpT10_ENKUlT_T0_E_clISt17integral_constantIbLb1EES17_IbLb0EEEEDaS13_S14_EUlS13_E_NS1_11comp_targetILNS1_3genE4ELNS1_11target_archE910ELNS1_3gpuE8ELNS1_3repE0EEENS1_30default_config_static_selectorELNS0_4arch9wavefront6targetE0EEEvT1_,comdat
.Lfunc_end32:
	.size	_ZN7rocprim17ROCPRIM_400000_NS6detail17trampoline_kernelINS0_14default_configENS1_25partition_config_selectorILNS1_17partition_subalgoE9EddbEEZZNS1_14partition_implILS5_9ELb0ES3_jN6thrust23THRUST_200600_302600_NS6detail15normal_iteratorINS9_10device_ptrIdEEEESE_PNS0_10empty_typeENS0_5tupleIJSE_SF_EEENSH_IJSE_SG_EEENS0_18inequality_wrapperINS9_8equal_toIdEEEEPmJSF_EEE10hipError_tPvRmT3_T4_T5_T6_T7_T9_mT8_P12ihipStream_tbDpT10_ENKUlT_T0_E_clISt17integral_constantIbLb1EES17_IbLb0EEEEDaS13_S14_EUlS13_E_NS1_11comp_targetILNS1_3genE4ELNS1_11target_archE910ELNS1_3gpuE8ELNS1_3repE0EEENS1_30default_config_static_selectorELNS0_4arch9wavefront6targetE0EEEvT1_, .Lfunc_end32-_ZN7rocprim17ROCPRIM_400000_NS6detail17trampoline_kernelINS0_14default_configENS1_25partition_config_selectorILNS1_17partition_subalgoE9EddbEEZZNS1_14partition_implILS5_9ELb0ES3_jN6thrust23THRUST_200600_302600_NS6detail15normal_iteratorINS9_10device_ptrIdEEEESE_PNS0_10empty_typeENS0_5tupleIJSE_SF_EEENSH_IJSE_SG_EEENS0_18inequality_wrapperINS9_8equal_toIdEEEEPmJSF_EEE10hipError_tPvRmT3_T4_T5_T6_T7_T9_mT8_P12ihipStream_tbDpT10_ENKUlT_T0_E_clISt17integral_constantIbLb1EES17_IbLb0EEEEDaS13_S14_EUlS13_E_NS1_11comp_targetILNS1_3genE4ELNS1_11target_archE910ELNS1_3gpuE8ELNS1_3repE0EEENS1_30default_config_static_selectorELNS0_4arch9wavefront6targetE0EEEvT1_
                                        ; -- End function
	.section	.AMDGPU.csdata,"",@progbits
; Kernel info:
; codeLenInByte = 0
; NumSgprs: 0
; NumVgprs: 0
; ScratchSize: 0
; MemoryBound: 0
; FloatMode: 240
; IeeeMode: 1
; LDSByteSize: 0 bytes/workgroup (compile time only)
; SGPRBlocks: 0
; VGPRBlocks: 0
; NumSGPRsForWavesPerEU: 1
; NumVGPRsForWavesPerEU: 1
; Occupancy: 16
; WaveLimiterHint : 0
; COMPUTE_PGM_RSRC2:SCRATCH_EN: 0
; COMPUTE_PGM_RSRC2:USER_SGPR: 15
; COMPUTE_PGM_RSRC2:TRAP_HANDLER: 0
; COMPUTE_PGM_RSRC2:TGID_X_EN: 1
; COMPUTE_PGM_RSRC2:TGID_Y_EN: 0
; COMPUTE_PGM_RSRC2:TGID_Z_EN: 0
; COMPUTE_PGM_RSRC2:TIDIG_COMP_CNT: 0
	.section	.text._ZN7rocprim17ROCPRIM_400000_NS6detail17trampoline_kernelINS0_14default_configENS1_25partition_config_selectorILNS1_17partition_subalgoE9EddbEEZZNS1_14partition_implILS5_9ELb0ES3_jN6thrust23THRUST_200600_302600_NS6detail15normal_iteratorINS9_10device_ptrIdEEEESE_PNS0_10empty_typeENS0_5tupleIJSE_SF_EEENSH_IJSE_SG_EEENS0_18inequality_wrapperINS9_8equal_toIdEEEEPmJSF_EEE10hipError_tPvRmT3_T4_T5_T6_T7_T9_mT8_P12ihipStream_tbDpT10_ENKUlT_T0_E_clISt17integral_constantIbLb1EES17_IbLb0EEEEDaS13_S14_EUlS13_E_NS1_11comp_targetILNS1_3genE3ELNS1_11target_archE908ELNS1_3gpuE7ELNS1_3repE0EEENS1_30default_config_static_selectorELNS0_4arch9wavefront6targetE0EEEvT1_,"axG",@progbits,_ZN7rocprim17ROCPRIM_400000_NS6detail17trampoline_kernelINS0_14default_configENS1_25partition_config_selectorILNS1_17partition_subalgoE9EddbEEZZNS1_14partition_implILS5_9ELb0ES3_jN6thrust23THRUST_200600_302600_NS6detail15normal_iteratorINS9_10device_ptrIdEEEESE_PNS0_10empty_typeENS0_5tupleIJSE_SF_EEENSH_IJSE_SG_EEENS0_18inequality_wrapperINS9_8equal_toIdEEEEPmJSF_EEE10hipError_tPvRmT3_T4_T5_T6_T7_T9_mT8_P12ihipStream_tbDpT10_ENKUlT_T0_E_clISt17integral_constantIbLb1EES17_IbLb0EEEEDaS13_S14_EUlS13_E_NS1_11comp_targetILNS1_3genE3ELNS1_11target_archE908ELNS1_3gpuE7ELNS1_3repE0EEENS1_30default_config_static_selectorELNS0_4arch9wavefront6targetE0EEEvT1_,comdat
	.protected	_ZN7rocprim17ROCPRIM_400000_NS6detail17trampoline_kernelINS0_14default_configENS1_25partition_config_selectorILNS1_17partition_subalgoE9EddbEEZZNS1_14partition_implILS5_9ELb0ES3_jN6thrust23THRUST_200600_302600_NS6detail15normal_iteratorINS9_10device_ptrIdEEEESE_PNS0_10empty_typeENS0_5tupleIJSE_SF_EEENSH_IJSE_SG_EEENS0_18inequality_wrapperINS9_8equal_toIdEEEEPmJSF_EEE10hipError_tPvRmT3_T4_T5_T6_T7_T9_mT8_P12ihipStream_tbDpT10_ENKUlT_T0_E_clISt17integral_constantIbLb1EES17_IbLb0EEEEDaS13_S14_EUlS13_E_NS1_11comp_targetILNS1_3genE3ELNS1_11target_archE908ELNS1_3gpuE7ELNS1_3repE0EEENS1_30default_config_static_selectorELNS0_4arch9wavefront6targetE0EEEvT1_ ; -- Begin function _ZN7rocprim17ROCPRIM_400000_NS6detail17trampoline_kernelINS0_14default_configENS1_25partition_config_selectorILNS1_17partition_subalgoE9EddbEEZZNS1_14partition_implILS5_9ELb0ES3_jN6thrust23THRUST_200600_302600_NS6detail15normal_iteratorINS9_10device_ptrIdEEEESE_PNS0_10empty_typeENS0_5tupleIJSE_SF_EEENSH_IJSE_SG_EEENS0_18inequality_wrapperINS9_8equal_toIdEEEEPmJSF_EEE10hipError_tPvRmT3_T4_T5_T6_T7_T9_mT8_P12ihipStream_tbDpT10_ENKUlT_T0_E_clISt17integral_constantIbLb1EES17_IbLb0EEEEDaS13_S14_EUlS13_E_NS1_11comp_targetILNS1_3genE3ELNS1_11target_archE908ELNS1_3gpuE7ELNS1_3repE0EEENS1_30default_config_static_selectorELNS0_4arch9wavefront6targetE0EEEvT1_
	.globl	_ZN7rocprim17ROCPRIM_400000_NS6detail17trampoline_kernelINS0_14default_configENS1_25partition_config_selectorILNS1_17partition_subalgoE9EddbEEZZNS1_14partition_implILS5_9ELb0ES3_jN6thrust23THRUST_200600_302600_NS6detail15normal_iteratorINS9_10device_ptrIdEEEESE_PNS0_10empty_typeENS0_5tupleIJSE_SF_EEENSH_IJSE_SG_EEENS0_18inequality_wrapperINS9_8equal_toIdEEEEPmJSF_EEE10hipError_tPvRmT3_T4_T5_T6_T7_T9_mT8_P12ihipStream_tbDpT10_ENKUlT_T0_E_clISt17integral_constantIbLb1EES17_IbLb0EEEEDaS13_S14_EUlS13_E_NS1_11comp_targetILNS1_3genE3ELNS1_11target_archE908ELNS1_3gpuE7ELNS1_3repE0EEENS1_30default_config_static_selectorELNS0_4arch9wavefront6targetE0EEEvT1_
	.p2align	8
	.type	_ZN7rocprim17ROCPRIM_400000_NS6detail17trampoline_kernelINS0_14default_configENS1_25partition_config_selectorILNS1_17partition_subalgoE9EddbEEZZNS1_14partition_implILS5_9ELb0ES3_jN6thrust23THRUST_200600_302600_NS6detail15normal_iteratorINS9_10device_ptrIdEEEESE_PNS0_10empty_typeENS0_5tupleIJSE_SF_EEENSH_IJSE_SG_EEENS0_18inequality_wrapperINS9_8equal_toIdEEEEPmJSF_EEE10hipError_tPvRmT3_T4_T5_T6_T7_T9_mT8_P12ihipStream_tbDpT10_ENKUlT_T0_E_clISt17integral_constantIbLb1EES17_IbLb0EEEEDaS13_S14_EUlS13_E_NS1_11comp_targetILNS1_3genE3ELNS1_11target_archE908ELNS1_3gpuE7ELNS1_3repE0EEENS1_30default_config_static_selectorELNS0_4arch9wavefront6targetE0EEEvT1_,@function
_ZN7rocprim17ROCPRIM_400000_NS6detail17trampoline_kernelINS0_14default_configENS1_25partition_config_selectorILNS1_17partition_subalgoE9EddbEEZZNS1_14partition_implILS5_9ELb0ES3_jN6thrust23THRUST_200600_302600_NS6detail15normal_iteratorINS9_10device_ptrIdEEEESE_PNS0_10empty_typeENS0_5tupleIJSE_SF_EEENSH_IJSE_SG_EEENS0_18inequality_wrapperINS9_8equal_toIdEEEEPmJSF_EEE10hipError_tPvRmT3_T4_T5_T6_T7_T9_mT8_P12ihipStream_tbDpT10_ENKUlT_T0_E_clISt17integral_constantIbLb1EES17_IbLb0EEEEDaS13_S14_EUlS13_E_NS1_11comp_targetILNS1_3genE3ELNS1_11target_archE908ELNS1_3gpuE7ELNS1_3repE0EEENS1_30default_config_static_selectorELNS0_4arch9wavefront6targetE0EEEvT1_: ; @_ZN7rocprim17ROCPRIM_400000_NS6detail17trampoline_kernelINS0_14default_configENS1_25partition_config_selectorILNS1_17partition_subalgoE9EddbEEZZNS1_14partition_implILS5_9ELb0ES3_jN6thrust23THRUST_200600_302600_NS6detail15normal_iteratorINS9_10device_ptrIdEEEESE_PNS0_10empty_typeENS0_5tupleIJSE_SF_EEENSH_IJSE_SG_EEENS0_18inequality_wrapperINS9_8equal_toIdEEEEPmJSF_EEE10hipError_tPvRmT3_T4_T5_T6_T7_T9_mT8_P12ihipStream_tbDpT10_ENKUlT_T0_E_clISt17integral_constantIbLb1EES17_IbLb0EEEEDaS13_S14_EUlS13_E_NS1_11comp_targetILNS1_3genE3ELNS1_11target_archE908ELNS1_3gpuE7ELNS1_3repE0EEENS1_30default_config_static_selectorELNS0_4arch9wavefront6targetE0EEEvT1_
; %bb.0:
	.section	.rodata,"a",@progbits
	.p2align	6, 0x0
	.amdhsa_kernel _ZN7rocprim17ROCPRIM_400000_NS6detail17trampoline_kernelINS0_14default_configENS1_25partition_config_selectorILNS1_17partition_subalgoE9EddbEEZZNS1_14partition_implILS5_9ELb0ES3_jN6thrust23THRUST_200600_302600_NS6detail15normal_iteratorINS9_10device_ptrIdEEEESE_PNS0_10empty_typeENS0_5tupleIJSE_SF_EEENSH_IJSE_SG_EEENS0_18inequality_wrapperINS9_8equal_toIdEEEEPmJSF_EEE10hipError_tPvRmT3_T4_T5_T6_T7_T9_mT8_P12ihipStream_tbDpT10_ENKUlT_T0_E_clISt17integral_constantIbLb1EES17_IbLb0EEEEDaS13_S14_EUlS13_E_NS1_11comp_targetILNS1_3genE3ELNS1_11target_archE908ELNS1_3gpuE7ELNS1_3repE0EEENS1_30default_config_static_selectorELNS0_4arch9wavefront6targetE0EEEvT1_
		.amdhsa_group_segment_fixed_size 0
		.amdhsa_private_segment_fixed_size 0
		.amdhsa_kernarg_size 112
		.amdhsa_user_sgpr_count 15
		.amdhsa_user_sgpr_dispatch_ptr 0
		.amdhsa_user_sgpr_queue_ptr 0
		.amdhsa_user_sgpr_kernarg_segment_ptr 1
		.amdhsa_user_sgpr_dispatch_id 0
		.amdhsa_user_sgpr_private_segment_size 0
		.amdhsa_wavefront_size32 1
		.amdhsa_uses_dynamic_stack 0
		.amdhsa_enable_private_segment 0
		.amdhsa_system_sgpr_workgroup_id_x 1
		.amdhsa_system_sgpr_workgroup_id_y 0
		.amdhsa_system_sgpr_workgroup_id_z 0
		.amdhsa_system_sgpr_workgroup_info 0
		.amdhsa_system_vgpr_workitem_id 0
		.amdhsa_next_free_vgpr 1
		.amdhsa_next_free_sgpr 1
		.amdhsa_reserve_vcc 0
		.amdhsa_float_round_mode_32 0
		.amdhsa_float_round_mode_16_64 0
		.amdhsa_float_denorm_mode_32 3
		.amdhsa_float_denorm_mode_16_64 3
		.amdhsa_dx10_clamp 1
		.amdhsa_ieee_mode 1
		.amdhsa_fp16_overflow 0
		.amdhsa_workgroup_processor_mode 1
		.amdhsa_memory_ordered 1
		.amdhsa_forward_progress 0
		.amdhsa_shared_vgpr_count 0
		.amdhsa_exception_fp_ieee_invalid_op 0
		.amdhsa_exception_fp_denorm_src 0
		.amdhsa_exception_fp_ieee_div_zero 0
		.amdhsa_exception_fp_ieee_overflow 0
		.amdhsa_exception_fp_ieee_underflow 0
		.amdhsa_exception_fp_ieee_inexact 0
		.amdhsa_exception_int_div_zero 0
	.end_amdhsa_kernel
	.section	.text._ZN7rocprim17ROCPRIM_400000_NS6detail17trampoline_kernelINS0_14default_configENS1_25partition_config_selectorILNS1_17partition_subalgoE9EddbEEZZNS1_14partition_implILS5_9ELb0ES3_jN6thrust23THRUST_200600_302600_NS6detail15normal_iteratorINS9_10device_ptrIdEEEESE_PNS0_10empty_typeENS0_5tupleIJSE_SF_EEENSH_IJSE_SG_EEENS0_18inequality_wrapperINS9_8equal_toIdEEEEPmJSF_EEE10hipError_tPvRmT3_T4_T5_T6_T7_T9_mT8_P12ihipStream_tbDpT10_ENKUlT_T0_E_clISt17integral_constantIbLb1EES17_IbLb0EEEEDaS13_S14_EUlS13_E_NS1_11comp_targetILNS1_3genE3ELNS1_11target_archE908ELNS1_3gpuE7ELNS1_3repE0EEENS1_30default_config_static_selectorELNS0_4arch9wavefront6targetE0EEEvT1_,"axG",@progbits,_ZN7rocprim17ROCPRIM_400000_NS6detail17trampoline_kernelINS0_14default_configENS1_25partition_config_selectorILNS1_17partition_subalgoE9EddbEEZZNS1_14partition_implILS5_9ELb0ES3_jN6thrust23THRUST_200600_302600_NS6detail15normal_iteratorINS9_10device_ptrIdEEEESE_PNS0_10empty_typeENS0_5tupleIJSE_SF_EEENSH_IJSE_SG_EEENS0_18inequality_wrapperINS9_8equal_toIdEEEEPmJSF_EEE10hipError_tPvRmT3_T4_T5_T6_T7_T9_mT8_P12ihipStream_tbDpT10_ENKUlT_T0_E_clISt17integral_constantIbLb1EES17_IbLb0EEEEDaS13_S14_EUlS13_E_NS1_11comp_targetILNS1_3genE3ELNS1_11target_archE908ELNS1_3gpuE7ELNS1_3repE0EEENS1_30default_config_static_selectorELNS0_4arch9wavefront6targetE0EEEvT1_,comdat
.Lfunc_end33:
	.size	_ZN7rocprim17ROCPRIM_400000_NS6detail17trampoline_kernelINS0_14default_configENS1_25partition_config_selectorILNS1_17partition_subalgoE9EddbEEZZNS1_14partition_implILS5_9ELb0ES3_jN6thrust23THRUST_200600_302600_NS6detail15normal_iteratorINS9_10device_ptrIdEEEESE_PNS0_10empty_typeENS0_5tupleIJSE_SF_EEENSH_IJSE_SG_EEENS0_18inequality_wrapperINS9_8equal_toIdEEEEPmJSF_EEE10hipError_tPvRmT3_T4_T5_T6_T7_T9_mT8_P12ihipStream_tbDpT10_ENKUlT_T0_E_clISt17integral_constantIbLb1EES17_IbLb0EEEEDaS13_S14_EUlS13_E_NS1_11comp_targetILNS1_3genE3ELNS1_11target_archE908ELNS1_3gpuE7ELNS1_3repE0EEENS1_30default_config_static_selectorELNS0_4arch9wavefront6targetE0EEEvT1_, .Lfunc_end33-_ZN7rocprim17ROCPRIM_400000_NS6detail17trampoline_kernelINS0_14default_configENS1_25partition_config_selectorILNS1_17partition_subalgoE9EddbEEZZNS1_14partition_implILS5_9ELb0ES3_jN6thrust23THRUST_200600_302600_NS6detail15normal_iteratorINS9_10device_ptrIdEEEESE_PNS0_10empty_typeENS0_5tupleIJSE_SF_EEENSH_IJSE_SG_EEENS0_18inequality_wrapperINS9_8equal_toIdEEEEPmJSF_EEE10hipError_tPvRmT3_T4_T5_T6_T7_T9_mT8_P12ihipStream_tbDpT10_ENKUlT_T0_E_clISt17integral_constantIbLb1EES17_IbLb0EEEEDaS13_S14_EUlS13_E_NS1_11comp_targetILNS1_3genE3ELNS1_11target_archE908ELNS1_3gpuE7ELNS1_3repE0EEENS1_30default_config_static_selectorELNS0_4arch9wavefront6targetE0EEEvT1_
                                        ; -- End function
	.section	.AMDGPU.csdata,"",@progbits
; Kernel info:
; codeLenInByte = 0
; NumSgprs: 0
; NumVgprs: 0
; ScratchSize: 0
; MemoryBound: 0
; FloatMode: 240
; IeeeMode: 1
; LDSByteSize: 0 bytes/workgroup (compile time only)
; SGPRBlocks: 0
; VGPRBlocks: 0
; NumSGPRsForWavesPerEU: 1
; NumVGPRsForWavesPerEU: 1
; Occupancy: 16
; WaveLimiterHint : 0
; COMPUTE_PGM_RSRC2:SCRATCH_EN: 0
; COMPUTE_PGM_RSRC2:USER_SGPR: 15
; COMPUTE_PGM_RSRC2:TRAP_HANDLER: 0
; COMPUTE_PGM_RSRC2:TGID_X_EN: 1
; COMPUTE_PGM_RSRC2:TGID_Y_EN: 0
; COMPUTE_PGM_RSRC2:TGID_Z_EN: 0
; COMPUTE_PGM_RSRC2:TIDIG_COMP_CNT: 0
	.section	.text._ZN7rocprim17ROCPRIM_400000_NS6detail17trampoline_kernelINS0_14default_configENS1_25partition_config_selectorILNS1_17partition_subalgoE9EddbEEZZNS1_14partition_implILS5_9ELb0ES3_jN6thrust23THRUST_200600_302600_NS6detail15normal_iteratorINS9_10device_ptrIdEEEESE_PNS0_10empty_typeENS0_5tupleIJSE_SF_EEENSH_IJSE_SG_EEENS0_18inequality_wrapperINS9_8equal_toIdEEEEPmJSF_EEE10hipError_tPvRmT3_T4_T5_T6_T7_T9_mT8_P12ihipStream_tbDpT10_ENKUlT_T0_E_clISt17integral_constantIbLb1EES17_IbLb0EEEEDaS13_S14_EUlS13_E_NS1_11comp_targetILNS1_3genE2ELNS1_11target_archE906ELNS1_3gpuE6ELNS1_3repE0EEENS1_30default_config_static_selectorELNS0_4arch9wavefront6targetE0EEEvT1_,"axG",@progbits,_ZN7rocprim17ROCPRIM_400000_NS6detail17trampoline_kernelINS0_14default_configENS1_25partition_config_selectorILNS1_17partition_subalgoE9EddbEEZZNS1_14partition_implILS5_9ELb0ES3_jN6thrust23THRUST_200600_302600_NS6detail15normal_iteratorINS9_10device_ptrIdEEEESE_PNS0_10empty_typeENS0_5tupleIJSE_SF_EEENSH_IJSE_SG_EEENS0_18inequality_wrapperINS9_8equal_toIdEEEEPmJSF_EEE10hipError_tPvRmT3_T4_T5_T6_T7_T9_mT8_P12ihipStream_tbDpT10_ENKUlT_T0_E_clISt17integral_constantIbLb1EES17_IbLb0EEEEDaS13_S14_EUlS13_E_NS1_11comp_targetILNS1_3genE2ELNS1_11target_archE906ELNS1_3gpuE6ELNS1_3repE0EEENS1_30default_config_static_selectorELNS0_4arch9wavefront6targetE0EEEvT1_,comdat
	.protected	_ZN7rocprim17ROCPRIM_400000_NS6detail17trampoline_kernelINS0_14default_configENS1_25partition_config_selectorILNS1_17partition_subalgoE9EddbEEZZNS1_14partition_implILS5_9ELb0ES3_jN6thrust23THRUST_200600_302600_NS6detail15normal_iteratorINS9_10device_ptrIdEEEESE_PNS0_10empty_typeENS0_5tupleIJSE_SF_EEENSH_IJSE_SG_EEENS0_18inequality_wrapperINS9_8equal_toIdEEEEPmJSF_EEE10hipError_tPvRmT3_T4_T5_T6_T7_T9_mT8_P12ihipStream_tbDpT10_ENKUlT_T0_E_clISt17integral_constantIbLb1EES17_IbLb0EEEEDaS13_S14_EUlS13_E_NS1_11comp_targetILNS1_3genE2ELNS1_11target_archE906ELNS1_3gpuE6ELNS1_3repE0EEENS1_30default_config_static_selectorELNS0_4arch9wavefront6targetE0EEEvT1_ ; -- Begin function _ZN7rocprim17ROCPRIM_400000_NS6detail17trampoline_kernelINS0_14default_configENS1_25partition_config_selectorILNS1_17partition_subalgoE9EddbEEZZNS1_14partition_implILS5_9ELb0ES3_jN6thrust23THRUST_200600_302600_NS6detail15normal_iteratorINS9_10device_ptrIdEEEESE_PNS0_10empty_typeENS0_5tupleIJSE_SF_EEENSH_IJSE_SG_EEENS0_18inequality_wrapperINS9_8equal_toIdEEEEPmJSF_EEE10hipError_tPvRmT3_T4_T5_T6_T7_T9_mT8_P12ihipStream_tbDpT10_ENKUlT_T0_E_clISt17integral_constantIbLb1EES17_IbLb0EEEEDaS13_S14_EUlS13_E_NS1_11comp_targetILNS1_3genE2ELNS1_11target_archE906ELNS1_3gpuE6ELNS1_3repE0EEENS1_30default_config_static_selectorELNS0_4arch9wavefront6targetE0EEEvT1_
	.globl	_ZN7rocprim17ROCPRIM_400000_NS6detail17trampoline_kernelINS0_14default_configENS1_25partition_config_selectorILNS1_17partition_subalgoE9EddbEEZZNS1_14partition_implILS5_9ELb0ES3_jN6thrust23THRUST_200600_302600_NS6detail15normal_iteratorINS9_10device_ptrIdEEEESE_PNS0_10empty_typeENS0_5tupleIJSE_SF_EEENSH_IJSE_SG_EEENS0_18inequality_wrapperINS9_8equal_toIdEEEEPmJSF_EEE10hipError_tPvRmT3_T4_T5_T6_T7_T9_mT8_P12ihipStream_tbDpT10_ENKUlT_T0_E_clISt17integral_constantIbLb1EES17_IbLb0EEEEDaS13_S14_EUlS13_E_NS1_11comp_targetILNS1_3genE2ELNS1_11target_archE906ELNS1_3gpuE6ELNS1_3repE0EEENS1_30default_config_static_selectorELNS0_4arch9wavefront6targetE0EEEvT1_
	.p2align	8
	.type	_ZN7rocprim17ROCPRIM_400000_NS6detail17trampoline_kernelINS0_14default_configENS1_25partition_config_selectorILNS1_17partition_subalgoE9EddbEEZZNS1_14partition_implILS5_9ELb0ES3_jN6thrust23THRUST_200600_302600_NS6detail15normal_iteratorINS9_10device_ptrIdEEEESE_PNS0_10empty_typeENS0_5tupleIJSE_SF_EEENSH_IJSE_SG_EEENS0_18inequality_wrapperINS9_8equal_toIdEEEEPmJSF_EEE10hipError_tPvRmT3_T4_T5_T6_T7_T9_mT8_P12ihipStream_tbDpT10_ENKUlT_T0_E_clISt17integral_constantIbLb1EES17_IbLb0EEEEDaS13_S14_EUlS13_E_NS1_11comp_targetILNS1_3genE2ELNS1_11target_archE906ELNS1_3gpuE6ELNS1_3repE0EEENS1_30default_config_static_selectorELNS0_4arch9wavefront6targetE0EEEvT1_,@function
_ZN7rocprim17ROCPRIM_400000_NS6detail17trampoline_kernelINS0_14default_configENS1_25partition_config_selectorILNS1_17partition_subalgoE9EddbEEZZNS1_14partition_implILS5_9ELb0ES3_jN6thrust23THRUST_200600_302600_NS6detail15normal_iteratorINS9_10device_ptrIdEEEESE_PNS0_10empty_typeENS0_5tupleIJSE_SF_EEENSH_IJSE_SG_EEENS0_18inequality_wrapperINS9_8equal_toIdEEEEPmJSF_EEE10hipError_tPvRmT3_T4_T5_T6_T7_T9_mT8_P12ihipStream_tbDpT10_ENKUlT_T0_E_clISt17integral_constantIbLb1EES17_IbLb0EEEEDaS13_S14_EUlS13_E_NS1_11comp_targetILNS1_3genE2ELNS1_11target_archE906ELNS1_3gpuE6ELNS1_3repE0EEENS1_30default_config_static_selectorELNS0_4arch9wavefront6targetE0EEEvT1_: ; @_ZN7rocprim17ROCPRIM_400000_NS6detail17trampoline_kernelINS0_14default_configENS1_25partition_config_selectorILNS1_17partition_subalgoE9EddbEEZZNS1_14partition_implILS5_9ELb0ES3_jN6thrust23THRUST_200600_302600_NS6detail15normal_iteratorINS9_10device_ptrIdEEEESE_PNS0_10empty_typeENS0_5tupleIJSE_SF_EEENSH_IJSE_SG_EEENS0_18inequality_wrapperINS9_8equal_toIdEEEEPmJSF_EEE10hipError_tPvRmT3_T4_T5_T6_T7_T9_mT8_P12ihipStream_tbDpT10_ENKUlT_T0_E_clISt17integral_constantIbLb1EES17_IbLb0EEEEDaS13_S14_EUlS13_E_NS1_11comp_targetILNS1_3genE2ELNS1_11target_archE906ELNS1_3gpuE6ELNS1_3repE0EEENS1_30default_config_static_selectorELNS0_4arch9wavefront6targetE0EEEvT1_
; %bb.0:
	.section	.rodata,"a",@progbits
	.p2align	6, 0x0
	.amdhsa_kernel _ZN7rocprim17ROCPRIM_400000_NS6detail17trampoline_kernelINS0_14default_configENS1_25partition_config_selectorILNS1_17partition_subalgoE9EddbEEZZNS1_14partition_implILS5_9ELb0ES3_jN6thrust23THRUST_200600_302600_NS6detail15normal_iteratorINS9_10device_ptrIdEEEESE_PNS0_10empty_typeENS0_5tupleIJSE_SF_EEENSH_IJSE_SG_EEENS0_18inequality_wrapperINS9_8equal_toIdEEEEPmJSF_EEE10hipError_tPvRmT3_T4_T5_T6_T7_T9_mT8_P12ihipStream_tbDpT10_ENKUlT_T0_E_clISt17integral_constantIbLb1EES17_IbLb0EEEEDaS13_S14_EUlS13_E_NS1_11comp_targetILNS1_3genE2ELNS1_11target_archE906ELNS1_3gpuE6ELNS1_3repE0EEENS1_30default_config_static_selectorELNS0_4arch9wavefront6targetE0EEEvT1_
		.amdhsa_group_segment_fixed_size 0
		.amdhsa_private_segment_fixed_size 0
		.amdhsa_kernarg_size 112
		.amdhsa_user_sgpr_count 15
		.amdhsa_user_sgpr_dispatch_ptr 0
		.amdhsa_user_sgpr_queue_ptr 0
		.amdhsa_user_sgpr_kernarg_segment_ptr 1
		.amdhsa_user_sgpr_dispatch_id 0
		.amdhsa_user_sgpr_private_segment_size 0
		.amdhsa_wavefront_size32 1
		.amdhsa_uses_dynamic_stack 0
		.amdhsa_enable_private_segment 0
		.amdhsa_system_sgpr_workgroup_id_x 1
		.amdhsa_system_sgpr_workgroup_id_y 0
		.amdhsa_system_sgpr_workgroup_id_z 0
		.amdhsa_system_sgpr_workgroup_info 0
		.amdhsa_system_vgpr_workitem_id 0
		.amdhsa_next_free_vgpr 1
		.amdhsa_next_free_sgpr 1
		.amdhsa_reserve_vcc 0
		.amdhsa_float_round_mode_32 0
		.amdhsa_float_round_mode_16_64 0
		.amdhsa_float_denorm_mode_32 3
		.amdhsa_float_denorm_mode_16_64 3
		.amdhsa_dx10_clamp 1
		.amdhsa_ieee_mode 1
		.amdhsa_fp16_overflow 0
		.amdhsa_workgroup_processor_mode 1
		.amdhsa_memory_ordered 1
		.amdhsa_forward_progress 0
		.amdhsa_shared_vgpr_count 0
		.amdhsa_exception_fp_ieee_invalid_op 0
		.amdhsa_exception_fp_denorm_src 0
		.amdhsa_exception_fp_ieee_div_zero 0
		.amdhsa_exception_fp_ieee_overflow 0
		.amdhsa_exception_fp_ieee_underflow 0
		.amdhsa_exception_fp_ieee_inexact 0
		.amdhsa_exception_int_div_zero 0
	.end_amdhsa_kernel
	.section	.text._ZN7rocprim17ROCPRIM_400000_NS6detail17trampoline_kernelINS0_14default_configENS1_25partition_config_selectorILNS1_17partition_subalgoE9EddbEEZZNS1_14partition_implILS5_9ELb0ES3_jN6thrust23THRUST_200600_302600_NS6detail15normal_iteratorINS9_10device_ptrIdEEEESE_PNS0_10empty_typeENS0_5tupleIJSE_SF_EEENSH_IJSE_SG_EEENS0_18inequality_wrapperINS9_8equal_toIdEEEEPmJSF_EEE10hipError_tPvRmT3_T4_T5_T6_T7_T9_mT8_P12ihipStream_tbDpT10_ENKUlT_T0_E_clISt17integral_constantIbLb1EES17_IbLb0EEEEDaS13_S14_EUlS13_E_NS1_11comp_targetILNS1_3genE2ELNS1_11target_archE906ELNS1_3gpuE6ELNS1_3repE0EEENS1_30default_config_static_selectorELNS0_4arch9wavefront6targetE0EEEvT1_,"axG",@progbits,_ZN7rocprim17ROCPRIM_400000_NS6detail17trampoline_kernelINS0_14default_configENS1_25partition_config_selectorILNS1_17partition_subalgoE9EddbEEZZNS1_14partition_implILS5_9ELb0ES3_jN6thrust23THRUST_200600_302600_NS6detail15normal_iteratorINS9_10device_ptrIdEEEESE_PNS0_10empty_typeENS0_5tupleIJSE_SF_EEENSH_IJSE_SG_EEENS0_18inequality_wrapperINS9_8equal_toIdEEEEPmJSF_EEE10hipError_tPvRmT3_T4_T5_T6_T7_T9_mT8_P12ihipStream_tbDpT10_ENKUlT_T0_E_clISt17integral_constantIbLb1EES17_IbLb0EEEEDaS13_S14_EUlS13_E_NS1_11comp_targetILNS1_3genE2ELNS1_11target_archE906ELNS1_3gpuE6ELNS1_3repE0EEENS1_30default_config_static_selectorELNS0_4arch9wavefront6targetE0EEEvT1_,comdat
.Lfunc_end34:
	.size	_ZN7rocprim17ROCPRIM_400000_NS6detail17trampoline_kernelINS0_14default_configENS1_25partition_config_selectorILNS1_17partition_subalgoE9EddbEEZZNS1_14partition_implILS5_9ELb0ES3_jN6thrust23THRUST_200600_302600_NS6detail15normal_iteratorINS9_10device_ptrIdEEEESE_PNS0_10empty_typeENS0_5tupleIJSE_SF_EEENSH_IJSE_SG_EEENS0_18inequality_wrapperINS9_8equal_toIdEEEEPmJSF_EEE10hipError_tPvRmT3_T4_T5_T6_T7_T9_mT8_P12ihipStream_tbDpT10_ENKUlT_T0_E_clISt17integral_constantIbLb1EES17_IbLb0EEEEDaS13_S14_EUlS13_E_NS1_11comp_targetILNS1_3genE2ELNS1_11target_archE906ELNS1_3gpuE6ELNS1_3repE0EEENS1_30default_config_static_selectorELNS0_4arch9wavefront6targetE0EEEvT1_, .Lfunc_end34-_ZN7rocprim17ROCPRIM_400000_NS6detail17trampoline_kernelINS0_14default_configENS1_25partition_config_selectorILNS1_17partition_subalgoE9EddbEEZZNS1_14partition_implILS5_9ELb0ES3_jN6thrust23THRUST_200600_302600_NS6detail15normal_iteratorINS9_10device_ptrIdEEEESE_PNS0_10empty_typeENS0_5tupleIJSE_SF_EEENSH_IJSE_SG_EEENS0_18inequality_wrapperINS9_8equal_toIdEEEEPmJSF_EEE10hipError_tPvRmT3_T4_T5_T6_T7_T9_mT8_P12ihipStream_tbDpT10_ENKUlT_T0_E_clISt17integral_constantIbLb1EES17_IbLb0EEEEDaS13_S14_EUlS13_E_NS1_11comp_targetILNS1_3genE2ELNS1_11target_archE906ELNS1_3gpuE6ELNS1_3repE0EEENS1_30default_config_static_selectorELNS0_4arch9wavefront6targetE0EEEvT1_
                                        ; -- End function
	.section	.AMDGPU.csdata,"",@progbits
; Kernel info:
; codeLenInByte = 0
; NumSgprs: 0
; NumVgprs: 0
; ScratchSize: 0
; MemoryBound: 0
; FloatMode: 240
; IeeeMode: 1
; LDSByteSize: 0 bytes/workgroup (compile time only)
; SGPRBlocks: 0
; VGPRBlocks: 0
; NumSGPRsForWavesPerEU: 1
; NumVGPRsForWavesPerEU: 1
; Occupancy: 16
; WaveLimiterHint : 0
; COMPUTE_PGM_RSRC2:SCRATCH_EN: 0
; COMPUTE_PGM_RSRC2:USER_SGPR: 15
; COMPUTE_PGM_RSRC2:TRAP_HANDLER: 0
; COMPUTE_PGM_RSRC2:TGID_X_EN: 1
; COMPUTE_PGM_RSRC2:TGID_Y_EN: 0
; COMPUTE_PGM_RSRC2:TGID_Z_EN: 0
; COMPUTE_PGM_RSRC2:TIDIG_COMP_CNT: 0
	.section	.text._ZN7rocprim17ROCPRIM_400000_NS6detail17trampoline_kernelINS0_14default_configENS1_25partition_config_selectorILNS1_17partition_subalgoE9EddbEEZZNS1_14partition_implILS5_9ELb0ES3_jN6thrust23THRUST_200600_302600_NS6detail15normal_iteratorINS9_10device_ptrIdEEEESE_PNS0_10empty_typeENS0_5tupleIJSE_SF_EEENSH_IJSE_SG_EEENS0_18inequality_wrapperINS9_8equal_toIdEEEEPmJSF_EEE10hipError_tPvRmT3_T4_T5_T6_T7_T9_mT8_P12ihipStream_tbDpT10_ENKUlT_T0_E_clISt17integral_constantIbLb1EES17_IbLb0EEEEDaS13_S14_EUlS13_E_NS1_11comp_targetILNS1_3genE10ELNS1_11target_archE1200ELNS1_3gpuE4ELNS1_3repE0EEENS1_30default_config_static_selectorELNS0_4arch9wavefront6targetE0EEEvT1_,"axG",@progbits,_ZN7rocprim17ROCPRIM_400000_NS6detail17trampoline_kernelINS0_14default_configENS1_25partition_config_selectorILNS1_17partition_subalgoE9EddbEEZZNS1_14partition_implILS5_9ELb0ES3_jN6thrust23THRUST_200600_302600_NS6detail15normal_iteratorINS9_10device_ptrIdEEEESE_PNS0_10empty_typeENS0_5tupleIJSE_SF_EEENSH_IJSE_SG_EEENS0_18inequality_wrapperINS9_8equal_toIdEEEEPmJSF_EEE10hipError_tPvRmT3_T4_T5_T6_T7_T9_mT8_P12ihipStream_tbDpT10_ENKUlT_T0_E_clISt17integral_constantIbLb1EES17_IbLb0EEEEDaS13_S14_EUlS13_E_NS1_11comp_targetILNS1_3genE10ELNS1_11target_archE1200ELNS1_3gpuE4ELNS1_3repE0EEENS1_30default_config_static_selectorELNS0_4arch9wavefront6targetE0EEEvT1_,comdat
	.protected	_ZN7rocprim17ROCPRIM_400000_NS6detail17trampoline_kernelINS0_14default_configENS1_25partition_config_selectorILNS1_17partition_subalgoE9EddbEEZZNS1_14partition_implILS5_9ELb0ES3_jN6thrust23THRUST_200600_302600_NS6detail15normal_iteratorINS9_10device_ptrIdEEEESE_PNS0_10empty_typeENS0_5tupleIJSE_SF_EEENSH_IJSE_SG_EEENS0_18inequality_wrapperINS9_8equal_toIdEEEEPmJSF_EEE10hipError_tPvRmT3_T4_T5_T6_T7_T9_mT8_P12ihipStream_tbDpT10_ENKUlT_T0_E_clISt17integral_constantIbLb1EES17_IbLb0EEEEDaS13_S14_EUlS13_E_NS1_11comp_targetILNS1_3genE10ELNS1_11target_archE1200ELNS1_3gpuE4ELNS1_3repE0EEENS1_30default_config_static_selectorELNS0_4arch9wavefront6targetE0EEEvT1_ ; -- Begin function _ZN7rocprim17ROCPRIM_400000_NS6detail17trampoline_kernelINS0_14default_configENS1_25partition_config_selectorILNS1_17partition_subalgoE9EddbEEZZNS1_14partition_implILS5_9ELb0ES3_jN6thrust23THRUST_200600_302600_NS6detail15normal_iteratorINS9_10device_ptrIdEEEESE_PNS0_10empty_typeENS0_5tupleIJSE_SF_EEENSH_IJSE_SG_EEENS0_18inequality_wrapperINS9_8equal_toIdEEEEPmJSF_EEE10hipError_tPvRmT3_T4_T5_T6_T7_T9_mT8_P12ihipStream_tbDpT10_ENKUlT_T0_E_clISt17integral_constantIbLb1EES17_IbLb0EEEEDaS13_S14_EUlS13_E_NS1_11comp_targetILNS1_3genE10ELNS1_11target_archE1200ELNS1_3gpuE4ELNS1_3repE0EEENS1_30default_config_static_selectorELNS0_4arch9wavefront6targetE0EEEvT1_
	.globl	_ZN7rocprim17ROCPRIM_400000_NS6detail17trampoline_kernelINS0_14default_configENS1_25partition_config_selectorILNS1_17partition_subalgoE9EddbEEZZNS1_14partition_implILS5_9ELb0ES3_jN6thrust23THRUST_200600_302600_NS6detail15normal_iteratorINS9_10device_ptrIdEEEESE_PNS0_10empty_typeENS0_5tupleIJSE_SF_EEENSH_IJSE_SG_EEENS0_18inequality_wrapperINS9_8equal_toIdEEEEPmJSF_EEE10hipError_tPvRmT3_T4_T5_T6_T7_T9_mT8_P12ihipStream_tbDpT10_ENKUlT_T0_E_clISt17integral_constantIbLb1EES17_IbLb0EEEEDaS13_S14_EUlS13_E_NS1_11comp_targetILNS1_3genE10ELNS1_11target_archE1200ELNS1_3gpuE4ELNS1_3repE0EEENS1_30default_config_static_selectorELNS0_4arch9wavefront6targetE0EEEvT1_
	.p2align	8
	.type	_ZN7rocprim17ROCPRIM_400000_NS6detail17trampoline_kernelINS0_14default_configENS1_25partition_config_selectorILNS1_17partition_subalgoE9EddbEEZZNS1_14partition_implILS5_9ELb0ES3_jN6thrust23THRUST_200600_302600_NS6detail15normal_iteratorINS9_10device_ptrIdEEEESE_PNS0_10empty_typeENS0_5tupleIJSE_SF_EEENSH_IJSE_SG_EEENS0_18inequality_wrapperINS9_8equal_toIdEEEEPmJSF_EEE10hipError_tPvRmT3_T4_T5_T6_T7_T9_mT8_P12ihipStream_tbDpT10_ENKUlT_T0_E_clISt17integral_constantIbLb1EES17_IbLb0EEEEDaS13_S14_EUlS13_E_NS1_11comp_targetILNS1_3genE10ELNS1_11target_archE1200ELNS1_3gpuE4ELNS1_3repE0EEENS1_30default_config_static_selectorELNS0_4arch9wavefront6targetE0EEEvT1_,@function
_ZN7rocprim17ROCPRIM_400000_NS6detail17trampoline_kernelINS0_14default_configENS1_25partition_config_selectorILNS1_17partition_subalgoE9EddbEEZZNS1_14partition_implILS5_9ELb0ES3_jN6thrust23THRUST_200600_302600_NS6detail15normal_iteratorINS9_10device_ptrIdEEEESE_PNS0_10empty_typeENS0_5tupleIJSE_SF_EEENSH_IJSE_SG_EEENS0_18inequality_wrapperINS9_8equal_toIdEEEEPmJSF_EEE10hipError_tPvRmT3_T4_T5_T6_T7_T9_mT8_P12ihipStream_tbDpT10_ENKUlT_T0_E_clISt17integral_constantIbLb1EES17_IbLb0EEEEDaS13_S14_EUlS13_E_NS1_11comp_targetILNS1_3genE10ELNS1_11target_archE1200ELNS1_3gpuE4ELNS1_3repE0EEENS1_30default_config_static_selectorELNS0_4arch9wavefront6targetE0EEEvT1_: ; @_ZN7rocprim17ROCPRIM_400000_NS6detail17trampoline_kernelINS0_14default_configENS1_25partition_config_selectorILNS1_17partition_subalgoE9EddbEEZZNS1_14partition_implILS5_9ELb0ES3_jN6thrust23THRUST_200600_302600_NS6detail15normal_iteratorINS9_10device_ptrIdEEEESE_PNS0_10empty_typeENS0_5tupleIJSE_SF_EEENSH_IJSE_SG_EEENS0_18inequality_wrapperINS9_8equal_toIdEEEEPmJSF_EEE10hipError_tPvRmT3_T4_T5_T6_T7_T9_mT8_P12ihipStream_tbDpT10_ENKUlT_T0_E_clISt17integral_constantIbLb1EES17_IbLb0EEEEDaS13_S14_EUlS13_E_NS1_11comp_targetILNS1_3genE10ELNS1_11target_archE1200ELNS1_3gpuE4ELNS1_3repE0EEENS1_30default_config_static_selectorELNS0_4arch9wavefront6targetE0EEEvT1_
; %bb.0:
	.section	.rodata,"a",@progbits
	.p2align	6, 0x0
	.amdhsa_kernel _ZN7rocprim17ROCPRIM_400000_NS6detail17trampoline_kernelINS0_14default_configENS1_25partition_config_selectorILNS1_17partition_subalgoE9EddbEEZZNS1_14partition_implILS5_9ELb0ES3_jN6thrust23THRUST_200600_302600_NS6detail15normal_iteratorINS9_10device_ptrIdEEEESE_PNS0_10empty_typeENS0_5tupleIJSE_SF_EEENSH_IJSE_SG_EEENS0_18inequality_wrapperINS9_8equal_toIdEEEEPmJSF_EEE10hipError_tPvRmT3_T4_T5_T6_T7_T9_mT8_P12ihipStream_tbDpT10_ENKUlT_T0_E_clISt17integral_constantIbLb1EES17_IbLb0EEEEDaS13_S14_EUlS13_E_NS1_11comp_targetILNS1_3genE10ELNS1_11target_archE1200ELNS1_3gpuE4ELNS1_3repE0EEENS1_30default_config_static_selectorELNS0_4arch9wavefront6targetE0EEEvT1_
		.amdhsa_group_segment_fixed_size 0
		.amdhsa_private_segment_fixed_size 0
		.amdhsa_kernarg_size 112
		.amdhsa_user_sgpr_count 15
		.amdhsa_user_sgpr_dispatch_ptr 0
		.amdhsa_user_sgpr_queue_ptr 0
		.amdhsa_user_sgpr_kernarg_segment_ptr 1
		.amdhsa_user_sgpr_dispatch_id 0
		.amdhsa_user_sgpr_private_segment_size 0
		.amdhsa_wavefront_size32 1
		.amdhsa_uses_dynamic_stack 0
		.amdhsa_enable_private_segment 0
		.amdhsa_system_sgpr_workgroup_id_x 1
		.amdhsa_system_sgpr_workgroup_id_y 0
		.amdhsa_system_sgpr_workgroup_id_z 0
		.amdhsa_system_sgpr_workgroup_info 0
		.amdhsa_system_vgpr_workitem_id 0
		.amdhsa_next_free_vgpr 1
		.amdhsa_next_free_sgpr 1
		.amdhsa_reserve_vcc 0
		.amdhsa_float_round_mode_32 0
		.amdhsa_float_round_mode_16_64 0
		.amdhsa_float_denorm_mode_32 3
		.amdhsa_float_denorm_mode_16_64 3
		.amdhsa_dx10_clamp 1
		.amdhsa_ieee_mode 1
		.amdhsa_fp16_overflow 0
		.amdhsa_workgroup_processor_mode 1
		.amdhsa_memory_ordered 1
		.amdhsa_forward_progress 0
		.amdhsa_shared_vgpr_count 0
		.amdhsa_exception_fp_ieee_invalid_op 0
		.amdhsa_exception_fp_denorm_src 0
		.amdhsa_exception_fp_ieee_div_zero 0
		.amdhsa_exception_fp_ieee_overflow 0
		.amdhsa_exception_fp_ieee_underflow 0
		.amdhsa_exception_fp_ieee_inexact 0
		.amdhsa_exception_int_div_zero 0
	.end_amdhsa_kernel
	.section	.text._ZN7rocprim17ROCPRIM_400000_NS6detail17trampoline_kernelINS0_14default_configENS1_25partition_config_selectorILNS1_17partition_subalgoE9EddbEEZZNS1_14partition_implILS5_9ELb0ES3_jN6thrust23THRUST_200600_302600_NS6detail15normal_iteratorINS9_10device_ptrIdEEEESE_PNS0_10empty_typeENS0_5tupleIJSE_SF_EEENSH_IJSE_SG_EEENS0_18inequality_wrapperINS9_8equal_toIdEEEEPmJSF_EEE10hipError_tPvRmT3_T4_T5_T6_T7_T9_mT8_P12ihipStream_tbDpT10_ENKUlT_T0_E_clISt17integral_constantIbLb1EES17_IbLb0EEEEDaS13_S14_EUlS13_E_NS1_11comp_targetILNS1_3genE10ELNS1_11target_archE1200ELNS1_3gpuE4ELNS1_3repE0EEENS1_30default_config_static_selectorELNS0_4arch9wavefront6targetE0EEEvT1_,"axG",@progbits,_ZN7rocprim17ROCPRIM_400000_NS6detail17trampoline_kernelINS0_14default_configENS1_25partition_config_selectorILNS1_17partition_subalgoE9EddbEEZZNS1_14partition_implILS5_9ELb0ES3_jN6thrust23THRUST_200600_302600_NS6detail15normal_iteratorINS9_10device_ptrIdEEEESE_PNS0_10empty_typeENS0_5tupleIJSE_SF_EEENSH_IJSE_SG_EEENS0_18inequality_wrapperINS9_8equal_toIdEEEEPmJSF_EEE10hipError_tPvRmT3_T4_T5_T6_T7_T9_mT8_P12ihipStream_tbDpT10_ENKUlT_T0_E_clISt17integral_constantIbLb1EES17_IbLb0EEEEDaS13_S14_EUlS13_E_NS1_11comp_targetILNS1_3genE10ELNS1_11target_archE1200ELNS1_3gpuE4ELNS1_3repE0EEENS1_30default_config_static_selectorELNS0_4arch9wavefront6targetE0EEEvT1_,comdat
.Lfunc_end35:
	.size	_ZN7rocprim17ROCPRIM_400000_NS6detail17trampoline_kernelINS0_14default_configENS1_25partition_config_selectorILNS1_17partition_subalgoE9EddbEEZZNS1_14partition_implILS5_9ELb0ES3_jN6thrust23THRUST_200600_302600_NS6detail15normal_iteratorINS9_10device_ptrIdEEEESE_PNS0_10empty_typeENS0_5tupleIJSE_SF_EEENSH_IJSE_SG_EEENS0_18inequality_wrapperINS9_8equal_toIdEEEEPmJSF_EEE10hipError_tPvRmT3_T4_T5_T6_T7_T9_mT8_P12ihipStream_tbDpT10_ENKUlT_T0_E_clISt17integral_constantIbLb1EES17_IbLb0EEEEDaS13_S14_EUlS13_E_NS1_11comp_targetILNS1_3genE10ELNS1_11target_archE1200ELNS1_3gpuE4ELNS1_3repE0EEENS1_30default_config_static_selectorELNS0_4arch9wavefront6targetE0EEEvT1_, .Lfunc_end35-_ZN7rocprim17ROCPRIM_400000_NS6detail17trampoline_kernelINS0_14default_configENS1_25partition_config_selectorILNS1_17partition_subalgoE9EddbEEZZNS1_14partition_implILS5_9ELb0ES3_jN6thrust23THRUST_200600_302600_NS6detail15normal_iteratorINS9_10device_ptrIdEEEESE_PNS0_10empty_typeENS0_5tupleIJSE_SF_EEENSH_IJSE_SG_EEENS0_18inequality_wrapperINS9_8equal_toIdEEEEPmJSF_EEE10hipError_tPvRmT3_T4_T5_T6_T7_T9_mT8_P12ihipStream_tbDpT10_ENKUlT_T0_E_clISt17integral_constantIbLb1EES17_IbLb0EEEEDaS13_S14_EUlS13_E_NS1_11comp_targetILNS1_3genE10ELNS1_11target_archE1200ELNS1_3gpuE4ELNS1_3repE0EEENS1_30default_config_static_selectorELNS0_4arch9wavefront6targetE0EEEvT1_
                                        ; -- End function
	.section	.AMDGPU.csdata,"",@progbits
; Kernel info:
; codeLenInByte = 0
; NumSgprs: 0
; NumVgprs: 0
; ScratchSize: 0
; MemoryBound: 0
; FloatMode: 240
; IeeeMode: 1
; LDSByteSize: 0 bytes/workgroup (compile time only)
; SGPRBlocks: 0
; VGPRBlocks: 0
; NumSGPRsForWavesPerEU: 1
; NumVGPRsForWavesPerEU: 1
; Occupancy: 15
; WaveLimiterHint : 0
; COMPUTE_PGM_RSRC2:SCRATCH_EN: 0
; COMPUTE_PGM_RSRC2:USER_SGPR: 15
; COMPUTE_PGM_RSRC2:TRAP_HANDLER: 0
; COMPUTE_PGM_RSRC2:TGID_X_EN: 1
; COMPUTE_PGM_RSRC2:TGID_Y_EN: 0
; COMPUTE_PGM_RSRC2:TGID_Z_EN: 0
; COMPUTE_PGM_RSRC2:TIDIG_COMP_CNT: 0
	.section	.text._ZN7rocprim17ROCPRIM_400000_NS6detail17trampoline_kernelINS0_14default_configENS1_25partition_config_selectorILNS1_17partition_subalgoE9EddbEEZZNS1_14partition_implILS5_9ELb0ES3_jN6thrust23THRUST_200600_302600_NS6detail15normal_iteratorINS9_10device_ptrIdEEEESE_PNS0_10empty_typeENS0_5tupleIJSE_SF_EEENSH_IJSE_SG_EEENS0_18inequality_wrapperINS9_8equal_toIdEEEEPmJSF_EEE10hipError_tPvRmT3_T4_T5_T6_T7_T9_mT8_P12ihipStream_tbDpT10_ENKUlT_T0_E_clISt17integral_constantIbLb1EES17_IbLb0EEEEDaS13_S14_EUlS13_E_NS1_11comp_targetILNS1_3genE9ELNS1_11target_archE1100ELNS1_3gpuE3ELNS1_3repE0EEENS1_30default_config_static_selectorELNS0_4arch9wavefront6targetE0EEEvT1_,"axG",@progbits,_ZN7rocprim17ROCPRIM_400000_NS6detail17trampoline_kernelINS0_14default_configENS1_25partition_config_selectorILNS1_17partition_subalgoE9EddbEEZZNS1_14partition_implILS5_9ELb0ES3_jN6thrust23THRUST_200600_302600_NS6detail15normal_iteratorINS9_10device_ptrIdEEEESE_PNS0_10empty_typeENS0_5tupleIJSE_SF_EEENSH_IJSE_SG_EEENS0_18inequality_wrapperINS9_8equal_toIdEEEEPmJSF_EEE10hipError_tPvRmT3_T4_T5_T6_T7_T9_mT8_P12ihipStream_tbDpT10_ENKUlT_T0_E_clISt17integral_constantIbLb1EES17_IbLb0EEEEDaS13_S14_EUlS13_E_NS1_11comp_targetILNS1_3genE9ELNS1_11target_archE1100ELNS1_3gpuE3ELNS1_3repE0EEENS1_30default_config_static_selectorELNS0_4arch9wavefront6targetE0EEEvT1_,comdat
	.protected	_ZN7rocprim17ROCPRIM_400000_NS6detail17trampoline_kernelINS0_14default_configENS1_25partition_config_selectorILNS1_17partition_subalgoE9EddbEEZZNS1_14partition_implILS5_9ELb0ES3_jN6thrust23THRUST_200600_302600_NS6detail15normal_iteratorINS9_10device_ptrIdEEEESE_PNS0_10empty_typeENS0_5tupleIJSE_SF_EEENSH_IJSE_SG_EEENS0_18inequality_wrapperINS9_8equal_toIdEEEEPmJSF_EEE10hipError_tPvRmT3_T4_T5_T6_T7_T9_mT8_P12ihipStream_tbDpT10_ENKUlT_T0_E_clISt17integral_constantIbLb1EES17_IbLb0EEEEDaS13_S14_EUlS13_E_NS1_11comp_targetILNS1_3genE9ELNS1_11target_archE1100ELNS1_3gpuE3ELNS1_3repE0EEENS1_30default_config_static_selectorELNS0_4arch9wavefront6targetE0EEEvT1_ ; -- Begin function _ZN7rocprim17ROCPRIM_400000_NS6detail17trampoline_kernelINS0_14default_configENS1_25partition_config_selectorILNS1_17partition_subalgoE9EddbEEZZNS1_14partition_implILS5_9ELb0ES3_jN6thrust23THRUST_200600_302600_NS6detail15normal_iteratorINS9_10device_ptrIdEEEESE_PNS0_10empty_typeENS0_5tupleIJSE_SF_EEENSH_IJSE_SG_EEENS0_18inequality_wrapperINS9_8equal_toIdEEEEPmJSF_EEE10hipError_tPvRmT3_T4_T5_T6_T7_T9_mT8_P12ihipStream_tbDpT10_ENKUlT_T0_E_clISt17integral_constantIbLb1EES17_IbLb0EEEEDaS13_S14_EUlS13_E_NS1_11comp_targetILNS1_3genE9ELNS1_11target_archE1100ELNS1_3gpuE3ELNS1_3repE0EEENS1_30default_config_static_selectorELNS0_4arch9wavefront6targetE0EEEvT1_
	.globl	_ZN7rocprim17ROCPRIM_400000_NS6detail17trampoline_kernelINS0_14default_configENS1_25partition_config_selectorILNS1_17partition_subalgoE9EddbEEZZNS1_14partition_implILS5_9ELb0ES3_jN6thrust23THRUST_200600_302600_NS6detail15normal_iteratorINS9_10device_ptrIdEEEESE_PNS0_10empty_typeENS0_5tupleIJSE_SF_EEENSH_IJSE_SG_EEENS0_18inequality_wrapperINS9_8equal_toIdEEEEPmJSF_EEE10hipError_tPvRmT3_T4_T5_T6_T7_T9_mT8_P12ihipStream_tbDpT10_ENKUlT_T0_E_clISt17integral_constantIbLb1EES17_IbLb0EEEEDaS13_S14_EUlS13_E_NS1_11comp_targetILNS1_3genE9ELNS1_11target_archE1100ELNS1_3gpuE3ELNS1_3repE0EEENS1_30default_config_static_selectorELNS0_4arch9wavefront6targetE0EEEvT1_
	.p2align	8
	.type	_ZN7rocprim17ROCPRIM_400000_NS6detail17trampoline_kernelINS0_14default_configENS1_25partition_config_selectorILNS1_17partition_subalgoE9EddbEEZZNS1_14partition_implILS5_9ELb0ES3_jN6thrust23THRUST_200600_302600_NS6detail15normal_iteratorINS9_10device_ptrIdEEEESE_PNS0_10empty_typeENS0_5tupleIJSE_SF_EEENSH_IJSE_SG_EEENS0_18inequality_wrapperINS9_8equal_toIdEEEEPmJSF_EEE10hipError_tPvRmT3_T4_T5_T6_T7_T9_mT8_P12ihipStream_tbDpT10_ENKUlT_T0_E_clISt17integral_constantIbLb1EES17_IbLb0EEEEDaS13_S14_EUlS13_E_NS1_11comp_targetILNS1_3genE9ELNS1_11target_archE1100ELNS1_3gpuE3ELNS1_3repE0EEENS1_30default_config_static_selectorELNS0_4arch9wavefront6targetE0EEEvT1_,@function
_ZN7rocprim17ROCPRIM_400000_NS6detail17trampoline_kernelINS0_14default_configENS1_25partition_config_selectorILNS1_17partition_subalgoE9EddbEEZZNS1_14partition_implILS5_9ELb0ES3_jN6thrust23THRUST_200600_302600_NS6detail15normal_iteratorINS9_10device_ptrIdEEEESE_PNS0_10empty_typeENS0_5tupleIJSE_SF_EEENSH_IJSE_SG_EEENS0_18inequality_wrapperINS9_8equal_toIdEEEEPmJSF_EEE10hipError_tPvRmT3_T4_T5_T6_T7_T9_mT8_P12ihipStream_tbDpT10_ENKUlT_T0_E_clISt17integral_constantIbLb1EES17_IbLb0EEEEDaS13_S14_EUlS13_E_NS1_11comp_targetILNS1_3genE9ELNS1_11target_archE1100ELNS1_3gpuE3ELNS1_3repE0EEENS1_30default_config_static_selectorELNS0_4arch9wavefront6targetE0EEEvT1_: ; @_ZN7rocprim17ROCPRIM_400000_NS6detail17trampoline_kernelINS0_14default_configENS1_25partition_config_selectorILNS1_17partition_subalgoE9EddbEEZZNS1_14partition_implILS5_9ELb0ES3_jN6thrust23THRUST_200600_302600_NS6detail15normal_iteratorINS9_10device_ptrIdEEEESE_PNS0_10empty_typeENS0_5tupleIJSE_SF_EEENSH_IJSE_SG_EEENS0_18inequality_wrapperINS9_8equal_toIdEEEEPmJSF_EEE10hipError_tPvRmT3_T4_T5_T6_T7_T9_mT8_P12ihipStream_tbDpT10_ENKUlT_T0_E_clISt17integral_constantIbLb1EES17_IbLb0EEEEDaS13_S14_EUlS13_E_NS1_11comp_targetILNS1_3genE9ELNS1_11target_archE1100ELNS1_3gpuE3ELNS1_3repE0EEENS1_30default_config_static_selectorELNS0_4arch9wavefront6targetE0EEEvT1_
; %bb.0:
	s_clause 0x4
	s_load_b128 s[4:7], s[0:1], 0x8
	s_load_b32 s14, s[0:1], 0x68
	s_load_b128 s[20:23], s[0:1], 0x40
	s_load_b64 s[2:3], s[0:1], 0x50
	s_load_b64 s[8:9], s[0:1], 0x18
	s_mov_b32 s13, 0
	v_lshlrev_b32_e32 v55, 3, v0
	v_lshrrev_b32_e32 v33, 2, v0
	v_or_b32_e32 v38, 0x200, v0
	v_or_b32_e32 v36, 0x400, v0
	;; [unrolled: 1-line block ×7, first 2 shown]
	s_waitcnt lgkmcnt(0)
	s_lshl_b64 s[10:11], s[6:7], 3
	s_delay_alu instid0(SALU_CYCLE_1)
	s_add_u32 s16, s4, s10
	s_addc_u32 s25, s5, s11
	s_add_i32 s17, s14, -1
	s_load_b64 s[18:19], s[22:23], 0x0
	s_lshl_b32 s4, s17, 12
	s_lshl_b32 s5, s14, 12
	s_add_i32 s4, s6, s4
	s_lshl_b32 s12, s15, 12
	s_sub_i32 s23, s2, s4
	s_add_u32 s4, s6, s5
	s_addc_u32 s5, s7, 0
	s_cmp_eq_u32 s15, s17
	v_cmp_ge_u64_e64 s2, s[4:5], s[2:3]
	s_cselect_b32 s17, -1, 0
	s_lshl_b64 s[4:5], s[12:13], 3
	s_mov_b32 s13, -1
	s_delay_alu instid0(VALU_DEP_1) | instskip(NEXT) | instid1(SALU_CYCLE_1)
	s_and_b32 s24, s17, s2
	s_xor_b32 s22, s24, -1
	s_add_u32 s12, s16, s4
	s_addc_u32 s3, s25, s5
	s_and_b32 vcc_lo, exec_lo, s22
	s_cbranch_vccz .LBB36_2
; %bb.1:
	v_add_co_u32 v1, s2, s12, v55
	s_delay_alu instid0(VALU_DEP_1) | instskip(SKIP_1) | instid1(VALU_DEP_3)
	v_add_co_ci_u32_e64 v2, null, s3, 0, s2
	v_lshrrev_b32_e32 v18, 2, v38
	v_add_co_u32 v3, vcc_lo, 0x1000, v1
	s_delay_alu instid0(VALU_DEP_3)
	v_add_co_ci_u32_e32 v4, vcc_lo, 0, v2, vcc_lo
	v_add_co_u32 v5, vcc_lo, 0x2000, v1
	v_add_co_ci_u32_e32 v6, vcc_lo, 0, v2, vcc_lo
	v_add_co_u32 v7, vcc_lo, 0x3000, v1
	;; [unrolled: 2-line block ×6, first 2 shown]
	v_add_co_ci_u32_e32 v16, vcc_lo, 0, v2, vcc_lo
	s_clause 0x7
	flat_load_b64 v[1:2], v[1:2]
	flat_load_b64 v[3:4], v[3:4]
	flat_load_b64 v[5:6], v[5:6]
	flat_load_b64 v[7:8], v[7:8]
	flat_load_b64 v[9:10], v[9:10]
	flat_load_b64 v[11:12], v[11:12]
	flat_load_b64 v[13:14], v[13:14]
	flat_load_b64 v[15:16], v[15:16]
	v_lshrrev_b32_e32 v19, 2, v36
	v_lshrrev_b32_e32 v20, 2, v40
	;; [unrolled: 1-line block ×3, first 2 shown]
	v_and_b32_e32 v17, 0x78, v33
	v_lshrrev_b32_e32 v22, 2, v37
	v_lshrrev_b32_e32 v23, 2, v34
	;; [unrolled: 1-line block ×3, first 2 shown]
	v_and_b32_e32 v18, 0xf8, v18
	v_and_b32_e32 v19, 0x178, v19
	v_and_b32_e32 v20, 0x1f8, v20
	v_and_b32_e32 v21, 0x278, v21
	v_add_nc_u32_e32 v17, v17, v55
	v_and_b32_e32 v22, 0x2f8, v22
	v_and_b32_e32 v23, 0x378, v23
	;; [unrolled: 1-line block ×3, first 2 shown]
	v_add_nc_u32_e32 v18, v18, v55
	v_add_nc_u32_e32 v19, v19, v55
	;; [unrolled: 1-line block ×4, first 2 shown]
	s_mov_b32 s13, 0
	v_add_nc_u32_e32 v22, v22, v55
	v_add_nc_u32_e32 v23, v23, v55
	v_add_nc_u32_e32 v24, v24, v55
	s_waitcnt vmcnt(7) lgkmcnt(0)
	ds_store_b64 v17, v[1:2]
	s_waitcnt vmcnt(6)
	ds_store_b64 v18, v[3:4] offset:4096
	s_waitcnt vmcnt(5)
	ds_store_b64 v19, v[5:6] offset:8192
	s_waitcnt vmcnt(4)
	ds_store_b64 v20, v[7:8] offset:12288
	s_waitcnt vmcnt(3)
	ds_store_b64 v21, v[9:10] offset:16384
	s_waitcnt vmcnt(2)
	ds_store_b64 v22, v[11:12] offset:20480
	s_waitcnt vmcnt(1)
	ds_store_b64 v23, v[13:14] offset:24576
	s_waitcnt vmcnt(0)
	ds_store_b64 v24, v[15:16] offset:28672
	s_waitcnt lgkmcnt(0)
	s_barrier
.LBB36_2:
	v_cmp_gt_u32_e64 s2, s23, v0
	s_and_not1_b32 vcc_lo, exec_lo, s13
	s_cbranch_vccnz .LBB36_20
; %bb.3:
                                        ; implicit-def: $vgpr1_vgpr2_vgpr3_vgpr4_vgpr5_vgpr6_vgpr7_vgpr8_vgpr9_vgpr10_vgpr11_vgpr12_vgpr13_vgpr14_vgpr15_vgpr16
	s_delay_alu instid0(VALU_DEP_1)
	s_and_saveexec_b32 s13, s2
	s_cbranch_execz .LBB36_11
; %bb.4:
	v_add_co_u32 v1, s2, s12, v55
	s_delay_alu instid0(VALU_DEP_1) | instskip(SKIP_2) | instid1(SALU_CYCLE_1)
	v_add_co_ci_u32_e64 v2, null, s3, 0, s2
	flat_load_b64 v[1:2], v[1:2]
	s_or_b32 exec_lo, exec_lo, s13
	s_mov_b32 s2, exec_lo
	v_cmpx_gt_u32_e64 s23, v38
	s_cbranch_execnz .LBB36_12
.LBB36_5:
	s_or_b32 exec_lo, exec_lo, s2
	s_delay_alu instid0(SALU_CYCLE_1)
	s_mov_b32 s2, exec_lo
	v_cmpx_gt_u32_e64 s23, v36
	s_cbranch_execz .LBB36_13
.LBB36_6:
	v_lshlrev_b32_e32 v5, 3, v36
	s_delay_alu instid0(VALU_DEP_1) | instskip(NEXT) | instid1(VALU_DEP_1)
	v_add_co_u32 v5, s13, s12, v5
	v_add_co_ci_u32_e64 v6, null, s3, 0, s13
	flat_load_b64 v[5:6], v[5:6]
	s_or_b32 exec_lo, exec_lo, s2
	s_delay_alu instid0(SALU_CYCLE_1)
	s_mov_b32 s2, exec_lo
	v_cmpx_gt_u32_e64 s23, v40
	s_cbranch_execnz .LBB36_14
.LBB36_7:
	s_or_b32 exec_lo, exec_lo, s2
	s_delay_alu instid0(SALU_CYCLE_1)
	s_mov_b32 s2, exec_lo
	v_cmpx_gt_u32_e64 s23, v39
	s_cbranch_execz .LBB36_15
.LBB36_8:
	v_lshlrev_b32_e32 v9, 3, v39
	s_delay_alu instid0(VALU_DEP_1) | instskip(NEXT) | instid1(VALU_DEP_1)
	v_add_co_u32 v9, s13, s12, v9
	v_add_co_ci_u32_e64 v10, null, s3, 0, s13
	flat_load_b64 v[9:10], v[9:10]
	s_or_b32 exec_lo, exec_lo, s2
	s_delay_alu instid0(SALU_CYCLE_1)
	s_mov_b32 s2, exec_lo
	v_cmpx_gt_u32_e64 s23, v37
	s_cbranch_execnz .LBB36_16
.LBB36_9:
	s_or_b32 exec_lo, exec_lo, s2
	s_delay_alu instid0(SALU_CYCLE_1)
	s_mov_b32 s2, exec_lo
	v_cmpx_gt_u32_e64 s23, v34
	s_cbranch_execz .LBB36_17
.LBB36_10:
	v_lshlrev_b32_e32 v13, 3, v34
	s_delay_alu instid0(VALU_DEP_1) | instskip(NEXT) | instid1(VALU_DEP_1)
	v_add_co_u32 v13, s13, s12, v13
	v_add_co_ci_u32_e64 v14, null, s3, 0, s13
	flat_load_b64 v[13:14], v[13:14]
	s_or_b32 exec_lo, exec_lo, s2
	s_delay_alu instid0(SALU_CYCLE_1)
	s_mov_b32 s2, exec_lo
	v_cmpx_gt_u32_e64 s23, v35
	s_cbranch_execnz .LBB36_18
	s_branch .LBB36_19
.LBB36_11:
	s_or_b32 exec_lo, exec_lo, s13
	s_delay_alu instid0(SALU_CYCLE_1)
	s_mov_b32 s2, exec_lo
	v_cmpx_gt_u32_e64 s23, v38
	s_cbranch_execz .LBB36_5
.LBB36_12:
	v_lshlrev_b32_e32 v3, 3, v38
	s_delay_alu instid0(VALU_DEP_1) | instskip(NEXT) | instid1(VALU_DEP_1)
	v_add_co_u32 v3, s13, s12, v3
	v_add_co_ci_u32_e64 v4, null, s3, 0, s13
	flat_load_b64 v[3:4], v[3:4]
	s_or_b32 exec_lo, exec_lo, s2
	s_delay_alu instid0(SALU_CYCLE_1)
	s_mov_b32 s2, exec_lo
	v_cmpx_gt_u32_e64 s23, v36
	s_cbranch_execnz .LBB36_6
.LBB36_13:
	s_or_b32 exec_lo, exec_lo, s2
	s_delay_alu instid0(SALU_CYCLE_1)
	s_mov_b32 s2, exec_lo
	v_cmpx_gt_u32_e64 s23, v40
	s_cbranch_execz .LBB36_7
.LBB36_14:
	v_lshlrev_b32_e32 v7, 3, v40
	s_delay_alu instid0(VALU_DEP_1) | instskip(NEXT) | instid1(VALU_DEP_1)
	v_add_co_u32 v7, s13, s12, v7
	v_add_co_ci_u32_e64 v8, null, s3, 0, s13
	flat_load_b64 v[7:8], v[7:8]
	s_or_b32 exec_lo, exec_lo, s2
	s_delay_alu instid0(SALU_CYCLE_1)
	s_mov_b32 s2, exec_lo
	v_cmpx_gt_u32_e64 s23, v39
	s_cbranch_execnz .LBB36_8
.LBB36_15:
	s_or_b32 exec_lo, exec_lo, s2
	s_delay_alu instid0(SALU_CYCLE_1)
	s_mov_b32 s2, exec_lo
	v_cmpx_gt_u32_e64 s23, v37
	s_cbranch_execz .LBB36_9
.LBB36_16:
	v_lshlrev_b32_e32 v11, 3, v37
	s_delay_alu instid0(VALU_DEP_1) | instskip(NEXT) | instid1(VALU_DEP_1)
	v_add_co_u32 v11, s13, s12, v11
	v_add_co_ci_u32_e64 v12, null, s3, 0, s13
	flat_load_b64 v[11:12], v[11:12]
	s_or_b32 exec_lo, exec_lo, s2
	s_delay_alu instid0(SALU_CYCLE_1)
	s_mov_b32 s2, exec_lo
	v_cmpx_gt_u32_e64 s23, v34
	s_cbranch_execnz .LBB36_10
.LBB36_17:
	s_or_b32 exec_lo, exec_lo, s2
	s_delay_alu instid0(SALU_CYCLE_1)
	s_mov_b32 s2, exec_lo
	v_cmpx_gt_u32_e64 s23, v35
	s_cbranch_execz .LBB36_19
.LBB36_18:
	v_lshlrev_b32_e32 v15, 3, v35
	s_delay_alu instid0(VALU_DEP_1) | instskip(NEXT) | instid1(VALU_DEP_1)
	v_add_co_u32 v15, s13, s12, v15
	v_add_co_ci_u32_e64 v16, null, s3, 0, s13
	flat_load_b64 v[15:16], v[15:16]
.LBB36_19:
	s_or_b32 exec_lo, exec_lo, s2
	v_lshrrev_b32_e32 v17, 2, v38
	v_lshrrev_b32_e32 v18, 2, v36
	;; [unrolled: 1-line block ×4, first 2 shown]
	v_and_b32_e32 v19, 0x78, v33
	v_lshrrev_b32_e32 v22, 2, v37
	v_lshrrev_b32_e32 v23, 2, v34
	;; [unrolled: 1-line block ×3, first 2 shown]
	v_and_b32_e32 v17, 0xf8, v17
	v_and_b32_e32 v18, 0x1f8, v18
	;; [unrolled: 1-line block ×4, first 2 shown]
	v_add_nc_u32_e32 v19, v19, v55
	v_and_b32_e32 v22, 0x3f8, v22
	v_and_b32_e32 v23, 0x3f8, v23
	;; [unrolled: 1-line block ×3, first 2 shown]
	v_add_nc_u32_e32 v17, v17, v55
	v_add_nc_u32_e32 v18, v18, v55
	;; [unrolled: 1-line block ×7, first 2 shown]
	s_waitcnt vmcnt(0) lgkmcnt(0)
	ds_store_b64 v19, v[1:2]
	ds_store_b64 v17, v[3:4] offset:4096
	ds_store_b64 v18, v[5:6] offset:8192
	;; [unrolled: 1-line block ×7, first 2 shown]
	s_waitcnt lgkmcnt(0)
	s_barrier
.LBB36_20:
	v_add_lshl_u32 v41, v33, v55, 3
	s_waitcnt lgkmcnt(0)
	buffer_gl0_inv
	s_add_u32 s2, s8, s10
	s_addc_u32 s8, s9, s11
	s_add_u32 s2, s2, s4
	ds_load_2addr_b64 v[29:32], v41 offset1:1
	ds_load_2addr_b64 v[25:28], v41 offset0:2 offset1:3
	ds_load_2addr_b64 v[21:24], v41 offset0:4 offset1:5
	;; [unrolled: 1-line block ×3, first 2 shown]
	s_addc_u32 s4, s8, s5
	s_and_b32 vcc_lo, exec_lo, s22
	s_mov_b32 s5, -1
	s_waitcnt lgkmcnt(0)
	s_barrier
	buffer_gl0_inv
	s_cbranch_vccz .LBB36_22
; %bb.21:
	v_add_co_u32 v1, s5, s2, v55
	s_delay_alu instid0(VALU_DEP_1) | instskip(SKIP_1) | instid1(VALU_DEP_3)
	v_add_co_ci_u32_e64 v2, null, s4, 0, s5
	v_lshrrev_b32_e32 v43, 2, v38
	v_add_co_u32 v3, vcc_lo, 0x1000, v1
	s_delay_alu instid0(VALU_DEP_3)
	v_add_co_ci_u32_e32 v4, vcc_lo, 0, v2, vcc_lo
	v_add_co_u32 v5, vcc_lo, 0x2000, v1
	v_add_co_ci_u32_e32 v6, vcc_lo, 0, v2, vcc_lo
	v_add_co_u32 v7, vcc_lo, 0x3000, v1
	;; [unrolled: 2-line block ×6, first 2 shown]
	v_add_co_ci_u32_e32 v16, vcc_lo, 0, v2, vcc_lo
	s_clause 0x7
	flat_load_b64 v[1:2], v[1:2]
	flat_load_b64 v[3:4], v[3:4]
	;; [unrolled: 1-line block ×8, first 2 shown]
	v_lshrrev_b32_e32 v44, 2, v36
	v_lshrrev_b32_e32 v45, 2, v40
	;; [unrolled: 1-line block ×3, first 2 shown]
	v_and_b32_e32 v42, 0x78, v33
	v_lshrrev_b32_e32 v47, 2, v37
	v_lshrrev_b32_e32 v48, 2, v34
	;; [unrolled: 1-line block ×3, first 2 shown]
	v_and_b32_e32 v43, 0xf8, v43
	v_and_b32_e32 v44, 0x178, v44
	v_and_b32_e32 v45, 0x1f8, v45
	v_and_b32_e32 v46, 0x278, v46
	v_add_nc_u32_e32 v42, v42, v55
	v_and_b32_e32 v47, 0x2f8, v47
	v_and_b32_e32 v48, 0x378, v48
	;; [unrolled: 1-line block ×3, first 2 shown]
	v_add_nc_u32_e32 v43, v43, v55
	v_add_nc_u32_e32 v44, v44, v55
	;; [unrolled: 1-line block ×4, first 2 shown]
	s_mov_b32 s5, 0
	v_add_nc_u32_e32 v47, v47, v55
	v_add_nc_u32_e32 v48, v48, v55
	;; [unrolled: 1-line block ×3, first 2 shown]
	s_waitcnt vmcnt(7) lgkmcnt(7)
	ds_store_b64 v42, v[1:2]
	s_waitcnt vmcnt(6) lgkmcnt(7)
	ds_store_b64 v43, v[3:4] offset:4096
	s_waitcnt vmcnt(5) lgkmcnt(7)
	ds_store_b64 v44, v[5:6] offset:8192
	;; [unrolled: 2-line block ×7, first 2 shown]
	s_waitcnt lgkmcnt(0)
	s_barrier
.LBB36_22:
	s_and_not1_b32 vcc_lo, exec_lo, s5
	s_cbranch_vccnz .LBB36_40
; %bb.23:
	s_mov_b32 s5, exec_lo
                                        ; implicit-def: $vgpr1_vgpr2
	v_cmpx_gt_u32_e64 s23, v0
	s_cbranch_execz .LBB36_25
; %bb.24:
	v_add_co_u32 v1, s8, s2, v55
	s_delay_alu instid0(VALU_DEP_1)
	v_add_co_ci_u32_e64 v2, null, s4, 0, s8
	flat_load_b64 v[1:2], v[1:2]
.LBB36_25:
	s_or_b32 exec_lo, exec_lo, s5
	s_delay_alu instid0(SALU_CYCLE_1)
	s_mov_b32 s5, exec_lo
                                        ; implicit-def: $vgpr3_vgpr4
	v_cmpx_gt_u32_e64 s23, v38
	s_cbranch_execz .LBB36_27
; %bb.26:
	v_lshlrev_b32_e32 v3, 3, v38
	s_delay_alu instid0(VALU_DEP_1) | instskip(NEXT) | instid1(VALU_DEP_1)
	v_add_co_u32 v3, s8, s2, v3
	v_add_co_ci_u32_e64 v4, null, s4, 0, s8
	flat_load_b64 v[3:4], v[3:4]
.LBB36_27:
	s_or_b32 exec_lo, exec_lo, s5
	s_delay_alu instid0(SALU_CYCLE_1)
	s_mov_b32 s5, exec_lo
                                        ; implicit-def: $vgpr5_vgpr6
	v_cmpx_gt_u32_e64 s23, v36
	s_cbranch_execz .LBB36_29
; %bb.28:
	v_lshlrev_b32_e32 v5, 3, v36
	s_delay_alu instid0(VALU_DEP_1) | instskip(NEXT) | instid1(VALU_DEP_1)
	v_add_co_u32 v5, s8, s2, v5
	v_add_co_ci_u32_e64 v6, null, s4, 0, s8
	flat_load_b64 v[5:6], v[5:6]
.LBB36_29:
	s_or_b32 exec_lo, exec_lo, s5
	s_delay_alu instid0(SALU_CYCLE_1)
	s_mov_b32 s5, exec_lo
                                        ; implicit-def: $vgpr7_vgpr8
	v_cmpx_gt_u32_e64 s23, v40
	s_cbranch_execz .LBB36_31
; %bb.30:
	v_lshlrev_b32_e32 v7, 3, v40
	s_delay_alu instid0(VALU_DEP_1) | instskip(NEXT) | instid1(VALU_DEP_1)
	v_add_co_u32 v7, s8, s2, v7
	v_add_co_ci_u32_e64 v8, null, s4, 0, s8
	flat_load_b64 v[7:8], v[7:8]
.LBB36_31:
	s_or_b32 exec_lo, exec_lo, s5
	s_delay_alu instid0(SALU_CYCLE_1)
	s_mov_b32 s5, exec_lo
                                        ; implicit-def: $vgpr9_vgpr10
	v_cmpx_gt_u32_e64 s23, v39
	s_cbranch_execz .LBB36_33
; %bb.32:
	v_lshlrev_b32_e32 v9, 3, v39
	s_delay_alu instid0(VALU_DEP_1) | instskip(NEXT) | instid1(VALU_DEP_1)
	v_add_co_u32 v9, s8, s2, v9
	v_add_co_ci_u32_e64 v10, null, s4, 0, s8
	flat_load_b64 v[9:10], v[9:10]
.LBB36_33:
	s_or_b32 exec_lo, exec_lo, s5
	s_delay_alu instid0(SALU_CYCLE_1)
	s_mov_b32 s5, exec_lo
                                        ; implicit-def: $vgpr11_vgpr12
	v_cmpx_gt_u32_e64 s23, v37
	s_cbranch_execz .LBB36_35
; %bb.34:
	v_lshlrev_b32_e32 v11, 3, v37
	s_delay_alu instid0(VALU_DEP_1) | instskip(NEXT) | instid1(VALU_DEP_1)
	v_add_co_u32 v11, s8, s2, v11
	v_add_co_ci_u32_e64 v12, null, s4, 0, s8
	flat_load_b64 v[11:12], v[11:12]
.LBB36_35:
	s_or_b32 exec_lo, exec_lo, s5
	s_delay_alu instid0(SALU_CYCLE_1)
	s_mov_b32 s5, exec_lo
                                        ; implicit-def: $vgpr13_vgpr14
	v_cmpx_gt_u32_e64 s23, v34
	s_cbranch_execz .LBB36_37
; %bb.36:
	v_lshlrev_b32_e32 v13, 3, v34
	s_delay_alu instid0(VALU_DEP_1) | instskip(NEXT) | instid1(VALU_DEP_1)
	v_add_co_u32 v13, s8, s2, v13
	v_add_co_ci_u32_e64 v14, null, s4, 0, s8
	flat_load_b64 v[13:14], v[13:14]
.LBB36_37:
	s_or_b32 exec_lo, exec_lo, s5
	s_delay_alu instid0(SALU_CYCLE_1)
	s_mov_b32 s5, exec_lo
                                        ; implicit-def: $vgpr15_vgpr16
	v_cmpx_gt_u32_e64 s23, v35
	s_cbranch_execz .LBB36_39
; %bb.38:
	v_lshlrev_b32_e32 v15, 3, v35
	s_delay_alu instid0(VALU_DEP_1) | instskip(NEXT) | instid1(VALU_DEP_1)
	v_add_co_u32 v15, s2, s2, v15
	v_add_co_ci_u32_e64 v16, null, s4, 0, s2
	flat_load_b64 v[15:16], v[15:16]
.LBB36_39:
	s_or_b32 exec_lo, exec_lo, s5
	v_lshrrev_b32_e32 v38, 2, v38
	v_lshrrev_b32_e32 v36, 2, v36
	;; [unrolled: 1-line block ×4, first 2 shown]
	v_and_b32_e32 v33, 0x78, v33
	v_lshrrev_b32_e32 v37, 2, v37
	v_lshrrev_b32_e32 v34, 2, v34
	;; [unrolled: 1-line block ×3, first 2 shown]
	v_and_b32_e32 v38, 0xf8, v38
	v_and_b32_e32 v36, 0x1f8, v36
	;; [unrolled: 1-line block ×4, first 2 shown]
	v_add_nc_u32_e32 v33, v33, v55
	v_and_b32_e32 v37, 0x3f8, v37
	v_and_b32_e32 v34, 0x3f8, v34
	;; [unrolled: 1-line block ×3, first 2 shown]
	v_add_nc_u32_e32 v38, v38, v55
	v_add_nc_u32_e32 v36, v36, v55
	;; [unrolled: 1-line block ×7, first 2 shown]
	s_waitcnt vmcnt(0) lgkmcnt(0)
	ds_store_b64 v33, v[1:2]
	ds_store_b64 v38, v[3:4] offset:4096
	ds_store_b64 v36, v[5:6] offset:8192
	;; [unrolled: 1-line block ×7, first 2 shown]
	s_waitcnt lgkmcnt(0)
	s_barrier
.LBB36_40:
	buffer_gl0_inv
	ds_load_2addr_b64 v[13:16], v41 offset1:1
	ds_load_2addr_b64 v[9:12], v41 offset0:2 offset1:3
	ds_load_2addr_b64 v[5:8], v41 offset0:4 offset1:5
	;; [unrolled: 1-line block ×3, first 2 shown]
	s_cmp_lg_u32 s15, 0
	s_mov_b32 s16, 0
	s_cselect_b32 s25, -1, 0
	s_cmp_lg_u64 s[6:7], 0
	s_waitcnt lgkmcnt(0)
	s_cselect_b32 s2, -1, 0
	s_barrier
	s_or_b32 s2, s25, s2
	buffer_gl0_inv
	s_and_b32 vcc_lo, exec_lo, s2
	s_cbranch_vccz .LBB36_45
; %bb.41:
	v_add_co_u32 v33, s2, -8, s12
	s_delay_alu instid0(VALU_DEP_1)
	v_add_co_ci_u32_e64 v34, null, -1, s3, s2
	s_mov_b32 s3, -1
	s_and_b32 vcc_lo, exec_lo, s22
	flat_load_b64 v[35:36], v[33:34]
	ds_store_b64 v55, v[19:20]
	s_cbranch_vccz .LBB36_46
; %bb.42:
	s_waitcnt vmcnt(0) lgkmcnt(1)
	v_dual_mov_b32 v33, v35 :: v_dual_mov_b32 v34, v36
	s_mov_b32 s3, 0
	s_mov_b32 s2, exec_lo
	s_waitcnt lgkmcnt(0)
	s_barrier
	buffer_gl0_inv
	v_cmpx_ne_u32_e32 0, v0
	s_cbranch_execz .LBB36_44
; %bb.43:
	v_add_nc_u32_e32 v33, -8, v55
	ds_load_b64 v[33:34], v33
.LBB36_44:
	s_or_b32 exec_lo, exec_lo, s2
	v_cmp_neq_f64_e32 vcc_lo, v[17:18], v[19:20]
	s_waitcnt lgkmcnt(0)
	v_cmp_neq_f64_e64 s2, v[33:34], v[29:30]
	v_cndmask_b32_e64 v33, 0, 1, vcc_lo
	v_cmp_neq_f64_e32 vcc_lo, v[23:24], v[17:18]
	s_delay_alu instid0(VALU_DEP_2) | instskip(SKIP_2) | instid1(VALU_DEP_2)
	v_lshlrev_b16 v33, 8, v33
	v_cndmask_b32_e64 v34, 0, 1, vcc_lo
	v_cmp_neq_f64_e32 vcc_lo, v[21:22], v[23:24]
	v_or_b32_e32 v33, v34, v33
	v_cndmask_b32_e64 v37, 0, 1, vcc_lo
	v_cmp_neq_f64_e32 vcc_lo, v[25:26], v[27:28]
	s_delay_alu instid0(VALU_DEP_2) | instskip(SKIP_2) | instid1(VALU_DEP_2)
	v_lshlrev_b16 v37, 8, v37
	v_cndmask_b32_e64 v38, 0, 1, vcc_lo
	v_cmp_neq_f64_e32 vcc_lo, v[27:28], v[21:22]
	v_lshlrev_b16 v38, 8, v38
	v_cndmask_b32_e64 v39, 0, 1, vcc_lo
	v_cmp_neq_f64_e32 vcc_lo, v[31:32], v[25:26]
	s_delay_alu instid0(VALU_DEP_2) | instskip(SKIP_1) | instid1(VALU_DEP_2)
	v_or_b32_e32 v37, v39, v37
	v_lshlrev_b32_e32 v39, 16, v33
	v_and_b32_e32 v37, 0xffff, v37
	v_cndmask_b32_e64 v40, 0, 1, vcc_lo
	v_cmp_neq_f64_e32 vcc_lo, v[29:30], v[31:32]
	s_delay_alu instid0(VALU_DEP_2) | instskip(NEXT) | instid1(VALU_DEP_1)
	v_or_b32_e32 v38, v40, v38
	v_lshlrev_b32_e32 v34, 16, v38
	v_cndmask_b32_e64 v41, 0, 1, vcc_lo
	s_delay_alu instid0(VALU_DEP_1) | instskip(NEXT) | instid1(VALU_DEP_1)
	v_lshlrev_b16 v40, 8, v41
	v_and_b32_e32 v38, 0xffff, v40
	s_delay_alu instid0(VALU_DEP_1)
	v_or_b32_e32 v33, v38, v34
	v_or_b32_e32 v34, v37, v39
	s_and_b32 vcc_lo, exec_lo, s3
	s_cbranch_vccnz .LBB36_47
	s_branch .LBB36_50
.LBB36_45:
                                        ; implicit-def: $sgpr2
                                        ; implicit-def: $vgpr34
	s_branch .LBB36_51
.LBB36_46:
                                        ; implicit-def: $sgpr2
                                        ; implicit-def: $vgpr34
	s_and_b32 vcc_lo, exec_lo, s3
	s_cbranch_vccz .LBB36_50
.LBB36_47:
	s_mov_b32 s2, exec_lo
	s_waitcnt vmcnt(0) lgkmcnt(0)
	s_barrier
	buffer_gl0_inv
	v_cmpx_ne_u32_e32 0, v0
	s_cbranch_execz .LBB36_49
; %bb.48:
	v_add_nc_u32_e32 v33, -8, v55
	ds_load_b64 v[35:36], v33
.LBB36_49:
	s_or_b32 exec_lo, exec_lo, s2
	v_cmp_neq_f64_e64 s2, v[23:24], v[17:18]
	v_cmp_neq_f64_e64 s3, v[21:22], v[23:24]
	;; [unrolled: 1-line block ×3, first 2 shown]
	v_cmp_neq_f64_e32 vcc_lo, v[17:18], v[19:20]
	v_cmp_neq_f64_e64 s5, v[25:26], v[27:28]
	v_cmp_neq_f64_e64 s6, v[31:32], v[25:26]
	;; [unrolled: 1-line block ×3, first 2 shown]
	v_or_b32_e32 v34, 6, v55
	v_or_b32_e32 v37, 5, v55
	s_waitcnt lgkmcnt(0)
	v_cmp_neq_f64_e64 s8, v[35:36], v[29:30]
	v_or_b32_e32 v38, 4, v55
	v_or_b32_e32 v33, 7, v55
	v_cmp_gt_u32_e64 s10, s23, v34
	v_or_b32_e32 v39, 3, v55
	v_cmp_gt_u32_e64 s11, s23, v37
	;; [unrolled: 2-line block ×4, first 2 shown]
	v_cmp_gt_u32_e64 s13, s23, v39
	v_cmp_gt_u32_e64 s14, s23, v40
	s_delay_alu instid0(VALU_DEP_4) | instskip(SKIP_1) | instid1(SALU_CYCLE_1)
	v_cmp_gt_u32_e64 s16, s23, v41
	s_and_b32 s2, s10, s2
	v_cndmask_b32_e64 v34, 0, 1, s2
	s_and_b32 s2, s11, s3
	s_and_b32 s9, s9, vcc_lo
	v_cndmask_b32_e64 v35, 0, 1, s2
	s_and_b32 s2, s12, s4
	v_cndmask_b32_e64 v33, 0, 1, s9
	v_cndmask_b32_e64 v36, 0, 1, s2
	s_and_b32 s2, s13, s5
	v_lshlrev_b16 v35, 8, v35
	v_cndmask_b32_e64 v37, 0, 1, s2
	s_and_b32 s2, s14, s6
	v_lshlrev_b16 v33, 8, v33
	v_cndmask_b32_e64 v38, 0, 1, s2
	s_and_b32 s2, s16, s7
	v_lshlrev_b16 v37, 8, v37
	v_cndmask_b32_e64 v39, 0, 1, s2
	v_or_b32_e32 v35, v36, v35
	v_or_b32_e32 v33, v34, v33
	v_cmp_gt_u32_e32 vcc_lo, s23, v55
	v_or_b32_e32 v37, v38, v37
	v_lshlrev_b16 v39, 8, v39
	v_and_b32_e32 v35, 0xffff, v35
	s_and_b32 s2, vcc_lo, s8
	s_delay_alu instid0(VALU_DEP_3) | instskip(NEXT) | instid1(VALU_DEP_3)
	v_lshlrev_b32_e32 v36, 16, v37
	v_and_b32_e32 v34, 0xffff, v39
	v_lshlrev_b32_e32 v37, 16, v33
	s_delay_alu instid0(VALU_DEP_2) | instskip(NEXT) | instid1(VALU_DEP_2)
	v_or_b32_e32 v33, v34, v36
	v_or_b32_e32 v34, v35, v37
.LBB36_50:
	s_mov_b32 s16, -1
	s_cbranch_execnz .LBB36_59
.LBB36_51:
	v_cmp_neq_f64_e64 s3, v[17:18], v[19:20]
	v_cmp_neq_f64_e64 s4, v[23:24], v[17:18]
	;; [unrolled: 1-line block ×7, first 2 shown]
	s_and_b32 vcc_lo, exec_lo, s22
	ds_store_b64 v55, v[19:20]
	s_cbranch_vccz .LBB36_55
; %bb.52:
	v_cndmask_b32_e64 v33, 0, 1, s3
	s_waitcnt vmcnt(0) lgkmcnt(2)
	v_cndmask_b32_e64 v35, 0, 1, s5
	v_cndmask_b32_e64 v37, 0, 1, s7
	;; [unrolled: 1-line block ×6, first 2 shown]
	v_lshlrev_b16 v35, 8, v35
	v_lshlrev_b16 v33, 8, v33
	v_lshlrev_b16 v37, 8, v37
	v_lshlrev_b16 v38, 8, v38
	s_mov_b32 s3, 0
	v_or_b32_e32 v35, v36, v35
	v_or_b32_e32 v33, v34, v33
	v_or_b32_e32 v34, v39, v37
	v_or_b32_e32 v36, 1, v38
	s_mov_b32 s4, exec_lo
	v_and_b32_e32 v35, 0xffff, v35
	v_lshlrev_b32_e32 v33, 16, v33
	v_lshlrev_b32_e32 v37, 16, v34
	v_and_b32_e32 v36, 0xffff, v36
	s_waitcnt lgkmcnt(0)
	s_barrier
	v_or_b32_e32 v34, v35, v33
	buffer_gl0_inv
	v_or_b32_e32 v33, v36, v37
                                        ; implicit-def: $sgpr2
	v_cmpx_ne_u32_e32 0, v0
	s_xor_b32 s4, exec_lo, s4
	s_cbranch_execz .LBB36_54
; %bb.53:
	v_add_nc_u32_e32 v35, -8, v55
	s_or_b32 s16, s16, exec_lo
	ds_load_b64 v[35:36], v35
	s_waitcnt lgkmcnt(0)
	v_cmp_neq_f64_e32 vcc_lo, v[35:36], v[29:30]
	s_and_b32 s2, vcc_lo, exec_lo
.LBB36_54:
	s_or_b32 exec_lo, exec_lo, s4
	s_delay_alu instid0(SALU_CYCLE_1)
	s_and_b32 vcc_lo, exec_lo, s3
	s_cbranch_vccnz .LBB36_56
	s_branch .LBB36_59
.LBB36_55:
                                        ; implicit-def: $sgpr2
                                        ; implicit-def: $vgpr34
	s_cbranch_execz .LBB36_59
.LBB36_56:
	v_cmp_neq_f64_e64 s2, v[23:24], v[17:18]
	v_cmp_neq_f64_e64 s3, v[21:22], v[23:24]
	;; [unrolled: 1-line block ×4, first 2 shown]
	v_cmp_neq_f64_e32 vcc_lo, v[17:18], v[19:20]
	v_cmp_neq_f64_e64 s6, v[29:30], v[31:32]
	v_cmp_neq_f64_e64 s7, v[31:32], v[25:26]
	v_or_b32_e32 v34, 6, v55
	s_waitcnt vmcnt(0) lgkmcnt(2)
	v_or_b32_e32 v35, 5, v55
	v_or_b32_e32 v36, 4, v55
	;; [unrolled: 1-line block ×4, first 2 shown]
	v_cmp_gt_u32_e64 s9, s23, v34
	v_cmp_gt_u32_e64 s10, s23, v35
	v_or_b32_e32 v39, 1, v55
	v_cmp_gt_u32_e64 s11, s23, v36
	v_cmp_gt_u32_e64 s12, s23, v37
	v_or_b32_e32 v38, 2, v55
	v_cmp_gt_u32_e64 s8, s23, v33
	v_cmp_gt_u32_e64 s14, s23, v39
	s_waitcnt lgkmcnt(0)
	s_barrier
	v_cmp_gt_u32_e64 s13, s23, v38
	buffer_gl0_inv
	s_and_b32 s2, s9, s2
	s_delay_alu instid0(SALU_CYCLE_1)
	v_cndmask_b32_e64 v34, 0, 1, s2
	s_and_b32 s2, s10, s3
	s_and_b32 s8, s8, vcc_lo
	v_cndmask_b32_e64 v35, 0, 1, s2
	s_and_b32 s2, s11, s4
	v_cndmask_b32_e64 v33, 0, 1, s8
	v_cndmask_b32_e64 v36, 0, 1, s2
	s_and_b32 s2, s12, s5
	v_lshlrev_b16 v35, 8, v35
	v_cndmask_b32_e64 v37, 0, 1, s2
	s_and_b32 s2, s14, s6
	v_lshlrev_b16 v33, 8, v33
	v_cndmask_b32_e64 v38, 0, 1, s2
	s_and_b32 s2, s13, s7
	v_lshlrev_b16 v37, 8, v37
	v_cndmask_b32_e64 v39, 0, 1, s2
	v_or_b32_e32 v35, v36, v35
	v_lshlrev_b16 v38, 8, v38
	v_or_b32_e32 v33, v34, v33
	s_mov_b32 s3, exec_lo
	v_or_b32_e32 v34, v39, v37
	v_and_b32_e32 v35, 0xffff, v35
	v_or_b32_e32 v36, 1, v38
	v_lshlrev_b32_e32 v33, 16, v33
                                        ; implicit-def: $sgpr2
	s_delay_alu instid0(VALU_DEP_4) | instskip(NEXT) | instid1(VALU_DEP_3)
	v_lshlrev_b32_e32 v37, 16, v34
	v_and_b32_e32 v36, 0xffff, v36
	s_delay_alu instid0(VALU_DEP_3) | instskip(NEXT) | instid1(VALU_DEP_2)
	v_or_b32_e32 v34, v35, v33
	v_or_b32_e32 v33, v36, v37
	v_cmpx_ne_u32_e32 0, v0
	s_cbranch_execz .LBB36_58
; %bb.57:
	v_add_nc_u32_e32 v35, -8, v55
	v_cmp_gt_u32_e64 s2, s23, v55
	s_or_b32 s16, s16, exec_lo
	ds_load_b64 v[35:36], v35
	s_waitcnt lgkmcnt(0)
	v_cmp_neq_f64_e32 vcc_lo, v[35:36], v[29:30]
	s_and_b32 s2, s2, vcc_lo
	s_delay_alu instid0(SALU_CYCLE_1)
	s_and_b32 s2, s2, exec_lo
.LBB36_58:
	s_or_b32 exec_lo, exec_lo, s3
.LBB36_59:
	s_and_saveexec_b32 s3, s16
	s_cbranch_execz .LBB36_61
; %bb.60:
	s_waitcnt vmcnt(0) lgkmcnt(1)
	v_and_b32_e32 v35, 0xffffff00, v33
	v_cndmask_b32_e64 v36, 0, 1, s2
	s_delay_alu instid0(VALU_DEP_1) | instskip(NEXT) | instid1(VALU_DEP_1)
	v_or_b32_e32 v35, v36, v35
	v_and_b32_e32 v35, 0xffff, v35
	s_delay_alu instid0(VALU_DEP_1)
	v_and_or_b32 v33, 0xffff0000, v33, v35
.LBB36_61:
	s_or_b32 exec_lo, exec_lo, s3
	s_load_b64 s[10:11], s[0:1], 0x60
	s_and_not1_b32 vcc_lo, exec_lo, s24
	s_cbranch_vccnz .LBB36_63
; %bb.62:
	v_cmp_gt_u32_e32 vcc_lo, s23, v55
	s_waitcnt vmcnt(0) lgkmcnt(0)
	v_or_b32_e32 v36, 1, v55
	v_and_b32_e32 v37, 0xffffff00, v34
	v_or_b32_e32 v38, 2, v55
	v_cndmask_b32_e32 v35, 0, v33, vcc_lo
	s_delay_alu instid0(VALU_DEP_4) | instskip(SKIP_1) | instid1(VALU_DEP_4)
	v_cmp_gt_u32_e32 vcc_lo, s23, v36
	v_or_b32_e32 v36, 4, v55
	v_cmp_gt_u32_e64 s2, s23, v38
	v_or_b32_e32 v38, 3, v55
	v_and_b32_e32 v35, 0xff, v35
	s_delay_alu instid0(VALU_DEP_2) | instskip(NEXT) | instid1(VALU_DEP_2)
	v_cmp_gt_u32_e64 s3, s23, v38
	v_cndmask_b32_e32 v35, v35, v33, vcc_lo
	v_cmp_gt_u32_e32 vcc_lo, s23, v36
	v_cndmask_b32_e32 v36, v37, v34, vcc_lo
	v_or_b32_e32 v37, 5, v55
	s_delay_alu instid0(VALU_DEP_2) | instskip(SKIP_1) | instid1(VALU_DEP_1)
	v_and_b32_e32 v36, 0xffff00ff, v36
	v_and_b32_e32 v35, 0xffff, v35
	v_cndmask_b32_e64 v35, v35, v33, s2
	s_delay_alu instid0(VALU_DEP_4) | instskip(SKIP_1) | instid1(VALU_DEP_3)
	v_cmp_gt_u32_e64 s2, s23, v37
	v_or_b32_e32 v37, 6, v55
	v_and_b32_e32 v35, 0xffffff, v35
	s_delay_alu instid0(VALU_DEP_3) | instskip(NEXT) | instid1(VALU_DEP_2)
	v_cndmask_b32_e64 v36, v36, v34, s2
	v_cndmask_b32_e64 v35, v35, v33, s3
	s_delay_alu instid0(VALU_DEP_1) | instskip(SKIP_2) | instid1(VALU_DEP_3)
	v_dual_cndmask_b32 v35, v35, v33 :: v_dual_and_b32 v36, 0xff00ffff, v36
	v_cmp_gt_u32_e32 vcc_lo, s23, v37
	v_or_b32_e32 v37, 7, v55
	v_cndmask_b32_e64 v35, v35, v33, s2
	s_delay_alu instid0(VALU_DEP_1) | instskip(NEXT) | instid1(VALU_DEP_1)
	v_dual_cndmask_b32 v36, v36, v34 :: v_dual_cndmask_b32 v35, v35, v33
	v_and_b32_e32 v36, 0xffffff, v36
	s_delay_alu instid0(VALU_DEP_4) | instskip(NEXT) | instid1(VALU_DEP_2)
	v_cmp_gt_u32_e32 vcc_lo, s23, v37
	v_dual_cndmask_b32 v34, v36, v34 :: v_dual_cndmask_b32 v33, v35, v33
.LBB36_63:
	s_delay_alu instid0(VALU_DEP_1) | instskip(SKIP_1) | instid1(VALU_DEP_2)
	v_and_b32_e32 v44, 0xff, v33
	s_waitcnt vmcnt(0) lgkmcnt(0)
	v_alignbit_b32 v35, v34, v33, 24
	v_bfe_u32 v46, v33, 8, 8
	v_bfe_u32 v48, v33, 16, 8
	v_and_b32_e32 v52, 0xff, v34
	v_bfe_u32 v54, v34, 8, 8
	v_and_b32_e32 v50, 0xff, v35
	v_add_nc_u32_e32 v35, v46, v44
	v_mbcnt_lo_u32_b32 v58, -1, 0
	v_bfe_u32 v57, v34, 16, 8
	v_lshrrev_b32_e32 v56, 24, v34
	v_lshrrev_b32_e32 v59, 5, v0
	v_add3_u32 v35, v35, v48, v50
	v_and_b32_e32 v36, 15, v58
	v_and_b32_e32 v37, 16, v58
	s_and_b32 vcc_lo, exec_lo, s25
	s_mov_b32 s9, -1
	v_add3_u32 v35, v35, v52, v54
	v_cmp_eq_u32_e64 s4, 0, v36
	v_cmp_lt_u32_e64 s2, 1, v36
	v_cmp_lt_u32_e64 s5, 3, v36
	;; [unrolled: 1-line block ×3, first 2 shown]
	v_add3_u32 v60, v35, v57, v56
	v_or_b32_e32 v35, 31, v0
	v_cmp_eq_u32_e64 s7, 0, v37
	s_barrier
	buffer_gl0_inv
	v_cmp_eq_u32_e64 s6, v35, v0
	s_cbranch_vccz .LBB36_94
; %bb.64:
	v_mov_b32_dpp v35, v60 row_shr:1 row_mask:0xf bank_mask:0xf
	s_delay_alu instid0(VALU_DEP_1) | instskip(NEXT) | instid1(VALU_DEP_1)
	v_cndmask_b32_e64 v35, v35, 0, s4
	v_add_nc_u32_e32 v35, v35, v60
	s_delay_alu instid0(VALU_DEP_1) | instskip(NEXT) | instid1(VALU_DEP_1)
	v_mov_b32_dpp v36, v35 row_shr:2 row_mask:0xf bank_mask:0xf
	v_cndmask_b32_e64 v36, 0, v36, s2
	s_delay_alu instid0(VALU_DEP_1) | instskip(NEXT) | instid1(VALU_DEP_1)
	v_add_nc_u32_e32 v35, v35, v36
	v_mov_b32_dpp v36, v35 row_shr:4 row_mask:0xf bank_mask:0xf
	s_delay_alu instid0(VALU_DEP_1) | instskip(NEXT) | instid1(VALU_DEP_1)
	v_cndmask_b32_e64 v36, 0, v36, s5
	v_add_nc_u32_e32 v35, v35, v36
	s_delay_alu instid0(VALU_DEP_1) | instskip(NEXT) | instid1(VALU_DEP_1)
	v_mov_b32_dpp v36, v35 row_shr:8 row_mask:0xf bank_mask:0xf
	v_cndmask_b32_e64 v36, 0, v36, s3
	s_delay_alu instid0(VALU_DEP_1) | instskip(SKIP_3) | instid1(VALU_DEP_1)
	v_add_nc_u32_e32 v35, v35, v36
	ds_swizzle_b32 v36, v35 offset:swizzle(BROADCAST,32,15)
	s_waitcnt lgkmcnt(0)
	v_cndmask_b32_e64 v36, v36, 0, s7
	v_add_nc_u32_e32 v35, v35, v36
	s_and_saveexec_b32 s8, s6
	s_cbranch_execz .LBB36_66
; %bb.65:
	v_lshlrev_b32_e32 v36, 2, v59
	ds_store_b32 v36, v35
.LBB36_66:
	s_or_b32 exec_lo, exec_lo, s8
	s_delay_alu instid0(SALU_CYCLE_1)
	s_mov_b32 s8, exec_lo
	s_waitcnt lgkmcnt(0)
	s_barrier
	buffer_gl0_inv
	v_cmpx_gt_u32_e32 16, v0
	s_cbranch_execz .LBB36_68
; %bb.67:
	v_lshlrev_b32_e32 v36, 2, v0
	ds_load_b32 v37, v36
	s_waitcnt lgkmcnt(0)
	v_mov_b32_dpp v38, v37 row_shr:1 row_mask:0xf bank_mask:0xf
	s_delay_alu instid0(VALU_DEP_1) | instskip(NEXT) | instid1(VALU_DEP_1)
	v_cndmask_b32_e64 v38, v38, 0, s4
	v_add_nc_u32_e32 v37, v38, v37
	s_delay_alu instid0(VALU_DEP_1) | instskip(NEXT) | instid1(VALU_DEP_1)
	v_mov_b32_dpp v38, v37 row_shr:2 row_mask:0xf bank_mask:0xf
	v_cndmask_b32_e64 v38, 0, v38, s2
	s_delay_alu instid0(VALU_DEP_1) | instskip(NEXT) | instid1(VALU_DEP_1)
	v_add_nc_u32_e32 v37, v37, v38
	v_mov_b32_dpp v38, v37 row_shr:4 row_mask:0xf bank_mask:0xf
	s_delay_alu instid0(VALU_DEP_1) | instskip(NEXT) | instid1(VALU_DEP_1)
	v_cndmask_b32_e64 v38, 0, v38, s5
	v_add_nc_u32_e32 v37, v37, v38
	s_delay_alu instid0(VALU_DEP_1) | instskip(NEXT) | instid1(VALU_DEP_1)
	v_mov_b32_dpp v38, v37 row_shr:8 row_mask:0xf bank_mask:0xf
	v_cndmask_b32_e64 v38, 0, v38, s3
	s_delay_alu instid0(VALU_DEP_1)
	v_add_nc_u32_e32 v37, v37, v38
	ds_store_b32 v36, v37
.LBB36_68:
	s_or_b32 exec_lo, exec_lo, s8
	v_cmp_gt_u32_e32 vcc_lo, 32, v0
	s_mov_b32 s9, exec_lo
	s_waitcnt lgkmcnt(0)
	s_barrier
	buffer_gl0_inv
                                        ; implicit-def: $vgpr43
	v_cmpx_lt_u32_e32 31, v0
	s_cbranch_execz .LBB36_70
; %bb.69:
	v_lshl_add_u32 v36, v59, 2, -4
	ds_load_b32 v43, v36
	s_waitcnt lgkmcnt(0)
	v_add_nc_u32_e32 v35, v43, v35
.LBB36_70:
	s_or_b32 exec_lo, exec_lo, s9
	v_add_nc_u32_e32 v36, -1, v58
	s_delay_alu instid0(VALU_DEP_1) | instskip(NEXT) | instid1(VALU_DEP_1)
	v_cmp_gt_i32_e64 s8, 0, v36
	v_cndmask_b32_e64 v36, v36, v58, s8
	v_cmp_eq_u32_e64 s8, 0, v58
	s_delay_alu instid0(VALU_DEP_2)
	v_lshlrev_b32_e32 v36, 2, v36
	ds_bpermute_b32 v45, v36, v35
	s_and_saveexec_b32 s9, vcc_lo
	s_cbranch_execz .LBB36_93
; %bb.71:
	v_mov_b32_e32 v39, 0
	ds_load_b32 v35, v39 offset:60
	s_and_saveexec_b32 s12, s8
	s_cbranch_execz .LBB36_73
; %bb.72:
	s_add_i32 s24, s15, 32
	s_mov_b32 s25, 0
	v_mov_b32_e32 v36, 1
	s_lshl_b64 s[24:25], s[24:25], 3
	s_delay_alu instid0(SALU_CYCLE_1)
	s_add_u32 s24, s10, s24
	s_addc_u32 s25, s11, s25
	s_waitcnt lgkmcnt(0)
	global_store_b64 v39, v[35:36], s[24:25]
.LBB36_73:
	s_or_b32 exec_lo, exec_lo, s12
	v_xad_u32 v37, v58, -1, s15
	s_mov_b32 s13, 0
	s_mov_b32 s12, exec_lo
	s_delay_alu instid0(VALU_DEP_1) | instskip(NEXT) | instid1(VALU_DEP_1)
	v_add_nc_u32_e32 v38, 32, v37
	v_lshlrev_b64 v[38:39], 3, v[38:39]
	s_delay_alu instid0(VALU_DEP_1) | instskip(NEXT) | instid1(VALU_DEP_2)
	v_add_co_u32 v41, vcc_lo, s10, v38
	v_add_co_ci_u32_e32 v42, vcc_lo, s11, v39, vcc_lo
	global_load_b64 v[39:40], v[41:42], off glc
	s_waitcnt vmcnt(0)
	v_and_b32_e32 v36, 0xff, v40
	s_delay_alu instid0(VALU_DEP_1)
	v_cmpx_eq_u16_e32 0, v36
	s_cbranch_execz .LBB36_79
; %bb.74:
	s_mov_b32 s14, 1
	.p2align	6
.LBB36_75:                              ; =>This Loop Header: Depth=1
                                        ;     Child Loop BB36_76 Depth 2
	s_delay_alu instid0(SALU_CYCLE_1)
	s_max_u32 s16, s14, 1
.LBB36_76:                              ;   Parent Loop BB36_75 Depth=1
                                        ; =>  This Inner Loop Header: Depth=2
	s_delay_alu instid0(SALU_CYCLE_1)
	s_add_i32 s16, s16, -1
	s_sleep 1
	s_cmp_eq_u32 s16, 0
	s_cbranch_scc0 .LBB36_76
; %bb.77:                               ;   in Loop: Header=BB36_75 Depth=1
	global_load_b64 v[39:40], v[41:42], off glc
	s_cmp_lt_u32 s14, 32
	s_cselect_b32 s16, -1, 0
	s_delay_alu instid0(SALU_CYCLE_1) | instskip(SKIP_3) | instid1(VALU_DEP_1)
	s_cmp_lg_u32 s16, 0
	s_addc_u32 s14, s14, 0
	s_waitcnt vmcnt(0)
	v_and_b32_e32 v36, 0xff, v40
	v_cmp_ne_u16_e32 vcc_lo, 0, v36
	s_or_b32 s13, vcc_lo, s13
	s_delay_alu instid0(SALU_CYCLE_1)
	s_and_not1_b32 exec_lo, exec_lo, s13
	s_cbranch_execnz .LBB36_75
; %bb.78:
	s_or_b32 exec_lo, exec_lo, s13
.LBB36_79:
	s_delay_alu instid0(SALU_CYCLE_1)
	s_or_b32 exec_lo, exec_lo, s12
	v_cmp_ne_u32_e32 vcc_lo, 31, v58
	v_lshlrev_b32_e64 v49, v58, -1
	v_add_nc_u32_e32 v53, 2, v58
	v_add_nc_u32_e32 v66, 16, v58
	v_add_co_ci_u32_e32 v36, vcc_lo, 0, v58, vcc_lo
	s_delay_alu instid0(VALU_DEP_1)
	v_lshlrev_b32_e32 v47, 2, v36
	v_and_b32_e32 v36, 0xff, v40
	ds_bpermute_b32 v38, v47, v39
	v_cmp_eq_u16_e32 vcc_lo, 2, v36
	v_and_or_b32 v36, vcc_lo, v49, 0x80000000
	v_cmp_gt_u32_e32 vcc_lo, 30, v58
	s_delay_alu instid0(VALU_DEP_2) | instskip(SKIP_1) | instid1(VALU_DEP_2)
	v_ctz_i32_b32_e32 v36, v36
	v_cndmask_b32_e64 v41, 0, 1, vcc_lo
	v_cmp_lt_u32_e32 vcc_lo, v58, v36
	s_waitcnt lgkmcnt(0)
	s_delay_alu instid0(VALU_DEP_2) | instskip(NEXT) | instid1(VALU_DEP_1)
	v_dual_cndmask_b32 v38, 0, v38 :: v_dual_lshlrev_b32 v41, 1, v41
	v_add_lshl_u32 v51, v41, v58, 2
	v_cmp_gt_u32_e32 vcc_lo, 28, v58
	s_delay_alu instid0(VALU_DEP_3) | instskip(SKIP_4) | instid1(VALU_DEP_1)
	v_add_nc_u32_e32 v38, v38, v39
	v_cndmask_b32_e64 v41, 0, 1, vcc_lo
	v_cmp_le_u32_e32 vcc_lo, v53, v36
	ds_bpermute_b32 v39, v51, v38
	v_lshlrev_b32_e32 v41, 2, v41
	v_add_lshl_u32 v61, v41, v58, 2
	s_waitcnt lgkmcnt(0)
	v_cndmask_b32_e32 v39, 0, v39, vcc_lo
	v_cmp_gt_u32_e32 vcc_lo, 24, v58
	s_delay_alu instid0(VALU_DEP_2) | instskip(SKIP_4) | instid1(VALU_DEP_2)
	v_add_nc_u32_e32 v38, v38, v39
	v_cndmask_b32_e64 v41, 0, 1, vcc_lo
	ds_bpermute_b32 v39, v61, v38
	v_add_nc_u32_e32 v62, 4, v58
	v_lshlrev_b32_e32 v41, 3, v41
	v_cmp_le_u32_e32 vcc_lo, v62, v36
	s_delay_alu instid0(VALU_DEP_2) | instskip(SKIP_3) | instid1(VALU_DEP_2)
	v_add_lshl_u32 v63, v41, v58, 2
	s_waitcnt lgkmcnt(0)
	v_cndmask_b32_e32 v39, 0, v39, vcc_lo
	v_cmp_gt_u32_e32 vcc_lo, 16, v58
	v_add_nc_u32_e32 v38, v38, v39
	v_cndmask_b32_e64 v41, 0, 1, vcc_lo
	ds_bpermute_b32 v39, v63, v38
	v_add_nc_u32_e32 v64, 8, v58
	v_lshlrev_b32_e32 v41, 4, v41
	s_delay_alu instid0(VALU_DEP_2) | instskip(NEXT) | instid1(VALU_DEP_2)
	v_cmp_le_u32_e32 vcc_lo, v64, v36
	v_add_lshl_u32 v65, v41, v58, 2
	s_waitcnt lgkmcnt(0)
	v_cndmask_b32_e32 v39, 0, v39, vcc_lo
	v_cmp_le_u32_e32 vcc_lo, v66, v36
	s_delay_alu instid0(VALU_DEP_2) | instskip(SKIP_3) | instid1(VALU_DEP_1)
	v_add_nc_u32_e32 v38, v38, v39
	ds_bpermute_b32 v39, v65, v38
	s_waitcnt lgkmcnt(0)
	v_cndmask_b32_e32 v36, 0, v39, vcc_lo
	v_dual_mov_b32 v38, 0 :: v_dual_add_nc_u32 v39, v38, v36
	s_branch .LBB36_81
.LBB36_80:                              ;   in Loop: Header=BB36_81 Depth=1
	s_or_b32 exec_lo, exec_lo, s12
	ds_bpermute_b32 v42, v47, v39
	v_and_b32_e32 v41, 0xff, v40
	v_subrev_nc_u32_e32 v37, 32, v37
	s_delay_alu instid0(VALU_DEP_2) | instskip(SKIP_1) | instid1(VALU_DEP_1)
	v_cmp_eq_u16_e32 vcc_lo, 2, v41
	v_and_or_b32 v41, vcc_lo, v49, 0x80000000
	v_ctz_i32_b32_e32 v41, v41
	s_delay_alu instid0(VALU_DEP_1) | instskip(SKIP_3) | instid1(VALU_DEP_2)
	v_cmp_lt_u32_e32 vcc_lo, v58, v41
	s_waitcnt lgkmcnt(0)
	v_cndmask_b32_e32 v42, 0, v42, vcc_lo
	v_cmp_le_u32_e32 vcc_lo, v53, v41
	v_add_nc_u32_e32 v39, v42, v39
	ds_bpermute_b32 v42, v51, v39
	s_waitcnt lgkmcnt(0)
	v_cndmask_b32_e32 v42, 0, v42, vcc_lo
	v_cmp_le_u32_e32 vcc_lo, v62, v41
	s_delay_alu instid0(VALU_DEP_2) | instskip(SKIP_4) | instid1(VALU_DEP_2)
	v_add_nc_u32_e32 v39, v39, v42
	ds_bpermute_b32 v42, v61, v39
	s_waitcnt lgkmcnt(0)
	v_cndmask_b32_e32 v42, 0, v42, vcc_lo
	v_cmp_le_u32_e32 vcc_lo, v64, v41
	v_add_nc_u32_e32 v39, v39, v42
	ds_bpermute_b32 v42, v63, v39
	s_waitcnt lgkmcnt(0)
	v_cndmask_b32_e32 v42, 0, v42, vcc_lo
	v_cmp_le_u32_e32 vcc_lo, v66, v41
	s_delay_alu instid0(VALU_DEP_2) | instskip(SKIP_3) | instid1(VALU_DEP_1)
	v_add_nc_u32_e32 v39, v39, v42
	ds_bpermute_b32 v42, v65, v39
	s_waitcnt lgkmcnt(0)
	v_cndmask_b32_e32 v41, 0, v42, vcc_lo
	v_add3_u32 v39, v41, v36, v39
.LBB36_81:                              ; =>This Loop Header: Depth=1
                                        ;     Child Loop BB36_84 Depth 2
                                        ;       Child Loop BB36_85 Depth 3
	v_and_b32_e32 v36, 0xff, v40
	s_delay_alu instid0(VALU_DEP_1) | instskip(SKIP_2) | instid1(VALU_DEP_1)
	v_cmp_ne_u16_e32 vcc_lo, 2, v36
	v_cndmask_b32_e64 v36, 0, 1, vcc_lo
	;;#ASMSTART
	;;#ASMEND
	v_cmp_ne_u32_e32 vcc_lo, 0, v36
	v_mov_b32_e32 v36, v39
	s_cmp_lg_u32 vcc_lo, exec_lo
	s_cbranch_scc1 .LBB36_88
; %bb.82:                               ;   in Loop: Header=BB36_81 Depth=1
	v_lshlrev_b64 v[39:40], 3, v[37:38]
	s_mov_b32 s12, exec_lo
	s_delay_alu instid0(VALU_DEP_1) | instskip(NEXT) | instid1(VALU_DEP_2)
	v_add_co_u32 v41, vcc_lo, s10, v39
	v_add_co_ci_u32_e32 v42, vcc_lo, s11, v40, vcc_lo
	global_load_b64 v[39:40], v[41:42], off glc
	s_waitcnt vmcnt(0)
	v_and_b32_e32 v67, 0xff, v40
	s_delay_alu instid0(VALU_DEP_1)
	v_cmpx_eq_u16_e32 0, v67
	s_cbranch_execz .LBB36_80
; %bb.83:                               ;   in Loop: Header=BB36_81 Depth=1
	s_mov_b32 s14, 1
	s_mov_b32 s13, 0
	.p2align	6
.LBB36_84:                              ;   Parent Loop BB36_81 Depth=1
                                        ; =>  This Loop Header: Depth=2
                                        ;       Child Loop BB36_85 Depth 3
	s_max_u32 s16, s14, 1
.LBB36_85:                              ;   Parent Loop BB36_81 Depth=1
                                        ;     Parent Loop BB36_84 Depth=2
                                        ; =>    This Inner Loop Header: Depth=3
	s_delay_alu instid0(SALU_CYCLE_1)
	s_add_i32 s16, s16, -1
	s_sleep 1
	s_cmp_eq_u32 s16, 0
	s_cbranch_scc0 .LBB36_85
; %bb.86:                               ;   in Loop: Header=BB36_84 Depth=2
	global_load_b64 v[39:40], v[41:42], off glc
	s_cmp_lt_u32 s14, 32
	s_cselect_b32 s16, -1, 0
	s_delay_alu instid0(SALU_CYCLE_1) | instskip(SKIP_3) | instid1(VALU_DEP_1)
	s_cmp_lg_u32 s16, 0
	s_addc_u32 s14, s14, 0
	s_waitcnt vmcnt(0)
	v_and_b32_e32 v67, 0xff, v40
	v_cmp_ne_u16_e32 vcc_lo, 0, v67
	s_or_b32 s13, vcc_lo, s13
	s_delay_alu instid0(SALU_CYCLE_1)
	s_and_not1_b32 exec_lo, exec_lo, s13
	s_cbranch_execnz .LBB36_84
; %bb.87:                               ;   in Loop: Header=BB36_81 Depth=1
	s_or_b32 exec_lo, exec_lo, s13
	s_branch .LBB36_80
.LBB36_88:                              ;   in Loop: Header=BB36_81 Depth=1
                                        ; implicit-def: $vgpr39
                                        ; implicit-def: $vgpr40
	s_cbranch_execz .LBB36_81
; %bb.89:
	s_and_saveexec_b32 s12, s8
	s_cbranch_execz .LBB36_91
; %bb.90:
	s_add_i32 s14, s15, 32
	s_mov_b32 s15, 0
	v_dual_mov_b32 v38, 2 :: v_dual_add_nc_u32 v37, v36, v35
	s_lshl_b64 s[14:15], s[14:15], 3
	v_mov_b32_e32 v39, 0
	s_add_u32 s14, s10, s14
	s_addc_u32 s15, s11, s15
	global_store_b64 v39, v[37:38], s[14:15]
	ds_store_b64 v39, v[35:36] offset:33792
.LBB36_91:
	s_or_b32 exec_lo, exec_lo, s12
	v_cmp_eq_u32_e32 vcc_lo, 0, v0
	s_and_b32 exec_lo, exec_lo, vcc_lo
	s_cbranch_execz .LBB36_93
; %bb.92:
	v_mov_b32_e32 v35, 0
	ds_store_b32 v35, v36 offset:60
.LBB36_93:
	s_or_b32 exec_lo, exec_lo, s9
	v_mov_b32_e32 v35, 0
	s_waitcnt lgkmcnt(0)
	s_waitcnt_vscnt null, 0x0
	s_barrier
	buffer_gl0_inv
	v_cndmask_b32_e64 v37, v45, v43, s8
	ds_load_b32 v36, v35 offset:60
	v_cmp_ne_u32_e32 vcc_lo, 0, v0
	s_waitcnt lgkmcnt(0)
	s_barrier
	buffer_gl0_inv
	v_cndmask_b32_e32 v37, 0, v37, vcc_lo
	s_delay_alu instid0(VALU_DEP_1) | instskip(SKIP_2) | instid1(VALU_DEP_1)
	v_add_nc_u32_e32 v53, v36, v37
	ds_load_b64 v[35:36], v35 offset:33792
	v_add_nc_u32_e32 v51, v53, v44
	v_add_nc_u32_e32 v49, v51, v46
	s_delay_alu instid0(VALU_DEP_1) | instskip(NEXT) | instid1(VALU_DEP_1)
	v_add_nc_u32_e32 v47, v49, v48
	v_add_nc_u32_e32 v45, v47, v50
	s_waitcnt lgkmcnt(0)
	v_readfirstlane_b32 s8, v36
	s_delay_alu instid0(VALU_DEP_2) | instskip(NEXT) | instid1(VALU_DEP_1)
	v_add_nc_u32_e32 v43, v45, v52
	v_add_nc_u32_e32 v41, v43, v54
	s_delay_alu instid0(VALU_DEP_1)
	v_add_nc_u32_e32 v39, v41, v57
	v_lshrrev_b64 v[37:38], 24, v[33:34]
	s_branch .LBB36_104
.LBB36_94:
                                        ; implicit-def: $vgpr39
                                        ; implicit-def: $vgpr41
                                        ; implicit-def: $vgpr43
                                        ; implicit-def: $vgpr45
                                        ; implicit-def: $vgpr47
                                        ; implicit-def: $vgpr49
                                        ; implicit-def: $vgpr51
                                        ; implicit-def: $vgpr53
                                        ; implicit-def: $sgpr8
                                        ; implicit-def: $vgpr35
	v_lshrrev_b64 v[37:38], 24, v[33:34]
	s_and_b32 vcc_lo, exec_lo, s9
	s_cbranch_vccz .LBB36_104
; %bb.95:
	v_mov_b32_dpp v35, v60 row_shr:1 row_mask:0xf bank_mask:0xf
	s_delay_alu instid0(VALU_DEP_1) | instskip(NEXT) | instid1(VALU_DEP_1)
	v_cndmask_b32_e64 v35, v35, 0, s4
	v_add_nc_u32_e32 v35, v35, v60
	s_delay_alu instid0(VALU_DEP_1) | instskip(NEXT) | instid1(VALU_DEP_1)
	v_mov_b32_dpp v36, v35 row_shr:2 row_mask:0xf bank_mask:0xf
	v_cndmask_b32_e64 v36, 0, v36, s2
	s_delay_alu instid0(VALU_DEP_1) | instskip(NEXT) | instid1(VALU_DEP_1)
	v_add_nc_u32_e32 v35, v35, v36
	v_mov_b32_dpp v36, v35 row_shr:4 row_mask:0xf bank_mask:0xf
	s_delay_alu instid0(VALU_DEP_1) | instskip(NEXT) | instid1(VALU_DEP_1)
	v_cndmask_b32_e64 v36, 0, v36, s5
	v_add_nc_u32_e32 v35, v35, v36
	s_delay_alu instid0(VALU_DEP_1) | instskip(NEXT) | instid1(VALU_DEP_1)
	v_mov_b32_dpp v36, v35 row_shr:8 row_mask:0xf bank_mask:0xf
	v_cndmask_b32_e64 v36, 0, v36, s3
	s_delay_alu instid0(VALU_DEP_1) | instskip(SKIP_3) | instid1(VALU_DEP_1)
	v_add_nc_u32_e32 v35, v35, v36
	ds_swizzle_b32 v36, v35 offset:swizzle(BROADCAST,32,15)
	s_waitcnt lgkmcnt(0)
	v_cndmask_b32_e64 v36, v36, 0, s7
	v_add_nc_u32_e32 v35, v35, v36
	s_and_saveexec_b32 s7, s6
	s_cbranch_execz .LBB36_97
; %bb.96:
	v_lshlrev_b32_e32 v36, 2, v59
	ds_store_b32 v36, v35
.LBB36_97:
	s_or_b32 exec_lo, exec_lo, s7
	s_delay_alu instid0(SALU_CYCLE_1)
	s_mov_b32 s6, exec_lo
	s_waitcnt lgkmcnt(0)
	s_barrier
	buffer_gl0_inv
	v_cmpx_gt_u32_e32 16, v0
	s_cbranch_execz .LBB36_99
; %bb.98:
	v_lshlrev_b32_e32 v36, 2, v0
	ds_load_b32 v38, v36
	s_waitcnt lgkmcnt(0)
	v_mov_b32_dpp v39, v38 row_shr:1 row_mask:0xf bank_mask:0xf
	s_delay_alu instid0(VALU_DEP_1) | instskip(NEXT) | instid1(VALU_DEP_1)
	v_cndmask_b32_e64 v39, v39, 0, s4
	v_add_nc_u32_e32 v38, v39, v38
	s_delay_alu instid0(VALU_DEP_1) | instskip(NEXT) | instid1(VALU_DEP_1)
	v_mov_b32_dpp v39, v38 row_shr:2 row_mask:0xf bank_mask:0xf
	v_cndmask_b32_e64 v39, 0, v39, s2
	s_delay_alu instid0(VALU_DEP_1) | instskip(NEXT) | instid1(VALU_DEP_1)
	v_add_nc_u32_e32 v38, v38, v39
	v_mov_b32_dpp v39, v38 row_shr:4 row_mask:0xf bank_mask:0xf
	s_delay_alu instid0(VALU_DEP_1) | instskip(NEXT) | instid1(VALU_DEP_1)
	v_cndmask_b32_e64 v39, 0, v39, s5
	v_add_nc_u32_e32 v38, v38, v39
	s_delay_alu instid0(VALU_DEP_1) | instskip(NEXT) | instid1(VALU_DEP_1)
	v_mov_b32_dpp v39, v38 row_shr:8 row_mask:0xf bank_mask:0xf
	v_cndmask_b32_e64 v39, 0, v39, s3
	s_delay_alu instid0(VALU_DEP_1)
	v_add_nc_u32_e32 v38, v38, v39
	ds_store_b32 v36, v38
.LBB36_99:
	s_or_b32 exec_lo, exec_lo, s6
	v_mov_b32_e32 v36, 0
	v_mov_b32_e32 v38, 0
	s_mov_b32 s2, exec_lo
	s_waitcnt lgkmcnt(0)
	s_barrier
	buffer_gl0_inv
	v_cmpx_lt_u32_e32 31, v0
	s_cbranch_execz .LBB36_101
; %bb.100:
	v_lshl_add_u32 v38, v59, 2, -4
	ds_load_b32 v38, v38
.LBB36_101:
	s_or_b32 exec_lo, exec_lo, s2
	v_add_nc_u32_e32 v39, -1, v58
	s_waitcnt lgkmcnt(0)
	v_add_nc_u32_e32 v35, v38, v35
	s_mov_b32 s8, 0
	s_delay_alu instid0(VALU_DEP_2) | instskip(SKIP_2) | instid1(VALU_DEP_2)
	v_cmp_gt_i32_e32 vcc_lo, 0, v39
	v_cndmask_b32_e32 v39, v39, v58, vcc_lo
	v_cmp_eq_u32_e32 vcc_lo, 0, v0
	v_lshlrev_b32_e32 v39, 2, v39
	ds_bpermute_b32 v39, v39, v35
	ds_load_b32 v35, v36 offset:60
	s_and_saveexec_b32 s2, vcc_lo
	s_cbranch_execz .LBB36_103
; %bb.102:
	v_mov_b32_e32 v40, 0
	v_mov_b32_e32 v36, 2
	s_waitcnt lgkmcnt(0)
	global_store_b64 v40, v[35:36], s[10:11] offset:256
.LBB36_103:
	s_or_b32 exec_lo, exec_lo, s2
	v_cmp_eq_u32_e64 s2, 0, v58
	s_waitcnt lgkmcnt(0)
	s_waitcnt_vscnt null, 0x0
	s_barrier
	buffer_gl0_inv
	v_cndmask_b32_e64 v36, v39, v38, s2
	s_delay_alu instid0(VALU_DEP_1) | instskip(NEXT) | instid1(VALU_DEP_1)
	v_cndmask_b32_e64 v53, v36, 0, vcc_lo
	v_add_nc_u32_e32 v51, v53, v44
	s_delay_alu instid0(VALU_DEP_1) | instskip(NEXT) | instid1(VALU_DEP_1)
	v_add_nc_u32_e32 v49, v51, v46
	v_add_nc_u32_e32 v47, v49, v48
	s_delay_alu instid0(VALU_DEP_1) | instskip(NEXT) | instid1(VALU_DEP_1)
	v_add_nc_u32_e32 v45, v47, v50
	;; [unrolled: 3-line block ×3, first 2 shown]
	v_add_nc_u32_e32 v39, v41, v57
.LBB36_104:
	s_load_b128 s[4:7], s[0:1], 0x28
	v_add_nc_u32_e32 v59, s8, v35
	v_cmp_gt_u32_e64 s0, 0x201, v35
	v_lshrrev_b32_e32 v58, 8, v33
	v_lshrrev_b32_e32 v57, 16, v33
	;; [unrolled: 1-line block ×4, first 2 shown]
	v_cmp_lt_u32_e64 s1, v53, v59
	s_and_b32 vcc_lo, exec_lo, s0
	s_mov_b32 s2, -1
	s_cbranch_vccz .LBB36_130
; %bb.105:
	s_lshl_b64 s[2:3], s[18:19], 3
	s_waitcnt lgkmcnt(0)
	s_add_u32 s2, s4, s2
	s_addc_u32 s3, s5, s3
	s_or_b32 s9, s22, s1
	s_delay_alu instid0(SALU_CYCLE_1)
	s_and_saveexec_b32 s1, s9
	s_cbranch_execz .LBB36_108
; %bb.106:
	v_and_b32_e32 v40, 1, v33
	s_delay_alu instid0(VALU_DEP_1)
	v_cmp_eq_u32_e32 vcc_lo, 1, v40
	s_and_b32 exec_lo, exec_lo, vcc_lo
	s_cbranch_execz .LBB36_108
; %bb.107:
	v_mov_b32_e32 v54, 0
	s_delay_alu instid0(VALU_DEP_1) | instskip(NEXT) | instid1(VALU_DEP_1)
	v_lshlrev_b64 v[60:61], 3, v[53:54]
	v_add_co_u32 v60, vcc_lo, s2, v60
	s_delay_alu instid0(VALU_DEP_2)
	v_add_co_ci_u32_e32 v61, vcc_lo, s3, v61, vcc_lo
	global_store_b64 v[60:61], v[29:30], off
.LBB36_108:
	s_or_b32 exec_lo, exec_lo, s1
	v_cmp_lt_u32_e32 vcc_lo, v51, v59
	s_or_b32 s9, s22, vcc_lo
	s_delay_alu instid0(SALU_CYCLE_1)
	s_and_saveexec_b32 s1, s9
	s_cbranch_execz .LBB36_111
; %bb.109:
	v_and_b32_e32 v40, 1, v58
	s_delay_alu instid0(VALU_DEP_1)
	v_cmp_eq_u32_e32 vcc_lo, 1, v40
	s_and_b32 exec_lo, exec_lo, vcc_lo
	s_cbranch_execz .LBB36_111
; %bb.110:
	v_mov_b32_e32 v52, 0
	s_delay_alu instid0(VALU_DEP_1) | instskip(NEXT) | instid1(VALU_DEP_1)
	v_lshlrev_b64 v[60:61], 3, v[51:52]
	v_add_co_u32 v60, vcc_lo, s2, v60
	s_delay_alu instid0(VALU_DEP_2)
	v_add_co_ci_u32_e32 v61, vcc_lo, s3, v61, vcc_lo
	global_store_b64 v[60:61], v[31:32], off
.LBB36_111:
	s_or_b32 exec_lo, exec_lo, s1
	v_cmp_lt_u32_e32 vcc_lo, v49, v59
	s_or_b32 s9, s22, vcc_lo
	;; [unrolled: 21-line block ×7, first 2 shown]
	s_delay_alu instid0(SALU_CYCLE_1)
	s_and_saveexec_b32 s1, s9
	s_cbranch_execz .LBB36_129
; %bb.127:
	v_and_b32_e32 v40, 1, v56
	s_delay_alu instid0(VALU_DEP_1)
	v_cmp_eq_u32_e32 vcc_lo, 1, v40
	s_and_b32 exec_lo, exec_lo, vcc_lo
	s_cbranch_execz .LBB36_129
; %bb.128:
	v_mov_b32_e32 v40, 0
	s_delay_alu instid0(VALU_DEP_1) | instskip(NEXT) | instid1(VALU_DEP_1)
	v_lshlrev_b64 v[60:61], 3, v[39:40]
	v_add_co_u32 v60, vcc_lo, s2, v60
	s_delay_alu instid0(VALU_DEP_2)
	v_add_co_ci_u32_e32 v61, vcc_lo, s3, v61, vcc_lo
	global_store_b64 v[60:61], v[19:20], off
.LBB36_129:
	s_or_b32 exec_lo, exec_lo, s1
	s_mov_b32 s2, 0
.LBB36_130:
	v_and_b32_e32 v33, 1, v33
	s_and_b32 vcc_lo, exec_lo, s2
	s_delay_alu instid0(VALU_DEP_1)
	v_cmp_eq_u32_e64 s1, 1, v33
	s_cbranch_vccz .LBB36_151
; %bb.131:
	s_delay_alu instid0(VALU_DEP_1)
	s_and_saveexec_b32 s2, s1
	s_cbranch_execz .LBB36_133
; %bb.132:
	v_subrev_nc_u32_e32 v40, s8, v53
	s_delay_alu instid0(VALU_DEP_1)
	v_lshlrev_b32_e32 v40, 3, v40
	ds_store_b64 v40, v[29:30]
.LBB36_133:
	s_or_b32 exec_lo, exec_lo, s2
	v_and_b32_e32 v29, 1, v58
	s_mov_b32 s1, exec_lo
	s_delay_alu instid0(VALU_DEP_1)
	v_cmpx_eq_u32_e32 1, v29
	s_cbranch_execz .LBB36_135
; %bb.134:
	v_subrev_nc_u32_e32 v29, s8, v51
	s_delay_alu instid0(VALU_DEP_1)
	v_lshlrev_b32_e32 v29, 3, v29
	ds_store_b64 v29, v[31:32]
.LBB36_135:
	s_or_b32 exec_lo, exec_lo, s1
	v_and_b32_e32 v29, 1, v57
	s_mov_b32 s1, exec_lo
	s_delay_alu instid0(VALU_DEP_1)
	v_cmpx_eq_u32_e32 1, v29
	;; [unrolled: 12-line block ×7, first 2 shown]
	s_cbranch_execz .LBB36_147
; %bb.146:
	v_subrev_nc_u32_e32 v17, s8, v39
	s_delay_alu instid0(VALU_DEP_1)
	v_lshlrev_b32_e32 v17, 3, v17
	ds_store_b64 v17, v[19:20]
.LBB36_147:
	s_or_b32 exec_lo, exec_lo, s1
	s_delay_alu instid0(SALU_CYCLE_1)
	s_mov_b32 s2, exec_lo
	s_waitcnt lgkmcnt(0)
	s_waitcnt_vscnt null, 0x0
	s_barrier
	buffer_gl0_inv
	v_cmpx_lt_u32_e64 v0, v35
	s_cbranch_execz .LBB36_150
; %bb.148:
	s_mov_b32 s9, 0
	s_lshl_b64 s[10:11], s[18:19], 3
	s_lshl_b64 s[12:13], s[8:9], 3
	v_dual_mov_b32 v19, v55 :: v_dual_mov_b32 v20, v0
	s_add_u32 s1, s10, s12
	s_addc_u32 s3, s11, s13
	s_add_u32 s1, s4, s1
	s_addc_u32 s3, s5, s3
	v_add_co_u32 v17, s1, s1, v55
	s_delay_alu instid0(VALU_DEP_1)
	v_add_co_ci_u32_e64 v18, null, s3, 0, s1
	.p2align	6
.LBB36_149:                             ; =>This Inner Loop Header: Depth=1
	ds_load_b64 v[21:22], v19
	v_add_nc_u32_e32 v20, 0x200, v20
	v_add_nc_u32_e32 v19, 0x1000, v19
	s_delay_alu instid0(VALU_DEP_2) | instskip(SKIP_4) | instid1(VALU_DEP_1)
	v_cmp_ge_u32_e32 vcc_lo, v20, v35
	s_or_b32 s9, vcc_lo, s9
	s_waitcnt lgkmcnt(0)
	global_store_b64 v[17:18], v[21:22], off
	v_add_co_u32 v17, s1, 0x1000, v17
	v_add_co_ci_u32_e64 v18, s1, 0, v18, s1
	s_and_not1_b32 exec_lo, exec_lo, s9
	s_cbranch_execnz .LBB36_149
.LBB36_150:
	s_or_b32 exec_lo, exec_lo, s2
.LBB36_151:
	s_delay_alu instid0(SALU_CYCLE_1)
	s_and_b32 vcc_lo, exec_lo, s0
	s_mov_b32 s0, -1
	s_waitcnt lgkmcnt(0)
	s_waitcnt_vscnt null, 0x0
	s_barrier
	buffer_gl0_inv
	s_cbranch_vccz .LBB36_179
; %bb.152:
	v_cmp_lt_u32_e32 vcc_lo, v53, v59
	s_lshl_b64 s[0:1], s[18:19], 3
	s_delay_alu instid0(SALU_CYCLE_1) | instskip(SKIP_2) | instid1(SALU_CYCLE_1)
	s_add_u32 s0, s6, s0
	s_addc_u32 s1, s7, s1
	s_or_b32 s3, s22, vcc_lo
	s_and_saveexec_b32 s2, s3
	s_cbranch_execz .LBB36_155
; %bb.153:
	v_cmp_eq_u32_e32 vcc_lo, 1, v33
	s_and_b32 exec_lo, exec_lo, vcc_lo
	s_cbranch_execz .LBB36_155
; %bb.154:
	v_mov_b32_e32 v54, 0
	s_delay_alu instid0(VALU_DEP_1) | instskip(NEXT) | instid1(VALU_DEP_1)
	v_lshlrev_b64 v[17:18], 3, v[53:54]
	v_add_co_u32 v17, vcc_lo, s0, v17
	s_delay_alu instid0(VALU_DEP_2)
	v_add_co_ci_u32_e32 v18, vcc_lo, s1, v18, vcc_lo
	global_store_b64 v[17:18], v[13:14], off
.LBB36_155:
	s_or_b32 exec_lo, exec_lo, s2
	v_cmp_lt_u32_e32 vcc_lo, v51, v59
	s_or_b32 s3, s22, vcc_lo
	s_delay_alu instid0(SALU_CYCLE_1)
	s_and_saveexec_b32 s2, s3
	s_cbranch_execz .LBB36_158
; %bb.156:
	v_and_b32_e32 v17, 1, v58
	s_delay_alu instid0(VALU_DEP_1)
	v_cmp_eq_u32_e32 vcc_lo, 1, v17
	s_and_b32 exec_lo, exec_lo, vcc_lo
	s_cbranch_execz .LBB36_158
; %bb.157:
	v_mov_b32_e32 v52, 0
	s_delay_alu instid0(VALU_DEP_1) | instskip(NEXT) | instid1(VALU_DEP_1)
	v_lshlrev_b64 v[17:18], 3, v[51:52]
	v_add_co_u32 v17, vcc_lo, s0, v17
	s_delay_alu instid0(VALU_DEP_2)
	v_add_co_ci_u32_e32 v18, vcc_lo, s1, v18, vcc_lo
	global_store_b64 v[17:18], v[15:16], off
.LBB36_158:
	s_or_b32 exec_lo, exec_lo, s2
	v_cmp_lt_u32_e32 vcc_lo, v49, v59
	s_or_b32 s3, s22, vcc_lo
	s_delay_alu instid0(SALU_CYCLE_1)
	s_and_saveexec_b32 s2, s3
	s_cbranch_execz .LBB36_161
; %bb.159:
	v_and_b32_e32 v17, 1, v57
	s_delay_alu instid0(VALU_DEP_1)
	v_cmp_eq_u32_e32 vcc_lo, 1, v17
	s_and_b32 exec_lo, exec_lo, vcc_lo
	s_cbranch_execz .LBB36_161
; %bb.160:
	v_mov_b32_e32 v50, 0
	s_delay_alu instid0(VALU_DEP_1) | instskip(NEXT) | instid1(VALU_DEP_1)
	v_lshlrev_b64 v[17:18], 3, v[49:50]
	v_add_co_u32 v17, vcc_lo, s0, v17
	s_delay_alu instid0(VALU_DEP_2)
	v_add_co_ci_u32_e32 v18, vcc_lo, s1, v18, vcc_lo
	global_store_b64 v[17:18], v[9:10], off
.LBB36_161:
	;; [unrolled: 21-line block ×7, first 2 shown]
	s_or_b32 exec_lo, exec_lo, s2
.LBB36_177:
	v_cmp_eq_u32_e32 vcc_lo, 0, v0
	s_and_b32 s0, vcc_lo, s17
	s_delay_alu instid0(SALU_CYCLE_1)
	s_and_saveexec_b32 s1, s0
	s_cbranch_execz .LBB36_200
.LBB36_178:
	v_add_co_u32 v0, s0, s18, v35
	s_delay_alu instid0(VALU_DEP_1) | instskip(SKIP_1) | instid1(VALU_DEP_3)
	v_add_co_ci_u32_e64 v1, null, s19, 0, s0
	v_mov_b32_e32 v2, 0
	v_add_co_u32 v0, vcc_lo, v0, s8
	s_delay_alu instid0(VALU_DEP_3)
	v_add_co_ci_u32_e32 v1, vcc_lo, 0, v1, vcc_lo
	global_store_b64 v2, v[0:1], s[20:21]
	s_nop 0
	s_sendmsg sendmsg(MSG_DEALLOC_VGPRS)
	s_endpgm
.LBB36_179:
	s_and_b32 vcc_lo, exec_lo, s0
	s_cbranch_vccz .LBB36_177
; %bb.180:
	s_mov_b32 s0, exec_lo
	v_cmpx_eq_u32_e32 1, v33
	s_cbranch_execz .LBB36_182
; %bb.181:
	v_subrev_nc_u32_e32 v17, s8, v53
	s_delay_alu instid0(VALU_DEP_1)
	v_lshlrev_b32_e32 v17, 3, v17
	ds_store_b64 v17, v[13:14]
.LBB36_182:
	s_or_b32 exec_lo, exec_lo, s0
	v_and_b32_e32 v13, 1, v58
	s_mov_b32 s0, exec_lo
	s_delay_alu instid0(VALU_DEP_1)
	v_cmpx_eq_u32_e32 1, v13
	s_cbranch_execz .LBB36_184
; %bb.183:
	v_subrev_nc_u32_e32 v13, s8, v51
	s_delay_alu instid0(VALU_DEP_1)
	v_lshlrev_b32_e32 v13, 3, v13
	ds_store_b64 v13, v[15:16]
.LBB36_184:
	s_or_b32 exec_lo, exec_lo, s0
	v_and_b32_e32 v13, 1, v57
	s_mov_b32 s0, exec_lo
	s_delay_alu instid0(VALU_DEP_1)
	;; [unrolled: 12-line block ×7, first 2 shown]
	v_cmpx_eq_u32_e32 1, v1
	s_cbranch_execz .LBB36_196
; %bb.195:
	v_subrev_nc_u32_e32 v1, s8, v39
	s_delay_alu instid0(VALU_DEP_1)
	v_lshlrev_b32_e32 v1, 3, v1
	ds_store_b64 v1, v[3:4]
.LBB36_196:
	s_or_b32 exec_lo, exec_lo, s0
	s_delay_alu instid0(SALU_CYCLE_1)
	s_mov_b32 s1, exec_lo
	s_waitcnt lgkmcnt(0)
	s_waitcnt_vscnt null, 0x0
	s_barrier
	buffer_gl0_inv
	v_cmpx_lt_u32_e64 v0, v35
	s_cbranch_execz .LBB36_199
; %bb.197:
	s_mov_b32 s9, 0
	s_lshl_b64 s[2:3], s[18:19], 3
	s_lshl_b64 s[4:5], s[8:9], 3
	v_mov_b32_e32 v3, v0
	s_add_u32 s0, s2, s4
	s_addc_u32 s2, s3, s5
	s_add_u32 s0, s6, s0
	s_addc_u32 s2, s7, s2
	v_add_co_u32 v1, s0, s0, v55
	s_delay_alu instid0(VALU_DEP_1)
	v_add_co_ci_u32_e64 v2, null, s2, 0, s0
	.p2align	6
.LBB36_198:                             ; =>This Inner Loop Header: Depth=1
	ds_load_b64 v[4:5], v55
	v_add_nc_u32_e32 v3, 0x200, v3
	v_add_nc_u32_e32 v55, 0x1000, v55
	s_delay_alu instid0(VALU_DEP_2) | instskip(SKIP_4) | instid1(VALU_DEP_1)
	v_cmp_ge_u32_e32 vcc_lo, v3, v35
	s_or_b32 s9, vcc_lo, s9
	s_waitcnt lgkmcnt(0)
	global_store_b64 v[1:2], v[4:5], off
	v_add_co_u32 v1, s0, 0x1000, v1
	v_add_co_ci_u32_e64 v2, s0, 0, v2, s0
	s_and_not1_b32 exec_lo, exec_lo, s9
	s_cbranch_execnz .LBB36_198
.LBB36_199:
	s_or_b32 exec_lo, exec_lo, s1
	v_cmp_eq_u32_e32 vcc_lo, 0, v0
	s_and_b32 s0, vcc_lo, s17
	s_delay_alu instid0(SALU_CYCLE_1)
	s_and_saveexec_b32 s1, s0
	s_cbranch_execnz .LBB36_178
.LBB36_200:
	s_nop 0
	s_sendmsg sendmsg(MSG_DEALLOC_VGPRS)
	s_endpgm
	.section	.rodata,"a",@progbits
	.p2align	6, 0x0
	.amdhsa_kernel _ZN7rocprim17ROCPRIM_400000_NS6detail17trampoline_kernelINS0_14default_configENS1_25partition_config_selectorILNS1_17partition_subalgoE9EddbEEZZNS1_14partition_implILS5_9ELb0ES3_jN6thrust23THRUST_200600_302600_NS6detail15normal_iteratorINS9_10device_ptrIdEEEESE_PNS0_10empty_typeENS0_5tupleIJSE_SF_EEENSH_IJSE_SG_EEENS0_18inequality_wrapperINS9_8equal_toIdEEEEPmJSF_EEE10hipError_tPvRmT3_T4_T5_T6_T7_T9_mT8_P12ihipStream_tbDpT10_ENKUlT_T0_E_clISt17integral_constantIbLb1EES17_IbLb0EEEEDaS13_S14_EUlS13_E_NS1_11comp_targetILNS1_3genE9ELNS1_11target_archE1100ELNS1_3gpuE3ELNS1_3repE0EEENS1_30default_config_static_selectorELNS0_4arch9wavefront6targetE0EEEvT1_
		.amdhsa_group_segment_fixed_size 33800
		.amdhsa_private_segment_fixed_size 0
		.amdhsa_kernarg_size 112
		.amdhsa_user_sgpr_count 15
		.amdhsa_user_sgpr_dispatch_ptr 0
		.amdhsa_user_sgpr_queue_ptr 0
		.amdhsa_user_sgpr_kernarg_segment_ptr 1
		.amdhsa_user_sgpr_dispatch_id 0
		.amdhsa_user_sgpr_private_segment_size 0
		.amdhsa_wavefront_size32 1
		.amdhsa_uses_dynamic_stack 0
		.amdhsa_enable_private_segment 0
		.amdhsa_system_sgpr_workgroup_id_x 1
		.amdhsa_system_sgpr_workgroup_id_y 0
		.amdhsa_system_sgpr_workgroup_id_z 0
		.amdhsa_system_sgpr_workgroup_info 0
		.amdhsa_system_vgpr_workitem_id 0
		.amdhsa_next_free_vgpr 68
		.amdhsa_next_free_sgpr 26
		.amdhsa_reserve_vcc 1
		.amdhsa_float_round_mode_32 0
		.amdhsa_float_round_mode_16_64 0
		.amdhsa_float_denorm_mode_32 3
		.amdhsa_float_denorm_mode_16_64 3
		.amdhsa_dx10_clamp 1
		.amdhsa_ieee_mode 1
		.amdhsa_fp16_overflow 0
		.amdhsa_workgroup_processor_mode 1
		.amdhsa_memory_ordered 1
		.amdhsa_forward_progress 0
		.amdhsa_shared_vgpr_count 0
		.amdhsa_exception_fp_ieee_invalid_op 0
		.amdhsa_exception_fp_denorm_src 0
		.amdhsa_exception_fp_ieee_div_zero 0
		.amdhsa_exception_fp_ieee_overflow 0
		.amdhsa_exception_fp_ieee_underflow 0
		.amdhsa_exception_fp_ieee_inexact 0
		.amdhsa_exception_int_div_zero 0
	.end_amdhsa_kernel
	.section	.text._ZN7rocprim17ROCPRIM_400000_NS6detail17trampoline_kernelINS0_14default_configENS1_25partition_config_selectorILNS1_17partition_subalgoE9EddbEEZZNS1_14partition_implILS5_9ELb0ES3_jN6thrust23THRUST_200600_302600_NS6detail15normal_iteratorINS9_10device_ptrIdEEEESE_PNS0_10empty_typeENS0_5tupleIJSE_SF_EEENSH_IJSE_SG_EEENS0_18inequality_wrapperINS9_8equal_toIdEEEEPmJSF_EEE10hipError_tPvRmT3_T4_T5_T6_T7_T9_mT8_P12ihipStream_tbDpT10_ENKUlT_T0_E_clISt17integral_constantIbLb1EES17_IbLb0EEEEDaS13_S14_EUlS13_E_NS1_11comp_targetILNS1_3genE9ELNS1_11target_archE1100ELNS1_3gpuE3ELNS1_3repE0EEENS1_30default_config_static_selectorELNS0_4arch9wavefront6targetE0EEEvT1_,"axG",@progbits,_ZN7rocprim17ROCPRIM_400000_NS6detail17trampoline_kernelINS0_14default_configENS1_25partition_config_selectorILNS1_17partition_subalgoE9EddbEEZZNS1_14partition_implILS5_9ELb0ES3_jN6thrust23THRUST_200600_302600_NS6detail15normal_iteratorINS9_10device_ptrIdEEEESE_PNS0_10empty_typeENS0_5tupleIJSE_SF_EEENSH_IJSE_SG_EEENS0_18inequality_wrapperINS9_8equal_toIdEEEEPmJSF_EEE10hipError_tPvRmT3_T4_T5_T6_T7_T9_mT8_P12ihipStream_tbDpT10_ENKUlT_T0_E_clISt17integral_constantIbLb1EES17_IbLb0EEEEDaS13_S14_EUlS13_E_NS1_11comp_targetILNS1_3genE9ELNS1_11target_archE1100ELNS1_3gpuE3ELNS1_3repE0EEENS1_30default_config_static_selectorELNS0_4arch9wavefront6targetE0EEEvT1_,comdat
.Lfunc_end36:
	.size	_ZN7rocprim17ROCPRIM_400000_NS6detail17trampoline_kernelINS0_14default_configENS1_25partition_config_selectorILNS1_17partition_subalgoE9EddbEEZZNS1_14partition_implILS5_9ELb0ES3_jN6thrust23THRUST_200600_302600_NS6detail15normal_iteratorINS9_10device_ptrIdEEEESE_PNS0_10empty_typeENS0_5tupleIJSE_SF_EEENSH_IJSE_SG_EEENS0_18inequality_wrapperINS9_8equal_toIdEEEEPmJSF_EEE10hipError_tPvRmT3_T4_T5_T6_T7_T9_mT8_P12ihipStream_tbDpT10_ENKUlT_T0_E_clISt17integral_constantIbLb1EES17_IbLb0EEEEDaS13_S14_EUlS13_E_NS1_11comp_targetILNS1_3genE9ELNS1_11target_archE1100ELNS1_3gpuE3ELNS1_3repE0EEENS1_30default_config_static_selectorELNS0_4arch9wavefront6targetE0EEEvT1_, .Lfunc_end36-_ZN7rocprim17ROCPRIM_400000_NS6detail17trampoline_kernelINS0_14default_configENS1_25partition_config_selectorILNS1_17partition_subalgoE9EddbEEZZNS1_14partition_implILS5_9ELb0ES3_jN6thrust23THRUST_200600_302600_NS6detail15normal_iteratorINS9_10device_ptrIdEEEESE_PNS0_10empty_typeENS0_5tupleIJSE_SF_EEENSH_IJSE_SG_EEENS0_18inequality_wrapperINS9_8equal_toIdEEEEPmJSF_EEE10hipError_tPvRmT3_T4_T5_T6_T7_T9_mT8_P12ihipStream_tbDpT10_ENKUlT_T0_E_clISt17integral_constantIbLb1EES17_IbLb0EEEEDaS13_S14_EUlS13_E_NS1_11comp_targetILNS1_3genE9ELNS1_11target_archE1100ELNS1_3gpuE3ELNS1_3repE0EEENS1_30default_config_static_selectorELNS0_4arch9wavefront6targetE0EEEvT1_
                                        ; -- End function
	.section	.AMDGPU.csdata,"",@progbits
; Kernel info:
; codeLenInByte = 9464
; NumSgprs: 28
; NumVgprs: 68
; ScratchSize: 0
; MemoryBound: 0
; FloatMode: 240
; IeeeMode: 1
; LDSByteSize: 33800 bytes/workgroup (compile time only)
; SGPRBlocks: 3
; VGPRBlocks: 8
; NumSGPRsForWavesPerEU: 28
; NumVGPRsForWavesPerEU: 68
; Occupancy: 12
; WaveLimiterHint : 1
; COMPUTE_PGM_RSRC2:SCRATCH_EN: 0
; COMPUTE_PGM_RSRC2:USER_SGPR: 15
; COMPUTE_PGM_RSRC2:TRAP_HANDLER: 0
; COMPUTE_PGM_RSRC2:TGID_X_EN: 1
; COMPUTE_PGM_RSRC2:TGID_Y_EN: 0
; COMPUTE_PGM_RSRC2:TGID_Z_EN: 0
; COMPUTE_PGM_RSRC2:TIDIG_COMP_CNT: 0
	.section	.text._ZN7rocprim17ROCPRIM_400000_NS6detail17trampoline_kernelINS0_14default_configENS1_25partition_config_selectorILNS1_17partition_subalgoE9EddbEEZZNS1_14partition_implILS5_9ELb0ES3_jN6thrust23THRUST_200600_302600_NS6detail15normal_iteratorINS9_10device_ptrIdEEEESE_PNS0_10empty_typeENS0_5tupleIJSE_SF_EEENSH_IJSE_SG_EEENS0_18inequality_wrapperINS9_8equal_toIdEEEEPmJSF_EEE10hipError_tPvRmT3_T4_T5_T6_T7_T9_mT8_P12ihipStream_tbDpT10_ENKUlT_T0_E_clISt17integral_constantIbLb1EES17_IbLb0EEEEDaS13_S14_EUlS13_E_NS1_11comp_targetILNS1_3genE8ELNS1_11target_archE1030ELNS1_3gpuE2ELNS1_3repE0EEENS1_30default_config_static_selectorELNS0_4arch9wavefront6targetE0EEEvT1_,"axG",@progbits,_ZN7rocprim17ROCPRIM_400000_NS6detail17trampoline_kernelINS0_14default_configENS1_25partition_config_selectorILNS1_17partition_subalgoE9EddbEEZZNS1_14partition_implILS5_9ELb0ES3_jN6thrust23THRUST_200600_302600_NS6detail15normal_iteratorINS9_10device_ptrIdEEEESE_PNS0_10empty_typeENS0_5tupleIJSE_SF_EEENSH_IJSE_SG_EEENS0_18inequality_wrapperINS9_8equal_toIdEEEEPmJSF_EEE10hipError_tPvRmT3_T4_T5_T6_T7_T9_mT8_P12ihipStream_tbDpT10_ENKUlT_T0_E_clISt17integral_constantIbLb1EES17_IbLb0EEEEDaS13_S14_EUlS13_E_NS1_11comp_targetILNS1_3genE8ELNS1_11target_archE1030ELNS1_3gpuE2ELNS1_3repE0EEENS1_30default_config_static_selectorELNS0_4arch9wavefront6targetE0EEEvT1_,comdat
	.protected	_ZN7rocprim17ROCPRIM_400000_NS6detail17trampoline_kernelINS0_14default_configENS1_25partition_config_selectorILNS1_17partition_subalgoE9EddbEEZZNS1_14partition_implILS5_9ELb0ES3_jN6thrust23THRUST_200600_302600_NS6detail15normal_iteratorINS9_10device_ptrIdEEEESE_PNS0_10empty_typeENS0_5tupleIJSE_SF_EEENSH_IJSE_SG_EEENS0_18inequality_wrapperINS9_8equal_toIdEEEEPmJSF_EEE10hipError_tPvRmT3_T4_T5_T6_T7_T9_mT8_P12ihipStream_tbDpT10_ENKUlT_T0_E_clISt17integral_constantIbLb1EES17_IbLb0EEEEDaS13_S14_EUlS13_E_NS1_11comp_targetILNS1_3genE8ELNS1_11target_archE1030ELNS1_3gpuE2ELNS1_3repE0EEENS1_30default_config_static_selectorELNS0_4arch9wavefront6targetE0EEEvT1_ ; -- Begin function _ZN7rocprim17ROCPRIM_400000_NS6detail17trampoline_kernelINS0_14default_configENS1_25partition_config_selectorILNS1_17partition_subalgoE9EddbEEZZNS1_14partition_implILS5_9ELb0ES3_jN6thrust23THRUST_200600_302600_NS6detail15normal_iteratorINS9_10device_ptrIdEEEESE_PNS0_10empty_typeENS0_5tupleIJSE_SF_EEENSH_IJSE_SG_EEENS0_18inequality_wrapperINS9_8equal_toIdEEEEPmJSF_EEE10hipError_tPvRmT3_T4_T5_T6_T7_T9_mT8_P12ihipStream_tbDpT10_ENKUlT_T0_E_clISt17integral_constantIbLb1EES17_IbLb0EEEEDaS13_S14_EUlS13_E_NS1_11comp_targetILNS1_3genE8ELNS1_11target_archE1030ELNS1_3gpuE2ELNS1_3repE0EEENS1_30default_config_static_selectorELNS0_4arch9wavefront6targetE0EEEvT1_
	.globl	_ZN7rocprim17ROCPRIM_400000_NS6detail17trampoline_kernelINS0_14default_configENS1_25partition_config_selectorILNS1_17partition_subalgoE9EddbEEZZNS1_14partition_implILS5_9ELb0ES3_jN6thrust23THRUST_200600_302600_NS6detail15normal_iteratorINS9_10device_ptrIdEEEESE_PNS0_10empty_typeENS0_5tupleIJSE_SF_EEENSH_IJSE_SG_EEENS0_18inequality_wrapperINS9_8equal_toIdEEEEPmJSF_EEE10hipError_tPvRmT3_T4_T5_T6_T7_T9_mT8_P12ihipStream_tbDpT10_ENKUlT_T0_E_clISt17integral_constantIbLb1EES17_IbLb0EEEEDaS13_S14_EUlS13_E_NS1_11comp_targetILNS1_3genE8ELNS1_11target_archE1030ELNS1_3gpuE2ELNS1_3repE0EEENS1_30default_config_static_selectorELNS0_4arch9wavefront6targetE0EEEvT1_
	.p2align	8
	.type	_ZN7rocprim17ROCPRIM_400000_NS6detail17trampoline_kernelINS0_14default_configENS1_25partition_config_selectorILNS1_17partition_subalgoE9EddbEEZZNS1_14partition_implILS5_9ELb0ES3_jN6thrust23THRUST_200600_302600_NS6detail15normal_iteratorINS9_10device_ptrIdEEEESE_PNS0_10empty_typeENS0_5tupleIJSE_SF_EEENSH_IJSE_SG_EEENS0_18inequality_wrapperINS9_8equal_toIdEEEEPmJSF_EEE10hipError_tPvRmT3_T4_T5_T6_T7_T9_mT8_P12ihipStream_tbDpT10_ENKUlT_T0_E_clISt17integral_constantIbLb1EES17_IbLb0EEEEDaS13_S14_EUlS13_E_NS1_11comp_targetILNS1_3genE8ELNS1_11target_archE1030ELNS1_3gpuE2ELNS1_3repE0EEENS1_30default_config_static_selectorELNS0_4arch9wavefront6targetE0EEEvT1_,@function
_ZN7rocprim17ROCPRIM_400000_NS6detail17trampoline_kernelINS0_14default_configENS1_25partition_config_selectorILNS1_17partition_subalgoE9EddbEEZZNS1_14partition_implILS5_9ELb0ES3_jN6thrust23THRUST_200600_302600_NS6detail15normal_iteratorINS9_10device_ptrIdEEEESE_PNS0_10empty_typeENS0_5tupleIJSE_SF_EEENSH_IJSE_SG_EEENS0_18inequality_wrapperINS9_8equal_toIdEEEEPmJSF_EEE10hipError_tPvRmT3_T4_T5_T6_T7_T9_mT8_P12ihipStream_tbDpT10_ENKUlT_T0_E_clISt17integral_constantIbLb1EES17_IbLb0EEEEDaS13_S14_EUlS13_E_NS1_11comp_targetILNS1_3genE8ELNS1_11target_archE1030ELNS1_3gpuE2ELNS1_3repE0EEENS1_30default_config_static_selectorELNS0_4arch9wavefront6targetE0EEEvT1_: ; @_ZN7rocprim17ROCPRIM_400000_NS6detail17trampoline_kernelINS0_14default_configENS1_25partition_config_selectorILNS1_17partition_subalgoE9EddbEEZZNS1_14partition_implILS5_9ELb0ES3_jN6thrust23THRUST_200600_302600_NS6detail15normal_iteratorINS9_10device_ptrIdEEEESE_PNS0_10empty_typeENS0_5tupleIJSE_SF_EEENSH_IJSE_SG_EEENS0_18inequality_wrapperINS9_8equal_toIdEEEEPmJSF_EEE10hipError_tPvRmT3_T4_T5_T6_T7_T9_mT8_P12ihipStream_tbDpT10_ENKUlT_T0_E_clISt17integral_constantIbLb1EES17_IbLb0EEEEDaS13_S14_EUlS13_E_NS1_11comp_targetILNS1_3genE8ELNS1_11target_archE1030ELNS1_3gpuE2ELNS1_3repE0EEENS1_30default_config_static_selectorELNS0_4arch9wavefront6targetE0EEEvT1_
; %bb.0:
	.section	.rodata,"a",@progbits
	.p2align	6, 0x0
	.amdhsa_kernel _ZN7rocprim17ROCPRIM_400000_NS6detail17trampoline_kernelINS0_14default_configENS1_25partition_config_selectorILNS1_17partition_subalgoE9EddbEEZZNS1_14partition_implILS5_9ELb0ES3_jN6thrust23THRUST_200600_302600_NS6detail15normal_iteratorINS9_10device_ptrIdEEEESE_PNS0_10empty_typeENS0_5tupleIJSE_SF_EEENSH_IJSE_SG_EEENS0_18inequality_wrapperINS9_8equal_toIdEEEEPmJSF_EEE10hipError_tPvRmT3_T4_T5_T6_T7_T9_mT8_P12ihipStream_tbDpT10_ENKUlT_T0_E_clISt17integral_constantIbLb1EES17_IbLb0EEEEDaS13_S14_EUlS13_E_NS1_11comp_targetILNS1_3genE8ELNS1_11target_archE1030ELNS1_3gpuE2ELNS1_3repE0EEENS1_30default_config_static_selectorELNS0_4arch9wavefront6targetE0EEEvT1_
		.amdhsa_group_segment_fixed_size 0
		.amdhsa_private_segment_fixed_size 0
		.amdhsa_kernarg_size 112
		.amdhsa_user_sgpr_count 15
		.amdhsa_user_sgpr_dispatch_ptr 0
		.amdhsa_user_sgpr_queue_ptr 0
		.amdhsa_user_sgpr_kernarg_segment_ptr 1
		.amdhsa_user_sgpr_dispatch_id 0
		.amdhsa_user_sgpr_private_segment_size 0
		.amdhsa_wavefront_size32 1
		.amdhsa_uses_dynamic_stack 0
		.amdhsa_enable_private_segment 0
		.amdhsa_system_sgpr_workgroup_id_x 1
		.amdhsa_system_sgpr_workgroup_id_y 0
		.amdhsa_system_sgpr_workgroup_id_z 0
		.amdhsa_system_sgpr_workgroup_info 0
		.amdhsa_system_vgpr_workitem_id 0
		.amdhsa_next_free_vgpr 1
		.amdhsa_next_free_sgpr 1
		.amdhsa_reserve_vcc 0
		.amdhsa_float_round_mode_32 0
		.amdhsa_float_round_mode_16_64 0
		.amdhsa_float_denorm_mode_32 3
		.amdhsa_float_denorm_mode_16_64 3
		.amdhsa_dx10_clamp 1
		.amdhsa_ieee_mode 1
		.amdhsa_fp16_overflow 0
		.amdhsa_workgroup_processor_mode 1
		.amdhsa_memory_ordered 1
		.amdhsa_forward_progress 0
		.amdhsa_shared_vgpr_count 0
		.amdhsa_exception_fp_ieee_invalid_op 0
		.amdhsa_exception_fp_denorm_src 0
		.amdhsa_exception_fp_ieee_div_zero 0
		.amdhsa_exception_fp_ieee_overflow 0
		.amdhsa_exception_fp_ieee_underflow 0
		.amdhsa_exception_fp_ieee_inexact 0
		.amdhsa_exception_int_div_zero 0
	.end_amdhsa_kernel
	.section	.text._ZN7rocprim17ROCPRIM_400000_NS6detail17trampoline_kernelINS0_14default_configENS1_25partition_config_selectorILNS1_17partition_subalgoE9EddbEEZZNS1_14partition_implILS5_9ELb0ES3_jN6thrust23THRUST_200600_302600_NS6detail15normal_iteratorINS9_10device_ptrIdEEEESE_PNS0_10empty_typeENS0_5tupleIJSE_SF_EEENSH_IJSE_SG_EEENS0_18inequality_wrapperINS9_8equal_toIdEEEEPmJSF_EEE10hipError_tPvRmT3_T4_T5_T6_T7_T9_mT8_P12ihipStream_tbDpT10_ENKUlT_T0_E_clISt17integral_constantIbLb1EES17_IbLb0EEEEDaS13_S14_EUlS13_E_NS1_11comp_targetILNS1_3genE8ELNS1_11target_archE1030ELNS1_3gpuE2ELNS1_3repE0EEENS1_30default_config_static_selectorELNS0_4arch9wavefront6targetE0EEEvT1_,"axG",@progbits,_ZN7rocprim17ROCPRIM_400000_NS6detail17trampoline_kernelINS0_14default_configENS1_25partition_config_selectorILNS1_17partition_subalgoE9EddbEEZZNS1_14partition_implILS5_9ELb0ES3_jN6thrust23THRUST_200600_302600_NS6detail15normal_iteratorINS9_10device_ptrIdEEEESE_PNS0_10empty_typeENS0_5tupleIJSE_SF_EEENSH_IJSE_SG_EEENS0_18inequality_wrapperINS9_8equal_toIdEEEEPmJSF_EEE10hipError_tPvRmT3_T4_T5_T6_T7_T9_mT8_P12ihipStream_tbDpT10_ENKUlT_T0_E_clISt17integral_constantIbLb1EES17_IbLb0EEEEDaS13_S14_EUlS13_E_NS1_11comp_targetILNS1_3genE8ELNS1_11target_archE1030ELNS1_3gpuE2ELNS1_3repE0EEENS1_30default_config_static_selectorELNS0_4arch9wavefront6targetE0EEEvT1_,comdat
.Lfunc_end37:
	.size	_ZN7rocprim17ROCPRIM_400000_NS6detail17trampoline_kernelINS0_14default_configENS1_25partition_config_selectorILNS1_17partition_subalgoE9EddbEEZZNS1_14partition_implILS5_9ELb0ES3_jN6thrust23THRUST_200600_302600_NS6detail15normal_iteratorINS9_10device_ptrIdEEEESE_PNS0_10empty_typeENS0_5tupleIJSE_SF_EEENSH_IJSE_SG_EEENS0_18inequality_wrapperINS9_8equal_toIdEEEEPmJSF_EEE10hipError_tPvRmT3_T4_T5_T6_T7_T9_mT8_P12ihipStream_tbDpT10_ENKUlT_T0_E_clISt17integral_constantIbLb1EES17_IbLb0EEEEDaS13_S14_EUlS13_E_NS1_11comp_targetILNS1_3genE8ELNS1_11target_archE1030ELNS1_3gpuE2ELNS1_3repE0EEENS1_30default_config_static_selectorELNS0_4arch9wavefront6targetE0EEEvT1_, .Lfunc_end37-_ZN7rocprim17ROCPRIM_400000_NS6detail17trampoline_kernelINS0_14default_configENS1_25partition_config_selectorILNS1_17partition_subalgoE9EddbEEZZNS1_14partition_implILS5_9ELb0ES3_jN6thrust23THRUST_200600_302600_NS6detail15normal_iteratorINS9_10device_ptrIdEEEESE_PNS0_10empty_typeENS0_5tupleIJSE_SF_EEENSH_IJSE_SG_EEENS0_18inequality_wrapperINS9_8equal_toIdEEEEPmJSF_EEE10hipError_tPvRmT3_T4_T5_T6_T7_T9_mT8_P12ihipStream_tbDpT10_ENKUlT_T0_E_clISt17integral_constantIbLb1EES17_IbLb0EEEEDaS13_S14_EUlS13_E_NS1_11comp_targetILNS1_3genE8ELNS1_11target_archE1030ELNS1_3gpuE2ELNS1_3repE0EEENS1_30default_config_static_selectorELNS0_4arch9wavefront6targetE0EEEvT1_
                                        ; -- End function
	.section	.AMDGPU.csdata,"",@progbits
; Kernel info:
; codeLenInByte = 0
; NumSgprs: 0
; NumVgprs: 0
; ScratchSize: 0
; MemoryBound: 0
; FloatMode: 240
; IeeeMode: 1
; LDSByteSize: 0 bytes/workgroup (compile time only)
; SGPRBlocks: 0
; VGPRBlocks: 0
; NumSGPRsForWavesPerEU: 1
; NumVGPRsForWavesPerEU: 1
; Occupancy: 16
; WaveLimiterHint : 0
; COMPUTE_PGM_RSRC2:SCRATCH_EN: 0
; COMPUTE_PGM_RSRC2:USER_SGPR: 15
; COMPUTE_PGM_RSRC2:TRAP_HANDLER: 0
; COMPUTE_PGM_RSRC2:TGID_X_EN: 1
; COMPUTE_PGM_RSRC2:TGID_Y_EN: 0
; COMPUTE_PGM_RSRC2:TGID_Z_EN: 0
; COMPUTE_PGM_RSRC2:TIDIG_COMP_CNT: 0
	.section	.text._ZN7rocprim17ROCPRIM_400000_NS6detail31init_lookback_scan_state_kernelINS1_19lookback_scan_stateIjLb0ELb1EEENS1_16block_id_wrapperIjLb1EEEEEvT_jT0_jPNS7_10value_typeE,"axG",@progbits,_ZN7rocprim17ROCPRIM_400000_NS6detail31init_lookback_scan_state_kernelINS1_19lookback_scan_stateIjLb0ELb1EEENS1_16block_id_wrapperIjLb1EEEEEvT_jT0_jPNS7_10value_typeE,comdat
	.protected	_ZN7rocprim17ROCPRIM_400000_NS6detail31init_lookback_scan_state_kernelINS1_19lookback_scan_stateIjLb0ELb1EEENS1_16block_id_wrapperIjLb1EEEEEvT_jT0_jPNS7_10value_typeE ; -- Begin function _ZN7rocprim17ROCPRIM_400000_NS6detail31init_lookback_scan_state_kernelINS1_19lookback_scan_stateIjLb0ELb1EEENS1_16block_id_wrapperIjLb1EEEEEvT_jT0_jPNS7_10value_typeE
	.globl	_ZN7rocprim17ROCPRIM_400000_NS6detail31init_lookback_scan_state_kernelINS1_19lookback_scan_stateIjLb0ELb1EEENS1_16block_id_wrapperIjLb1EEEEEvT_jT0_jPNS7_10value_typeE
	.p2align	8
	.type	_ZN7rocprim17ROCPRIM_400000_NS6detail31init_lookback_scan_state_kernelINS1_19lookback_scan_stateIjLb0ELb1EEENS1_16block_id_wrapperIjLb1EEEEEvT_jT0_jPNS7_10value_typeE,@function
_ZN7rocprim17ROCPRIM_400000_NS6detail31init_lookback_scan_state_kernelINS1_19lookback_scan_stateIjLb0ELb1EEENS1_16block_id_wrapperIjLb1EEEEEvT_jT0_jPNS7_10value_typeE: ; @_ZN7rocprim17ROCPRIM_400000_NS6detail31init_lookback_scan_state_kernelINS1_19lookback_scan_stateIjLb0ELb1EEENS1_16block_id_wrapperIjLb1EEEEEvT_jT0_jPNS7_10value_typeE
; %bb.0:
	s_clause 0x3
	s_load_b32 s6, s[0:1], 0x34
	s_load_b64 s[4:5], s[0:1], 0x20
	s_load_b64 s[2:3], s[0:1], 0x0
	s_load_b32 s8, s[0:1], 0x8
	s_waitcnt lgkmcnt(0)
	s_and_b32 s6, s6, 0xffff
	s_cmp_eq_u64 s[4:5], 0
	v_mad_u64_u32 v[1:2], null, s15, s6, v[0:1]
	s_cbranch_scc1 .LBB38_6
; %bb.1:
	s_load_b32 s6, s[0:1], 0x18
	s_waitcnt lgkmcnt(0)
	s_cmp_lt_u32 s6, s8
	s_cselect_b32 s7, s6, 0
	s_delay_alu instid0(VALU_DEP_1) | instid1(SALU_CYCLE_1)
	v_cmp_eq_u32_e32 vcc_lo, s7, v1
	s_mov_b32 s7, 0
	s_and_saveexec_b32 s9, vcc_lo
	s_cbranch_execz .LBB38_5
; %bb.2:
	s_add_i32 s6, s6, 32
	v_mov_b32_e32 v4, 0
	s_lshl_b64 s[6:7], s[6:7], 3
	s_delay_alu instid0(SALU_CYCLE_1) | instskip(SKIP_4) | instid1(VALU_DEP_1)
	s_add_u32 s6, s2, s6
	s_addc_u32 s7, s3, s7
	global_load_b64 v[2:3], v4, s[6:7] glc
	s_waitcnt vmcnt(0)
	v_and_b32_e32 v5, 0xff, v3
	v_cmp_ne_u64_e32 vcc_lo, 0, v[4:5]
	s_cbranch_vccnz .LBB38_4
.LBB38_3:                               ; =>This Inner Loop Header: Depth=1
	global_load_b64 v[2:3], v4, s[6:7] glc
	s_waitcnt vmcnt(0)
	v_and_b32_e32 v5, 0xff, v3
	s_delay_alu instid0(VALU_DEP_1)
	v_cmp_eq_u64_e32 vcc_lo, 0, v[4:5]
	s_cbranch_vccnz .LBB38_3
.LBB38_4:
	v_mov_b32_e32 v0, 0
	global_store_b32 v0, v2, s[4:5]
.LBB38_5:
	s_or_b32 exec_lo, exec_lo, s9
.LBB38_6:
	s_delay_alu instid0(SALU_CYCLE_1) | instskip(NEXT) | instid1(VALU_DEP_1)
	s_mov_b32 s4, exec_lo
	v_cmpx_eq_u32_e32 0, v1
	s_cbranch_execz .LBB38_8
; %bb.7:
	s_load_b64 s[0:1], s[0:1], 0x10
	v_mov_b32_e32 v0, 0
	s_waitcnt lgkmcnt(0)
	global_store_b32 v0, v0, s[0:1]
.LBB38_8:
	s_or_b32 exec_lo, exec_lo, s4
	s_delay_alu instid0(SALU_CYCLE_1)
	s_mov_b32 s0, exec_lo
	v_cmpx_gt_u32_e64 s8, v1
	s_cbranch_execz .LBB38_10
; %bb.9:
	v_dual_mov_b32 v3, 0 :: v_dual_add_nc_u32 v2, 32, v1
	s_delay_alu instid0(VALU_DEP_1) | instskip(SKIP_1) | instid1(VALU_DEP_2)
	v_lshlrev_b64 v[4:5], 3, v[2:3]
	v_mov_b32_e32 v2, v3
	v_add_co_u32 v4, vcc_lo, s2, v4
	s_delay_alu instid0(VALU_DEP_3)
	v_add_co_ci_u32_e32 v5, vcc_lo, s3, v5, vcc_lo
	global_store_b64 v[4:5], v[2:3], off
.LBB38_10:
	s_or_b32 exec_lo, exec_lo, s0
	s_delay_alu instid0(SALU_CYCLE_1)
	s_mov_b32 s0, exec_lo
	v_cmpx_gt_u32_e32 32, v1
	s_cbranch_execz .LBB38_12
; %bb.11:
	v_dual_mov_b32 v2, 0 :: v_dual_mov_b32 v3, 0xff
	s_delay_alu instid0(VALU_DEP_1) | instskip(NEXT) | instid1(VALU_DEP_1)
	v_lshlrev_b64 v[0:1], 3, v[1:2]
	v_add_co_u32 v0, vcc_lo, s2, v0
	s_delay_alu instid0(VALU_DEP_2)
	v_add_co_ci_u32_e32 v1, vcc_lo, s3, v1, vcc_lo
	global_store_b64 v[0:1], v[2:3], off
.LBB38_12:
	s_nop 0
	s_sendmsg sendmsg(MSG_DEALLOC_VGPRS)
	s_endpgm
	.section	.rodata,"a",@progbits
	.p2align	6, 0x0
	.amdhsa_kernel _ZN7rocprim17ROCPRIM_400000_NS6detail31init_lookback_scan_state_kernelINS1_19lookback_scan_stateIjLb0ELb1EEENS1_16block_id_wrapperIjLb1EEEEEvT_jT0_jPNS7_10value_typeE
		.amdhsa_group_segment_fixed_size 0
		.amdhsa_private_segment_fixed_size 0
		.amdhsa_kernarg_size 296
		.amdhsa_user_sgpr_count 15
		.amdhsa_user_sgpr_dispatch_ptr 0
		.amdhsa_user_sgpr_queue_ptr 0
		.amdhsa_user_sgpr_kernarg_segment_ptr 1
		.amdhsa_user_sgpr_dispatch_id 0
		.amdhsa_user_sgpr_private_segment_size 0
		.amdhsa_wavefront_size32 1
		.amdhsa_uses_dynamic_stack 0
		.amdhsa_enable_private_segment 0
		.amdhsa_system_sgpr_workgroup_id_x 1
		.amdhsa_system_sgpr_workgroup_id_y 0
		.amdhsa_system_sgpr_workgroup_id_z 0
		.amdhsa_system_sgpr_workgroup_info 0
		.amdhsa_system_vgpr_workitem_id 0
		.amdhsa_next_free_vgpr 6
		.amdhsa_next_free_sgpr 16
		.amdhsa_reserve_vcc 1
		.amdhsa_float_round_mode_32 0
		.amdhsa_float_round_mode_16_64 0
		.amdhsa_float_denorm_mode_32 3
		.amdhsa_float_denorm_mode_16_64 3
		.amdhsa_dx10_clamp 1
		.amdhsa_ieee_mode 1
		.amdhsa_fp16_overflow 0
		.amdhsa_workgroup_processor_mode 1
		.amdhsa_memory_ordered 1
		.amdhsa_forward_progress 0
		.amdhsa_shared_vgpr_count 0
		.amdhsa_exception_fp_ieee_invalid_op 0
		.amdhsa_exception_fp_denorm_src 0
		.amdhsa_exception_fp_ieee_div_zero 0
		.amdhsa_exception_fp_ieee_overflow 0
		.amdhsa_exception_fp_ieee_underflow 0
		.amdhsa_exception_fp_ieee_inexact 0
		.amdhsa_exception_int_div_zero 0
	.end_amdhsa_kernel
	.section	.text._ZN7rocprim17ROCPRIM_400000_NS6detail31init_lookback_scan_state_kernelINS1_19lookback_scan_stateIjLb0ELb1EEENS1_16block_id_wrapperIjLb1EEEEEvT_jT0_jPNS7_10value_typeE,"axG",@progbits,_ZN7rocprim17ROCPRIM_400000_NS6detail31init_lookback_scan_state_kernelINS1_19lookback_scan_stateIjLb0ELb1EEENS1_16block_id_wrapperIjLb1EEEEEvT_jT0_jPNS7_10value_typeE,comdat
.Lfunc_end38:
	.size	_ZN7rocprim17ROCPRIM_400000_NS6detail31init_lookback_scan_state_kernelINS1_19lookback_scan_stateIjLb0ELb1EEENS1_16block_id_wrapperIjLb1EEEEEvT_jT0_jPNS7_10value_typeE, .Lfunc_end38-_ZN7rocprim17ROCPRIM_400000_NS6detail31init_lookback_scan_state_kernelINS1_19lookback_scan_stateIjLb0ELb1EEENS1_16block_id_wrapperIjLb1EEEEEvT_jT0_jPNS7_10value_typeE
                                        ; -- End function
	.section	.AMDGPU.csdata,"",@progbits
; Kernel info:
; codeLenInByte = 396
; NumSgprs: 18
; NumVgprs: 6
; ScratchSize: 0
; MemoryBound: 0
; FloatMode: 240
; IeeeMode: 1
; LDSByteSize: 0 bytes/workgroup (compile time only)
; SGPRBlocks: 2
; VGPRBlocks: 0
; NumSGPRsForWavesPerEU: 18
; NumVGPRsForWavesPerEU: 6
; Occupancy: 16
; WaveLimiterHint : 0
; COMPUTE_PGM_RSRC2:SCRATCH_EN: 0
; COMPUTE_PGM_RSRC2:USER_SGPR: 15
; COMPUTE_PGM_RSRC2:TRAP_HANDLER: 0
; COMPUTE_PGM_RSRC2:TGID_X_EN: 1
; COMPUTE_PGM_RSRC2:TGID_Y_EN: 0
; COMPUTE_PGM_RSRC2:TGID_Z_EN: 0
; COMPUTE_PGM_RSRC2:TIDIG_COMP_CNT: 0
	.section	.text._ZN7rocprim17ROCPRIM_400000_NS6detail17trampoline_kernelINS0_14default_configENS1_25partition_config_selectorILNS1_17partition_subalgoE9EddbEEZZNS1_14partition_implILS5_9ELb0ES3_jN6thrust23THRUST_200600_302600_NS6detail15normal_iteratorINS9_10device_ptrIdEEEESE_PNS0_10empty_typeENS0_5tupleIJSE_SF_EEENSH_IJSE_SG_EEENS0_18inequality_wrapperINS9_8equal_toIdEEEEPmJSF_EEE10hipError_tPvRmT3_T4_T5_T6_T7_T9_mT8_P12ihipStream_tbDpT10_ENKUlT_T0_E_clISt17integral_constantIbLb0EES17_IbLb1EEEEDaS13_S14_EUlS13_E_NS1_11comp_targetILNS1_3genE0ELNS1_11target_archE4294967295ELNS1_3gpuE0ELNS1_3repE0EEENS1_30default_config_static_selectorELNS0_4arch9wavefront6targetE0EEEvT1_,"axG",@progbits,_ZN7rocprim17ROCPRIM_400000_NS6detail17trampoline_kernelINS0_14default_configENS1_25partition_config_selectorILNS1_17partition_subalgoE9EddbEEZZNS1_14partition_implILS5_9ELb0ES3_jN6thrust23THRUST_200600_302600_NS6detail15normal_iteratorINS9_10device_ptrIdEEEESE_PNS0_10empty_typeENS0_5tupleIJSE_SF_EEENSH_IJSE_SG_EEENS0_18inequality_wrapperINS9_8equal_toIdEEEEPmJSF_EEE10hipError_tPvRmT3_T4_T5_T6_T7_T9_mT8_P12ihipStream_tbDpT10_ENKUlT_T0_E_clISt17integral_constantIbLb0EES17_IbLb1EEEEDaS13_S14_EUlS13_E_NS1_11comp_targetILNS1_3genE0ELNS1_11target_archE4294967295ELNS1_3gpuE0ELNS1_3repE0EEENS1_30default_config_static_selectorELNS0_4arch9wavefront6targetE0EEEvT1_,comdat
	.protected	_ZN7rocprim17ROCPRIM_400000_NS6detail17trampoline_kernelINS0_14default_configENS1_25partition_config_selectorILNS1_17partition_subalgoE9EddbEEZZNS1_14partition_implILS5_9ELb0ES3_jN6thrust23THRUST_200600_302600_NS6detail15normal_iteratorINS9_10device_ptrIdEEEESE_PNS0_10empty_typeENS0_5tupleIJSE_SF_EEENSH_IJSE_SG_EEENS0_18inequality_wrapperINS9_8equal_toIdEEEEPmJSF_EEE10hipError_tPvRmT3_T4_T5_T6_T7_T9_mT8_P12ihipStream_tbDpT10_ENKUlT_T0_E_clISt17integral_constantIbLb0EES17_IbLb1EEEEDaS13_S14_EUlS13_E_NS1_11comp_targetILNS1_3genE0ELNS1_11target_archE4294967295ELNS1_3gpuE0ELNS1_3repE0EEENS1_30default_config_static_selectorELNS0_4arch9wavefront6targetE0EEEvT1_ ; -- Begin function _ZN7rocprim17ROCPRIM_400000_NS6detail17trampoline_kernelINS0_14default_configENS1_25partition_config_selectorILNS1_17partition_subalgoE9EddbEEZZNS1_14partition_implILS5_9ELb0ES3_jN6thrust23THRUST_200600_302600_NS6detail15normal_iteratorINS9_10device_ptrIdEEEESE_PNS0_10empty_typeENS0_5tupleIJSE_SF_EEENSH_IJSE_SG_EEENS0_18inequality_wrapperINS9_8equal_toIdEEEEPmJSF_EEE10hipError_tPvRmT3_T4_T5_T6_T7_T9_mT8_P12ihipStream_tbDpT10_ENKUlT_T0_E_clISt17integral_constantIbLb0EES17_IbLb1EEEEDaS13_S14_EUlS13_E_NS1_11comp_targetILNS1_3genE0ELNS1_11target_archE4294967295ELNS1_3gpuE0ELNS1_3repE0EEENS1_30default_config_static_selectorELNS0_4arch9wavefront6targetE0EEEvT1_
	.globl	_ZN7rocprim17ROCPRIM_400000_NS6detail17trampoline_kernelINS0_14default_configENS1_25partition_config_selectorILNS1_17partition_subalgoE9EddbEEZZNS1_14partition_implILS5_9ELb0ES3_jN6thrust23THRUST_200600_302600_NS6detail15normal_iteratorINS9_10device_ptrIdEEEESE_PNS0_10empty_typeENS0_5tupleIJSE_SF_EEENSH_IJSE_SG_EEENS0_18inequality_wrapperINS9_8equal_toIdEEEEPmJSF_EEE10hipError_tPvRmT3_T4_T5_T6_T7_T9_mT8_P12ihipStream_tbDpT10_ENKUlT_T0_E_clISt17integral_constantIbLb0EES17_IbLb1EEEEDaS13_S14_EUlS13_E_NS1_11comp_targetILNS1_3genE0ELNS1_11target_archE4294967295ELNS1_3gpuE0ELNS1_3repE0EEENS1_30default_config_static_selectorELNS0_4arch9wavefront6targetE0EEEvT1_
	.p2align	8
	.type	_ZN7rocprim17ROCPRIM_400000_NS6detail17trampoline_kernelINS0_14default_configENS1_25partition_config_selectorILNS1_17partition_subalgoE9EddbEEZZNS1_14partition_implILS5_9ELb0ES3_jN6thrust23THRUST_200600_302600_NS6detail15normal_iteratorINS9_10device_ptrIdEEEESE_PNS0_10empty_typeENS0_5tupleIJSE_SF_EEENSH_IJSE_SG_EEENS0_18inequality_wrapperINS9_8equal_toIdEEEEPmJSF_EEE10hipError_tPvRmT3_T4_T5_T6_T7_T9_mT8_P12ihipStream_tbDpT10_ENKUlT_T0_E_clISt17integral_constantIbLb0EES17_IbLb1EEEEDaS13_S14_EUlS13_E_NS1_11comp_targetILNS1_3genE0ELNS1_11target_archE4294967295ELNS1_3gpuE0ELNS1_3repE0EEENS1_30default_config_static_selectorELNS0_4arch9wavefront6targetE0EEEvT1_,@function
_ZN7rocprim17ROCPRIM_400000_NS6detail17trampoline_kernelINS0_14default_configENS1_25partition_config_selectorILNS1_17partition_subalgoE9EddbEEZZNS1_14partition_implILS5_9ELb0ES3_jN6thrust23THRUST_200600_302600_NS6detail15normal_iteratorINS9_10device_ptrIdEEEESE_PNS0_10empty_typeENS0_5tupleIJSE_SF_EEENSH_IJSE_SG_EEENS0_18inequality_wrapperINS9_8equal_toIdEEEEPmJSF_EEE10hipError_tPvRmT3_T4_T5_T6_T7_T9_mT8_P12ihipStream_tbDpT10_ENKUlT_T0_E_clISt17integral_constantIbLb0EES17_IbLb1EEEEDaS13_S14_EUlS13_E_NS1_11comp_targetILNS1_3genE0ELNS1_11target_archE4294967295ELNS1_3gpuE0ELNS1_3repE0EEENS1_30default_config_static_selectorELNS0_4arch9wavefront6targetE0EEEvT1_: ; @_ZN7rocprim17ROCPRIM_400000_NS6detail17trampoline_kernelINS0_14default_configENS1_25partition_config_selectorILNS1_17partition_subalgoE9EddbEEZZNS1_14partition_implILS5_9ELb0ES3_jN6thrust23THRUST_200600_302600_NS6detail15normal_iteratorINS9_10device_ptrIdEEEESE_PNS0_10empty_typeENS0_5tupleIJSE_SF_EEENSH_IJSE_SG_EEENS0_18inequality_wrapperINS9_8equal_toIdEEEEPmJSF_EEE10hipError_tPvRmT3_T4_T5_T6_T7_T9_mT8_P12ihipStream_tbDpT10_ENKUlT_T0_E_clISt17integral_constantIbLb0EES17_IbLb1EEEEDaS13_S14_EUlS13_E_NS1_11comp_targetILNS1_3genE0ELNS1_11target_archE4294967295ELNS1_3gpuE0ELNS1_3repE0EEENS1_30default_config_static_selectorELNS0_4arch9wavefront6targetE0EEEvT1_
; %bb.0:
	.section	.rodata,"a",@progbits
	.p2align	6, 0x0
	.amdhsa_kernel _ZN7rocprim17ROCPRIM_400000_NS6detail17trampoline_kernelINS0_14default_configENS1_25partition_config_selectorILNS1_17partition_subalgoE9EddbEEZZNS1_14partition_implILS5_9ELb0ES3_jN6thrust23THRUST_200600_302600_NS6detail15normal_iteratorINS9_10device_ptrIdEEEESE_PNS0_10empty_typeENS0_5tupleIJSE_SF_EEENSH_IJSE_SG_EEENS0_18inequality_wrapperINS9_8equal_toIdEEEEPmJSF_EEE10hipError_tPvRmT3_T4_T5_T6_T7_T9_mT8_P12ihipStream_tbDpT10_ENKUlT_T0_E_clISt17integral_constantIbLb0EES17_IbLb1EEEEDaS13_S14_EUlS13_E_NS1_11comp_targetILNS1_3genE0ELNS1_11target_archE4294967295ELNS1_3gpuE0ELNS1_3repE0EEENS1_30default_config_static_selectorELNS0_4arch9wavefront6targetE0EEEvT1_
		.amdhsa_group_segment_fixed_size 0
		.amdhsa_private_segment_fixed_size 0
		.amdhsa_kernarg_size 128
		.amdhsa_user_sgpr_count 15
		.amdhsa_user_sgpr_dispatch_ptr 0
		.amdhsa_user_sgpr_queue_ptr 0
		.amdhsa_user_sgpr_kernarg_segment_ptr 1
		.amdhsa_user_sgpr_dispatch_id 0
		.amdhsa_user_sgpr_private_segment_size 0
		.amdhsa_wavefront_size32 1
		.amdhsa_uses_dynamic_stack 0
		.amdhsa_enable_private_segment 0
		.amdhsa_system_sgpr_workgroup_id_x 1
		.amdhsa_system_sgpr_workgroup_id_y 0
		.amdhsa_system_sgpr_workgroup_id_z 0
		.amdhsa_system_sgpr_workgroup_info 0
		.amdhsa_system_vgpr_workitem_id 0
		.amdhsa_next_free_vgpr 1
		.amdhsa_next_free_sgpr 1
		.amdhsa_reserve_vcc 0
		.amdhsa_float_round_mode_32 0
		.amdhsa_float_round_mode_16_64 0
		.amdhsa_float_denorm_mode_32 3
		.amdhsa_float_denorm_mode_16_64 3
		.amdhsa_dx10_clamp 1
		.amdhsa_ieee_mode 1
		.amdhsa_fp16_overflow 0
		.amdhsa_workgroup_processor_mode 1
		.amdhsa_memory_ordered 1
		.amdhsa_forward_progress 0
		.amdhsa_shared_vgpr_count 0
		.amdhsa_exception_fp_ieee_invalid_op 0
		.amdhsa_exception_fp_denorm_src 0
		.amdhsa_exception_fp_ieee_div_zero 0
		.amdhsa_exception_fp_ieee_overflow 0
		.amdhsa_exception_fp_ieee_underflow 0
		.amdhsa_exception_fp_ieee_inexact 0
		.amdhsa_exception_int_div_zero 0
	.end_amdhsa_kernel
	.section	.text._ZN7rocprim17ROCPRIM_400000_NS6detail17trampoline_kernelINS0_14default_configENS1_25partition_config_selectorILNS1_17partition_subalgoE9EddbEEZZNS1_14partition_implILS5_9ELb0ES3_jN6thrust23THRUST_200600_302600_NS6detail15normal_iteratorINS9_10device_ptrIdEEEESE_PNS0_10empty_typeENS0_5tupleIJSE_SF_EEENSH_IJSE_SG_EEENS0_18inequality_wrapperINS9_8equal_toIdEEEEPmJSF_EEE10hipError_tPvRmT3_T4_T5_T6_T7_T9_mT8_P12ihipStream_tbDpT10_ENKUlT_T0_E_clISt17integral_constantIbLb0EES17_IbLb1EEEEDaS13_S14_EUlS13_E_NS1_11comp_targetILNS1_3genE0ELNS1_11target_archE4294967295ELNS1_3gpuE0ELNS1_3repE0EEENS1_30default_config_static_selectorELNS0_4arch9wavefront6targetE0EEEvT1_,"axG",@progbits,_ZN7rocprim17ROCPRIM_400000_NS6detail17trampoline_kernelINS0_14default_configENS1_25partition_config_selectorILNS1_17partition_subalgoE9EddbEEZZNS1_14partition_implILS5_9ELb0ES3_jN6thrust23THRUST_200600_302600_NS6detail15normal_iteratorINS9_10device_ptrIdEEEESE_PNS0_10empty_typeENS0_5tupleIJSE_SF_EEENSH_IJSE_SG_EEENS0_18inequality_wrapperINS9_8equal_toIdEEEEPmJSF_EEE10hipError_tPvRmT3_T4_T5_T6_T7_T9_mT8_P12ihipStream_tbDpT10_ENKUlT_T0_E_clISt17integral_constantIbLb0EES17_IbLb1EEEEDaS13_S14_EUlS13_E_NS1_11comp_targetILNS1_3genE0ELNS1_11target_archE4294967295ELNS1_3gpuE0ELNS1_3repE0EEENS1_30default_config_static_selectorELNS0_4arch9wavefront6targetE0EEEvT1_,comdat
.Lfunc_end39:
	.size	_ZN7rocprim17ROCPRIM_400000_NS6detail17trampoline_kernelINS0_14default_configENS1_25partition_config_selectorILNS1_17partition_subalgoE9EddbEEZZNS1_14partition_implILS5_9ELb0ES3_jN6thrust23THRUST_200600_302600_NS6detail15normal_iteratorINS9_10device_ptrIdEEEESE_PNS0_10empty_typeENS0_5tupleIJSE_SF_EEENSH_IJSE_SG_EEENS0_18inequality_wrapperINS9_8equal_toIdEEEEPmJSF_EEE10hipError_tPvRmT3_T4_T5_T6_T7_T9_mT8_P12ihipStream_tbDpT10_ENKUlT_T0_E_clISt17integral_constantIbLb0EES17_IbLb1EEEEDaS13_S14_EUlS13_E_NS1_11comp_targetILNS1_3genE0ELNS1_11target_archE4294967295ELNS1_3gpuE0ELNS1_3repE0EEENS1_30default_config_static_selectorELNS0_4arch9wavefront6targetE0EEEvT1_, .Lfunc_end39-_ZN7rocprim17ROCPRIM_400000_NS6detail17trampoline_kernelINS0_14default_configENS1_25partition_config_selectorILNS1_17partition_subalgoE9EddbEEZZNS1_14partition_implILS5_9ELb0ES3_jN6thrust23THRUST_200600_302600_NS6detail15normal_iteratorINS9_10device_ptrIdEEEESE_PNS0_10empty_typeENS0_5tupleIJSE_SF_EEENSH_IJSE_SG_EEENS0_18inequality_wrapperINS9_8equal_toIdEEEEPmJSF_EEE10hipError_tPvRmT3_T4_T5_T6_T7_T9_mT8_P12ihipStream_tbDpT10_ENKUlT_T0_E_clISt17integral_constantIbLb0EES17_IbLb1EEEEDaS13_S14_EUlS13_E_NS1_11comp_targetILNS1_3genE0ELNS1_11target_archE4294967295ELNS1_3gpuE0ELNS1_3repE0EEENS1_30default_config_static_selectorELNS0_4arch9wavefront6targetE0EEEvT1_
                                        ; -- End function
	.section	.AMDGPU.csdata,"",@progbits
; Kernel info:
; codeLenInByte = 0
; NumSgprs: 0
; NumVgprs: 0
; ScratchSize: 0
; MemoryBound: 0
; FloatMode: 240
; IeeeMode: 1
; LDSByteSize: 0 bytes/workgroup (compile time only)
; SGPRBlocks: 0
; VGPRBlocks: 0
; NumSGPRsForWavesPerEU: 1
; NumVGPRsForWavesPerEU: 1
; Occupancy: 16
; WaveLimiterHint : 0
; COMPUTE_PGM_RSRC2:SCRATCH_EN: 0
; COMPUTE_PGM_RSRC2:USER_SGPR: 15
; COMPUTE_PGM_RSRC2:TRAP_HANDLER: 0
; COMPUTE_PGM_RSRC2:TGID_X_EN: 1
; COMPUTE_PGM_RSRC2:TGID_Y_EN: 0
; COMPUTE_PGM_RSRC2:TGID_Z_EN: 0
; COMPUTE_PGM_RSRC2:TIDIG_COMP_CNT: 0
	.section	.text._ZN7rocprim17ROCPRIM_400000_NS6detail17trampoline_kernelINS0_14default_configENS1_25partition_config_selectorILNS1_17partition_subalgoE9EddbEEZZNS1_14partition_implILS5_9ELb0ES3_jN6thrust23THRUST_200600_302600_NS6detail15normal_iteratorINS9_10device_ptrIdEEEESE_PNS0_10empty_typeENS0_5tupleIJSE_SF_EEENSH_IJSE_SG_EEENS0_18inequality_wrapperINS9_8equal_toIdEEEEPmJSF_EEE10hipError_tPvRmT3_T4_T5_T6_T7_T9_mT8_P12ihipStream_tbDpT10_ENKUlT_T0_E_clISt17integral_constantIbLb0EES17_IbLb1EEEEDaS13_S14_EUlS13_E_NS1_11comp_targetILNS1_3genE5ELNS1_11target_archE942ELNS1_3gpuE9ELNS1_3repE0EEENS1_30default_config_static_selectorELNS0_4arch9wavefront6targetE0EEEvT1_,"axG",@progbits,_ZN7rocprim17ROCPRIM_400000_NS6detail17trampoline_kernelINS0_14default_configENS1_25partition_config_selectorILNS1_17partition_subalgoE9EddbEEZZNS1_14partition_implILS5_9ELb0ES3_jN6thrust23THRUST_200600_302600_NS6detail15normal_iteratorINS9_10device_ptrIdEEEESE_PNS0_10empty_typeENS0_5tupleIJSE_SF_EEENSH_IJSE_SG_EEENS0_18inequality_wrapperINS9_8equal_toIdEEEEPmJSF_EEE10hipError_tPvRmT3_T4_T5_T6_T7_T9_mT8_P12ihipStream_tbDpT10_ENKUlT_T0_E_clISt17integral_constantIbLb0EES17_IbLb1EEEEDaS13_S14_EUlS13_E_NS1_11comp_targetILNS1_3genE5ELNS1_11target_archE942ELNS1_3gpuE9ELNS1_3repE0EEENS1_30default_config_static_selectorELNS0_4arch9wavefront6targetE0EEEvT1_,comdat
	.protected	_ZN7rocprim17ROCPRIM_400000_NS6detail17trampoline_kernelINS0_14default_configENS1_25partition_config_selectorILNS1_17partition_subalgoE9EddbEEZZNS1_14partition_implILS5_9ELb0ES3_jN6thrust23THRUST_200600_302600_NS6detail15normal_iteratorINS9_10device_ptrIdEEEESE_PNS0_10empty_typeENS0_5tupleIJSE_SF_EEENSH_IJSE_SG_EEENS0_18inequality_wrapperINS9_8equal_toIdEEEEPmJSF_EEE10hipError_tPvRmT3_T4_T5_T6_T7_T9_mT8_P12ihipStream_tbDpT10_ENKUlT_T0_E_clISt17integral_constantIbLb0EES17_IbLb1EEEEDaS13_S14_EUlS13_E_NS1_11comp_targetILNS1_3genE5ELNS1_11target_archE942ELNS1_3gpuE9ELNS1_3repE0EEENS1_30default_config_static_selectorELNS0_4arch9wavefront6targetE0EEEvT1_ ; -- Begin function _ZN7rocprim17ROCPRIM_400000_NS6detail17trampoline_kernelINS0_14default_configENS1_25partition_config_selectorILNS1_17partition_subalgoE9EddbEEZZNS1_14partition_implILS5_9ELb0ES3_jN6thrust23THRUST_200600_302600_NS6detail15normal_iteratorINS9_10device_ptrIdEEEESE_PNS0_10empty_typeENS0_5tupleIJSE_SF_EEENSH_IJSE_SG_EEENS0_18inequality_wrapperINS9_8equal_toIdEEEEPmJSF_EEE10hipError_tPvRmT3_T4_T5_T6_T7_T9_mT8_P12ihipStream_tbDpT10_ENKUlT_T0_E_clISt17integral_constantIbLb0EES17_IbLb1EEEEDaS13_S14_EUlS13_E_NS1_11comp_targetILNS1_3genE5ELNS1_11target_archE942ELNS1_3gpuE9ELNS1_3repE0EEENS1_30default_config_static_selectorELNS0_4arch9wavefront6targetE0EEEvT1_
	.globl	_ZN7rocprim17ROCPRIM_400000_NS6detail17trampoline_kernelINS0_14default_configENS1_25partition_config_selectorILNS1_17partition_subalgoE9EddbEEZZNS1_14partition_implILS5_9ELb0ES3_jN6thrust23THRUST_200600_302600_NS6detail15normal_iteratorINS9_10device_ptrIdEEEESE_PNS0_10empty_typeENS0_5tupleIJSE_SF_EEENSH_IJSE_SG_EEENS0_18inequality_wrapperINS9_8equal_toIdEEEEPmJSF_EEE10hipError_tPvRmT3_T4_T5_T6_T7_T9_mT8_P12ihipStream_tbDpT10_ENKUlT_T0_E_clISt17integral_constantIbLb0EES17_IbLb1EEEEDaS13_S14_EUlS13_E_NS1_11comp_targetILNS1_3genE5ELNS1_11target_archE942ELNS1_3gpuE9ELNS1_3repE0EEENS1_30default_config_static_selectorELNS0_4arch9wavefront6targetE0EEEvT1_
	.p2align	8
	.type	_ZN7rocprim17ROCPRIM_400000_NS6detail17trampoline_kernelINS0_14default_configENS1_25partition_config_selectorILNS1_17partition_subalgoE9EddbEEZZNS1_14partition_implILS5_9ELb0ES3_jN6thrust23THRUST_200600_302600_NS6detail15normal_iteratorINS9_10device_ptrIdEEEESE_PNS0_10empty_typeENS0_5tupleIJSE_SF_EEENSH_IJSE_SG_EEENS0_18inequality_wrapperINS9_8equal_toIdEEEEPmJSF_EEE10hipError_tPvRmT3_T4_T5_T6_T7_T9_mT8_P12ihipStream_tbDpT10_ENKUlT_T0_E_clISt17integral_constantIbLb0EES17_IbLb1EEEEDaS13_S14_EUlS13_E_NS1_11comp_targetILNS1_3genE5ELNS1_11target_archE942ELNS1_3gpuE9ELNS1_3repE0EEENS1_30default_config_static_selectorELNS0_4arch9wavefront6targetE0EEEvT1_,@function
_ZN7rocprim17ROCPRIM_400000_NS6detail17trampoline_kernelINS0_14default_configENS1_25partition_config_selectorILNS1_17partition_subalgoE9EddbEEZZNS1_14partition_implILS5_9ELb0ES3_jN6thrust23THRUST_200600_302600_NS6detail15normal_iteratorINS9_10device_ptrIdEEEESE_PNS0_10empty_typeENS0_5tupleIJSE_SF_EEENSH_IJSE_SG_EEENS0_18inequality_wrapperINS9_8equal_toIdEEEEPmJSF_EEE10hipError_tPvRmT3_T4_T5_T6_T7_T9_mT8_P12ihipStream_tbDpT10_ENKUlT_T0_E_clISt17integral_constantIbLb0EES17_IbLb1EEEEDaS13_S14_EUlS13_E_NS1_11comp_targetILNS1_3genE5ELNS1_11target_archE942ELNS1_3gpuE9ELNS1_3repE0EEENS1_30default_config_static_selectorELNS0_4arch9wavefront6targetE0EEEvT1_: ; @_ZN7rocprim17ROCPRIM_400000_NS6detail17trampoline_kernelINS0_14default_configENS1_25partition_config_selectorILNS1_17partition_subalgoE9EddbEEZZNS1_14partition_implILS5_9ELb0ES3_jN6thrust23THRUST_200600_302600_NS6detail15normal_iteratorINS9_10device_ptrIdEEEESE_PNS0_10empty_typeENS0_5tupleIJSE_SF_EEENSH_IJSE_SG_EEENS0_18inequality_wrapperINS9_8equal_toIdEEEEPmJSF_EEE10hipError_tPvRmT3_T4_T5_T6_T7_T9_mT8_P12ihipStream_tbDpT10_ENKUlT_T0_E_clISt17integral_constantIbLb0EES17_IbLb1EEEEDaS13_S14_EUlS13_E_NS1_11comp_targetILNS1_3genE5ELNS1_11target_archE942ELNS1_3gpuE9ELNS1_3repE0EEENS1_30default_config_static_selectorELNS0_4arch9wavefront6targetE0EEEvT1_
; %bb.0:
	.section	.rodata,"a",@progbits
	.p2align	6, 0x0
	.amdhsa_kernel _ZN7rocprim17ROCPRIM_400000_NS6detail17trampoline_kernelINS0_14default_configENS1_25partition_config_selectorILNS1_17partition_subalgoE9EddbEEZZNS1_14partition_implILS5_9ELb0ES3_jN6thrust23THRUST_200600_302600_NS6detail15normal_iteratorINS9_10device_ptrIdEEEESE_PNS0_10empty_typeENS0_5tupleIJSE_SF_EEENSH_IJSE_SG_EEENS0_18inequality_wrapperINS9_8equal_toIdEEEEPmJSF_EEE10hipError_tPvRmT3_T4_T5_T6_T7_T9_mT8_P12ihipStream_tbDpT10_ENKUlT_T0_E_clISt17integral_constantIbLb0EES17_IbLb1EEEEDaS13_S14_EUlS13_E_NS1_11comp_targetILNS1_3genE5ELNS1_11target_archE942ELNS1_3gpuE9ELNS1_3repE0EEENS1_30default_config_static_selectorELNS0_4arch9wavefront6targetE0EEEvT1_
		.amdhsa_group_segment_fixed_size 0
		.amdhsa_private_segment_fixed_size 0
		.amdhsa_kernarg_size 128
		.amdhsa_user_sgpr_count 15
		.amdhsa_user_sgpr_dispatch_ptr 0
		.amdhsa_user_sgpr_queue_ptr 0
		.amdhsa_user_sgpr_kernarg_segment_ptr 1
		.amdhsa_user_sgpr_dispatch_id 0
		.amdhsa_user_sgpr_private_segment_size 0
		.amdhsa_wavefront_size32 1
		.amdhsa_uses_dynamic_stack 0
		.amdhsa_enable_private_segment 0
		.amdhsa_system_sgpr_workgroup_id_x 1
		.amdhsa_system_sgpr_workgroup_id_y 0
		.amdhsa_system_sgpr_workgroup_id_z 0
		.amdhsa_system_sgpr_workgroup_info 0
		.amdhsa_system_vgpr_workitem_id 0
		.amdhsa_next_free_vgpr 1
		.amdhsa_next_free_sgpr 1
		.amdhsa_reserve_vcc 0
		.amdhsa_float_round_mode_32 0
		.amdhsa_float_round_mode_16_64 0
		.amdhsa_float_denorm_mode_32 3
		.amdhsa_float_denorm_mode_16_64 3
		.amdhsa_dx10_clamp 1
		.amdhsa_ieee_mode 1
		.amdhsa_fp16_overflow 0
		.amdhsa_workgroup_processor_mode 1
		.amdhsa_memory_ordered 1
		.amdhsa_forward_progress 0
		.amdhsa_shared_vgpr_count 0
		.amdhsa_exception_fp_ieee_invalid_op 0
		.amdhsa_exception_fp_denorm_src 0
		.amdhsa_exception_fp_ieee_div_zero 0
		.amdhsa_exception_fp_ieee_overflow 0
		.amdhsa_exception_fp_ieee_underflow 0
		.amdhsa_exception_fp_ieee_inexact 0
		.amdhsa_exception_int_div_zero 0
	.end_amdhsa_kernel
	.section	.text._ZN7rocprim17ROCPRIM_400000_NS6detail17trampoline_kernelINS0_14default_configENS1_25partition_config_selectorILNS1_17partition_subalgoE9EddbEEZZNS1_14partition_implILS5_9ELb0ES3_jN6thrust23THRUST_200600_302600_NS6detail15normal_iteratorINS9_10device_ptrIdEEEESE_PNS0_10empty_typeENS0_5tupleIJSE_SF_EEENSH_IJSE_SG_EEENS0_18inequality_wrapperINS9_8equal_toIdEEEEPmJSF_EEE10hipError_tPvRmT3_T4_T5_T6_T7_T9_mT8_P12ihipStream_tbDpT10_ENKUlT_T0_E_clISt17integral_constantIbLb0EES17_IbLb1EEEEDaS13_S14_EUlS13_E_NS1_11comp_targetILNS1_3genE5ELNS1_11target_archE942ELNS1_3gpuE9ELNS1_3repE0EEENS1_30default_config_static_selectorELNS0_4arch9wavefront6targetE0EEEvT1_,"axG",@progbits,_ZN7rocprim17ROCPRIM_400000_NS6detail17trampoline_kernelINS0_14default_configENS1_25partition_config_selectorILNS1_17partition_subalgoE9EddbEEZZNS1_14partition_implILS5_9ELb0ES3_jN6thrust23THRUST_200600_302600_NS6detail15normal_iteratorINS9_10device_ptrIdEEEESE_PNS0_10empty_typeENS0_5tupleIJSE_SF_EEENSH_IJSE_SG_EEENS0_18inequality_wrapperINS9_8equal_toIdEEEEPmJSF_EEE10hipError_tPvRmT3_T4_T5_T6_T7_T9_mT8_P12ihipStream_tbDpT10_ENKUlT_T0_E_clISt17integral_constantIbLb0EES17_IbLb1EEEEDaS13_S14_EUlS13_E_NS1_11comp_targetILNS1_3genE5ELNS1_11target_archE942ELNS1_3gpuE9ELNS1_3repE0EEENS1_30default_config_static_selectorELNS0_4arch9wavefront6targetE0EEEvT1_,comdat
.Lfunc_end40:
	.size	_ZN7rocprim17ROCPRIM_400000_NS6detail17trampoline_kernelINS0_14default_configENS1_25partition_config_selectorILNS1_17partition_subalgoE9EddbEEZZNS1_14partition_implILS5_9ELb0ES3_jN6thrust23THRUST_200600_302600_NS6detail15normal_iteratorINS9_10device_ptrIdEEEESE_PNS0_10empty_typeENS0_5tupleIJSE_SF_EEENSH_IJSE_SG_EEENS0_18inequality_wrapperINS9_8equal_toIdEEEEPmJSF_EEE10hipError_tPvRmT3_T4_T5_T6_T7_T9_mT8_P12ihipStream_tbDpT10_ENKUlT_T0_E_clISt17integral_constantIbLb0EES17_IbLb1EEEEDaS13_S14_EUlS13_E_NS1_11comp_targetILNS1_3genE5ELNS1_11target_archE942ELNS1_3gpuE9ELNS1_3repE0EEENS1_30default_config_static_selectorELNS0_4arch9wavefront6targetE0EEEvT1_, .Lfunc_end40-_ZN7rocprim17ROCPRIM_400000_NS6detail17trampoline_kernelINS0_14default_configENS1_25partition_config_selectorILNS1_17partition_subalgoE9EddbEEZZNS1_14partition_implILS5_9ELb0ES3_jN6thrust23THRUST_200600_302600_NS6detail15normal_iteratorINS9_10device_ptrIdEEEESE_PNS0_10empty_typeENS0_5tupleIJSE_SF_EEENSH_IJSE_SG_EEENS0_18inequality_wrapperINS9_8equal_toIdEEEEPmJSF_EEE10hipError_tPvRmT3_T4_T5_T6_T7_T9_mT8_P12ihipStream_tbDpT10_ENKUlT_T0_E_clISt17integral_constantIbLb0EES17_IbLb1EEEEDaS13_S14_EUlS13_E_NS1_11comp_targetILNS1_3genE5ELNS1_11target_archE942ELNS1_3gpuE9ELNS1_3repE0EEENS1_30default_config_static_selectorELNS0_4arch9wavefront6targetE0EEEvT1_
                                        ; -- End function
	.section	.AMDGPU.csdata,"",@progbits
; Kernel info:
; codeLenInByte = 0
; NumSgprs: 0
; NumVgprs: 0
; ScratchSize: 0
; MemoryBound: 0
; FloatMode: 240
; IeeeMode: 1
; LDSByteSize: 0 bytes/workgroup (compile time only)
; SGPRBlocks: 0
; VGPRBlocks: 0
; NumSGPRsForWavesPerEU: 1
; NumVGPRsForWavesPerEU: 1
; Occupancy: 16
; WaveLimiterHint : 0
; COMPUTE_PGM_RSRC2:SCRATCH_EN: 0
; COMPUTE_PGM_RSRC2:USER_SGPR: 15
; COMPUTE_PGM_RSRC2:TRAP_HANDLER: 0
; COMPUTE_PGM_RSRC2:TGID_X_EN: 1
; COMPUTE_PGM_RSRC2:TGID_Y_EN: 0
; COMPUTE_PGM_RSRC2:TGID_Z_EN: 0
; COMPUTE_PGM_RSRC2:TIDIG_COMP_CNT: 0
	.section	.text._ZN7rocprim17ROCPRIM_400000_NS6detail17trampoline_kernelINS0_14default_configENS1_25partition_config_selectorILNS1_17partition_subalgoE9EddbEEZZNS1_14partition_implILS5_9ELb0ES3_jN6thrust23THRUST_200600_302600_NS6detail15normal_iteratorINS9_10device_ptrIdEEEESE_PNS0_10empty_typeENS0_5tupleIJSE_SF_EEENSH_IJSE_SG_EEENS0_18inequality_wrapperINS9_8equal_toIdEEEEPmJSF_EEE10hipError_tPvRmT3_T4_T5_T6_T7_T9_mT8_P12ihipStream_tbDpT10_ENKUlT_T0_E_clISt17integral_constantIbLb0EES17_IbLb1EEEEDaS13_S14_EUlS13_E_NS1_11comp_targetILNS1_3genE4ELNS1_11target_archE910ELNS1_3gpuE8ELNS1_3repE0EEENS1_30default_config_static_selectorELNS0_4arch9wavefront6targetE0EEEvT1_,"axG",@progbits,_ZN7rocprim17ROCPRIM_400000_NS6detail17trampoline_kernelINS0_14default_configENS1_25partition_config_selectorILNS1_17partition_subalgoE9EddbEEZZNS1_14partition_implILS5_9ELb0ES3_jN6thrust23THRUST_200600_302600_NS6detail15normal_iteratorINS9_10device_ptrIdEEEESE_PNS0_10empty_typeENS0_5tupleIJSE_SF_EEENSH_IJSE_SG_EEENS0_18inequality_wrapperINS9_8equal_toIdEEEEPmJSF_EEE10hipError_tPvRmT3_T4_T5_T6_T7_T9_mT8_P12ihipStream_tbDpT10_ENKUlT_T0_E_clISt17integral_constantIbLb0EES17_IbLb1EEEEDaS13_S14_EUlS13_E_NS1_11comp_targetILNS1_3genE4ELNS1_11target_archE910ELNS1_3gpuE8ELNS1_3repE0EEENS1_30default_config_static_selectorELNS0_4arch9wavefront6targetE0EEEvT1_,comdat
	.protected	_ZN7rocprim17ROCPRIM_400000_NS6detail17trampoline_kernelINS0_14default_configENS1_25partition_config_selectorILNS1_17partition_subalgoE9EddbEEZZNS1_14partition_implILS5_9ELb0ES3_jN6thrust23THRUST_200600_302600_NS6detail15normal_iteratorINS9_10device_ptrIdEEEESE_PNS0_10empty_typeENS0_5tupleIJSE_SF_EEENSH_IJSE_SG_EEENS0_18inequality_wrapperINS9_8equal_toIdEEEEPmJSF_EEE10hipError_tPvRmT3_T4_T5_T6_T7_T9_mT8_P12ihipStream_tbDpT10_ENKUlT_T0_E_clISt17integral_constantIbLb0EES17_IbLb1EEEEDaS13_S14_EUlS13_E_NS1_11comp_targetILNS1_3genE4ELNS1_11target_archE910ELNS1_3gpuE8ELNS1_3repE0EEENS1_30default_config_static_selectorELNS0_4arch9wavefront6targetE0EEEvT1_ ; -- Begin function _ZN7rocprim17ROCPRIM_400000_NS6detail17trampoline_kernelINS0_14default_configENS1_25partition_config_selectorILNS1_17partition_subalgoE9EddbEEZZNS1_14partition_implILS5_9ELb0ES3_jN6thrust23THRUST_200600_302600_NS6detail15normal_iteratorINS9_10device_ptrIdEEEESE_PNS0_10empty_typeENS0_5tupleIJSE_SF_EEENSH_IJSE_SG_EEENS0_18inequality_wrapperINS9_8equal_toIdEEEEPmJSF_EEE10hipError_tPvRmT3_T4_T5_T6_T7_T9_mT8_P12ihipStream_tbDpT10_ENKUlT_T0_E_clISt17integral_constantIbLb0EES17_IbLb1EEEEDaS13_S14_EUlS13_E_NS1_11comp_targetILNS1_3genE4ELNS1_11target_archE910ELNS1_3gpuE8ELNS1_3repE0EEENS1_30default_config_static_selectorELNS0_4arch9wavefront6targetE0EEEvT1_
	.globl	_ZN7rocprim17ROCPRIM_400000_NS6detail17trampoline_kernelINS0_14default_configENS1_25partition_config_selectorILNS1_17partition_subalgoE9EddbEEZZNS1_14partition_implILS5_9ELb0ES3_jN6thrust23THRUST_200600_302600_NS6detail15normal_iteratorINS9_10device_ptrIdEEEESE_PNS0_10empty_typeENS0_5tupleIJSE_SF_EEENSH_IJSE_SG_EEENS0_18inequality_wrapperINS9_8equal_toIdEEEEPmJSF_EEE10hipError_tPvRmT3_T4_T5_T6_T7_T9_mT8_P12ihipStream_tbDpT10_ENKUlT_T0_E_clISt17integral_constantIbLb0EES17_IbLb1EEEEDaS13_S14_EUlS13_E_NS1_11comp_targetILNS1_3genE4ELNS1_11target_archE910ELNS1_3gpuE8ELNS1_3repE0EEENS1_30default_config_static_selectorELNS0_4arch9wavefront6targetE0EEEvT1_
	.p2align	8
	.type	_ZN7rocprim17ROCPRIM_400000_NS6detail17trampoline_kernelINS0_14default_configENS1_25partition_config_selectorILNS1_17partition_subalgoE9EddbEEZZNS1_14partition_implILS5_9ELb0ES3_jN6thrust23THRUST_200600_302600_NS6detail15normal_iteratorINS9_10device_ptrIdEEEESE_PNS0_10empty_typeENS0_5tupleIJSE_SF_EEENSH_IJSE_SG_EEENS0_18inequality_wrapperINS9_8equal_toIdEEEEPmJSF_EEE10hipError_tPvRmT3_T4_T5_T6_T7_T9_mT8_P12ihipStream_tbDpT10_ENKUlT_T0_E_clISt17integral_constantIbLb0EES17_IbLb1EEEEDaS13_S14_EUlS13_E_NS1_11comp_targetILNS1_3genE4ELNS1_11target_archE910ELNS1_3gpuE8ELNS1_3repE0EEENS1_30default_config_static_selectorELNS0_4arch9wavefront6targetE0EEEvT1_,@function
_ZN7rocprim17ROCPRIM_400000_NS6detail17trampoline_kernelINS0_14default_configENS1_25partition_config_selectorILNS1_17partition_subalgoE9EddbEEZZNS1_14partition_implILS5_9ELb0ES3_jN6thrust23THRUST_200600_302600_NS6detail15normal_iteratorINS9_10device_ptrIdEEEESE_PNS0_10empty_typeENS0_5tupleIJSE_SF_EEENSH_IJSE_SG_EEENS0_18inequality_wrapperINS9_8equal_toIdEEEEPmJSF_EEE10hipError_tPvRmT3_T4_T5_T6_T7_T9_mT8_P12ihipStream_tbDpT10_ENKUlT_T0_E_clISt17integral_constantIbLb0EES17_IbLb1EEEEDaS13_S14_EUlS13_E_NS1_11comp_targetILNS1_3genE4ELNS1_11target_archE910ELNS1_3gpuE8ELNS1_3repE0EEENS1_30default_config_static_selectorELNS0_4arch9wavefront6targetE0EEEvT1_: ; @_ZN7rocprim17ROCPRIM_400000_NS6detail17trampoline_kernelINS0_14default_configENS1_25partition_config_selectorILNS1_17partition_subalgoE9EddbEEZZNS1_14partition_implILS5_9ELb0ES3_jN6thrust23THRUST_200600_302600_NS6detail15normal_iteratorINS9_10device_ptrIdEEEESE_PNS0_10empty_typeENS0_5tupleIJSE_SF_EEENSH_IJSE_SG_EEENS0_18inequality_wrapperINS9_8equal_toIdEEEEPmJSF_EEE10hipError_tPvRmT3_T4_T5_T6_T7_T9_mT8_P12ihipStream_tbDpT10_ENKUlT_T0_E_clISt17integral_constantIbLb0EES17_IbLb1EEEEDaS13_S14_EUlS13_E_NS1_11comp_targetILNS1_3genE4ELNS1_11target_archE910ELNS1_3gpuE8ELNS1_3repE0EEENS1_30default_config_static_selectorELNS0_4arch9wavefront6targetE0EEEvT1_
; %bb.0:
	.section	.rodata,"a",@progbits
	.p2align	6, 0x0
	.amdhsa_kernel _ZN7rocprim17ROCPRIM_400000_NS6detail17trampoline_kernelINS0_14default_configENS1_25partition_config_selectorILNS1_17partition_subalgoE9EddbEEZZNS1_14partition_implILS5_9ELb0ES3_jN6thrust23THRUST_200600_302600_NS6detail15normal_iteratorINS9_10device_ptrIdEEEESE_PNS0_10empty_typeENS0_5tupleIJSE_SF_EEENSH_IJSE_SG_EEENS0_18inequality_wrapperINS9_8equal_toIdEEEEPmJSF_EEE10hipError_tPvRmT3_T4_T5_T6_T7_T9_mT8_P12ihipStream_tbDpT10_ENKUlT_T0_E_clISt17integral_constantIbLb0EES17_IbLb1EEEEDaS13_S14_EUlS13_E_NS1_11comp_targetILNS1_3genE4ELNS1_11target_archE910ELNS1_3gpuE8ELNS1_3repE0EEENS1_30default_config_static_selectorELNS0_4arch9wavefront6targetE0EEEvT1_
		.amdhsa_group_segment_fixed_size 0
		.amdhsa_private_segment_fixed_size 0
		.amdhsa_kernarg_size 128
		.amdhsa_user_sgpr_count 15
		.amdhsa_user_sgpr_dispatch_ptr 0
		.amdhsa_user_sgpr_queue_ptr 0
		.amdhsa_user_sgpr_kernarg_segment_ptr 1
		.amdhsa_user_sgpr_dispatch_id 0
		.amdhsa_user_sgpr_private_segment_size 0
		.amdhsa_wavefront_size32 1
		.amdhsa_uses_dynamic_stack 0
		.amdhsa_enable_private_segment 0
		.amdhsa_system_sgpr_workgroup_id_x 1
		.amdhsa_system_sgpr_workgroup_id_y 0
		.amdhsa_system_sgpr_workgroup_id_z 0
		.amdhsa_system_sgpr_workgroup_info 0
		.amdhsa_system_vgpr_workitem_id 0
		.amdhsa_next_free_vgpr 1
		.amdhsa_next_free_sgpr 1
		.amdhsa_reserve_vcc 0
		.amdhsa_float_round_mode_32 0
		.amdhsa_float_round_mode_16_64 0
		.amdhsa_float_denorm_mode_32 3
		.amdhsa_float_denorm_mode_16_64 3
		.amdhsa_dx10_clamp 1
		.amdhsa_ieee_mode 1
		.amdhsa_fp16_overflow 0
		.amdhsa_workgroup_processor_mode 1
		.amdhsa_memory_ordered 1
		.amdhsa_forward_progress 0
		.amdhsa_shared_vgpr_count 0
		.amdhsa_exception_fp_ieee_invalid_op 0
		.amdhsa_exception_fp_denorm_src 0
		.amdhsa_exception_fp_ieee_div_zero 0
		.amdhsa_exception_fp_ieee_overflow 0
		.amdhsa_exception_fp_ieee_underflow 0
		.amdhsa_exception_fp_ieee_inexact 0
		.amdhsa_exception_int_div_zero 0
	.end_amdhsa_kernel
	.section	.text._ZN7rocprim17ROCPRIM_400000_NS6detail17trampoline_kernelINS0_14default_configENS1_25partition_config_selectorILNS1_17partition_subalgoE9EddbEEZZNS1_14partition_implILS5_9ELb0ES3_jN6thrust23THRUST_200600_302600_NS6detail15normal_iteratorINS9_10device_ptrIdEEEESE_PNS0_10empty_typeENS0_5tupleIJSE_SF_EEENSH_IJSE_SG_EEENS0_18inequality_wrapperINS9_8equal_toIdEEEEPmJSF_EEE10hipError_tPvRmT3_T4_T5_T6_T7_T9_mT8_P12ihipStream_tbDpT10_ENKUlT_T0_E_clISt17integral_constantIbLb0EES17_IbLb1EEEEDaS13_S14_EUlS13_E_NS1_11comp_targetILNS1_3genE4ELNS1_11target_archE910ELNS1_3gpuE8ELNS1_3repE0EEENS1_30default_config_static_selectorELNS0_4arch9wavefront6targetE0EEEvT1_,"axG",@progbits,_ZN7rocprim17ROCPRIM_400000_NS6detail17trampoline_kernelINS0_14default_configENS1_25partition_config_selectorILNS1_17partition_subalgoE9EddbEEZZNS1_14partition_implILS5_9ELb0ES3_jN6thrust23THRUST_200600_302600_NS6detail15normal_iteratorINS9_10device_ptrIdEEEESE_PNS0_10empty_typeENS0_5tupleIJSE_SF_EEENSH_IJSE_SG_EEENS0_18inequality_wrapperINS9_8equal_toIdEEEEPmJSF_EEE10hipError_tPvRmT3_T4_T5_T6_T7_T9_mT8_P12ihipStream_tbDpT10_ENKUlT_T0_E_clISt17integral_constantIbLb0EES17_IbLb1EEEEDaS13_S14_EUlS13_E_NS1_11comp_targetILNS1_3genE4ELNS1_11target_archE910ELNS1_3gpuE8ELNS1_3repE0EEENS1_30default_config_static_selectorELNS0_4arch9wavefront6targetE0EEEvT1_,comdat
.Lfunc_end41:
	.size	_ZN7rocprim17ROCPRIM_400000_NS6detail17trampoline_kernelINS0_14default_configENS1_25partition_config_selectorILNS1_17partition_subalgoE9EddbEEZZNS1_14partition_implILS5_9ELb0ES3_jN6thrust23THRUST_200600_302600_NS6detail15normal_iteratorINS9_10device_ptrIdEEEESE_PNS0_10empty_typeENS0_5tupleIJSE_SF_EEENSH_IJSE_SG_EEENS0_18inequality_wrapperINS9_8equal_toIdEEEEPmJSF_EEE10hipError_tPvRmT3_T4_T5_T6_T7_T9_mT8_P12ihipStream_tbDpT10_ENKUlT_T0_E_clISt17integral_constantIbLb0EES17_IbLb1EEEEDaS13_S14_EUlS13_E_NS1_11comp_targetILNS1_3genE4ELNS1_11target_archE910ELNS1_3gpuE8ELNS1_3repE0EEENS1_30default_config_static_selectorELNS0_4arch9wavefront6targetE0EEEvT1_, .Lfunc_end41-_ZN7rocprim17ROCPRIM_400000_NS6detail17trampoline_kernelINS0_14default_configENS1_25partition_config_selectorILNS1_17partition_subalgoE9EddbEEZZNS1_14partition_implILS5_9ELb0ES3_jN6thrust23THRUST_200600_302600_NS6detail15normal_iteratorINS9_10device_ptrIdEEEESE_PNS0_10empty_typeENS0_5tupleIJSE_SF_EEENSH_IJSE_SG_EEENS0_18inequality_wrapperINS9_8equal_toIdEEEEPmJSF_EEE10hipError_tPvRmT3_T4_T5_T6_T7_T9_mT8_P12ihipStream_tbDpT10_ENKUlT_T0_E_clISt17integral_constantIbLb0EES17_IbLb1EEEEDaS13_S14_EUlS13_E_NS1_11comp_targetILNS1_3genE4ELNS1_11target_archE910ELNS1_3gpuE8ELNS1_3repE0EEENS1_30default_config_static_selectorELNS0_4arch9wavefront6targetE0EEEvT1_
                                        ; -- End function
	.section	.AMDGPU.csdata,"",@progbits
; Kernel info:
; codeLenInByte = 0
; NumSgprs: 0
; NumVgprs: 0
; ScratchSize: 0
; MemoryBound: 0
; FloatMode: 240
; IeeeMode: 1
; LDSByteSize: 0 bytes/workgroup (compile time only)
; SGPRBlocks: 0
; VGPRBlocks: 0
; NumSGPRsForWavesPerEU: 1
; NumVGPRsForWavesPerEU: 1
; Occupancy: 16
; WaveLimiterHint : 0
; COMPUTE_PGM_RSRC2:SCRATCH_EN: 0
; COMPUTE_PGM_RSRC2:USER_SGPR: 15
; COMPUTE_PGM_RSRC2:TRAP_HANDLER: 0
; COMPUTE_PGM_RSRC2:TGID_X_EN: 1
; COMPUTE_PGM_RSRC2:TGID_Y_EN: 0
; COMPUTE_PGM_RSRC2:TGID_Z_EN: 0
; COMPUTE_PGM_RSRC2:TIDIG_COMP_CNT: 0
	.section	.text._ZN7rocprim17ROCPRIM_400000_NS6detail17trampoline_kernelINS0_14default_configENS1_25partition_config_selectorILNS1_17partition_subalgoE9EddbEEZZNS1_14partition_implILS5_9ELb0ES3_jN6thrust23THRUST_200600_302600_NS6detail15normal_iteratorINS9_10device_ptrIdEEEESE_PNS0_10empty_typeENS0_5tupleIJSE_SF_EEENSH_IJSE_SG_EEENS0_18inequality_wrapperINS9_8equal_toIdEEEEPmJSF_EEE10hipError_tPvRmT3_T4_T5_T6_T7_T9_mT8_P12ihipStream_tbDpT10_ENKUlT_T0_E_clISt17integral_constantIbLb0EES17_IbLb1EEEEDaS13_S14_EUlS13_E_NS1_11comp_targetILNS1_3genE3ELNS1_11target_archE908ELNS1_3gpuE7ELNS1_3repE0EEENS1_30default_config_static_selectorELNS0_4arch9wavefront6targetE0EEEvT1_,"axG",@progbits,_ZN7rocprim17ROCPRIM_400000_NS6detail17trampoline_kernelINS0_14default_configENS1_25partition_config_selectorILNS1_17partition_subalgoE9EddbEEZZNS1_14partition_implILS5_9ELb0ES3_jN6thrust23THRUST_200600_302600_NS6detail15normal_iteratorINS9_10device_ptrIdEEEESE_PNS0_10empty_typeENS0_5tupleIJSE_SF_EEENSH_IJSE_SG_EEENS0_18inequality_wrapperINS9_8equal_toIdEEEEPmJSF_EEE10hipError_tPvRmT3_T4_T5_T6_T7_T9_mT8_P12ihipStream_tbDpT10_ENKUlT_T0_E_clISt17integral_constantIbLb0EES17_IbLb1EEEEDaS13_S14_EUlS13_E_NS1_11comp_targetILNS1_3genE3ELNS1_11target_archE908ELNS1_3gpuE7ELNS1_3repE0EEENS1_30default_config_static_selectorELNS0_4arch9wavefront6targetE0EEEvT1_,comdat
	.protected	_ZN7rocprim17ROCPRIM_400000_NS6detail17trampoline_kernelINS0_14default_configENS1_25partition_config_selectorILNS1_17partition_subalgoE9EddbEEZZNS1_14partition_implILS5_9ELb0ES3_jN6thrust23THRUST_200600_302600_NS6detail15normal_iteratorINS9_10device_ptrIdEEEESE_PNS0_10empty_typeENS0_5tupleIJSE_SF_EEENSH_IJSE_SG_EEENS0_18inequality_wrapperINS9_8equal_toIdEEEEPmJSF_EEE10hipError_tPvRmT3_T4_T5_T6_T7_T9_mT8_P12ihipStream_tbDpT10_ENKUlT_T0_E_clISt17integral_constantIbLb0EES17_IbLb1EEEEDaS13_S14_EUlS13_E_NS1_11comp_targetILNS1_3genE3ELNS1_11target_archE908ELNS1_3gpuE7ELNS1_3repE0EEENS1_30default_config_static_selectorELNS0_4arch9wavefront6targetE0EEEvT1_ ; -- Begin function _ZN7rocprim17ROCPRIM_400000_NS6detail17trampoline_kernelINS0_14default_configENS1_25partition_config_selectorILNS1_17partition_subalgoE9EddbEEZZNS1_14partition_implILS5_9ELb0ES3_jN6thrust23THRUST_200600_302600_NS6detail15normal_iteratorINS9_10device_ptrIdEEEESE_PNS0_10empty_typeENS0_5tupleIJSE_SF_EEENSH_IJSE_SG_EEENS0_18inequality_wrapperINS9_8equal_toIdEEEEPmJSF_EEE10hipError_tPvRmT3_T4_T5_T6_T7_T9_mT8_P12ihipStream_tbDpT10_ENKUlT_T0_E_clISt17integral_constantIbLb0EES17_IbLb1EEEEDaS13_S14_EUlS13_E_NS1_11comp_targetILNS1_3genE3ELNS1_11target_archE908ELNS1_3gpuE7ELNS1_3repE0EEENS1_30default_config_static_selectorELNS0_4arch9wavefront6targetE0EEEvT1_
	.globl	_ZN7rocprim17ROCPRIM_400000_NS6detail17trampoline_kernelINS0_14default_configENS1_25partition_config_selectorILNS1_17partition_subalgoE9EddbEEZZNS1_14partition_implILS5_9ELb0ES3_jN6thrust23THRUST_200600_302600_NS6detail15normal_iteratorINS9_10device_ptrIdEEEESE_PNS0_10empty_typeENS0_5tupleIJSE_SF_EEENSH_IJSE_SG_EEENS0_18inequality_wrapperINS9_8equal_toIdEEEEPmJSF_EEE10hipError_tPvRmT3_T4_T5_T6_T7_T9_mT8_P12ihipStream_tbDpT10_ENKUlT_T0_E_clISt17integral_constantIbLb0EES17_IbLb1EEEEDaS13_S14_EUlS13_E_NS1_11comp_targetILNS1_3genE3ELNS1_11target_archE908ELNS1_3gpuE7ELNS1_3repE0EEENS1_30default_config_static_selectorELNS0_4arch9wavefront6targetE0EEEvT1_
	.p2align	8
	.type	_ZN7rocprim17ROCPRIM_400000_NS6detail17trampoline_kernelINS0_14default_configENS1_25partition_config_selectorILNS1_17partition_subalgoE9EddbEEZZNS1_14partition_implILS5_9ELb0ES3_jN6thrust23THRUST_200600_302600_NS6detail15normal_iteratorINS9_10device_ptrIdEEEESE_PNS0_10empty_typeENS0_5tupleIJSE_SF_EEENSH_IJSE_SG_EEENS0_18inequality_wrapperINS9_8equal_toIdEEEEPmJSF_EEE10hipError_tPvRmT3_T4_T5_T6_T7_T9_mT8_P12ihipStream_tbDpT10_ENKUlT_T0_E_clISt17integral_constantIbLb0EES17_IbLb1EEEEDaS13_S14_EUlS13_E_NS1_11comp_targetILNS1_3genE3ELNS1_11target_archE908ELNS1_3gpuE7ELNS1_3repE0EEENS1_30default_config_static_selectorELNS0_4arch9wavefront6targetE0EEEvT1_,@function
_ZN7rocprim17ROCPRIM_400000_NS6detail17trampoline_kernelINS0_14default_configENS1_25partition_config_selectorILNS1_17partition_subalgoE9EddbEEZZNS1_14partition_implILS5_9ELb0ES3_jN6thrust23THRUST_200600_302600_NS6detail15normal_iteratorINS9_10device_ptrIdEEEESE_PNS0_10empty_typeENS0_5tupleIJSE_SF_EEENSH_IJSE_SG_EEENS0_18inequality_wrapperINS9_8equal_toIdEEEEPmJSF_EEE10hipError_tPvRmT3_T4_T5_T6_T7_T9_mT8_P12ihipStream_tbDpT10_ENKUlT_T0_E_clISt17integral_constantIbLb0EES17_IbLb1EEEEDaS13_S14_EUlS13_E_NS1_11comp_targetILNS1_3genE3ELNS1_11target_archE908ELNS1_3gpuE7ELNS1_3repE0EEENS1_30default_config_static_selectorELNS0_4arch9wavefront6targetE0EEEvT1_: ; @_ZN7rocprim17ROCPRIM_400000_NS6detail17trampoline_kernelINS0_14default_configENS1_25partition_config_selectorILNS1_17partition_subalgoE9EddbEEZZNS1_14partition_implILS5_9ELb0ES3_jN6thrust23THRUST_200600_302600_NS6detail15normal_iteratorINS9_10device_ptrIdEEEESE_PNS0_10empty_typeENS0_5tupleIJSE_SF_EEENSH_IJSE_SG_EEENS0_18inequality_wrapperINS9_8equal_toIdEEEEPmJSF_EEE10hipError_tPvRmT3_T4_T5_T6_T7_T9_mT8_P12ihipStream_tbDpT10_ENKUlT_T0_E_clISt17integral_constantIbLb0EES17_IbLb1EEEEDaS13_S14_EUlS13_E_NS1_11comp_targetILNS1_3genE3ELNS1_11target_archE908ELNS1_3gpuE7ELNS1_3repE0EEENS1_30default_config_static_selectorELNS0_4arch9wavefront6targetE0EEEvT1_
; %bb.0:
	.section	.rodata,"a",@progbits
	.p2align	6, 0x0
	.amdhsa_kernel _ZN7rocprim17ROCPRIM_400000_NS6detail17trampoline_kernelINS0_14default_configENS1_25partition_config_selectorILNS1_17partition_subalgoE9EddbEEZZNS1_14partition_implILS5_9ELb0ES3_jN6thrust23THRUST_200600_302600_NS6detail15normal_iteratorINS9_10device_ptrIdEEEESE_PNS0_10empty_typeENS0_5tupleIJSE_SF_EEENSH_IJSE_SG_EEENS0_18inequality_wrapperINS9_8equal_toIdEEEEPmJSF_EEE10hipError_tPvRmT3_T4_T5_T6_T7_T9_mT8_P12ihipStream_tbDpT10_ENKUlT_T0_E_clISt17integral_constantIbLb0EES17_IbLb1EEEEDaS13_S14_EUlS13_E_NS1_11comp_targetILNS1_3genE3ELNS1_11target_archE908ELNS1_3gpuE7ELNS1_3repE0EEENS1_30default_config_static_selectorELNS0_4arch9wavefront6targetE0EEEvT1_
		.amdhsa_group_segment_fixed_size 0
		.amdhsa_private_segment_fixed_size 0
		.amdhsa_kernarg_size 128
		.amdhsa_user_sgpr_count 15
		.amdhsa_user_sgpr_dispatch_ptr 0
		.amdhsa_user_sgpr_queue_ptr 0
		.amdhsa_user_sgpr_kernarg_segment_ptr 1
		.amdhsa_user_sgpr_dispatch_id 0
		.amdhsa_user_sgpr_private_segment_size 0
		.amdhsa_wavefront_size32 1
		.amdhsa_uses_dynamic_stack 0
		.amdhsa_enable_private_segment 0
		.amdhsa_system_sgpr_workgroup_id_x 1
		.amdhsa_system_sgpr_workgroup_id_y 0
		.amdhsa_system_sgpr_workgroup_id_z 0
		.amdhsa_system_sgpr_workgroup_info 0
		.amdhsa_system_vgpr_workitem_id 0
		.amdhsa_next_free_vgpr 1
		.amdhsa_next_free_sgpr 1
		.amdhsa_reserve_vcc 0
		.amdhsa_float_round_mode_32 0
		.amdhsa_float_round_mode_16_64 0
		.amdhsa_float_denorm_mode_32 3
		.amdhsa_float_denorm_mode_16_64 3
		.amdhsa_dx10_clamp 1
		.amdhsa_ieee_mode 1
		.amdhsa_fp16_overflow 0
		.amdhsa_workgroup_processor_mode 1
		.amdhsa_memory_ordered 1
		.amdhsa_forward_progress 0
		.amdhsa_shared_vgpr_count 0
		.amdhsa_exception_fp_ieee_invalid_op 0
		.amdhsa_exception_fp_denorm_src 0
		.amdhsa_exception_fp_ieee_div_zero 0
		.amdhsa_exception_fp_ieee_overflow 0
		.amdhsa_exception_fp_ieee_underflow 0
		.amdhsa_exception_fp_ieee_inexact 0
		.amdhsa_exception_int_div_zero 0
	.end_amdhsa_kernel
	.section	.text._ZN7rocprim17ROCPRIM_400000_NS6detail17trampoline_kernelINS0_14default_configENS1_25partition_config_selectorILNS1_17partition_subalgoE9EddbEEZZNS1_14partition_implILS5_9ELb0ES3_jN6thrust23THRUST_200600_302600_NS6detail15normal_iteratorINS9_10device_ptrIdEEEESE_PNS0_10empty_typeENS0_5tupleIJSE_SF_EEENSH_IJSE_SG_EEENS0_18inequality_wrapperINS9_8equal_toIdEEEEPmJSF_EEE10hipError_tPvRmT3_T4_T5_T6_T7_T9_mT8_P12ihipStream_tbDpT10_ENKUlT_T0_E_clISt17integral_constantIbLb0EES17_IbLb1EEEEDaS13_S14_EUlS13_E_NS1_11comp_targetILNS1_3genE3ELNS1_11target_archE908ELNS1_3gpuE7ELNS1_3repE0EEENS1_30default_config_static_selectorELNS0_4arch9wavefront6targetE0EEEvT1_,"axG",@progbits,_ZN7rocprim17ROCPRIM_400000_NS6detail17trampoline_kernelINS0_14default_configENS1_25partition_config_selectorILNS1_17partition_subalgoE9EddbEEZZNS1_14partition_implILS5_9ELb0ES3_jN6thrust23THRUST_200600_302600_NS6detail15normal_iteratorINS9_10device_ptrIdEEEESE_PNS0_10empty_typeENS0_5tupleIJSE_SF_EEENSH_IJSE_SG_EEENS0_18inequality_wrapperINS9_8equal_toIdEEEEPmJSF_EEE10hipError_tPvRmT3_T4_T5_T6_T7_T9_mT8_P12ihipStream_tbDpT10_ENKUlT_T0_E_clISt17integral_constantIbLb0EES17_IbLb1EEEEDaS13_S14_EUlS13_E_NS1_11comp_targetILNS1_3genE3ELNS1_11target_archE908ELNS1_3gpuE7ELNS1_3repE0EEENS1_30default_config_static_selectorELNS0_4arch9wavefront6targetE0EEEvT1_,comdat
.Lfunc_end42:
	.size	_ZN7rocprim17ROCPRIM_400000_NS6detail17trampoline_kernelINS0_14default_configENS1_25partition_config_selectorILNS1_17partition_subalgoE9EddbEEZZNS1_14partition_implILS5_9ELb0ES3_jN6thrust23THRUST_200600_302600_NS6detail15normal_iteratorINS9_10device_ptrIdEEEESE_PNS0_10empty_typeENS0_5tupleIJSE_SF_EEENSH_IJSE_SG_EEENS0_18inequality_wrapperINS9_8equal_toIdEEEEPmJSF_EEE10hipError_tPvRmT3_T4_T5_T6_T7_T9_mT8_P12ihipStream_tbDpT10_ENKUlT_T0_E_clISt17integral_constantIbLb0EES17_IbLb1EEEEDaS13_S14_EUlS13_E_NS1_11comp_targetILNS1_3genE3ELNS1_11target_archE908ELNS1_3gpuE7ELNS1_3repE0EEENS1_30default_config_static_selectorELNS0_4arch9wavefront6targetE0EEEvT1_, .Lfunc_end42-_ZN7rocprim17ROCPRIM_400000_NS6detail17trampoline_kernelINS0_14default_configENS1_25partition_config_selectorILNS1_17partition_subalgoE9EddbEEZZNS1_14partition_implILS5_9ELb0ES3_jN6thrust23THRUST_200600_302600_NS6detail15normal_iteratorINS9_10device_ptrIdEEEESE_PNS0_10empty_typeENS0_5tupleIJSE_SF_EEENSH_IJSE_SG_EEENS0_18inequality_wrapperINS9_8equal_toIdEEEEPmJSF_EEE10hipError_tPvRmT3_T4_T5_T6_T7_T9_mT8_P12ihipStream_tbDpT10_ENKUlT_T0_E_clISt17integral_constantIbLb0EES17_IbLb1EEEEDaS13_S14_EUlS13_E_NS1_11comp_targetILNS1_3genE3ELNS1_11target_archE908ELNS1_3gpuE7ELNS1_3repE0EEENS1_30default_config_static_selectorELNS0_4arch9wavefront6targetE0EEEvT1_
                                        ; -- End function
	.section	.AMDGPU.csdata,"",@progbits
; Kernel info:
; codeLenInByte = 0
; NumSgprs: 0
; NumVgprs: 0
; ScratchSize: 0
; MemoryBound: 0
; FloatMode: 240
; IeeeMode: 1
; LDSByteSize: 0 bytes/workgroup (compile time only)
; SGPRBlocks: 0
; VGPRBlocks: 0
; NumSGPRsForWavesPerEU: 1
; NumVGPRsForWavesPerEU: 1
; Occupancy: 16
; WaveLimiterHint : 0
; COMPUTE_PGM_RSRC2:SCRATCH_EN: 0
; COMPUTE_PGM_RSRC2:USER_SGPR: 15
; COMPUTE_PGM_RSRC2:TRAP_HANDLER: 0
; COMPUTE_PGM_RSRC2:TGID_X_EN: 1
; COMPUTE_PGM_RSRC2:TGID_Y_EN: 0
; COMPUTE_PGM_RSRC2:TGID_Z_EN: 0
; COMPUTE_PGM_RSRC2:TIDIG_COMP_CNT: 0
	.section	.text._ZN7rocprim17ROCPRIM_400000_NS6detail17trampoline_kernelINS0_14default_configENS1_25partition_config_selectorILNS1_17partition_subalgoE9EddbEEZZNS1_14partition_implILS5_9ELb0ES3_jN6thrust23THRUST_200600_302600_NS6detail15normal_iteratorINS9_10device_ptrIdEEEESE_PNS0_10empty_typeENS0_5tupleIJSE_SF_EEENSH_IJSE_SG_EEENS0_18inequality_wrapperINS9_8equal_toIdEEEEPmJSF_EEE10hipError_tPvRmT3_T4_T5_T6_T7_T9_mT8_P12ihipStream_tbDpT10_ENKUlT_T0_E_clISt17integral_constantIbLb0EES17_IbLb1EEEEDaS13_S14_EUlS13_E_NS1_11comp_targetILNS1_3genE2ELNS1_11target_archE906ELNS1_3gpuE6ELNS1_3repE0EEENS1_30default_config_static_selectorELNS0_4arch9wavefront6targetE0EEEvT1_,"axG",@progbits,_ZN7rocprim17ROCPRIM_400000_NS6detail17trampoline_kernelINS0_14default_configENS1_25partition_config_selectorILNS1_17partition_subalgoE9EddbEEZZNS1_14partition_implILS5_9ELb0ES3_jN6thrust23THRUST_200600_302600_NS6detail15normal_iteratorINS9_10device_ptrIdEEEESE_PNS0_10empty_typeENS0_5tupleIJSE_SF_EEENSH_IJSE_SG_EEENS0_18inequality_wrapperINS9_8equal_toIdEEEEPmJSF_EEE10hipError_tPvRmT3_T4_T5_T6_T7_T9_mT8_P12ihipStream_tbDpT10_ENKUlT_T0_E_clISt17integral_constantIbLb0EES17_IbLb1EEEEDaS13_S14_EUlS13_E_NS1_11comp_targetILNS1_3genE2ELNS1_11target_archE906ELNS1_3gpuE6ELNS1_3repE0EEENS1_30default_config_static_selectorELNS0_4arch9wavefront6targetE0EEEvT1_,comdat
	.protected	_ZN7rocprim17ROCPRIM_400000_NS6detail17trampoline_kernelINS0_14default_configENS1_25partition_config_selectorILNS1_17partition_subalgoE9EddbEEZZNS1_14partition_implILS5_9ELb0ES3_jN6thrust23THRUST_200600_302600_NS6detail15normal_iteratorINS9_10device_ptrIdEEEESE_PNS0_10empty_typeENS0_5tupleIJSE_SF_EEENSH_IJSE_SG_EEENS0_18inequality_wrapperINS9_8equal_toIdEEEEPmJSF_EEE10hipError_tPvRmT3_T4_T5_T6_T7_T9_mT8_P12ihipStream_tbDpT10_ENKUlT_T0_E_clISt17integral_constantIbLb0EES17_IbLb1EEEEDaS13_S14_EUlS13_E_NS1_11comp_targetILNS1_3genE2ELNS1_11target_archE906ELNS1_3gpuE6ELNS1_3repE0EEENS1_30default_config_static_selectorELNS0_4arch9wavefront6targetE0EEEvT1_ ; -- Begin function _ZN7rocprim17ROCPRIM_400000_NS6detail17trampoline_kernelINS0_14default_configENS1_25partition_config_selectorILNS1_17partition_subalgoE9EddbEEZZNS1_14partition_implILS5_9ELb0ES3_jN6thrust23THRUST_200600_302600_NS6detail15normal_iteratorINS9_10device_ptrIdEEEESE_PNS0_10empty_typeENS0_5tupleIJSE_SF_EEENSH_IJSE_SG_EEENS0_18inequality_wrapperINS9_8equal_toIdEEEEPmJSF_EEE10hipError_tPvRmT3_T4_T5_T6_T7_T9_mT8_P12ihipStream_tbDpT10_ENKUlT_T0_E_clISt17integral_constantIbLb0EES17_IbLb1EEEEDaS13_S14_EUlS13_E_NS1_11comp_targetILNS1_3genE2ELNS1_11target_archE906ELNS1_3gpuE6ELNS1_3repE0EEENS1_30default_config_static_selectorELNS0_4arch9wavefront6targetE0EEEvT1_
	.globl	_ZN7rocprim17ROCPRIM_400000_NS6detail17trampoline_kernelINS0_14default_configENS1_25partition_config_selectorILNS1_17partition_subalgoE9EddbEEZZNS1_14partition_implILS5_9ELb0ES3_jN6thrust23THRUST_200600_302600_NS6detail15normal_iteratorINS9_10device_ptrIdEEEESE_PNS0_10empty_typeENS0_5tupleIJSE_SF_EEENSH_IJSE_SG_EEENS0_18inequality_wrapperINS9_8equal_toIdEEEEPmJSF_EEE10hipError_tPvRmT3_T4_T5_T6_T7_T9_mT8_P12ihipStream_tbDpT10_ENKUlT_T0_E_clISt17integral_constantIbLb0EES17_IbLb1EEEEDaS13_S14_EUlS13_E_NS1_11comp_targetILNS1_3genE2ELNS1_11target_archE906ELNS1_3gpuE6ELNS1_3repE0EEENS1_30default_config_static_selectorELNS0_4arch9wavefront6targetE0EEEvT1_
	.p2align	8
	.type	_ZN7rocprim17ROCPRIM_400000_NS6detail17trampoline_kernelINS0_14default_configENS1_25partition_config_selectorILNS1_17partition_subalgoE9EddbEEZZNS1_14partition_implILS5_9ELb0ES3_jN6thrust23THRUST_200600_302600_NS6detail15normal_iteratorINS9_10device_ptrIdEEEESE_PNS0_10empty_typeENS0_5tupleIJSE_SF_EEENSH_IJSE_SG_EEENS0_18inequality_wrapperINS9_8equal_toIdEEEEPmJSF_EEE10hipError_tPvRmT3_T4_T5_T6_T7_T9_mT8_P12ihipStream_tbDpT10_ENKUlT_T0_E_clISt17integral_constantIbLb0EES17_IbLb1EEEEDaS13_S14_EUlS13_E_NS1_11comp_targetILNS1_3genE2ELNS1_11target_archE906ELNS1_3gpuE6ELNS1_3repE0EEENS1_30default_config_static_selectorELNS0_4arch9wavefront6targetE0EEEvT1_,@function
_ZN7rocprim17ROCPRIM_400000_NS6detail17trampoline_kernelINS0_14default_configENS1_25partition_config_selectorILNS1_17partition_subalgoE9EddbEEZZNS1_14partition_implILS5_9ELb0ES3_jN6thrust23THRUST_200600_302600_NS6detail15normal_iteratorINS9_10device_ptrIdEEEESE_PNS0_10empty_typeENS0_5tupleIJSE_SF_EEENSH_IJSE_SG_EEENS0_18inequality_wrapperINS9_8equal_toIdEEEEPmJSF_EEE10hipError_tPvRmT3_T4_T5_T6_T7_T9_mT8_P12ihipStream_tbDpT10_ENKUlT_T0_E_clISt17integral_constantIbLb0EES17_IbLb1EEEEDaS13_S14_EUlS13_E_NS1_11comp_targetILNS1_3genE2ELNS1_11target_archE906ELNS1_3gpuE6ELNS1_3repE0EEENS1_30default_config_static_selectorELNS0_4arch9wavefront6targetE0EEEvT1_: ; @_ZN7rocprim17ROCPRIM_400000_NS6detail17trampoline_kernelINS0_14default_configENS1_25partition_config_selectorILNS1_17partition_subalgoE9EddbEEZZNS1_14partition_implILS5_9ELb0ES3_jN6thrust23THRUST_200600_302600_NS6detail15normal_iteratorINS9_10device_ptrIdEEEESE_PNS0_10empty_typeENS0_5tupleIJSE_SF_EEENSH_IJSE_SG_EEENS0_18inequality_wrapperINS9_8equal_toIdEEEEPmJSF_EEE10hipError_tPvRmT3_T4_T5_T6_T7_T9_mT8_P12ihipStream_tbDpT10_ENKUlT_T0_E_clISt17integral_constantIbLb0EES17_IbLb1EEEEDaS13_S14_EUlS13_E_NS1_11comp_targetILNS1_3genE2ELNS1_11target_archE906ELNS1_3gpuE6ELNS1_3repE0EEENS1_30default_config_static_selectorELNS0_4arch9wavefront6targetE0EEEvT1_
; %bb.0:
	.section	.rodata,"a",@progbits
	.p2align	6, 0x0
	.amdhsa_kernel _ZN7rocprim17ROCPRIM_400000_NS6detail17trampoline_kernelINS0_14default_configENS1_25partition_config_selectorILNS1_17partition_subalgoE9EddbEEZZNS1_14partition_implILS5_9ELb0ES3_jN6thrust23THRUST_200600_302600_NS6detail15normal_iteratorINS9_10device_ptrIdEEEESE_PNS0_10empty_typeENS0_5tupleIJSE_SF_EEENSH_IJSE_SG_EEENS0_18inequality_wrapperINS9_8equal_toIdEEEEPmJSF_EEE10hipError_tPvRmT3_T4_T5_T6_T7_T9_mT8_P12ihipStream_tbDpT10_ENKUlT_T0_E_clISt17integral_constantIbLb0EES17_IbLb1EEEEDaS13_S14_EUlS13_E_NS1_11comp_targetILNS1_3genE2ELNS1_11target_archE906ELNS1_3gpuE6ELNS1_3repE0EEENS1_30default_config_static_selectorELNS0_4arch9wavefront6targetE0EEEvT1_
		.amdhsa_group_segment_fixed_size 0
		.amdhsa_private_segment_fixed_size 0
		.amdhsa_kernarg_size 128
		.amdhsa_user_sgpr_count 15
		.amdhsa_user_sgpr_dispatch_ptr 0
		.amdhsa_user_sgpr_queue_ptr 0
		.amdhsa_user_sgpr_kernarg_segment_ptr 1
		.amdhsa_user_sgpr_dispatch_id 0
		.amdhsa_user_sgpr_private_segment_size 0
		.amdhsa_wavefront_size32 1
		.amdhsa_uses_dynamic_stack 0
		.amdhsa_enable_private_segment 0
		.amdhsa_system_sgpr_workgroup_id_x 1
		.amdhsa_system_sgpr_workgroup_id_y 0
		.amdhsa_system_sgpr_workgroup_id_z 0
		.amdhsa_system_sgpr_workgroup_info 0
		.amdhsa_system_vgpr_workitem_id 0
		.amdhsa_next_free_vgpr 1
		.amdhsa_next_free_sgpr 1
		.amdhsa_reserve_vcc 0
		.amdhsa_float_round_mode_32 0
		.amdhsa_float_round_mode_16_64 0
		.amdhsa_float_denorm_mode_32 3
		.amdhsa_float_denorm_mode_16_64 3
		.amdhsa_dx10_clamp 1
		.amdhsa_ieee_mode 1
		.amdhsa_fp16_overflow 0
		.amdhsa_workgroup_processor_mode 1
		.amdhsa_memory_ordered 1
		.amdhsa_forward_progress 0
		.amdhsa_shared_vgpr_count 0
		.amdhsa_exception_fp_ieee_invalid_op 0
		.amdhsa_exception_fp_denorm_src 0
		.amdhsa_exception_fp_ieee_div_zero 0
		.amdhsa_exception_fp_ieee_overflow 0
		.amdhsa_exception_fp_ieee_underflow 0
		.amdhsa_exception_fp_ieee_inexact 0
		.amdhsa_exception_int_div_zero 0
	.end_amdhsa_kernel
	.section	.text._ZN7rocprim17ROCPRIM_400000_NS6detail17trampoline_kernelINS0_14default_configENS1_25partition_config_selectorILNS1_17partition_subalgoE9EddbEEZZNS1_14partition_implILS5_9ELb0ES3_jN6thrust23THRUST_200600_302600_NS6detail15normal_iteratorINS9_10device_ptrIdEEEESE_PNS0_10empty_typeENS0_5tupleIJSE_SF_EEENSH_IJSE_SG_EEENS0_18inequality_wrapperINS9_8equal_toIdEEEEPmJSF_EEE10hipError_tPvRmT3_T4_T5_T6_T7_T9_mT8_P12ihipStream_tbDpT10_ENKUlT_T0_E_clISt17integral_constantIbLb0EES17_IbLb1EEEEDaS13_S14_EUlS13_E_NS1_11comp_targetILNS1_3genE2ELNS1_11target_archE906ELNS1_3gpuE6ELNS1_3repE0EEENS1_30default_config_static_selectorELNS0_4arch9wavefront6targetE0EEEvT1_,"axG",@progbits,_ZN7rocprim17ROCPRIM_400000_NS6detail17trampoline_kernelINS0_14default_configENS1_25partition_config_selectorILNS1_17partition_subalgoE9EddbEEZZNS1_14partition_implILS5_9ELb0ES3_jN6thrust23THRUST_200600_302600_NS6detail15normal_iteratorINS9_10device_ptrIdEEEESE_PNS0_10empty_typeENS0_5tupleIJSE_SF_EEENSH_IJSE_SG_EEENS0_18inequality_wrapperINS9_8equal_toIdEEEEPmJSF_EEE10hipError_tPvRmT3_T4_T5_T6_T7_T9_mT8_P12ihipStream_tbDpT10_ENKUlT_T0_E_clISt17integral_constantIbLb0EES17_IbLb1EEEEDaS13_S14_EUlS13_E_NS1_11comp_targetILNS1_3genE2ELNS1_11target_archE906ELNS1_3gpuE6ELNS1_3repE0EEENS1_30default_config_static_selectorELNS0_4arch9wavefront6targetE0EEEvT1_,comdat
.Lfunc_end43:
	.size	_ZN7rocprim17ROCPRIM_400000_NS6detail17trampoline_kernelINS0_14default_configENS1_25partition_config_selectorILNS1_17partition_subalgoE9EddbEEZZNS1_14partition_implILS5_9ELb0ES3_jN6thrust23THRUST_200600_302600_NS6detail15normal_iteratorINS9_10device_ptrIdEEEESE_PNS0_10empty_typeENS0_5tupleIJSE_SF_EEENSH_IJSE_SG_EEENS0_18inequality_wrapperINS9_8equal_toIdEEEEPmJSF_EEE10hipError_tPvRmT3_T4_T5_T6_T7_T9_mT8_P12ihipStream_tbDpT10_ENKUlT_T0_E_clISt17integral_constantIbLb0EES17_IbLb1EEEEDaS13_S14_EUlS13_E_NS1_11comp_targetILNS1_3genE2ELNS1_11target_archE906ELNS1_3gpuE6ELNS1_3repE0EEENS1_30default_config_static_selectorELNS0_4arch9wavefront6targetE0EEEvT1_, .Lfunc_end43-_ZN7rocprim17ROCPRIM_400000_NS6detail17trampoline_kernelINS0_14default_configENS1_25partition_config_selectorILNS1_17partition_subalgoE9EddbEEZZNS1_14partition_implILS5_9ELb0ES3_jN6thrust23THRUST_200600_302600_NS6detail15normal_iteratorINS9_10device_ptrIdEEEESE_PNS0_10empty_typeENS0_5tupleIJSE_SF_EEENSH_IJSE_SG_EEENS0_18inequality_wrapperINS9_8equal_toIdEEEEPmJSF_EEE10hipError_tPvRmT3_T4_T5_T6_T7_T9_mT8_P12ihipStream_tbDpT10_ENKUlT_T0_E_clISt17integral_constantIbLb0EES17_IbLb1EEEEDaS13_S14_EUlS13_E_NS1_11comp_targetILNS1_3genE2ELNS1_11target_archE906ELNS1_3gpuE6ELNS1_3repE0EEENS1_30default_config_static_selectorELNS0_4arch9wavefront6targetE0EEEvT1_
                                        ; -- End function
	.section	.AMDGPU.csdata,"",@progbits
; Kernel info:
; codeLenInByte = 0
; NumSgprs: 0
; NumVgprs: 0
; ScratchSize: 0
; MemoryBound: 0
; FloatMode: 240
; IeeeMode: 1
; LDSByteSize: 0 bytes/workgroup (compile time only)
; SGPRBlocks: 0
; VGPRBlocks: 0
; NumSGPRsForWavesPerEU: 1
; NumVGPRsForWavesPerEU: 1
; Occupancy: 16
; WaveLimiterHint : 0
; COMPUTE_PGM_RSRC2:SCRATCH_EN: 0
; COMPUTE_PGM_RSRC2:USER_SGPR: 15
; COMPUTE_PGM_RSRC2:TRAP_HANDLER: 0
; COMPUTE_PGM_RSRC2:TGID_X_EN: 1
; COMPUTE_PGM_RSRC2:TGID_Y_EN: 0
; COMPUTE_PGM_RSRC2:TGID_Z_EN: 0
; COMPUTE_PGM_RSRC2:TIDIG_COMP_CNT: 0
	.section	.text._ZN7rocprim17ROCPRIM_400000_NS6detail17trampoline_kernelINS0_14default_configENS1_25partition_config_selectorILNS1_17partition_subalgoE9EddbEEZZNS1_14partition_implILS5_9ELb0ES3_jN6thrust23THRUST_200600_302600_NS6detail15normal_iteratorINS9_10device_ptrIdEEEESE_PNS0_10empty_typeENS0_5tupleIJSE_SF_EEENSH_IJSE_SG_EEENS0_18inequality_wrapperINS9_8equal_toIdEEEEPmJSF_EEE10hipError_tPvRmT3_T4_T5_T6_T7_T9_mT8_P12ihipStream_tbDpT10_ENKUlT_T0_E_clISt17integral_constantIbLb0EES17_IbLb1EEEEDaS13_S14_EUlS13_E_NS1_11comp_targetILNS1_3genE10ELNS1_11target_archE1200ELNS1_3gpuE4ELNS1_3repE0EEENS1_30default_config_static_selectorELNS0_4arch9wavefront6targetE0EEEvT1_,"axG",@progbits,_ZN7rocprim17ROCPRIM_400000_NS6detail17trampoline_kernelINS0_14default_configENS1_25partition_config_selectorILNS1_17partition_subalgoE9EddbEEZZNS1_14partition_implILS5_9ELb0ES3_jN6thrust23THRUST_200600_302600_NS6detail15normal_iteratorINS9_10device_ptrIdEEEESE_PNS0_10empty_typeENS0_5tupleIJSE_SF_EEENSH_IJSE_SG_EEENS0_18inequality_wrapperINS9_8equal_toIdEEEEPmJSF_EEE10hipError_tPvRmT3_T4_T5_T6_T7_T9_mT8_P12ihipStream_tbDpT10_ENKUlT_T0_E_clISt17integral_constantIbLb0EES17_IbLb1EEEEDaS13_S14_EUlS13_E_NS1_11comp_targetILNS1_3genE10ELNS1_11target_archE1200ELNS1_3gpuE4ELNS1_3repE0EEENS1_30default_config_static_selectorELNS0_4arch9wavefront6targetE0EEEvT1_,comdat
	.protected	_ZN7rocprim17ROCPRIM_400000_NS6detail17trampoline_kernelINS0_14default_configENS1_25partition_config_selectorILNS1_17partition_subalgoE9EddbEEZZNS1_14partition_implILS5_9ELb0ES3_jN6thrust23THRUST_200600_302600_NS6detail15normal_iteratorINS9_10device_ptrIdEEEESE_PNS0_10empty_typeENS0_5tupleIJSE_SF_EEENSH_IJSE_SG_EEENS0_18inequality_wrapperINS9_8equal_toIdEEEEPmJSF_EEE10hipError_tPvRmT3_T4_T5_T6_T7_T9_mT8_P12ihipStream_tbDpT10_ENKUlT_T0_E_clISt17integral_constantIbLb0EES17_IbLb1EEEEDaS13_S14_EUlS13_E_NS1_11comp_targetILNS1_3genE10ELNS1_11target_archE1200ELNS1_3gpuE4ELNS1_3repE0EEENS1_30default_config_static_selectorELNS0_4arch9wavefront6targetE0EEEvT1_ ; -- Begin function _ZN7rocprim17ROCPRIM_400000_NS6detail17trampoline_kernelINS0_14default_configENS1_25partition_config_selectorILNS1_17partition_subalgoE9EddbEEZZNS1_14partition_implILS5_9ELb0ES3_jN6thrust23THRUST_200600_302600_NS6detail15normal_iteratorINS9_10device_ptrIdEEEESE_PNS0_10empty_typeENS0_5tupleIJSE_SF_EEENSH_IJSE_SG_EEENS0_18inequality_wrapperINS9_8equal_toIdEEEEPmJSF_EEE10hipError_tPvRmT3_T4_T5_T6_T7_T9_mT8_P12ihipStream_tbDpT10_ENKUlT_T0_E_clISt17integral_constantIbLb0EES17_IbLb1EEEEDaS13_S14_EUlS13_E_NS1_11comp_targetILNS1_3genE10ELNS1_11target_archE1200ELNS1_3gpuE4ELNS1_3repE0EEENS1_30default_config_static_selectorELNS0_4arch9wavefront6targetE0EEEvT1_
	.globl	_ZN7rocprim17ROCPRIM_400000_NS6detail17trampoline_kernelINS0_14default_configENS1_25partition_config_selectorILNS1_17partition_subalgoE9EddbEEZZNS1_14partition_implILS5_9ELb0ES3_jN6thrust23THRUST_200600_302600_NS6detail15normal_iteratorINS9_10device_ptrIdEEEESE_PNS0_10empty_typeENS0_5tupleIJSE_SF_EEENSH_IJSE_SG_EEENS0_18inequality_wrapperINS9_8equal_toIdEEEEPmJSF_EEE10hipError_tPvRmT3_T4_T5_T6_T7_T9_mT8_P12ihipStream_tbDpT10_ENKUlT_T0_E_clISt17integral_constantIbLb0EES17_IbLb1EEEEDaS13_S14_EUlS13_E_NS1_11comp_targetILNS1_3genE10ELNS1_11target_archE1200ELNS1_3gpuE4ELNS1_3repE0EEENS1_30default_config_static_selectorELNS0_4arch9wavefront6targetE0EEEvT1_
	.p2align	8
	.type	_ZN7rocprim17ROCPRIM_400000_NS6detail17trampoline_kernelINS0_14default_configENS1_25partition_config_selectorILNS1_17partition_subalgoE9EddbEEZZNS1_14partition_implILS5_9ELb0ES3_jN6thrust23THRUST_200600_302600_NS6detail15normal_iteratorINS9_10device_ptrIdEEEESE_PNS0_10empty_typeENS0_5tupleIJSE_SF_EEENSH_IJSE_SG_EEENS0_18inequality_wrapperINS9_8equal_toIdEEEEPmJSF_EEE10hipError_tPvRmT3_T4_T5_T6_T7_T9_mT8_P12ihipStream_tbDpT10_ENKUlT_T0_E_clISt17integral_constantIbLb0EES17_IbLb1EEEEDaS13_S14_EUlS13_E_NS1_11comp_targetILNS1_3genE10ELNS1_11target_archE1200ELNS1_3gpuE4ELNS1_3repE0EEENS1_30default_config_static_selectorELNS0_4arch9wavefront6targetE0EEEvT1_,@function
_ZN7rocprim17ROCPRIM_400000_NS6detail17trampoline_kernelINS0_14default_configENS1_25partition_config_selectorILNS1_17partition_subalgoE9EddbEEZZNS1_14partition_implILS5_9ELb0ES3_jN6thrust23THRUST_200600_302600_NS6detail15normal_iteratorINS9_10device_ptrIdEEEESE_PNS0_10empty_typeENS0_5tupleIJSE_SF_EEENSH_IJSE_SG_EEENS0_18inequality_wrapperINS9_8equal_toIdEEEEPmJSF_EEE10hipError_tPvRmT3_T4_T5_T6_T7_T9_mT8_P12ihipStream_tbDpT10_ENKUlT_T0_E_clISt17integral_constantIbLb0EES17_IbLb1EEEEDaS13_S14_EUlS13_E_NS1_11comp_targetILNS1_3genE10ELNS1_11target_archE1200ELNS1_3gpuE4ELNS1_3repE0EEENS1_30default_config_static_selectorELNS0_4arch9wavefront6targetE0EEEvT1_: ; @_ZN7rocprim17ROCPRIM_400000_NS6detail17trampoline_kernelINS0_14default_configENS1_25partition_config_selectorILNS1_17partition_subalgoE9EddbEEZZNS1_14partition_implILS5_9ELb0ES3_jN6thrust23THRUST_200600_302600_NS6detail15normal_iteratorINS9_10device_ptrIdEEEESE_PNS0_10empty_typeENS0_5tupleIJSE_SF_EEENSH_IJSE_SG_EEENS0_18inequality_wrapperINS9_8equal_toIdEEEEPmJSF_EEE10hipError_tPvRmT3_T4_T5_T6_T7_T9_mT8_P12ihipStream_tbDpT10_ENKUlT_T0_E_clISt17integral_constantIbLb0EES17_IbLb1EEEEDaS13_S14_EUlS13_E_NS1_11comp_targetILNS1_3genE10ELNS1_11target_archE1200ELNS1_3gpuE4ELNS1_3repE0EEENS1_30default_config_static_selectorELNS0_4arch9wavefront6targetE0EEEvT1_
; %bb.0:
	.section	.rodata,"a",@progbits
	.p2align	6, 0x0
	.amdhsa_kernel _ZN7rocprim17ROCPRIM_400000_NS6detail17trampoline_kernelINS0_14default_configENS1_25partition_config_selectorILNS1_17partition_subalgoE9EddbEEZZNS1_14partition_implILS5_9ELb0ES3_jN6thrust23THRUST_200600_302600_NS6detail15normal_iteratorINS9_10device_ptrIdEEEESE_PNS0_10empty_typeENS0_5tupleIJSE_SF_EEENSH_IJSE_SG_EEENS0_18inequality_wrapperINS9_8equal_toIdEEEEPmJSF_EEE10hipError_tPvRmT3_T4_T5_T6_T7_T9_mT8_P12ihipStream_tbDpT10_ENKUlT_T0_E_clISt17integral_constantIbLb0EES17_IbLb1EEEEDaS13_S14_EUlS13_E_NS1_11comp_targetILNS1_3genE10ELNS1_11target_archE1200ELNS1_3gpuE4ELNS1_3repE0EEENS1_30default_config_static_selectorELNS0_4arch9wavefront6targetE0EEEvT1_
		.amdhsa_group_segment_fixed_size 0
		.amdhsa_private_segment_fixed_size 0
		.amdhsa_kernarg_size 128
		.amdhsa_user_sgpr_count 15
		.amdhsa_user_sgpr_dispatch_ptr 0
		.amdhsa_user_sgpr_queue_ptr 0
		.amdhsa_user_sgpr_kernarg_segment_ptr 1
		.amdhsa_user_sgpr_dispatch_id 0
		.amdhsa_user_sgpr_private_segment_size 0
		.amdhsa_wavefront_size32 1
		.amdhsa_uses_dynamic_stack 0
		.amdhsa_enable_private_segment 0
		.amdhsa_system_sgpr_workgroup_id_x 1
		.amdhsa_system_sgpr_workgroup_id_y 0
		.amdhsa_system_sgpr_workgroup_id_z 0
		.amdhsa_system_sgpr_workgroup_info 0
		.amdhsa_system_vgpr_workitem_id 0
		.amdhsa_next_free_vgpr 1
		.amdhsa_next_free_sgpr 1
		.amdhsa_reserve_vcc 0
		.amdhsa_float_round_mode_32 0
		.amdhsa_float_round_mode_16_64 0
		.amdhsa_float_denorm_mode_32 3
		.amdhsa_float_denorm_mode_16_64 3
		.amdhsa_dx10_clamp 1
		.amdhsa_ieee_mode 1
		.amdhsa_fp16_overflow 0
		.amdhsa_workgroup_processor_mode 1
		.amdhsa_memory_ordered 1
		.amdhsa_forward_progress 0
		.amdhsa_shared_vgpr_count 0
		.amdhsa_exception_fp_ieee_invalid_op 0
		.amdhsa_exception_fp_denorm_src 0
		.amdhsa_exception_fp_ieee_div_zero 0
		.amdhsa_exception_fp_ieee_overflow 0
		.amdhsa_exception_fp_ieee_underflow 0
		.amdhsa_exception_fp_ieee_inexact 0
		.amdhsa_exception_int_div_zero 0
	.end_amdhsa_kernel
	.section	.text._ZN7rocprim17ROCPRIM_400000_NS6detail17trampoline_kernelINS0_14default_configENS1_25partition_config_selectorILNS1_17partition_subalgoE9EddbEEZZNS1_14partition_implILS5_9ELb0ES3_jN6thrust23THRUST_200600_302600_NS6detail15normal_iteratorINS9_10device_ptrIdEEEESE_PNS0_10empty_typeENS0_5tupleIJSE_SF_EEENSH_IJSE_SG_EEENS0_18inequality_wrapperINS9_8equal_toIdEEEEPmJSF_EEE10hipError_tPvRmT3_T4_T5_T6_T7_T9_mT8_P12ihipStream_tbDpT10_ENKUlT_T0_E_clISt17integral_constantIbLb0EES17_IbLb1EEEEDaS13_S14_EUlS13_E_NS1_11comp_targetILNS1_3genE10ELNS1_11target_archE1200ELNS1_3gpuE4ELNS1_3repE0EEENS1_30default_config_static_selectorELNS0_4arch9wavefront6targetE0EEEvT1_,"axG",@progbits,_ZN7rocprim17ROCPRIM_400000_NS6detail17trampoline_kernelINS0_14default_configENS1_25partition_config_selectorILNS1_17partition_subalgoE9EddbEEZZNS1_14partition_implILS5_9ELb0ES3_jN6thrust23THRUST_200600_302600_NS6detail15normal_iteratorINS9_10device_ptrIdEEEESE_PNS0_10empty_typeENS0_5tupleIJSE_SF_EEENSH_IJSE_SG_EEENS0_18inequality_wrapperINS9_8equal_toIdEEEEPmJSF_EEE10hipError_tPvRmT3_T4_T5_T6_T7_T9_mT8_P12ihipStream_tbDpT10_ENKUlT_T0_E_clISt17integral_constantIbLb0EES17_IbLb1EEEEDaS13_S14_EUlS13_E_NS1_11comp_targetILNS1_3genE10ELNS1_11target_archE1200ELNS1_3gpuE4ELNS1_3repE0EEENS1_30default_config_static_selectorELNS0_4arch9wavefront6targetE0EEEvT1_,comdat
.Lfunc_end44:
	.size	_ZN7rocprim17ROCPRIM_400000_NS6detail17trampoline_kernelINS0_14default_configENS1_25partition_config_selectorILNS1_17partition_subalgoE9EddbEEZZNS1_14partition_implILS5_9ELb0ES3_jN6thrust23THRUST_200600_302600_NS6detail15normal_iteratorINS9_10device_ptrIdEEEESE_PNS0_10empty_typeENS0_5tupleIJSE_SF_EEENSH_IJSE_SG_EEENS0_18inequality_wrapperINS9_8equal_toIdEEEEPmJSF_EEE10hipError_tPvRmT3_T4_T5_T6_T7_T9_mT8_P12ihipStream_tbDpT10_ENKUlT_T0_E_clISt17integral_constantIbLb0EES17_IbLb1EEEEDaS13_S14_EUlS13_E_NS1_11comp_targetILNS1_3genE10ELNS1_11target_archE1200ELNS1_3gpuE4ELNS1_3repE0EEENS1_30default_config_static_selectorELNS0_4arch9wavefront6targetE0EEEvT1_, .Lfunc_end44-_ZN7rocprim17ROCPRIM_400000_NS6detail17trampoline_kernelINS0_14default_configENS1_25partition_config_selectorILNS1_17partition_subalgoE9EddbEEZZNS1_14partition_implILS5_9ELb0ES3_jN6thrust23THRUST_200600_302600_NS6detail15normal_iteratorINS9_10device_ptrIdEEEESE_PNS0_10empty_typeENS0_5tupleIJSE_SF_EEENSH_IJSE_SG_EEENS0_18inequality_wrapperINS9_8equal_toIdEEEEPmJSF_EEE10hipError_tPvRmT3_T4_T5_T6_T7_T9_mT8_P12ihipStream_tbDpT10_ENKUlT_T0_E_clISt17integral_constantIbLb0EES17_IbLb1EEEEDaS13_S14_EUlS13_E_NS1_11comp_targetILNS1_3genE10ELNS1_11target_archE1200ELNS1_3gpuE4ELNS1_3repE0EEENS1_30default_config_static_selectorELNS0_4arch9wavefront6targetE0EEEvT1_
                                        ; -- End function
	.section	.AMDGPU.csdata,"",@progbits
; Kernel info:
; codeLenInByte = 0
; NumSgprs: 0
; NumVgprs: 0
; ScratchSize: 0
; MemoryBound: 0
; FloatMode: 240
; IeeeMode: 1
; LDSByteSize: 0 bytes/workgroup (compile time only)
; SGPRBlocks: 0
; VGPRBlocks: 0
; NumSGPRsForWavesPerEU: 1
; NumVGPRsForWavesPerEU: 1
; Occupancy: 15
; WaveLimiterHint : 0
; COMPUTE_PGM_RSRC2:SCRATCH_EN: 0
; COMPUTE_PGM_RSRC2:USER_SGPR: 15
; COMPUTE_PGM_RSRC2:TRAP_HANDLER: 0
; COMPUTE_PGM_RSRC2:TGID_X_EN: 1
; COMPUTE_PGM_RSRC2:TGID_Y_EN: 0
; COMPUTE_PGM_RSRC2:TGID_Z_EN: 0
; COMPUTE_PGM_RSRC2:TIDIG_COMP_CNT: 0
	.section	.text._ZN7rocprim17ROCPRIM_400000_NS6detail17trampoline_kernelINS0_14default_configENS1_25partition_config_selectorILNS1_17partition_subalgoE9EddbEEZZNS1_14partition_implILS5_9ELb0ES3_jN6thrust23THRUST_200600_302600_NS6detail15normal_iteratorINS9_10device_ptrIdEEEESE_PNS0_10empty_typeENS0_5tupleIJSE_SF_EEENSH_IJSE_SG_EEENS0_18inequality_wrapperINS9_8equal_toIdEEEEPmJSF_EEE10hipError_tPvRmT3_T4_T5_T6_T7_T9_mT8_P12ihipStream_tbDpT10_ENKUlT_T0_E_clISt17integral_constantIbLb0EES17_IbLb1EEEEDaS13_S14_EUlS13_E_NS1_11comp_targetILNS1_3genE9ELNS1_11target_archE1100ELNS1_3gpuE3ELNS1_3repE0EEENS1_30default_config_static_selectorELNS0_4arch9wavefront6targetE0EEEvT1_,"axG",@progbits,_ZN7rocprim17ROCPRIM_400000_NS6detail17trampoline_kernelINS0_14default_configENS1_25partition_config_selectorILNS1_17partition_subalgoE9EddbEEZZNS1_14partition_implILS5_9ELb0ES3_jN6thrust23THRUST_200600_302600_NS6detail15normal_iteratorINS9_10device_ptrIdEEEESE_PNS0_10empty_typeENS0_5tupleIJSE_SF_EEENSH_IJSE_SG_EEENS0_18inequality_wrapperINS9_8equal_toIdEEEEPmJSF_EEE10hipError_tPvRmT3_T4_T5_T6_T7_T9_mT8_P12ihipStream_tbDpT10_ENKUlT_T0_E_clISt17integral_constantIbLb0EES17_IbLb1EEEEDaS13_S14_EUlS13_E_NS1_11comp_targetILNS1_3genE9ELNS1_11target_archE1100ELNS1_3gpuE3ELNS1_3repE0EEENS1_30default_config_static_selectorELNS0_4arch9wavefront6targetE0EEEvT1_,comdat
	.protected	_ZN7rocprim17ROCPRIM_400000_NS6detail17trampoline_kernelINS0_14default_configENS1_25partition_config_selectorILNS1_17partition_subalgoE9EddbEEZZNS1_14partition_implILS5_9ELb0ES3_jN6thrust23THRUST_200600_302600_NS6detail15normal_iteratorINS9_10device_ptrIdEEEESE_PNS0_10empty_typeENS0_5tupleIJSE_SF_EEENSH_IJSE_SG_EEENS0_18inequality_wrapperINS9_8equal_toIdEEEEPmJSF_EEE10hipError_tPvRmT3_T4_T5_T6_T7_T9_mT8_P12ihipStream_tbDpT10_ENKUlT_T0_E_clISt17integral_constantIbLb0EES17_IbLb1EEEEDaS13_S14_EUlS13_E_NS1_11comp_targetILNS1_3genE9ELNS1_11target_archE1100ELNS1_3gpuE3ELNS1_3repE0EEENS1_30default_config_static_selectorELNS0_4arch9wavefront6targetE0EEEvT1_ ; -- Begin function _ZN7rocprim17ROCPRIM_400000_NS6detail17trampoline_kernelINS0_14default_configENS1_25partition_config_selectorILNS1_17partition_subalgoE9EddbEEZZNS1_14partition_implILS5_9ELb0ES3_jN6thrust23THRUST_200600_302600_NS6detail15normal_iteratorINS9_10device_ptrIdEEEESE_PNS0_10empty_typeENS0_5tupleIJSE_SF_EEENSH_IJSE_SG_EEENS0_18inequality_wrapperINS9_8equal_toIdEEEEPmJSF_EEE10hipError_tPvRmT3_T4_T5_T6_T7_T9_mT8_P12ihipStream_tbDpT10_ENKUlT_T0_E_clISt17integral_constantIbLb0EES17_IbLb1EEEEDaS13_S14_EUlS13_E_NS1_11comp_targetILNS1_3genE9ELNS1_11target_archE1100ELNS1_3gpuE3ELNS1_3repE0EEENS1_30default_config_static_selectorELNS0_4arch9wavefront6targetE0EEEvT1_
	.globl	_ZN7rocprim17ROCPRIM_400000_NS6detail17trampoline_kernelINS0_14default_configENS1_25partition_config_selectorILNS1_17partition_subalgoE9EddbEEZZNS1_14partition_implILS5_9ELb0ES3_jN6thrust23THRUST_200600_302600_NS6detail15normal_iteratorINS9_10device_ptrIdEEEESE_PNS0_10empty_typeENS0_5tupleIJSE_SF_EEENSH_IJSE_SG_EEENS0_18inequality_wrapperINS9_8equal_toIdEEEEPmJSF_EEE10hipError_tPvRmT3_T4_T5_T6_T7_T9_mT8_P12ihipStream_tbDpT10_ENKUlT_T0_E_clISt17integral_constantIbLb0EES17_IbLb1EEEEDaS13_S14_EUlS13_E_NS1_11comp_targetILNS1_3genE9ELNS1_11target_archE1100ELNS1_3gpuE3ELNS1_3repE0EEENS1_30default_config_static_selectorELNS0_4arch9wavefront6targetE0EEEvT1_
	.p2align	8
	.type	_ZN7rocprim17ROCPRIM_400000_NS6detail17trampoline_kernelINS0_14default_configENS1_25partition_config_selectorILNS1_17partition_subalgoE9EddbEEZZNS1_14partition_implILS5_9ELb0ES3_jN6thrust23THRUST_200600_302600_NS6detail15normal_iteratorINS9_10device_ptrIdEEEESE_PNS0_10empty_typeENS0_5tupleIJSE_SF_EEENSH_IJSE_SG_EEENS0_18inequality_wrapperINS9_8equal_toIdEEEEPmJSF_EEE10hipError_tPvRmT3_T4_T5_T6_T7_T9_mT8_P12ihipStream_tbDpT10_ENKUlT_T0_E_clISt17integral_constantIbLb0EES17_IbLb1EEEEDaS13_S14_EUlS13_E_NS1_11comp_targetILNS1_3genE9ELNS1_11target_archE1100ELNS1_3gpuE3ELNS1_3repE0EEENS1_30default_config_static_selectorELNS0_4arch9wavefront6targetE0EEEvT1_,@function
_ZN7rocprim17ROCPRIM_400000_NS6detail17trampoline_kernelINS0_14default_configENS1_25partition_config_selectorILNS1_17partition_subalgoE9EddbEEZZNS1_14partition_implILS5_9ELb0ES3_jN6thrust23THRUST_200600_302600_NS6detail15normal_iteratorINS9_10device_ptrIdEEEESE_PNS0_10empty_typeENS0_5tupleIJSE_SF_EEENSH_IJSE_SG_EEENS0_18inequality_wrapperINS9_8equal_toIdEEEEPmJSF_EEE10hipError_tPvRmT3_T4_T5_T6_T7_T9_mT8_P12ihipStream_tbDpT10_ENKUlT_T0_E_clISt17integral_constantIbLb0EES17_IbLb1EEEEDaS13_S14_EUlS13_E_NS1_11comp_targetILNS1_3genE9ELNS1_11target_archE1100ELNS1_3gpuE3ELNS1_3repE0EEENS1_30default_config_static_selectorELNS0_4arch9wavefront6targetE0EEEvT1_: ; @_ZN7rocprim17ROCPRIM_400000_NS6detail17trampoline_kernelINS0_14default_configENS1_25partition_config_selectorILNS1_17partition_subalgoE9EddbEEZZNS1_14partition_implILS5_9ELb0ES3_jN6thrust23THRUST_200600_302600_NS6detail15normal_iteratorINS9_10device_ptrIdEEEESE_PNS0_10empty_typeENS0_5tupleIJSE_SF_EEENSH_IJSE_SG_EEENS0_18inequality_wrapperINS9_8equal_toIdEEEEPmJSF_EEE10hipError_tPvRmT3_T4_T5_T6_T7_T9_mT8_P12ihipStream_tbDpT10_ENKUlT_T0_E_clISt17integral_constantIbLb0EES17_IbLb1EEEEDaS13_S14_EUlS13_E_NS1_11comp_targetILNS1_3genE9ELNS1_11target_archE1100ELNS1_3gpuE3ELNS1_3repE0EEENS1_30default_config_static_selectorELNS0_4arch9wavefront6targetE0EEEvT1_
; %bb.0:
	s_clause 0x4
	s_load_b128 s[4:7], s[0:1], 0x8
	s_load_b64 s[8:9], s[0:1], 0x18
	s_load_b128 s[16:19], s[0:1], 0x40
	s_load_b64 s[12:13], s[0:1], 0x50
	s_load_b64 s[24:25], s[0:1], 0x60
	v_cmp_ne_u32_e64 s3, 0, v0
	v_cmp_eq_u32_e64 s2, 0, v0
	s_delay_alu instid0(VALU_DEP_1)
	s_and_saveexec_b32 s10, s2
	s_cbranch_execz .LBB45_4
; %bb.1:
	s_mov_b32 s14, exec_lo
	s_mov_b32 s11, exec_lo
	v_mbcnt_lo_u32_b32 v1, s14, 0
                                        ; implicit-def: $vgpr2
	s_delay_alu instid0(VALU_DEP_1)
	v_cmpx_eq_u32_e32 0, v1
	s_cbranch_execz .LBB45_3
; %bb.2:
	s_load_b64 s[20:21], s[0:1], 0x70
	s_bcnt1_i32_b32 s14, s14
	s_delay_alu instid0(SALU_CYCLE_1)
	v_dual_mov_b32 v2, 0 :: v_dual_mov_b32 v3, s14
	s_waitcnt lgkmcnt(0)
	global_atomic_add_u32 v2, v2, v3, s[20:21] glc
.LBB45_3:
	s_or_b32 exec_lo, exec_lo, s11
	s_waitcnt vmcnt(0)
	v_readfirstlane_b32 s11, v2
	s_delay_alu instid0(VALU_DEP_1)
	v_dual_mov_b32 v2, 0 :: v_dual_add_nc_u32 v1, s11, v1
	ds_store_b32 v2, v1
.LBB45_4:
	s_or_b32 exec_lo, exec_lo, s10
	v_mov_b32_e32 v1, 0
	s_clause 0x1
	s_load_b128 s[20:23], s[0:1], 0x28
	s_load_b32 s0, s[0:1], 0x68
	s_waitcnt lgkmcnt(0)
	s_barrier
	buffer_gl0_inv
	ds_load_b32 v3, v1
	s_waitcnt lgkmcnt(0)
	s_barrier
	buffer_gl0_inv
	global_load_b64 v[1:2], v1, s[18:19]
	s_lshl_b64 s[10:11], s[6:7], 3
	s_mov_b32 s1, 0
	s_add_u32 s14, s4, s10
	s_addc_u32 s15, s5, s11
	v_lshlrev_b32_e32 v55, 3, v0
	v_lshrrev_b32_e32 v34, 2, v0
	v_or_b32_e32 v39, 0x200, v0
	v_or_b32_e32 v38, 0x400, v0
	;; [unrolled: 1-line block ×5, first 2 shown]
	s_add_i32 s18, s0, -1
	s_lshl_b32 s5, s0, 12
	s_lshl_b32 s4, s18, 12
	v_or_b32_e32 v33, 0xc00, v0
	v_readfirstlane_b32 s28, v3
	s_add_i32 s4, s6, s4
	v_or_b32_e32 v36, 0xe00, v0
	s_sub_i32 s29, s12, s4
	s_delay_alu instid0(VALU_DEP_2)
	s_lshl_b32 s0, s28, 12
	s_add_u32 s4, s6, s5
	s_addc_u32 s5, s7, 0
	s_cmp_eq_u32 s28, s18
	v_cmp_ge_u64_e64 s4, s[4:5], s[12:13]
	s_cselect_b32 s26, -1, 0
	s_mov_b32 s13, -1
	s_delay_alu instid0(VALU_DEP_1)
	s_and_b32 s30, s4, s26
	s_lshl_b64 s[4:5], s[0:1], 3
	s_xor_b32 s27, s30, -1
	s_add_u32 s12, s14, s4
	s_addc_u32 s1, s15, s5
	s_and_b32 vcc_lo, exec_lo, s27
	s_waitcnt vmcnt(0)
	v_readfirstlane_b32 s18, v1
	v_readfirstlane_b32 s19, v2
	s_cbranch_vccz .LBB45_6
; %bb.5:
	v_add_co_u32 v1, s0, s12, v55
	s_delay_alu instid0(VALU_DEP_1) | instskip(SKIP_1) | instid1(VALU_DEP_3)
	v_add_co_ci_u32_e64 v2, null, s1, 0, s0
	v_lshrrev_b32_e32 v18, 2, v39
	v_add_co_u32 v3, vcc_lo, 0x1000, v1
	s_delay_alu instid0(VALU_DEP_3)
	v_add_co_ci_u32_e32 v4, vcc_lo, 0, v2, vcc_lo
	v_add_co_u32 v5, vcc_lo, 0x2000, v1
	v_add_co_ci_u32_e32 v6, vcc_lo, 0, v2, vcc_lo
	v_add_co_u32 v7, vcc_lo, 0x3000, v1
	v_add_co_ci_u32_e32 v8, vcc_lo, 0, v2, vcc_lo
	v_add_co_u32 v9, vcc_lo, 0x4000, v1
	v_add_co_ci_u32_e32 v10, vcc_lo, 0, v2, vcc_lo
	v_add_co_u32 v11, vcc_lo, 0x5000, v1
	v_add_co_ci_u32_e32 v12, vcc_lo, 0, v2, vcc_lo
	v_add_co_u32 v13, vcc_lo, 0x6000, v1
	v_add_co_ci_u32_e32 v14, vcc_lo, 0, v2, vcc_lo
	v_add_co_u32 v15, vcc_lo, 0x7000, v1
	v_add_co_ci_u32_e32 v16, vcc_lo, 0, v2, vcc_lo
	s_clause 0x7
	flat_load_b64 v[1:2], v[1:2]
	flat_load_b64 v[3:4], v[3:4]
	;; [unrolled: 1-line block ×8, first 2 shown]
	v_lshrrev_b32_e32 v19, 2, v38
	v_lshrrev_b32_e32 v20, 2, v40
	;; [unrolled: 1-line block ×3, first 2 shown]
	v_and_b32_e32 v17, 0x78, v34
	v_lshrrev_b32_e32 v22, 2, v35
	v_lshrrev_b32_e32 v23, 2, v33
	;; [unrolled: 1-line block ×3, first 2 shown]
	v_and_b32_e32 v18, 0xf8, v18
	v_and_b32_e32 v19, 0x178, v19
	;; [unrolled: 1-line block ×4, first 2 shown]
	v_add_nc_u32_e32 v17, v17, v55
	v_and_b32_e32 v22, 0x2f8, v22
	v_and_b32_e32 v23, 0x378, v23
	;; [unrolled: 1-line block ×3, first 2 shown]
	v_add_nc_u32_e32 v18, v18, v55
	v_add_nc_u32_e32 v19, v19, v55
	;; [unrolled: 1-line block ×4, first 2 shown]
	s_mov_b32 s13, 0
	v_add_nc_u32_e32 v22, v22, v55
	v_add_nc_u32_e32 v23, v23, v55
	;; [unrolled: 1-line block ×3, first 2 shown]
	s_waitcnt vmcnt(7) lgkmcnt(7)
	ds_store_b64 v17, v[1:2]
	s_waitcnt vmcnt(6) lgkmcnt(7)
	ds_store_b64 v18, v[3:4] offset:4096
	s_waitcnt vmcnt(5) lgkmcnt(7)
	ds_store_b64 v19, v[5:6] offset:8192
	;; [unrolled: 2-line block ×7, first 2 shown]
	s_waitcnt lgkmcnt(0)
	s_barrier
.LBB45_6:
	v_cmp_gt_u32_e64 s0, s29, v0
	s_and_not1_b32 vcc_lo, exec_lo, s13
	s_cbranch_vccnz .LBB45_24
; %bb.7:
                                        ; implicit-def: $vgpr1_vgpr2_vgpr3_vgpr4_vgpr5_vgpr6_vgpr7_vgpr8_vgpr9_vgpr10_vgpr11_vgpr12_vgpr13_vgpr14_vgpr15_vgpr16
	s_delay_alu instid0(VALU_DEP_1)
	s_and_saveexec_b32 s13, s0
	s_cbranch_execz .LBB45_15
; %bb.8:
	v_add_co_u32 v1, s0, s12, v55
	s_delay_alu instid0(VALU_DEP_1) | instskip(SKIP_2) | instid1(SALU_CYCLE_1)
	v_add_co_ci_u32_e64 v2, null, s1, 0, s0
	flat_load_b64 v[1:2], v[1:2]
	s_or_b32 exec_lo, exec_lo, s13
	s_mov_b32 s0, exec_lo
	v_cmpx_gt_u32_e64 s29, v39
	s_cbranch_execnz .LBB45_16
.LBB45_9:
	s_or_b32 exec_lo, exec_lo, s0
	s_delay_alu instid0(SALU_CYCLE_1)
	s_mov_b32 s0, exec_lo
	v_cmpx_gt_u32_e64 s29, v38
	s_cbranch_execz .LBB45_17
.LBB45_10:
	v_lshlrev_b32_e32 v5, 3, v38
	s_delay_alu instid0(VALU_DEP_1) | instskip(NEXT) | instid1(VALU_DEP_1)
	v_add_co_u32 v5, s13, s12, v5
	v_add_co_ci_u32_e64 v6, null, s1, 0, s13
	flat_load_b64 v[5:6], v[5:6]
	s_or_b32 exec_lo, exec_lo, s0
	s_delay_alu instid0(SALU_CYCLE_1)
	s_mov_b32 s0, exec_lo
	v_cmpx_gt_u32_e64 s29, v40
	s_cbranch_execnz .LBB45_18
.LBB45_11:
	s_or_b32 exec_lo, exec_lo, s0
	s_delay_alu instid0(SALU_CYCLE_1)
	s_mov_b32 s0, exec_lo
	v_cmpx_gt_u32_e64 s29, v37
	s_cbranch_execz .LBB45_19
.LBB45_12:
	v_lshlrev_b32_e32 v9, 3, v37
	s_delay_alu instid0(VALU_DEP_1) | instskip(NEXT) | instid1(VALU_DEP_1)
	v_add_co_u32 v9, s13, s12, v9
	v_add_co_ci_u32_e64 v10, null, s1, 0, s13
	flat_load_b64 v[9:10], v[9:10]
	s_or_b32 exec_lo, exec_lo, s0
	s_delay_alu instid0(SALU_CYCLE_1)
	s_mov_b32 s0, exec_lo
	v_cmpx_gt_u32_e64 s29, v35
	s_cbranch_execnz .LBB45_20
.LBB45_13:
	s_or_b32 exec_lo, exec_lo, s0
	s_delay_alu instid0(SALU_CYCLE_1)
	s_mov_b32 s0, exec_lo
	v_cmpx_gt_u32_e64 s29, v33
	s_cbranch_execz .LBB45_21
.LBB45_14:
	v_lshlrev_b32_e32 v13, 3, v33
	s_delay_alu instid0(VALU_DEP_1) | instskip(NEXT) | instid1(VALU_DEP_1)
	v_add_co_u32 v13, s13, s12, v13
	v_add_co_ci_u32_e64 v14, null, s1, 0, s13
	flat_load_b64 v[13:14], v[13:14]
	s_or_b32 exec_lo, exec_lo, s0
	s_delay_alu instid0(SALU_CYCLE_1)
	s_mov_b32 s0, exec_lo
	v_cmpx_gt_u32_e64 s29, v36
	s_cbranch_execnz .LBB45_22
	s_branch .LBB45_23
.LBB45_15:
	s_or_b32 exec_lo, exec_lo, s13
	s_delay_alu instid0(SALU_CYCLE_1)
	s_mov_b32 s0, exec_lo
	v_cmpx_gt_u32_e64 s29, v39
	s_cbranch_execz .LBB45_9
.LBB45_16:
	v_lshlrev_b32_e32 v3, 3, v39
	s_delay_alu instid0(VALU_DEP_1) | instskip(NEXT) | instid1(VALU_DEP_1)
	v_add_co_u32 v3, s13, s12, v3
	v_add_co_ci_u32_e64 v4, null, s1, 0, s13
	flat_load_b64 v[3:4], v[3:4]
	s_or_b32 exec_lo, exec_lo, s0
	s_delay_alu instid0(SALU_CYCLE_1)
	s_mov_b32 s0, exec_lo
	v_cmpx_gt_u32_e64 s29, v38
	s_cbranch_execnz .LBB45_10
.LBB45_17:
	s_or_b32 exec_lo, exec_lo, s0
	s_delay_alu instid0(SALU_CYCLE_1)
	s_mov_b32 s0, exec_lo
	v_cmpx_gt_u32_e64 s29, v40
	s_cbranch_execz .LBB45_11
.LBB45_18:
	v_lshlrev_b32_e32 v7, 3, v40
	s_delay_alu instid0(VALU_DEP_1) | instskip(NEXT) | instid1(VALU_DEP_1)
	v_add_co_u32 v7, s13, s12, v7
	v_add_co_ci_u32_e64 v8, null, s1, 0, s13
	flat_load_b64 v[7:8], v[7:8]
	s_or_b32 exec_lo, exec_lo, s0
	s_delay_alu instid0(SALU_CYCLE_1)
	s_mov_b32 s0, exec_lo
	v_cmpx_gt_u32_e64 s29, v37
	s_cbranch_execnz .LBB45_12
.LBB45_19:
	s_or_b32 exec_lo, exec_lo, s0
	s_delay_alu instid0(SALU_CYCLE_1)
	s_mov_b32 s0, exec_lo
	v_cmpx_gt_u32_e64 s29, v35
	s_cbranch_execz .LBB45_13
.LBB45_20:
	v_lshlrev_b32_e32 v11, 3, v35
	s_delay_alu instid0(VALU_DEP_1) | instskip(NEXT) | instid1(VALU_DEP_1)
	v_add_co_u32 v11, s13, s12, v11
	v_add_co_ci_u32_e64 v12, null, s1, 0, s13
	flat_load_b64 v[11:12], v[11:12]
	s_or_b32 exec_lo, exec_lo, s0
	s_delay_alu instid0(SALU_CYCLE_1)
	s_mov_b32 s0, exec_lo
	v_cmpx_gt_u32_e64 s29, v33
	s_cbranch_execnz .LBB45_14
.LBB45_21:
	s_or_b32 exec_lo, exec_lo, s0
	s_delay_alu instid0(SALU_CYCLE_1)
	s_mov_b32 s0, exec_lo
	v_cmpx_gt_u32_e64 s29, v36
	s_cbranch_execz .LBB45_23
.LBB45_22:
	v_lshlrev_b32_e32 v15, 3, v36
	s_delay_alu instid0(VALU_DEP_1) | instskip(NEXT) | instid1(VALU_DEP_1)
	v_add_co_u32 v15, s13, s12, v15
	v_add_co_ci_u32_e64 v16, null, s1, 0, s13
	flat_load_b64 v[15:16], v[15:16]
.LBB45_23:
	s_or_b32 exec_lo, exec_lo, s0
	v_lshrrev_b32_e32 v17, 2, v39
	v_lshrrev_b32_e32 v18, 2, v38
	;; [unrolled: 1-line block ×4, first 2 shown]
	v_and_b32_e32 v19, 0x78, v34
	v_lshrrev_b32_e32 v22, 2, v35
	v_lshrrev_b32_e32 v23, 2, v33
	;; [unrolled: 1-line block ×3, first 2 shown]
	v_and_b32_e32 v17, 0xf8, v17
	v_and_b32_e32 v18, 0x1f8, v18
	;; [unrolled: 1-line block ×4, first 2 shown]
	v_add_nc_u32_e32 v19, v19, v55
	v_and_b32_e32 v22, 0x3f8, v22
	v_and_b32_e32 v23, 0x3f8, v23
	;; [unrolled: 1-line block ×3, first 2 shown]
	v_add_nc_u32_e32 v17, v17, v55
	v_add_nc_u32_e32 v18, v18, v55
	v_add_nc_u32_e32 v20, v20, v55
	v_add_nc_u32_e32 v21, v21, v55
	v_add_nc_u32_e32 v22, v22, v55
	v_add_nc_u32_e32 v23, v23, v55
	v_add_nc_u32_e32 v24, v24, v55
	s_waitcnt vmcnt(0) lgkmcnt(0)
	ds_store_b64 v19, v[1:2]
	ds_store_b64 v17, v[3:4] offset:4096
	ds_store_b64 v18, v[5:6] offset:8192
	;; [unrolled: 1-line block ×7, first 2 shown]
	s_waitcnt lgkmcnt(0)
	s_barrier
.LBB45_24:
	v_add_lshl_u32 v41, v34, v55, 3
	buffer_gl0_inv
	s_add_u32 s0, s8, s10
	s_addc_u32 s8, s9, s11
	s_add_u32 s0, s0, s4
	ds_load_2addr_b64 v[29:32], v41 offset1:1
	ds_load_2addr_b64 v[25:28], v41 offset0:2 offset1:3
	ds_load_2addr_b64 v[21:24], v41 offset0:4 offset1:5
	ds_load_2addr_b64 v[17:20], v41 offset0:6 offset1:7
	s_addc_u32 s4, s8, s5
	s_and_b32 vcc_lo, exec_lo, s27
	s_mov_b32 s5, -1
	s_waitcnt lgkmcnt(0)
	s_barrier
	buffer_gl0_inv
	s_cbranch_vccz .LBB45_26
; %bb.25:
	v_add_co_u32 v1, s5, s0, v55
	s_delay_alu instid0(VALU_DEP_1) | instskip(SKIP_1) | instid1(VALU_DEP_3)
	v_add_co_ci_u32_e64 v2, null, s4, 0, s5
	v_lshrrev_b32_e32 v43, 2, v39
	v_add_co_u32 v3, vcc_lo, 0x1000, v1
	s_delay_alu instid0(VALU_DEP_3)
	v_add_co_ci_u32_e32 v4, vcc_lo, 0, v2, vcc_lo
	v_add_co_u32 v5, vcc_lo, 0x2000, v1
	v_add_co_ci_u32_e32 v6, vcc_lo, 0, v2, vcc_lo
	v_add_co_u32 v7, vcc_lo, 0x3000, v1
	;; [unrolled: 2-line block ×6, first 2 shown]
	v_add_co_ci_u32_e32 v16, vcc_lo, 0, v2, vcc_lo
	s_clause 0x7
	flat_load_b64 v[1:2], v[1:2]
	flat_load_b64 v[3:4], v[3:4]
	;; [unrolled: 1-line block ×8, first 2 shown]
	v_lshrrev_b32_e32 v44, 2, v38
	v_lshrrev_b32_e32 v45, 2, v40
	;; [unrolled: 1-line block ×3, first 2 shown]
	v_and_b32_e32 v42, 0x78, v34
	v_lshrrev_b32_e32 v47, 2, v35
	v_lshrrev_b32_e32 v48, 2, v33
	;; [unrolled: 1-line block ×3, first 2 shown]
	v_and_b32_e32 v43, 0xf8, v43
	v_and_b32_e32 v44, 0x178, v44
	;; [unrolled: 1-line block ×4, first 2 shown]
	v_add_nc_u32_e32 v42, v42, v55
	v_and_b32_e32 v47, 0x2f8, v47
	v_and_b32_e32 v48, 0x378, v48
	;; [unrolled: 1-line block ×3, first 2 shown]
	v_add_nc_u32_e32 v43, v43, v55
	v_add_nc_u32_e32 v44, v44, v55
	;; [unrolled: 1-line block ×4, first 2 shown]
	s_mov_b32 s5, 0
	v_add_nc_u32_e32 v47, v47, v55
	v_add_nc_u32_e32 v48, v48, v55
	;; [unrolled: 1-line block ×3, first 2 shown]
	s_waitcnt vmcnt(7) lgkmcnt(7)
	ds_store_b64 v42, v[1:2]
	s_waitcnt vmcnt(6) lgkmcnt(7)
	ds_store_b64 v43, v[3:4] offset:4096
	s_waitcnt vmcnt(5) lgkmcnt(7)
	ds_store_b64 v44, v[5:6] offset:8192
	;; [unrolled: 2-line block ×7, first 2 shown]
	s_waitcnt lgkmcnt(0)
	s_barrier
.LBB45_26:
	s_and_not1_b32 vcc_lo, exec_lo, s5
	s_cbranch_vccnz .LBB45_44
; %bb.27:
	s_mov_b32 s5, exec_lo
                                        ; implicit-def: $vgpr1_vgpr2
	v_cmpx_gt_u32_e64 s29, v0
	s_cbranch_execz .LBB45_29
; %bb.28:
	v_add_co_u32 v1, s8, s0, v55
	s_delay_alu instid0(VALU_DEP_1)
	v_add_co_ci_u32_e64 v2, null, s4, 0, s8
	flat_load_b64 v[1:2], v[1:2]
.LBB45_29:
	s_or_b32 exec_lo, exec_lo, s5
	s_delay_alu instid0(SALU_CYCLE_1)
	s_mov_b32 s5, exec_lo
                                        ; implicit-def: $vgpr3_vgpr4
	v_cmpx_gt_u32_e64 s29, v39
	s_cbranch_execz .LBB45_31
; %bb.30:
	v_lshlrev_b32_e32 v3, 3, v39
	s_delay_alu instid0(VALU_DEP_1) | instskip(NEXT) | instid1(VALU_DEP_1)
	v_add_co_u32 v3, s8, s0, v3
	v_add_co_ci_u32_e64 v4, null, s4, 0, s8
	flat_load_b64 v[3:4], v[3:4]
.LBB45_31:
	s_or_b32 exec_lo, exec_lo, s5
	s_delay_alu instid0(SALU_CYCLE_1)
	s_mov_b32 s5, exec_lo
                                        ; implicit-def: $vgpr5_vgpr6
	v_cmpx_gt_u32_e64 s29, v38
	s_cbranch_execz .LBB45_33
; %bb.32:
	v_lshlrev_b32_e32 v5, 3, v38
	s_delay_alu instid0(VALU_DEP_1) | instskip(NEXT) | instid1(VALU_DEP_1)
	v_add_co_u32 v5, s8, s0, v5
	v_add_co_ci_u32_e64 v6, null, s4, 0, s8
	flat_load_b64 v[5:6], v[5:6]
.LBB45_33:
	s_or_b32 exec_lo, exec_lo, s5
	s_delay_alu instid0(SALU_CYCLE_1)
	s_mov_b32 s5, exec_lo
                                        ; implicit-def: $vgpr7_vgpr8
	v_cmpx_gt_u32_e64 s29, v40
	s_cbranch_execz .LBB45_35
; %bb.34:
	v_lshlrev_b32_e32 v7, 3, v40
	s_delay_alu instid0(VALU_DEP_1) | instskip(NEXT) | instid1(VALU_DEP_1)
	v_add_co_u32 v7, s8, s0, v7
	v_add_co_ci_u32_e64 v8, null, s4, 0, s8
	flat_load_b64 v[7:8], v[7:8]
.LBB45_35:
	s_or_b32 exec_lo, exec_lo, s5
	s_delay_alu instid0(SALU_CYCLE_1)
	s_mov_b32 s5, exec_lo
                                        ; implicit-def: $vgpr9_vgpr10
	v_cmpx_gt_u32_e64 s29, v37
	s_cbranch_execz .LBB45_37
; %bb.36:
	v_lshlrev_b32_e32 v9, 3, v37
	s_delay_alu instid0(VALU_DEP_1) | instskip(NEXT) | instid1(VALU_DEP_1)
	v_add_co_u32 v9, s8, s0, v9
	v_add_co_ci_u32_e64 v10, null, s4, 0, s8
	flat_load_b64 v[9:10], v[9:10]
.LBB45_37:
	s_or_b32 exec_lo, exec_lo, s5
	s_delay_alu instid0(SALU_CYCLE_1)
	s_mov_b32 s5, exec_lo
                                        ; implicit-def: $vgpr11_vgpr12
	v_cmpx_gt_u32_e64 s29, v35
	s_cbranch_execz .LBB45_39
; %bb.38:
	v_lshlrev_b32_e32 v11, 3, v35
	s_delay_alu instid0(VALU_DEP_1) | instskip(NEXT) | instid1(VALU_DEP_1)
	v_add_co_u32 v11, s8, s0, v11
	v_add_co_ci_u32_e64 v12, null, s4, 0, s8
	flat_load_b64 v[11:12], v[11:12]
.LBB45_39:
	s_or_b32 exec_lo, exec_lo, s5
	s_delay_alu instid0(SALU_CYCLE_1)
	s_mov_b32 s5, exec_lo
                                        ; implicit-def: $vgpr13_vgpr14
	v_cmpx_gt_u32_e64 s29, v33
	s_cbranch_execz .LBB45_41
; %bb.40:
	v_lshlrev_b32_e32 v13, 3, v33
	s_delay_alu instid0(VALU_DEP_1) | instskip(NEXT) | instid1(VALU_DEP_1)
	v_add_co_u32 v13, s8, s0, v13
	v_add_co_ci_u32_e64 v14, null, s4, 0, s8
	flat_load_b64 v[13:14], v[13:14]
.LBB45_41:
	s_or_b32 exec_lo, exec_lo, s5
	s_delay_alu instid0(SALU_CYCLE_1)
	s_mov_b32 s5, exec_lo
                                        ; implicit-def: $vgpr15_vgpr16
	v_cmpx_gt_u32_e64 s29, v36
	s_cbranch_execz .LBB45_43
; %bb.42:
	v_lshlrev_b32_e32 v15, 3, v36
	s_delay_alu instid0(VALU_DEP_1) | instskip(NEXT) | instid1(VALU_DEP_1)
	v_add_co_u32 v15, s0, s0, v15
	v_add_co_ci_u32_e64 v16, null, s4, 0, s0
	flat_load_b64 v[15:16], v[15:16]
.LBB45_43:
	s_or_b32 exec_lo, exec_lo, s5
	v_lshrrev_b32_e32 v39, 2, v39
	v_lshrrev_b32_e32 v38, 2, v38
	;; [unrolled: 1-line block ×4, first 2 shown]
	v_and_b32_e32 v34, 0x78, v34
	v_lshrrev_b32_e32 v35, 2, v35
	v_lshrrev_b32_e32 v33, 2, v33
	;; [unrolled: 1-line block ×3, first 2 shown]
	v_and_b32_e32 v39, 0xf8, v39
	v_and_b32_e32 v38, 0x1f8, v38
	;; [unrolled: 1-line block ×4, first 2 shown]
	v_add_nc_u32_e32 v34, v34, v55
	v_and_b32_e32 v35, 0x3f8, v35
	v_and_b32_e32 v33, 0x3f8, v33
	;; [unrolled: 1-line block ×3, first 2 shown]
	v_add_nc_u32_e32 v39, v39, v55
	v_add_nc_u32_e32 v38, v38, v55
	;; [unrolled: 1-line block ×7, first 2 shown]
	s_waitcnt vmcnt(0) lgkmcnt(0)
	ds_store_b64 v34, v[1:2]
	ds_store_b64 v39, v[3:4] offset:4096
	ds_store_b64 v38, v[5:6] offset:8192
	ds_store_b64 v40, v[7:8] offset:12288
	ds_store_b64 v37, v[9:10] offset:16384
	ds_store_b64 v35, v[11:12] offset:20480
	ds_store_b64 v33, v[13:14] offset:24576
	ds_store_b64 v36, v[15:16] offset:28672
	s_waitcnt lgkmcnt(0)
	s_barrier
.LBB45_44:
	buffer_gl0_inv
	ds_load_2addr_b64 v[13:16], v41 offset1:1
	ds_load_2addr_b64 v[9:12], v41 offset0:2 offset1:3
	ds_load_2addr_b64 v[5:8], v41 offset0:4 offset1:5
	;; [unrolled: 1-line block ×3, first 2 shown]
	s_cmp_lg_u32 s28, 0
	s_mov_b32 s15, 0
	s_cselect_b32 s31, -1, 0
	s_cmp_lg_u64 s[6:7], 0
	s_waitcnt lgkmcnt(0)
	s_cselect_b32 s0, -1, 0
	s_barrier
	s_or_b32 s0, s0, s31
	buffer_gl0_inv
	s_and_b32 vcc_lo, exec_lo, s0
	s_cbranch_vccz .LBB45_49
; %bb.45:
	v_add_co_u32 v33, s0, -8, s12
	s_delay_alu instid0(VALU_DEP_1)
	v_add_co_ci_u32_e64 v34, null, -1, s1, s0
	s_mov_b32 s1, -1
	s_and_b32 vcc_lo, exec_lo, s27
	flat_load_b64 v[35:36], v[33:34]
	ds_store_b64 v55, v[19:20]
	s_cbranch_vccz .LBB45_50
; %bb.46:
	s_waitcnt vmcnt(0) lgkmcnt(1)
	v_dual_mov_b32 v33, v35 :: v_dual_mov_b32 v34, v36
	s_waitcnt lgkmcnt(0)
	s_barrier
	buffer_gl0_inv
	s_and_saveexec_b32 s0, s3
	s_cbranch_execz .LBB45_48
; %bb.47:
	v_add_nc_u32_e32 v33, -8, v55
	ds_load_b64 v[33:34], v33
.LBB45_48:
	s_or_b32 exec_lo, exec_lo, s0
	v_cmp_neq_f64_e32 vcc_lo, v[17:18], v[19:20]
	s_waitcnt lgkmcnt(0)
	v_cmp_neq_f64_e64 s0, v[33:34], v[29:30]
	v_cndmask_b32_e64 v33, 0, 1, vcc_lo
	v_cmp_neq_f64_e32 vcc_lo, v[23:24], v[17:18]
	s_delay_alu instid0(VALU_DEP_2) | instskip(SKIP_2) | instid1(VALU_DEP_2)
	v_lshlrev_b16 v33, 8, v33
	v_cndmask_b32_e64 v34, 0, 1, vcc_lo
	v_cmp_neq_f64_e32 vcc_lo, v[21:22], v[23:24]
	v_or_b32_e32 v33, v34, v33
	v_cndmask_b32_e64 v37, 0, 1, vcc_lo
	v_cmp_neq_f64_e32 vcc_lo, v[25:26], v[27:28]
	s_delay_alu instid0(VALU_DEP_2) | instskip(SKIP_2) | instid1(VALU_DEP_2)
	v_lshlrev_b16 v37, 8, v37
	v_cndmask_b32_e64 v38, 0, 1, vcc_lo
	v_cmp_neq_f64_e32 vcc_lo, v[27:28], v[21:22]
	v_lshlrev_b16 v38, 8, v38
	v_cndmask_b32_e64 v39, 0, 1, vcc_lo
	v_cmp_neq_f64_e32 vcc_lo, v[31:32], v[25:26]
	s_delay_alu instid0(VALU_DEP_2) | instskip(SKIP_1) | instid1(VALU_DEP_2)
	v_or_b32_e32 v37, v39, v37
	v_lshlrev_b32_e32 v39, 16, v33
	v_and_b32_e32 v37, 0xffff, v37
	v_cndmask_b32_e64 v40, 0, 1, vcc_lo
	v_cmp_neq_f64_e32 vcc_lo, v[29:30], v[31:32]
	s_delay_alu instid0(VALU_DEP_2) | instskip(NEXT) | instid1(VALU_DEP_1)
	v_or_b32_e32 v38, v40, v38
	v_lshlrev_b32_e32 v34, 16, v38
	v_cndmask_b32_e64 v41, 0, 1, vcc_lo
	s_delay_alu instid0(VALU_DEP_1) | instskip(NEXT) | instid1(VALU_DEP_1)
	v_lshlrev_b16 v40, 8, v41
	v_and_b32_e32 v38, 0xffff, v40
	s_delay_alu instid0(VALU_DEP_1)
	v_or_b32_e32 v33, v38, v34
	v_or_b32_e32 v34, v37, v39
	s_branch .LBB45_54
.LBB45_49:
                                        ; implicit-def: $sgpr0
                                        ; implicit-def: $vgpr34
	s_branch .LBB45_55
.LBB45_50:
                                        ; implicit-def: $sgpr0
                                        ; implicit-def: $vgpr34
	s_and_b32 vcc_lo, exec_lo, s1
	s_cbranch_vccz .LBB45_54
; %bb.51:
	s_waitcnt vmcnt(0) lgkmcnt(0)
	s_barrier
	buffer_gl0_inv
	s_and_saveexec_b32 s0, s3
	s_cbranch_execz .LBB45_53
; %bb.52:
	v_add_nc_u32_e32 v33, -8, v55
	ds_load_b64 v[35:36], v33
.LBB45_53:
	s_or_b32 exec_lo, exec_lo, s0
	v_cmp_neq_f64_e64 s0, v[23:24], v[17:18]
	v_cmp_neq_f64_e64 s1, v[21:22], v[23:24]
	;; [unrolled: 1-line block ×3, first 2 shown]
	v_cmp_neq_f64_e32 vcc_lo, v[17:18], v[19:20]
	v_cmp_neq_f64_e64 s5, v[25:26], v[27:28]
	v_cmp_neq_f64_e64 s6, v[31:32], v[25:26]
	;; [unrolled: 1-line block ×3, first 2 shown]
	v_or_b32_e32 v34, 6, v55
	v_or_b32_e32 v37, 5, v55
	s_waitcnt lgkmcnt(0)
	v_cmp_neq_f64_e64 s8, v[35:36], v[29:30]
	v_or_b32_e32 v38, 4, v55
	v_or_b32_e32 v33, 7, v55
	v_cmp_gt_u32_e64 s10, s29, v34
	v_or_b32_e32 v39, 3, v55
	v_cmp_gt_u32_e64 s11, s29, v37
	;; [unrolled: 2-line block ×4, first 2 shown]
	v_cmp_gt_u32_e64 s13, s29, v39
	v_cmp_gt_u32_e64 s14, s29, v40
	s_delay_alu instid0(VALU_DEP_4) | instskip(SKIP_1) | instid1(SALU_CYCLE_1)
	v_cmp_gt_u32_e64 s15, s29, v41
	s_and_b32 s0, s10, s0
	v_cndmask_b32_e64 v34, 0, 1, s0
	s_and_b32 s0, s11, s1
	s_and_b32 s9, s9, vcc_lo
	v_cndmask_b32_e64 v35, 0, 1, s0
	s_and_b32 s0, s12, s4
	v_cndmask_b32_e64 v33, 0, 1, s9
	v_cndmask_b32_e64 v36, 0, 1, s0
	s_and_b32 s0, s13, s5
	v_lshlrev_b16 v35, 8, v35
	v_cndmask_b32_e64 v37, 0, 1, s0
	s_and_b32 s0, s14, s6
	v_lshlrev_b16 v33, 8, v33
	;; [unrolled: 3-line block ×3, first 2 shown]
	v_cndmask_b32_e64 v39, 0, 1, s0
	v_or_b32_e32 v35, v36, v35
	v_or_b32_e32 v33, v34, v33
	v_cmp_gt_u32_e32 vcc_lo, s29, v55
	v_or_b32_e32 v37, v38, v37
	v_lshlrev_b16 v39, 8, v39
	v_and_b32_e32 v35, 0xffff, v35
	s_and_b32 s0, vcc_lo, s8
	s_delay_alu instid0(VALU_DEP_3) | instskip(NEXT) | instid1(VALU_DEP_3)
	v_lshlrev_b32_e32 v36, 16, v37
	v_and_b32_e32 v34, 0xffff, v39
	v_lshlrev_b32_e32 v37, 16, v33
	s_delay_alu instid0(VALU_DEP_2) | instskip(NEXT) | instid1(VALU_DEP_2)
	v_or_b32_e32 v33, v34, v36
	v_or_b32_e32 v34, v35, v37
.LBB45_54:
	s_mov_b32 s15, -1
	s_cbranch_execnz .LBB45_63
.LBB45_55:
	v_cmp_neq_f64_e64 s1, v[17:18], v[19:20]
	v_cmp_neq_f64_e64 s4, v[23:24], v[17:18]
	;; [unrolled: 1-line block ×7, first 2 shown]
	s_and_b32 vcc_lo, exec_lo, s27
	ds_store_b64 v55, v[19:20]
	s_cbranch_vccz .LBB45_59
; %bb.56:
	v_cndmask_b32_e64 v33, 0, 1, s1
	s_waitcnt vmcnt(0) lgkmcnt(2)
	v_cndmask_b32_e64 v35, 0, 1, s5
	v_cndmask_b32_e64 v37, 0, 1, s7
	;; [unrolled: 1-line block ×6, first 2 shown]
	v_lshlrev_b16 v35, 8, v35
	v_lshlrev_b16 v33, 8, v33
	;; [unrolled: 1-line block ×4, first 2 shown]
	s_waitcnt lgkmcnt(0)
	v_or_b32_e32 v35, v36, v35
	v_or_b32_e32 v33, v34, v33
	;; [unrolled: 1-line block ×4, first 2 shown]
	s_barrier
	v_and_b32_e32 v35, 0xffff, v35
	v_lshlrev_b32_e32 v33, 16, v33
	v_lshlrev_b32_e32 v37, 16, v34
	v_and_b32_e32 v36, 0xffff, v36
	buffer_gl0_inv
                                        ; implicit-def: $sgpr0
	v_or_b32_e32 v34, v35, v33
	v_or_b32_e32 v33, v36, v37
	s_and_saveexec_b32 s1, s3
	s_delay_alu instid0(SALU_CYCLE_1)
	s_xor_b32 s1, exec_lo, s1
	s_cbranch_execz .LBB45_58
; %bb.57:
	v_add_nc_u32_e32 v35, -8, v55
	s_or_b32 s15, s15, exec_lo
	ds_load_b64 v[35:36], v35
	s_waitcnt lgkmcnt(0)
	v_cmp_neq_f64_e32 vcc_lo, v[35:36], v[29:30]
	s_and_b32 s0, vcc_lo, exec_lo
.LBB45_58:
	s_or_b32 exec_lo, exec_lo, s1
	s_branch .LBB45_63
.LBB45_59:
                                        ; implicit-def: $sgpr0
                                        ; implicit-def: $vgpr34
	s_cbranch_execz .LBB45_63
; %bb.60:
	v_cmp_neq_f64_e64 s0, v[23:24], v[17:18]
	v_cmp_neq_f64_e64 s1, v[21:22], v[23:24]
	;; [unrolled: 1-line block ×4, first 2 shown]
	v_cmp_neq_f64_e32 vcc_lo, v[17:18], v[19:20]
	v_cmp_neq_f64_e64 s6, v[29:30], v[31:32]
	v_cmp_neq_f64_e64 s7, v[31:32], v[25:26]
	v_or_b32_e32 v34, 6, v55
	s_waitcnt vmcnt(0) lgkmcnt(2)
	v_or_b32_e32 v35, 5, v55
	v_or_b32_e32 v36, 4, v55
	;; [unrolled: 1-line block ×4, first 2 shown]
	v_cmp_gt_u32_e64 s9, s29, v34
	v_cmp_gt_u32_e64 s10, s29, v35
	v_or_b32_e32 v39, 1, v55
	v_cmp_gt_u32_e64 s11, s29, v36
	v_cmp_gt_u32_e64 s12, s29, v37
	v_or_b32_e32 v38, 2, v55
	v_cmp_gt_u32_e64 s8, s29, v33
	v_cmp_gt_u32_e64 s14, s29, v39
	s_waitcnt lgkmcnt(0)
	s_barrier
	v_cmp_gt_u32_e64 s13, s29, v38
	buffer_gl0_inv
	s_and_b32 s0, s9, s0
	s_delay_alu instid0(SALU_CYCLE_1)
	v_cndmask_b32_e64 v34, 0, 1, s0
	s_and_b32 s0, s10, s1
	s_and_b32 s8, s8, vcc_lo
	v_cndmask_b32_e64 v35, 0, 1, s0
	s_and_b32 s0, s11, s4
	v_cndmask_b32_e64 v33, 0, 1, s8
	v_cndmask_b32_e64 v36, 0, 1, s0
	s_and_b32 s0, s12, s5
	v_lshlrev_b16 v35, 8, v35
	v_cndmask_b32_e64 v37, 0, 1, s0
	s_and_b32 s0, s14, s6
	v_lshlrev_b16 v33, 8, v33
	;; [unrolled: 3-line block ×3, first 2 shown]
	v_cndmask_b32_e64 v39, 0, 1, s0
	v_or_b32_e32 v35, v36, v35
	v_lshlrev_b16 v38, 8, v38
	v_or_b32_e32 v33, v34, v33
                                        ; implicit-def: $sgpr0
	s_delay_alu instid0(VALU_DEP_4) | instskip(NEXT) | instid1(VALU_DEP_4)
	v_or_b32_e32 v34, v39, v37
	v_and_b32_e32 v35, 0xffff, v35
	s_delay_alu instid0(VALU_DEP_4) | instskip(NEXT) | instid1(VALU_DEP_4)
	v_or_b32_e32 v36, 1, v38
	v_lshlrev_b32_e32 v33, 16, v33
	s_delay_alu instid0(VALU_DEP_4) | instskip(NEXT) | instid1(VALU_DEP_3)
	v_lshlrev_b32_e32 v37, 16, v34
	v_and_b32_e32 v36, 0xffff, v36
	s_delay_alu instid0(VALU_DEP_3) | instskip(NEXT) | instid1(VALU_DEP_2)
	v_or_b32_e32 v34, v35, v33
	v_or_b32_e32 v33, v36, v37
	s_and_saveexec_b32 s1, s3
	s_cbranch_execz .LBB45_62
; %bb.61:
	v_add_nc_u32_e32 v35, -8, v55
	v_cmp_gt_u32_e64 s0, s29, v55
	s_or_b32 s15, s15, exec_lo
	ds_load_b64 v[35:36], v35
	s_waitcnt lgkmcnt(0)
	v_cmp_neq_f64_e32 vcc_lo, v[35:36], v[29:30]
	s_and_b32 s0, s0, vcc_lo
	s_delay_alu instid0(SALU_CYCLE_1)
	s_and_b32 s0, s0, exec_lo
.LBB45_62:
	s_or_b32 exec_lo, exec_lo, s1
.LBB45_63:
	s_and_saveexec_b32 s1, s15
	s_cbranch_execz .LBB45_65
; %bb.64:
	s_waitcnt vmcnt(0) lgkmcnt(1)
	v_and_b32_e32 v35, 0xffffff00, v33
	v_cndmask_b32_e64 v36, 0, 1, s0
	s_delay_alu instid0(VALU_DEP_1) | instskip(NEXT) | instid1(VALU_DEP_1)
	v_or_b32_e32 v35, v36, v35
	v_and_b32_e32 v35, 0xffff, v35
	s_delay_alu instid0(VALU_DEP_1)
	v_and_or_b32 v33, 0xffff0000, v33, v35
.LBB45_65:
	s_or_b32 exec_lo, exec_lo, s1
	s_delay_alu instid0(SALU_CYCLE_1)
	s_and_not1_b32 vcc_lo, exec_lo, s30
	s_cbranch_vccnz .LBB45_67
; %bb.66:
	v_cmp_gt_u32_e32 vcc_lo, s29, v55
	s_waitcnt vmcnt(0) lgkmcnt(1)
	v_or_b32_e32 v36, 1, v55
	v_and_b32_e32 v37, 0xffffff00, v34
	v_or_b32_e32 v38, 2, v55
	v_cndmask_b32_e32 v35, 0, v33, vcc_lo
	s_delay_alu instid0(VALU_DEP_4) | instskip(SKIP_1) | instid1(VALU_DEP_4)
	v_cmp_gt_u32_e32 vcc_lo, s29, v36
	v_or_b32_e32 v36, 4, v55
	v_cmp_gt_u32_e64 s0, s29, v38
	v_or_b32_e32 v38, 3, v55
	v_and_b32_e32 v35, 0xff, v35
	s_delay_alu instid0(VALU_DEP_2) | instskip(NEXT) | instid1(VALU_DEP_2)
	v_cmp_gt_u32_e64 s1, s29, v38
	v_cndmask_b32_e32 v35, v35, v33, vcc_lo
	v_cmp_gt_u32_e32 vcc_lo, s29, v36
	v_cndmask_b32_e32 v36, v37, v34, vcc_lo
	v_or_b32_e32 v37, 5, v55
	s_delay_alu instid0(VALU_DEP_2) | instskip(SKIP_1) | instid1(VALU_DEP_1)
	v_and_b32_e32 v36, 0xffff00ff, v36
	v_and_b32_e32 v35, 0xffff, v35
	v_cndmask_b32_e64 v35, v35, v33, s0
	s_delay_alu instid0(VALU_DEP_4) | instskip(SKIP_1) | instid1(VALU_DEP_3)
	v_cmp_gt_u32_e64 s0, s29, v37
	v_or_b32_e32 v37, 6, v55
	v_and_b32_e32 v35, 0xffffff, v35
	s_delay_alu instid0(VALU_DEP_3) | instskip(NEXT) | instid1(VALU_DEP_2)
	v_cndmask_b32_e64 v36, v36, v34, s0
	v_cndmask_b32_e64 v35, v35, v33, s1
	s_delay_alu instid0(VALU_DEP_1) | instskip(SKIP_2) | instid1(VALU_DEP_3)
	v_dual_cndmask_b32 v35, v35, v33 :: v_dual_and_b32 v36, 0xff00ffff, v36
	v_cmp_gt_u32_e32 vcc_lo, s29, v37
	v_or_b32_e32 v37, 7, v55
	v_cndmask_b32_e64 v35, v35, v33, s0
	s_delay_alu instid0(VALU_DEP_1) | instskip(NEXT) | instid1(VALU_DEP_1)
	v_dual_cndmask_b32 v36, v36, v34 :: v_dual_cndmask_b32 v35, v35, v33
	v_and_b32_e32 v36, 0xffffff, v36
	s_delay_alu instid0(VALU_DEP_4) | instskip(NEXT) | instid1(VALU_DEP_2)
	v_cmp_gt_u32_e32 vcc_lo, s29, v37
	v_dual_cndmask_b32 v34, v36, v34 :: v_dual_cndmask_b32 v33, v35, v33
.LBB45_67:
	s_delay_alu instid0(VALU_DEP_1) | instskip(SKIP_1) | instid1(VALU_DEP_2)
	v_and_b32_e32 v44, 0xff, v33
	s_waitcnt vmcnt(0) lgkmcnt(1)
	v_alignbit_b32 v35, v34, v33, 24
	v_bfe_u32 v46, v33, 8, 8
	v_bfe_u32 v48, v33, 16, 8
	v_and_b32_e32 v52, 0xff, v34
	v_bfe_u32 v54, v34, 8, 8
	v_and_b32_e32 v50, 0xff, v35
	v_add_nc_u32_e32 v35, v46, v44
	v_mbcnt_lo_u32_b32 v58, -1, 0
	v_bfe_u32 v57, v34, 16, 8
	v_lshrrev_b32_e32 v56, 24, v34
	v_lshrrev_b32_e32 v59, 5, v0
	v_add3_u32 v35, v35, v48, v50
	v_and_b32_e32 v36, 15, v58
	v_and_b32_e32 v37, 16, v58
	s_and_b32 vcc_lo, exec_lo, s31
	s_mov_b32 s7, -1
	v_add3_u32 v35, v35, v52, v54
	v_cmp_eq_u32_e64 s3, 0, v36
	v_cmp_lt_u32_e64 s0, 1, v36
	v_cmp_lt_u32_e64 s4, 3, v36
	;; [unrolled: 1-line block ×3, first 2 shown]
	v_add3_u32 v60, v35, v57, v56
	v_or_b32_e32 v35, 31, v0
	v_cmp_eq_u32_e64 s6, 0, v37
	s_waitcnt lgkmcnt(0)
	s_barrier
	buffer_gl0_inv
	v_cmp_eq_u32_e64 s5, v35, v0
	s_cbranch_vccz .LBB45_93
; %bb.68:
	v_mov_b32_dpp v35, v60 row_shr:1 row_mask:0xf bank_mask:0xf
	s_delay_alu instid0(VALU_DEP_1) | instskip(NEXT) | instid1(VALU_DEP_1)
	v_cndmask_b32_e64 v35, v35, 0, s3
	v_add_nc_u32_e32 v35, v35, v60
	s_delay_alu instid0(VALU_DEP_1) | instskip(NEXT) | instid1(VALU_DEP_1)
	v_mov_b32_dpp v36, v35 row_shr:2 row_mask:0xf bank_mask:0xf
	v_cndmask_b32_e64 v36, 0, v36, s0
	s_delay_alu instid0(VALU_DEP_1) | instskip(NEXT) | instid1(VALU_DEP_1)
	v_add_nc_u32_e32 v35, v35, v36
	v_mov_b32_dpp v36, v35 row_shr:4 row_mask:0xf bank_mask:0xf
	s_delay_alu instid0(VALU_DEP_1) | instskip(NEXT) | instid1(VALU_DEP_1)
	v_cndmask_b32_e64 v36, 0, v36, s4
	v_add_nc_u32_e32 v35, v35, v36
	s_delay_alu instid0(VALU_DEP_1) | instskip(NEXT) | instid1(VALU_DEP_1)
	v_mov_b32_dpp v36, v35 row_shr:8 row_mask:0xf bank_mask:0xf
	v_cndmask_b32_e64 v36, 0, v36, s1
	s_delay_alu instid0(VALU_DEP_1) | instskip(SKIP_3) | instid1(VALU_DEP_1)
	v_add_nc_u32_e32 v35, v35, v36
	ds_swizzle_b32 v36, v35 offset:swizzle(BROADCAST,32,15)
	s_waitcnt lgkmcnt(0)
	v_cndmask_b32_e64 v36, v36, 0, s6
	v_add_nc_u32_e32 v35, v35, v36
	s_and_saveexec_b32 s7, s5
	s_cbranch_execz .LBB45_70
; %bb.69:
	v_lshlrev_b32_e32 v36, 2, v59
	ds_store_b32 v36, v35
.LBB45_70:
	s_or_b32 exec_lo, exec_lo, s7
	s_delay_alu instid0(SALU_CYCLE_1)
	s_mov_b32 s7, exec_lo
	s_waitcnt lgkmcnt(0)
	s_barrier
	buffer_gl0_inv
	v_cmpx_gt_u32_e32 16, v0
	s_cbranch_execz .LBB45_72
; %bb.71:
	v_lshlrev_b32_e32 v36, 2, v0
	ds_load_b32 v37, v36
	s_waitcnt lgkmcnt(0)
	v_mov_b32_dpp v38, v37 row_shr:1 row_mask:0xf bank_mask:0xf
	s_delay_alu instid0(VALU_DEP_1) | instskip(NEXT) | instid1(VALU_DEP_1)
	v_cndmask_b32_e64 v38, v38, 0, s3
	v_add_nc_u32_e32 v37, v38, v37
	s_delay_alu instid0(VALU_DEP_1) | instskip(NEXT) | instid1(VALU_DEP_1)
	v_mov_b32_dpp v38, v37 row_shr:2 row_mask:0xf bank_mask:0xf
	v_cndmask_b32_e64 v38, 0, v38, s0
	s_delay_alu instid0(VALU_DEP_1) | instskip(NEXT) | instid1(VALU_DEP_1)
	v_add_nc_u32_e32 v37, v37, v38
	v_mov_b32_dpp v38, v37 row_shr:4 row_mask:0xf bank_mask:0xf
	s_delay_alu instid0(VALU_DEP_1) | instskip(NEXT) | instid1(VALU_DEP_1)
	v_cndmask_b32_e64 v38, 0, v38, s4
	v_add_nc_u32_e32 v37, v37, v38
	s_delay_alu instid0(VALU_DEP_1) | instskip(NEXT) | instid1(VALU_DEP_1)
	v_mov_b32_dpp v38, v37 row_shr:8 row_mask:0xf bank_mask:0xf
	v_cndmask_b32_e64 v38, 0, v38, s1
	s_delay_alu instid0(VALU_DEP_1)
	v_add_nc_u32_e32 v37, v37, v38
	ds_store_b32 v36, v37
.LBB45_72:
	s_or_b32 exec_lo, exec_lo, s7
	v_cmp_gt_u32_e32 vcc_lo, 32, v0
	s_mov_b32 s8, exec_lo
	s_waitcnt lgkmcnt(0)
	s_barrier
	buffer_gl0_inv
                                        ; implicit-def: $vgpr43
	v_cmpx_lt_u32_e32 31, v0
	s_cbranch_execz .LBB45_74
; %bb.73:
	v_lshl_add_u32 v36, v59, 2, -4
	ds_load_b32 v43, v36
	s_waitcnt lgkmcnt(0)
	v_add_nc_u32_e32 v35, v43, v35
.LBB45_74:
	s_or_b32 exec_lo, exec_lo, s8
	v_add_nc_u32_e32 v36, -1, v58
	s_delay_alu instid0(VALU_DEP_1) | instskip(NEXT) | instid1(VALU_DEP_1)
	v_cmp_gt_i32_e64 s7, 0, v36
	v_cndmask_b32_e64 v36, v36, v58, s7
	v_cmp_eq_u32_e64 s7, 0, v58
	s_delay_alu instid0(VALU_DEP_2)
	v_lshlrev_b32_e32 v36, 2, v36
	ds_bpermute_b32 v45, v36, v35
	s_and_saveexec_b32 s8, vcc_lo
	s_cbranch_execz .LBB45_92
; %bb.75:
	v_mov_b32_e32 v39, 0
	ds_load_b32 v35, v39 offset:60
	s_and_saveexec_b32 s9, s7
	s_cbranch_execz .LBB45_77
; %bb.76:
	s_add_i32 s10, s28, 32
	s_mov_b32 s11, 0
	v_mov_b32_e32 v36, 1
	s_lshl_b64 s[10:11], s[10:11], 3
	s_delay_alu instid0(SALU_CYCLE_1)
	s_add_u32 s10, s24, s10
	s_addc_u32 s11, s25, s11
	s_waitcnt lgkmcnt(0)
	global_store_b64 v39, v[35:36], s[10:11]
.LBB45_77:
	s_or_b32 exec_lo, exec_lo, s9
	v_xad_u32 v37, v58, -1, s28
	s_mov_b32 s10, 0
	s_mov_b32 s9, exec_lo
	s_delay_alu instid0(VALU_DEP_1) | instskip(NEXT) | instid1(VALU_DEP_1)
	v_add_nc_u32_e32 v38, 32, v37
	v_lshlrev_b64 v[38:39], 3, v[38:39]
	s_delay_alu instid0(VALU_DEP_1) | instskip(NEXT) | instid1(VALU_DEP_2)
	v_add_co_u32 v41, vcc_lo, s24, v38
	v_add_co_ci_u32_e32 v42, vcc_lo, s25, v39, vcc_lo
	global_load_b64 v[39:40], v[41:42], off glc
	s_waitcnt vmcnt(0)
	v_and_b32_e32 v36, 0xff, v40
	s_delay_alu instid0(VALU_DEP_1)
	v_cmpx_eq_u16_e32 0, v36
	s_cbranch_execz .LBB45_80
.LBB45_78:                              ; =>This Inner Loop Header: Depth=1
	global_load_b64 v[39:40], v[41:42], off glc
	s_waitcnt vmcnt(0)
	v_and_b32_e32 v36, 0xff, v40
	s_delay_alu instid0(VALU_DEP_1) | instskip(SKIP_1) | instid1(SALU_CYCLE_1)
	v_cmp_ne_u16_e32 vcc_lo, 0, v36
	s_or_b32 s10, vcc_lo, s10
	s_and_not1_b32 exec_lo, exec_lo, s10
	s_cbranch_execnz .LBB45_78
; %bb.79:
	s_or_b32 exec_lo, exec_lo, s10
.LBB45_80:
	s_delay_alu instid0(SALU_CYCLE_1)
	s_or_b32 exec_lo, exec_lo, s9
	v_cmp_ne_u32_e32 vcc_lo, 31, v58
	v_lshlrev_b32_e64 v49, v58, -1
	v_add_nc_u32_e32 v53, 2, v58
	v_add_nc_u32_e32 v66, 16, v58
	v_add_co_ci_u32_e32 v36, vcc_lo, 0, v58, vcc_lo
	s_delay_alu instid0(VALU_DEP_1)
	v_lshlrev_b32_e32 v47, 2, v36
	v_and_b32_e32 v36, 0xff, v40
	ds_bpermute_b32 v38, v47, v39
	v_cmp_eq_u16_e32 vcc_lo, 2, v36
	v_and_or_b32 v36, vcc_lo, v49, 0x80000000
	v_cmp_gt_u32_e32 vcc_lo, 30, v58
	s_delay_alu instid0(VALU_DEP_2) | instskip(SKIP_1) | instid1(VALU_DEP_2)
	v_ctz_i32_b32_e32 v36, v36
	v_cndmask_b32_e64 v41, 0, 1, vcc_lo
	v_cmp_lt_u32_e32 vcc_lo, v58, v36
	s_waitcnt lgkmcnt(0)
	s_delay_alu instid0(VALU_DEP_2) | instskip(NEXT) | instid1(VALU_DEP_1)
	v_dual_cndmask_b32 v38, 0, v38 :: v_dual_lshlrev_b32 v41, 1, v41
	v_add_lshl_u32 v51, v41, v58, 2
	v_cmp_gt_u32_e32 vcc_lo, 28, v58
	s_delay_alu instid0(VALU_DEP_3) | instskip(SKIP_4) | instid1(VALU_DEP_1)
	v_add_nc_u32_e32 v38, v38, v39
	v_cndmask_b32_e64 v41, 0, 1, vcc_lo
	v_cmp_le_u32_e32 vcc_lo, v53, v36
	ds_bpermute_b32 v39, v51, v38
	v_lshlrev_b32_e32 v41, 2, v41
	v_add_lshl_u32 v61, v41, v58, 2
	s_waitcnt lgkmcnt(0)
	v_cndmask_b32_e32 v39, 0, v39, vcc_lo
	v_cmp_gt_u32_e32 vcc_lo, 24, v58
	s_delay_alu instid0(VALU_DEP_2) | instskip(SKIP_4) | instid1(VALU_DEP_2)
	v_add_nc_u32_e32 v38, v38, v39
	v_cndmask_b32_e64 v41, 0, 1, vcc_lo
	ds_bpermute_b32 v39, v61, v38
	v_add_nc_u32_e32 v62, 4, v58
	v_lshlrev_b32_e32 v41, 3, v41
	v_cmp_le_u32_e32 vcc_lo, v62, v36
	s_delay_alu instid0(VALU_DEP_2) | instskip(SKIP_3) | instid1(VALU_DEP_2)
	v_add_lshl_u32 v63, v41, v58, 2
	s_waitcnt lgkmcnt(0)
	v_cndmask_b32_e32 v39, 0, v39, vcc_lo
	v_cmp_gt_u32_e32 vcc_lo, 16, v58
	v_add_nc_u32_e32 v38, v38, v39
	v_cndmask_b32_e64 v41, 0, 1, vcc_lo
	ds_bpermute_b32 v39, v63, v38
	v_add_nc_u32_e32 v64, 8, v58
	v_lshlrev_b32_e32 v41, 4, v41
	s_delay_alu instid0(VALU_DEP_2) | instskip(NEXT) | instid1(VALU_DEP_2)
	v_cmp_le_u32_e32 vcc_lo, v64, v36
	v_add_lshl_u32 v65, v41, v58, 2
	s_waitcnt lgkmcnt(0)
	v_cndmask_b32_e32 v39, 0, v39, vcc_lo
	v_cmp_le_u32_e32 vcc_lo, v66, v36
	s_delay_alu instid0(VALU_DEP_2) | instskip(SKIP_3) | instid1(VALU_DEP_1)
	v_add_nc_u32_e32 v38, v38, v39
	ds_bpermute_b32 v39, v65, v38
	s_waitcnt lgkmcnt(0)
	v_cndmask_b32_e32 v36, 0, v39, vcc_lo
	v_dual_mov_b32 v38, 0 :: v_dual_add_nc_u32 v39, v38, v36
	s_branch .LBB45_82
.LBB45_81:                              ;   in Loop: Header=BB45_82 Depth=1
	s_or_b32 exec_lo, exec_lo, s9
	ds_bpermute_b32 v42, v47, v39
	v_and_b32_e32 v41, 0xff, v40
	v_subrev_nc_u32_e32 v37, 32, v37
	s_delay_alu instid0(VALU_DEP_2) | instskip(SKIP_1) | instid1(VALU_DEP_1)
	v_cmp_eq_u16_e32 vcc_lo, 2, v41
	v_and_or_b32 v41, vcc_lo, v49, 0x80000000
	v_ctz_i32_b32_e32 v41, v41
	s_delay_alu instid0(VALU_DEP_1) | instskip(SKIP_3) | instid1(VALU_DEP_2)
	v_cmp_lt_u32_e32 vcc_lo, v58, v41
	s_waitcnt lgkmcnt(0)
	v_cndmask_b32_e32 v42, 0, v42, vcc_lo
	v_cmp_le_u32_e32 vcc_lo, v53, v41
	v_add_nc_u32_e32 v39, v42, v39
	ds_bpermute_b32 v42, v51, v39
	s_waitcnt lgkmcnt(0)
	v_cndmask_b32_e32 v42, 0, v42, vcc_lo
	v_cmp_le_u32_e32 vcc_lo, v62, v41
	s_delay_alu instid0(VALU_DEP_2) | instskip(SKIP_4) | instid1(VALU_DEP_2)
	v_add_nc_u32_e32 v39, v39, v42
	ds_bpermute_b32 v42, v61, v39
	s_waitcnt lgkmcnt(0)
	v_cndmask_b32_e32 v42, 0, v42, vcc_lo
	v_cmp_le_u32_e32 vcc_lo, v64, v41
	v_add_nc_u32_e32 v39, v39, v42
	ds_bpermute_b32 v42, v63, v39
	s_waitcnt lgkmcnt(0)
	v_cndmask_b32_e32 v42, 0, v42, vcc_lo
	v_cmp_le_u32_e32 vcc_lo, v66, v41
	s_delay_alu instid0(VALU_DEP_2) | instskip(SKIP_3) | instid1(VALU_DEP_1)
	v_add_nc_u32_e32 v39, v39, v42
	ds_bpermute_b32 v42, v65, v39
	s_waitcnt lgkmcnt(0)
	v_cndmask_b32_e32 v41, 0, v42, vcc_lo
	v_add3_u32 v39, v41, v36, v39
.LBB45_82:                              ; =>This Loop Header: Depth=1
                                        ;     Child Loop BB45_85 Depth 2
	v_and_b32_e32 v36, 0xff, v40
	s_delay_alu instid0(VALU_DEP_1) | instskip(SKIP_2) | instid1(VALU_DEP_1)
	v_cmp_ne_u16_e32 vcc_lo, 2, v36
	v_cndmask_b32_e64 v36, 0, 1, vcc_lo
	;;#ASMSTART
	;;#ASMEND
	v_cmp_ne_u32_e32 vcc_lo, 0, v36
	v_mov_b32_e32 v36, v39
	s_cmp_lg_u32 vcc_lo, exec_lo
	s_cbranch_scc1 .LBB45_87
; %bb.83:                               ;   in Loop: Header=BB45_82 Depth=1
	v_lshlrev_b64 v[39:40], 3, v[37:38]
	s_mov_b32 s9, exec_lo
	s_delay_alu instid0(VALU_DEP_1) | instskip(NEXT) | instid1(VALU_DEP_2)
	v_add_co_u32 v41, vcc_lo, s24, v39
	v_add_co_ci_u32_e32 v42, vcc_lo, s25, v40, vcc_lo
	global_load_b64 v[39:40], v[41:42], off glc
	s_waitcnt vmcnt(0)
	v_and_b32_e32 v67, 0xff, v40
	s_delay_alu instid0(VALU_DEP_1)
	v_cmpx_eq_u16_e32 0, v67
	s_cbranch_execz .LBB45_81
; %bb.84:                               ;   in Loop: Header=BB45_82 Depth=1
	s_mov_b32 s10, 0
.LBB45_85:                              ;   Parent Loop BB45_82 Depth=1
                                        ; =>  This Inner Loop Header: Depth=2
	global_load_b64 v[39:40], v[41:42], off glc
	s_waitcnt vmcnt(0)
	v_and_b32_e32 v67, 0xff, v40
	s_delay_alu instid0(VALU_DEP_1) | instskip(SKIP_1) | instid1(SALU_CYCLE_1)
	v_cmp_ne_u16_e32 vcc_lo, 0, v67
	s_or_b32 s10, vcc_lo, s10
	s_and_not1_b32 exec_lo, exec_lo, s10
	s_cbranch_execnz .LBB45_85
; %bb.86:                               ;   in Loop: Header=BB45_82 Depth=1
	s_or_b32 exec_lo, exec_lo, s10
	s_branch .LBB45_81
.LBB45_87:                              ;   in Loop: Header=BB45_82 Depth=1
                                        ; implicit-def: $vgpr39
                                        ; implicit-def: $vgpr40
	s_cbranch_execz .LBB45_82
; %bb.88:
	s_and_saveexec_b32 s9, s7
	s_cbranch_execz .LBB45_90
; %bb.89:
	s_add_i32 s10, s28, 32
	s_mov_b32 s11, 0
	v_dual_mov_b32 v38, 2 :: v_dual_add_nc_u32 v37, v36, v35
	s_lshl_b64 s[10:11], s[10:11], 3
	v_mov_b32_e32 v39, 0
	s_add_u32 s10, s24, s10
	s_addc_u32 s11, s25, s11
	global_store_b64 v39, v[37:38], s[10:11]
	ds_store_b64 v39, v[35:36] offset:33792
.LBB45_90:
	s_or_b32 exec_lo, exec_lo, s9
	s_delay_alu instid0(SALU_CYCLE_1)
	s_and_b32 exec_lo, exec_lo, s2
	s_cbranch_execz .LBB45_92
; %bb.91:
	v_mov_b32_e32 v35, 0
	ds_store_b32 v35, v36 offset:60
.LBB45_92:
	s_or_b32 exec_lo, exec_lo, s8
	v_mov_b32_e32 v35, 0
	s_waitcnt lgkmcnt(0)
	s_waitcnt_vscnt null, 0x0
	s_barrier
	buffer_gl0_inv
	v_cndmask_b32_e64 v37, v45, v43, s7
	ds_load_b32 v36, v35 offset:60
	s_waitcnt lgkmcnt(0)
	s_barrier
	buffer_gl0_inv
	v_cndmask_b32_e64 v37, v37, 0, s2
	s_delay_alu instid0(VALU_DEP_1) | instskip(SKIP_2) | instid1(VALU_DEP_1)
	v_add_nc_u32_e32 v53, v36, v37
	ds_load_b64 v[35:36], v35 offset:33792
	v_add_nc_u32_e32 v51, v53, v44
	v_add_nc_u32_e32 v49, v51, v46
	s_delay_alu instid0(VALU_DEP_1) | instskip(NEXT) | instid1(VALU_DEP_1)
	v_add_nc_u32_e32 v47, v49, v48
	v_add_nc_u32_e32 v45, v47, v50
	s_waitcnt lgkmcnt(0)
	v_readfirstlane_b32 s8, v36
	s_delay_alu instid0(VALU_DEP_2) | instskip(NEXT) | instid1(VALU_DEP_1)
	v_add_nc_u32_e32 v43, v45, v52
	v_add_nc_u32_e32 v41, v43, v54
	s_delay_alu instid0(VALU_DEP_1)
	v_add_nc_u32_e32 v39, v41, v57
	v_lshrrev_b64 v[37:38], 24, v[33:34]
	s_branch .LBB45_103
.LBB45_93:
                                        ; implicit-def: $vgpr39
                                        ; implicit-def: $vgpr41
                                        ; implicit-def: $vgpr43
                                        ; implicit-def: $vgpr45
                                        ; implicit-def: $vgpr47
                                        ; implicit-def: $vgpr49
                                        ; implicit-def: $vgpr51
                                        ; implicit-def: $vgpr53
                                        ; implicit-def: $sgpr8
                                        ; implicit-def: $vgpr35
	v_lshrrev_b64 v[37:38], 24, v[33:34]
	s_and_b32 vcc_lo, exec_lo, s7
	s_cbranch_vccz .LBB45_103
; %bb.94:
	v_mov_b32_dpp v35, v60 row_shr:1 row_mask:0xf bank_mask:0xf
	s_delay_alu instid0(VALU_DEP_1) | instskip(NEXT) | instid1(VALU_DEP_1)
	v_cndmask_b32_e64 v35, v35, 0, s3
	v_add_nc_u32_e32 v35, v35, v60
	s_delay_alu instid0(VALU_DEP_1) | instskip(NEXT) | instid1(VALU_DEP_1)
	v_mov_b32_dpp v36, v35 row_shr:2 row_mask:0xf bank_mask:0xf
	v_cndmask_b32_e64 v36, 0, v36, s0
	s_delay_alu instid0(VALU_DEP_1) | instskip(NEXT) | instid1(VALU_DEP_1)
	v_add_nc_u32_e32 v35, v35, v36
	v_mov_b32_dpp v36, v35 row_shr:4 row_mask:0xf bank_mask:0xf
	s_delay_alu instid0(VALU_DEP_1) | instskip(NEXT) | instid1(VALU_DEP_1)
	v_cndmask_b32_e64 v36, 0, v36, s4
	v_add_nc_u32_e32 v35, v35, v36
	s_delay_alu instid0(VALU_DEP_1) | instskip(NEXT) | instid1(VALU_DEP_1)
	v_mov_b32_dpp v36, v35 row_shr:8 row_mask:0xf bank_mask:0xf
	v_cndmask_b32_e64 v36, 0, v36, s1
	s_delay_alu instid0(VALU_DEP_1) | instskip(SKIP_3) | instid1(VALU_DEP_1)
	v_add_nc_u32_e32 v35, v35, v36
	ds_swizzle_b32 v36, v35 offset:swizzle(BROADCAST,32,15)
	s_waitcnt lgkmcnt(0)
	v_cndmask_b32_e64 v36, v36, 0, s6
	v_add_nc_u32_e32 v35, v35, v36
	s_and_saveexec_b32 s6, s5
	s_cbranch_execz .LBB45_96
; %bb.95:
	v_lshlrev_b32_e32 v36, 2, v59
	ds_store_b32 v36, v35
.LBB45_96:
	s_or_b32 exec_lo, exec_lo, s6
	s_delay_alu instid0(SALU_CYCLE_1)
	s_mov_b32 s5, exec_lo
	s_waitcnt lgkmcnt(0)
	s_barrier
	buffer_gl0_inv
	v_cmpx_gt_u32_e32 16, v0
	s_cbranch_execz .LBB45_98
; %bb.97:
	v_lshlrev_b32_e32 v36, 2, v0
	ds_load_b32 v38, v36
	s_waitcnt lgkmcnt(0)
	v_mov_b32_dpp v39, v38 row_shr:1 row_mask:0xf bank_mask:0xf
	s_delay_alu instid0(VALU_DEP_1) | instskip(NEXT) | instid1(VALU_DEP_1)
	v_cndmask_b32_e64 v39, v39, 0, s3
	v_add_nc_u32_e32 v38, v39, v38
	s_delay_alu instid0(VALU_DEP_1) | instskip(NEXT) | instid1(VALU_DEP_1)
	v_mov_b32_dpp v39, v38 row_shr:2 row_mask:0xf bank_mask:0xf
	v_cndmask_b32_e64 v39, 0, v39, s0
	s_delay_alu instid0(VALU_DEP_1) | instskip(NEXT) | instid1(VALU_DEP_1)
	v_add_nc_u32_e32 v38, v38, v39
	v_mov_b32_dpp v39, v38 row_shr:4 row_mask:0xf bank_mask:0xf
	s_delay_alu instid0(VALU_DEP_1) | instskip(NEXT) | instid1(VALU_DEP_1)
	v_cndmask_b32_e64 v39, 0, v39, s4
	v_add_nc_u32_e32 v38, v38, v39
	s_delay_alu instid0(VALU_DEP_1) | instskip(NEXT) | instid1(VALU_DEP_1)
	v_mov_b32_dpp v39, v38 row_shr:8 row_mask:0xf bank_mask:0xf
	v_cndmask_b32_e64 v39, 0, v39, s1
	s_delay_alu instid0(VALU_DEP_1)
	v_add_nc_u32_e32 v38, v38, v39
	ds_store_b32 v36, v38
.LBB45_98:
	s_or_b32 exec_lo, exec_lo, s5
	v_mov_b32_e32 v36, 0
	v_mov_b32_e32 v38, 0
	s_mov_b32 s0, exec_lo
	s_waitcnt lgkmcnt(0)
	s_barrier
	buffer_gl0_inv
	v_cmpx_lt_u32_e32 31, v0
	s_cbranch_execz .LBB45_100
; %bb.99:
	v_lshl_add_u32 v38, v59, 2, -4
	ds_load_b32 v38, v38
.LBB45_100:
	s_or_b32 exec_lo, exec_lo, s0
	v_add_nc_u32_e32 v39, -1, v58
	s_waitcnt lgkmcnt(0)
	v_add_nc_u32_e32 v35, v38, v35
	s_mov_b32 s8, 0
	s_delay_alu instid0(VALU_DEP_2) | instskip(SKIP_1) | instid1(VALU_DEP_1)
	v_cmp_gt_i32_e32 vcc_lo, 0, v39
	v_cndmask_b32_e32 v39, v39, v58, vcc_lo
	v_lshlrev_b32_e32 v39, 2, v39
	ds_bpermute_b32 v39, v39, v35
	ds_load_b32 v35, v36 offset:60
	s_and_saveexec_b32 s0, s2
	s_cbranch_execz .LBB45_102
; %bb.101:
	v_mov_b32_e32 v40, 0
	v_mov_b32_e32 v36, 2
	s_waitcnt lgkmcnt(0)
	global_store_b64 v40, v[35:36], s[24:25] offset:256
.LBB45_102:
	s_or_b32 exec_lo, exec_lo, s0
	v_cmp_eq_u32_e32 vcc_lo, 0, v58
	s_waitcnt lgkmcnt(0)
	s_waitcnt_vscnt null, 0x0
	s_barrier
	buffer_gl0_inv
	v_cndmask_b32_e32 v36, v39, v38, vcc_lo
	s_delay_alu instid0(VALU_DEP_1) | instskip(NEXT) | instid1(VALU_DEP_1)
	v_cndmask_b32_e64 v53, v36, 0, s2
	v_add_nc_u32_e32 v51, v53, v44
	s_delay_alu instid0(VALU_DEP_1) | instskip(NEXT) | instid1(VALU_DEP_1)
	v_add_nc_u32_e32 v49, v51, v46
	v_add_nc_u32_e32 v47, v49, v48
	s_delay_alu instid0(VALU_DEP_1) | instskip(NEXT) | instid1(VALU_DEP_1)
	v_add_nc_u32_e32 v45, v47, v50
	;; [unrolled: 3-line block ×3, first 2 shown]
	v_add_nc_u32_e32 v39, v41, v57
.LBB45_103:
	v_add_nc_u32_e32 v59, s8, v35
	v_cmp_gt_u32_e64 s0, 0x201, v35
	v_lshrrev_b32_e32 v58, 8, v33
	v_lshrrev_b32_e32 v57, 16, v33
	;; [unrolled: 1-line block ×4, first 2 shown]
	v_cmp_lt_u32_e64 s1, v53, v59
	s_and_b32 vcc_lo, exec_lo, s0
	s_mov_b32 s3, -1
	s_cbranch_vccz .LBB45_129
; %bb.104:
	s_lshl_b64 s[4:5], s[18:19], 3
	s_delay_alu instid0(SALU_CYCLE_1) | instskip(SKIP_2) | instid1(SALU_CYCLE_1)
	s_add_u32 s3, s20, s4
	s_addc_u32 s4, s21, s5
	s_or_b32 s5, s27, s1
	s_and_saveexec_b32 s1, s5
	s_cbranch_execz .LBB45_107
; %bb.105:
	v_and_b32_e32 v40, 1, v33
	s_delay_alu instid0(VALU_DEP_1)
	v_cmp_eq_u32_e32 vcc_lo, 1, v40
	s_and_b32 exec_lo, exec_lo, vcc_lo
	s_cbranch_execz .LBB45_107
; %bb.106:
	v_mov_b32_e32 v54, 0
	s_delay_alu instid0(VALU_DEP_1) | instskip(NEXT) | instid1(VALU_DEP_1)
	v_lshlrev_b64 v[60:61], 3, v[53:54]
	v_add_co_u32 v60, vcc_lo, s3, v60
	s_delay_alu instid0(VALU_DEP_2)
	v_add_co_ci_u32_e32 v61, vcc_lo, s4, v61, vcc_lo
	global_store_b64 v[60:61], v[29:30], off
.LBB45_107:
	s_or_b32 exec_lo, exec_lo, s1
	v_cmp_lt_u32_e32 vcc_lo, v51, v59
	s_or_b32 s5, s27, vcc_lo
	s_delay_alu instid0(SALU_CYCLE_1)
	s_and_saveexec_b32 s1, s5
	s_cbranch_execz .LBB45_110
; %bb.108:
	v_and_b32_e32 v40, 1, v58
	s_delay_alu instid0(VALU_DEP_1)
	v_cmp_eq_u32_e32 vcc_lo, 1, v40
	s_and_b32 exec_lo, exec_lo, vcc_lo
	s_cbranch_execz .LBB45_110
; %bb.109:
	v_mov_b32_e32 v52, 0
	s_delay_alu instid0(VALU_DEP_1) | instskip(NEXT) | instid1(VALU_DEP_1)
	v_lshlrev_b64 v[60:61], 3, v[51:52]
	v_add_co_u32 v60, vcc_lo, s3, v60
	s_delay_alu instid0(VALU_DEP_2)
	v_add_co_ci_u32_e32 v61, vcc_lo, s4, v61, vcc_lo
	global_store_b64 v[60:61], v[31:32], off
.LBB45_110:
	s_or_b32 exec_lo, exec_lo, s1
	v_cmp_lt_u32_e32 vcc_lo, v49, v59
	s_or_b32 s5, s27, vcc_lo
	s_delay_alu instid0(SALU_CYCLE_1)
	;; [unrolled: 21-line block ×7, first 2 shown]
	s_and_saveexec_b32 s1, s5
	s_cbranch_execz .LBB45_128
; %bb.126:
	v_and_b32_e32 v40, 1, v56
	s_delay_alu instid0(VALU_DEP_1)
	v_cmp_eq_u32_e32 vcc_lo, 1, v40
	s_and_b32 exec_lo, exec_lo, vcc_lo
	s_cbranch_execz .LBB45_128
; %bb.127:
	v_mov_b32_e32 v40, 0
	s_delay_alu instid0(VALU_DEP_1) | instskip(NEXT) | instid1(VALU_DEP_1)
	v_lshlrev_b64 v[60:61], 3, v[39:40]
	v_add_co_u32 v60, vcc_lo, s3, v60
	s_delay_alu instid0(VALU_DEP_2)
	v_add_co_ci_u32_e32 v61, vcc_lo, s4, v61, vcc_lo
	global_store_b64 v[60:61], v[19:20], off
.LBB45_128:
	s_or_b32 exec_lo, exec_lo, s1
	s_mov_b32 s3, 0
.LBB45_129:
	v_and_b32_e32 v33, 1, v33
	s_and_b32 vcc_lo, exec_lo, s3
	s_delay_alu instid0(VALU_DEP_1)
	v_cmp_eq_u32_e64 s1, 1, v33
	s_cbranch_vccz .LBB45_150
; %bb.130:
	s_delay_alu instid0(VALU_DEP_1)
	s_and_saveexec_b32 s3, s1
	s_cbranch_execz .LBB45_132
; %bb.131:
	v_subrev_nc_u32_e32 v40, s8, v53
	s_delay_alu instid0(VALU_DEP_1)
	v_lshlrev_b32_e32 v40, 3, v40
	ds_store_b64 v40, v[29:30]
.LBB45_132:
	s_or_b32 exec_lo, exec_lo, s3
	v_and_b32_e32 v29, 1, v58
	s_mov_b32 s1, exec_lo
	s_delay_alu instid0(VALU_DEP_1)
	v_cmpx_eq_u32_e32 1, v29
	s_cbranch_execz .LBB45_134
; %bb.133:
	v_subrev_nc_u32_e32 v29, s8, v51
	s_delay_alu instid0(VALU_DEP_1)
	v_lshlrev_b32_e32 v29, 3, v29
	ds_store_b64 v29, v[31:32]
.LBB45_134:
	s_or_b32 exec_lo, exec_lo, s1
	v_and_b32_e32 v29, 1, v57
	s_mov_b32 s1, exec_lo
	s_delay_alu instid0(VALU_DEP_1)
	v_cmpx_eq_u32_e32 1, v29
	;; [unrolled: 12-line block ×7, first 2 shown]
	s_cbranch_execz .LBB45_146
; %bb.145:
	v_subrev_nc_u32_e32 v17, s8, v39
	s_delay_alu instid0(VALU_DEP_1)
	v_lshlrev_b32_e32 v17, 3, v17
	ds_store_b64 v17, v[19:20]
.LBB45_146:
	s_or_b32 exec_lo, exec_lo, s1
	s_delay_alu instid0(SALU_CYCLE_1)
	s_mov_b32 s3, exec_lo
	s_waitcnt lgkmcnt(0)
	s_waitcnt_vscnt null, 0x0
	s_barrier
	buffer_gl0_inv
	v_cmpx_lt_u32_e64 v0, v35
	s_cbranch_execz .LBB45_149
; %bb.147:
	s_mov_b32 s9, 0
	s_lshl_b64 s[4:5], s[18:19], 3
	s_lshl_b64 s[6:7], s[8:9], 3
	v_dual_mov_b32 v19, v55 :: v_dual_mov_b32 v20, v0
	s_add_u32 s1, s4, s6
	s_addc_u32 s4, s5, s7
	s_add_u32 s1, s20, s1
	s_addc_u32 s4, s21, s4
	v_add_co_u32 v17, s1, s1, v55
	s_delay_alu instid0(VALU_DEP_1)
	v_add_co_ci_u32_e64 v18, null, s4, 0, s1
	.p2align	6
.LBB45_148:                             ; =>This Inner Loop Header: Depth=1
	ds_load_b64 v[21:22], v19
	v_add_nc_u32_e32 v20, 0x200, v20
	v_add_nc_u32_e32 v19, 0x1000, v19
	s_delay_alu instid0(VALU_DEP_2) | instskip(SKIP_4) | instid1(VALU_DEP_1)
	v_cmp_ge_u32_e32 vcc_lo, v20, v35
	s_or_b32 s9, vcc_lo, s9
	s_waitcnt lgkmcnt(0)
	global_store_b64 v[17:18], v[21:22], off
	v_add_co_u32 v17, s1, 0x1000, v17
	v_add_co_ci_u32_e64 v18, s1, 0, v18, s1
	s_and_not1_b32 exec_lo, exec_lo, s9
	s_cbranch_execnz .LBB45_148
.LBB45_149:
	s_or_b32 exec_lo, exec_lo, s3
.LBB45_150:
	s_delay_alu instid0(SALU_CYCLE_1)
	s_and_b32 vcc_lo, exec_lo, s0
	s_mov_b32 s0, -1
	s_waitcnt_vscnt null, 0x0
	s_barrier
	buffer_gl0_inv
	s_cbranch_vccz .LBB45_178
; %bb.151:
	v_cmp_lt_u32_e32 vcc_lo, v53, v59
	s_lshl_b64 s[0:1], s[18:19], 3
	s_delay_alu instid0(SALU_CYCLE_1) | instskip(SKIP_2) | instid1(SALU_CYCLE_1)
	s_add_u32 s0, s22, s0
	s_addc_u32 s1, s23, s1
	s_or_b32 s4, s27, vcc_lo
	s_and_saveexec_b32 s3, s4
	s_cbranch_execz .LBB45_154
; %bb.152:
	v_cmp_eq_u32_e32 vcc_lo, 1, v33
	s_and_b32 exec_lo, exec_lo, vcc_lo
	s_cbranch_execz .LBB45_154
; %bb.153:
	v_mov_b32_e32 v54, 0
	s_delay_alu instid0(VALU_DEP_1) | instskip(NEXT) | instid1(VALU_DEP_1)
	v_lshlrev_b64 v[17:18], 3, v[53:54]
	v_add_co_u32 v17, vcc_lo, s0, v17
	s_delay_alu instid0(VALU_DEP_2)
	v_add_co_ci_u32_e32 v18, vcc_lo, s1, v18, vcc_lo
	global_store_b64 v[17:18], v[13:14], off
.LBB45_154:
	s_or_b32 exec_lo, exec_lo, s3
	v_cmp_lt_u32_e32 vcc_lo, v51, v59
	s_or_b32 s4, s27, vcc_lo
	s_delay_alu instid0(SALU_CYCLE_1)
	s_and_saveexec_b32 s3, s4
	s_cbranch_execz .LBB45_157
; %bb.155:
	v_and_b32_e32 v17, 1, v58
	s_delay_alu instid0(VALU_DEP_1)
	v_cmp_eq_u32_e32 vcc_lo, 1, v17
	s_and_b32 exec_lo, exec_lo, vcc_lo
	s_cbranch_execz .LBB45_157
; %bb.156:
	v_mov_b32_e32 v52, 0
	s_delay_alu instid0(VALU_DEP_1) | instskip(NEXT) | instid1(VALU_DEP_1)
	v_lshlrev_b64 v[17:18], 3, v[51:52]
	v_add_co_u32 v17, vcc_lo, s0, v17
	s_delay_alu instid0(VALU_DEP_2)
	v_add_co_ci_u32_e32 v18, vcc_lo, s1, v18, vcc_lo
	global_store_b64 v[17:18], v[15:16], off
.LBB45_157:
	s_or_b32 exec_lo, exec_lo, s3
	v_cmp_lt_u32_e32 vcc_lo, v49, v59
	s_or_b32 s4, s27, vcc_lo
	s_delay_alu instid0(SALU_CYCLE_1)
	s_and_saveexec_b32 s3, s4
	s_cbranch_execz .LBB45_160
; %bb.158:
	v_and_b32_e32 v17, 1, v57
	s_delay_alu instid0(VALU_DEP_1)
	v_cmp_eq_u32_e32 vcc_lo, 1, v17
	s_and_b32 exec_lo, exec_lo, vcc_lo
	s_cbranch_execz .LBB45_160
; %bb.159:
	v_mov_b32_e32 v50, 0
	s_delay_alu instid0(VALU_DEP_1) | instskip(NEXT) | instid1(VALU_DEP_1)
	v_lshlrev_b64 v[17:18], 3, v[49:50]
	v_add_co_u32 v17, vcc_lo, s0, v17
	s_delay_alu instid0(VALU_DEP_2)
	v_add_co_ci_u32_e32 v18, vcc_lo, s1, v18, vcc_lo
	global_store_b64 v[17:18], v[9:10], off
.LBB45_160:
	;; [unrolled: 21-line block ×7, first 2 shown]
	s_or_b32 exec_lo, exec_lo, s3
.LBB45_176:
	s_and_b32 s0, s2, s26
	s_delay_alu instid0(SALU_CYCLE_1)
	s_and_saveexec_b32 s1, s0
	s_cbranch_execz .LBB45_199
.LBB45_177:
	v_add_co_u32 v0, s0, s18, v35
	s_delay_alu instid0(VALU_DEP_1) | instskip(SKIP_1) | instid1(VALU_DEP_3)
	v_add_co_ci_u32_e64 v1, null, s19, 0, s0
	v_mov_b32_e32 v2, 0
	v_add_co_u32 v0, vcc_lo, v0, s8
	s_delay_alu instid0(VALU_DEP_3)
	v_add_co_ci_u32_e32 v1, vcc_lo, 0, v1, vcc_lo
	global_store_b64 v2, v[0:1], s[16:17]
	s_nop 0
	s_sendmsg sendmsg(MSG_DEALLOC_VGPRS)
	s_endpgm
.LBB45_178:
	s_and_b32 vcc_lo, exec_lo, s0
	s_cbranch_vccz .LBB45_176
; %bb.179:
	s_mov_b32 s0, exec_lo
	v_cmpx_eq_u32_e32 1, v33
	s_cbranch_execz .LBB45_181
; %bb.180:
	v_subrev_nc_u32_e32 v17, s8, v53
	s_delay_alu instid0(VALU_DEP_1)
	v_lshlrev_b32_e32 v17, 3, v17
	ds_store_b64 v17, v[13:14]
.LBB45_181:
	s_or_b32 exec_lo, exec_lo, s0
	v_and_b32_e32 v13, 1, v58
	s_mov_b32 s0, exec_lo
	s_delay_alu instid0(VALU_DEP_1)
	v_cmpx_eq_u32_e32 1, v13
	s_cbranch_execz .LBB45_183
; %bb.182:
	v_subrev_nc_u32_e32 v13, s8, v51
	s_delay_alu instid0(VALU_DEP_1)
	v_lshlrev_b32_e32 v13, 3, v13
	ds_store_b64 v13, v[15:16]
.LBB45_183:
	s_or_b32 exec_lo, exec_lo, s0
	v_and_b32_e32 v13, 1, v57
	s_mov_b32 s0, exec_lo
	s_delay_alu instid0(VALU_DEP_1)
	;; [unrolled: 12-line block ×7, first 2 shown]
	v_cmpx_eq_u32_e32 1, v1
	s_cbranch_execz .LBB45_195
; %bb.194:
	v_subrev_nc_u32_e32 v1, s8, v39
	s_delay_alu instid0(VALU_DEP_1)
	v_lshlrev_b32_e32 v1, 3, v1
	ds_store_b64 v1, v[3:4]
.LBB45_195:
	s_or_b32 exec_lo, exec_lo, s0
	s_delay_alu instid0(SALU_CYCLE_1)
	s_mov_b32 s1, exec_lo
	s_waitcnt lgkmcnt(0)
	s_waitcnt_vscnt null, 0x0
	s_barrier
	buffer_gl0_inv
	v_cmpx_lt_u32_e64 v0, v35
	s_cbranch_execz .LBB45_198
; %bb.196:
	s_mov_b32 s9, 0
	s_lshl_b64 s[4:5], s[18:19], 3
	s_lshl_b64 s[6:7], s[8:9], 3
	s_delay_alu instid0(SALU_CYCLE_1) | instskip(SKIP_4) | instid1(VALU_DEP_1)
	s_add_u32 s0, s4, s6
	s_addc_u32 s3, s5, s7
	s_add_u32 s0, s22, s0
	s_addc_u32 s3, s23, s3
	v_add_co_u32 v1, s0, s0, v55
	v_add_co_ci_u32_e64 v2, null, s3, 0, s0
	.p2align	6
.LBB45_197:                             ; =>This Inner Loop Header: Depth=1
	ds_load_b64 v[3:4], v55
	v_add_nc_u32_e32 v0, 0x200, v0
	v_add_nc_u32_e32 v55, 0x1000, v55
	s_delay_alu instid0(VALU_DEP_2) | instskip(SKIP_4) | instid1(VALU_DEP_1)
	v_cmp_ge_u32_e32 vcc_lo, v0, v35
	s_or_b32 s9, vcc_lo, s9
	s_waitcnt lgkmcnt(0)
	global_store_b64 v[1:2], v[3:4], off
	v_add_co_u32 v1, s0, 0x1000, v1
	v_add_co_ci_u32_e64 v2, s0, 0, v2, s0
	s_and_not1_b32 exec_lo, exec_lo, s9
	s_cbranch_execnz .LBB45_197
.LBB45_198:
	s_or_b32 exec_lo, exec_lo, s1
	s_and_b32 s0, s2, s26
	s_delay_alu instid0(SALU_CYCLE_1)
	s_and_saveexec_b32 s1, s0
	s_cbranch_execnz .LBB45_177
.LBB45_199:
	s_nop 0
	s_sendmsg sendmsg(MSG_DEALLOC_VGPRS)
	s_endpgm
	.section	.rodata,"a",@progbits
	.p2align	6, 0x0
	.amdhsa_kernel _ZN7rocprim17ROCPRIM_400000_NS6detail17trampoline_kernelINS0_14default_configENS1_25partition_config_selectorILNS1_17partition_subalgoE9EddbEEZZNS1_14partition_implILS5_9ELb0ES3_jN6thrust23THRUST_200600_302600_NS6detail15normal_iteratorINS9_10device_ptrIdEEEESE_PNS0_10empty_typeENS0_5tupleIJSE_SF_EEENSH_IJSE_SG_EEENS0_18inequality_wrapperINS9_8equal_toIdEEEEPmJSF_EEE10hipError_tPvRmT3_T4_T5_T6_T7_T9_mT8_P12ihipStream_tbDpT10_ENKUlT_T0_E_clISt17integral_constantIbLb0EES17_IbLb1EEEEDaS13_S14_EUlS13_E_NS1_11comp_targetILNS1_3genE9ELNS1_11target_archE1100ELNS1_3gpuE3ELNS1_3repE0EEENS1_30default_config_static_selectorELNS0_4arch9wavefront6targetE0EEEvT1_
		.amdhsa_group_segment_fixed_size 33800
		.amdhsa_private_segment_fixed_size 0
		.amdhsa_kernarg_size 128
		.amdhsa_user_sgpr_count 15
		.amdhsa_user_sgpr_dispatch_ptr 0
		.amdhsa_user_sgpr_queue_ptr 0
		.amdhsa_user_sgpr_kernarg_segment_ptr 1
		.amdhsa_user_sgpr_dispatch_id 0
		.amdhsa_user_sgpr_private_segment_size 0
		.amdhsa_wavefront_size32 1
		.amdhsa_uses_dynamic_stack 0
		.amdhsa_enable_private_segment 0
		.amdhsa_system_sgpr_workgroup_id_x 1
		.amdhsa_system_sgpr_workgroup_id_y 0
		.amdhsa_system_sgpr_workgroup_id_z 0
		.amdhsa_system_sgpr_workgroup_info 0
		.amdhsa_system_vgpr_workitem_id 0
		.amdhsa_next_free_vgpr 68
		.amdhsa_next_free_sgpr 32
		.amdhsa_reserve_vcc 1
		.amdhsa_float_round_mode_32 0
		.amdhsa_float_round_mode_16_64 0
		.amdhsa_float_denorm_mode_32 3
		.amdhsa_float_denorm_mode_16_64 3
		.amdhsa_dx10_clamp 1
		.amdhsa_ieee_mode 1
		.amdhsa_fp16_overflow 0
		.amdhsa_workgroup_processor_mode 1
		.amdhsa_memory_ordered 1
		.amdhsa_forward_progress 0
		.amdhsa_shared_vgpr_count 0
		.amdhsa_exception_fp_ieee_invalid_op 0
		.amdhsa_exception_fp_denorm_src 0
		.amdhsa_exception_fp_ieee_div_zero 0
		.amdhsa_exception_fp_ieee_overflow 0
		.amdhsa_exception_fp_ieee_underflow 0
		.amdhsa_exception_fp_ieee_inexact 0
		.amdhsa_exception_int_div_zero 0
	.end_amdhsa_kernel
	.section	.text._ZN7rocprim17ROCPRIM_400000_NS6detail17trampoline_kernelINS0_14default_configENS1_25partition_config_selectorILNS1_17partition_subalgoE9EddbEEZZNS1_14partition_implILS5_9ELb0ES3_jN6thrust23THRUST_200600_302600_NS6detail15normal_iteratorINS9_10device_ptrIdEEEESE_PNS0_10empty_typeENS0_5tupleIJSE_SF_EEENSH_IJSE_SG_EEENS0_18inequality_wrapperINS9_8equal_toIdEEEEPmJSF_EEE10hipError_tPvRmT3_T4_T5_T6_T7_T9_mT8_P12ihipStream_tbDpT10_ENKUlT_T0_E_clISt17integral_constantIbLb0EES17_IbLb1EEEEDaS13_S14_EUlS13_E_NS1_11comp_targetILNS1_3genE9ELNS1_11target_archE1100ELNS1_3gpuE3ELNS1_3repE0EEENS1_30default_config_static_selectorELNS0_4arch9wavefront6targetE0EEEvT1_,"axG",@progbits,_ZN7rocprim17ROCPRIM_400000_NS6detail17trampoline_kernelINS0_14default_configENS1_25partition_config_selectorILNS1_17partition_subalgoE9EddbEEZZNS1_14partition_implILS5_9ELb0ES3_jN6thrust23THRUST_200600_302600_NS6detail15normal_iteratorINS9_10device_ptrIdEEEESE_PNS0_10empty_typeENS0_5tupleIJSE_SF_EEENSH_IJSE_SG_EEENS0_18inequality_wrapperINS9_8equal_toIdEEEEPmJSF_EEE10hipError_tPvRmT3_T4_T5_T6_T7_T9_mT8_P12ihipStream_tbDpT10_ENKUlT_T0_E_clISt17integral_constantIbLb0EES17_IbLb1EEEEDaS13_S14_EUlS13_E_NS1_11comp_targetILNS1_3genE9ELNS1_11target_archE1100ELNS1_3gpuE3ELNS1_3repE0EEENS1_30default_config_static_selectorELNS0_4arch9wavefront6targetE0EEEvT1_,comdat
.Lfunc_end45:
	.size	_ZN7rocprim17ROCPRIM_400000_NS6detail17trampoline_kernelINS0_14default_configENS1_25partition_config_selectorILNS1_17partition_subalgoE9EddbEEZZNS1_14partition_implILS5_9ELb0ES3_jN6thrust23THRUST_200600_302600_NS6detail15normal_iteratorINS9_10device_ptrIdEEEESE_PNS0_10empty_typeENS0_5tupleIJSE_SF_EEENSH_IJSE_SG_EEENS0_18inequality_wrapperINS9_8equal_toIdEEEEPmJSF_EEE10hipError_tPvRmT3_T4_T5_T6_T7_T9_mT8_P12ihipStream_tbDpT10_ENKUlT_T0_E_clISt17integral_constantIbLb0EES17_IbLb1EEEEDaS13_S14_EUlS13_E_NS1_11comp_targetILNS1_3genE9ELNS1_11target_archE1100ELNS1_3gpuE3ELNS1_3repE0EEENS1_30default_config_static_selectorELNS0_4arch9wavefront6targetE0EEEvT1_, .Lfunc_end45-_ZN7rocprim17ROCPRIM_400000_NS6detail17trampoline_kernelINS0_14default_configENS1_25partition_config_selectorILNS1_17partition_subalgoE9EddbEEZZNS1_14partition_implILS5_9ELb0ES3_jN6thrust23THRUST_200600_302600_NS6detail15normal_iteratorINS9_10device_ptrIdEEEESE_PNS0_10empty_typeENS0_5tupleIJSE_SF_EEENSH_IJSE_SG_EEENS0_18inequality_wrapperINS9_8equal_toIdEEEEPmJSF_EEE10hipError_tPvRmT3_T4_T5_T6_T7_T9_mT8_P12ihipStream_tbDpT10_ENKUlT_T0_E_clISt17integral_constantIbLb0EES17_IbLb1EEEEDaS13_S14_EUlS13_E_NS1_11comp_targetILNS1_3genE9ELNS1_11target_archE1100ELNS1_3gpuE3ELNS1_3repE0EEENS1_30default_config_static_selectorELNS0_4arch9wavefront6targetE0EEEvT1_
                                        ; -- End function
	.section	.AMDGPU.csdata,"",@progbits
; Kernel info:
; codeLenInByte = 9492
; NumSgprs: 34
; NumVgprs: 68
; ScratchSize: 0
; MemoryBound: 0
; FloatMode: 240
; IeeeMode: 1
; LDSByteSize: 33800 bytes/workgroup (compile time only)
; SGPRBlocks: 4
; VGPRBlocks: 8
; NumSGPRsForWavesPerEU: 34
; NumVGPRsForWavesPerEU: 68
; Occupancy: 12
; WaveLimiterHint : 1
; COMPUTE_PGM_RSRC2:SCRATCH_EN: 0
; COMPUTE_PGM_RSRC2:USER_SGPR: 15
; COMPUTE_PGM_RSRC2:TRAP_HANDLER: 0
; COMPUTE_PGM_RSRC2:TGID_X_EN: 1
; COMPUTE_PGM_RSRC2:TGID_Y_EN: 0
; COMPUTE_PGM_RSRC2:TGID_Z_EN: 0
; COMPUTE_PGM_RSRC2:TIDIG_COMP_CNT: 0
	.section	.text._ZN7rocprim17ROCPRIM_400000_NS6detail17trampoline_kernelINS0_14default_configENS1_25partition_config_selectorILNS1_17partition_subalgoE9EddbEEZZNS1_14partition_implILS5_9ELb0ES3_jN6thrust23THRUST_200600_302600_NS6detail15normal_iteratorINS9_10device_ptrIdEEEESE_PNS0_10empty_typeENS0_5tupleIJSE_SF_EEENSH_IJSE_SG_EEENS0_18inequality_wrapperINS9_8equal_toIdEEEEPmJSF_EEE10hipError_tPvRmT3_T4_T5_T6_T7_T9_mT8_P12ihipStream_tbDpT10_ENKUlT_T0_E_clISt17integral_constantIbLb0EES17_IbLb1EEEEDaS13_S14_EUlS13_E_NS1_11comp_targetILNS1_3genE8ELNS1_11target_archE1030ELNS1_3gpuE2ELNS1_3repE0EEENS1_30default_config_static_selectorELNS0_4arch9wavefront6targetE0EEEvT1_,"axG",@progbits,_ZN7rocprim17ROCPRIM_400000_NS6detail17trampoline_kernelINS0_14default_configENS1_25partition_config_selectorILNS1_17partition_subalgoE9EddbEEZZNS1_14partition_implILS5_9ELb0ES3_jN6thrust23THRUST_200600_302600_NS6detail15normal_iteratorINS9_10device_ptrIdEEEESE_PNS0_10empty_typeENS0_5tupleIJSE_SF_EEENSH_IJSE_SG_EEENS0_18inequality_wrapperINS9_8equal_toIdEEEEPmJSF_EEE10hipError_tPvRmT3_T4_T5_T6_T7_T9_mT8_P12ihipStream_tbDpT10_ENKUlT_T0_E_clISt17integral_constantIbLb0EES17_IbLb1EEEEDaS13_S14_EUlS13_E_NS1_11comp_targetILNS1_3genE8ELNS1_11target_archE1030ELNS1_3gpuE2ELNS1_3repE0EEENS1_30default_config_static_selectorELNS0_4arch9wavefront6targetE0EEEvT1_,comdat
	.protected	_ZN7rocprim17ROCPRIM_400000_NS6detail17trampoline_kernelINS0_14default_configENS1_25partition_config_selectorILNS1_17partition_subalgoE9EddbEEZZNS1_14partition_implILS5_9ELb0ES3_jN6thrust23THRUST_200600_302600_NS6detail15normal_iteratorINS9_10device_ptrIdEEEESE_PNS0_10empty_typeENS0_5tupleIJSE_SF_EEENSH_IJSE_SG_EEENS0_18inequality_wrapperINS9_8equal_toIdEEEEPmJSF_EEE10hipError_tPvRmT3_T4_T5_T6_T7_T9_mT8_P12ihipStream_tbDpT10_ENKUlT_T0_E_clISt17integral_constantIbLb0EES17_IbLb1EEEEDaS13_S14_EUlS13_E_NS1_11comp_targetILNS1_3genE8ELNS1_11target_archE1030ELNS1_3gpuE2ELNS1_3repE0EEENS1_30default_config_static_selectorELNS0_4arch9wavefront6targetE0EEEvT1_ ; -- Begin function _ZN7rocprim17ROCPRIM_400000_NS6detail17trampoline_kernelINS0_14default_configENS1_25partition_config_selectorILNS1_17partition_subalgoE9EddbEEZZNS1_14partition_implILS5_9ELb0ES3_jN6thrust23THRUST_200600_302600_NS6detail15normal_iteratorINS9_10device_ptrIdEEEESE_PNS0_10empty_typeENS0_5tupleIJSE_SF_EEENSH_IJSE_SG_EEENS0_18inequality_wrapperINS9_8equal_toIdEEEEPmJSF_EEE10hipError_tPvRmT3_T4_T5_T6_T7_T9_mT8_P12ihipStream_tbDpT10_ENKUlT_T0_E_clISt17integral_constantIbLb0EES17_IbLb1EEEEDaS13_S14_EUlS13_E_NS1_11comp_targetILNS1_3genE8ELNS1_11target_archE1030ELNS1_3gpuE2ELNS1_3repE0EEENS1_30default_config_static_selectorELNS0_4arch9wavefront6targetE0EEEvT1_
	.globl	_ZN7rocprim17ROCPRIM_400000_NS6detail17trampoline_kernelINS0_14default_configENS1_25partition_config_selectorILNS1_17partition_subalgoE9EddbEEZZNS1_14partition_implILS5_9ELb0ES3_jN6thrust23THRUST_200600_302600_NS6detail15normal_iteratorINS9_10device_ptrIdEEEESE_PNS0_10empty_typeENS0_5tupleIJSE_SF_EEENSH_IJSE_SG_EEENS0_18inequality_wrapperINS9_8equal_toIdEEEEPmJSF_EEE10hipError_tPvRmT3_T4_T5_T6_T7_T9_mT8_P12ihipStream_tbDpT10_ENKUlT_T0_E_clISt17integral_constantIbLb0EES17_IbLb1EEEEDaS13_S14_EUlS13_E_NS1_11comp_targetILNS1_3genE8ELNS1_11target_archE1030ELNS1_3gpuE2ELNS1_3repE0EEENS1_30default_config_static_selectorELNS0_4arch9wavefront6targetE0EEEvT1_
	.p2align	8
	.type	_ZN7rocprim17ROCPRIM_400000_NS6detail17trampoline_kernelINS0_14default_configENS1_25partition_config_selectorILNS1_17partition_subalgoE9EddbEEZZNS1_14partition_implILS5_9ELb0ES3_jN6thrust23THRUST_200600_302600_NS6detail15normal_iteratorINS9_10device_ptrIdEEEESE_PNS0_10empty_typeENS0_5tupleIJSE_SF_EEENSH_IJSE_SG_EEENS0_18inequality_wrapperINS9_8equal_toIdEEEEPmJSF_EEE10hipError_tPvRmT3_T4_T5_T6_T7_T9_mT8_P12ihipStream_tbDpT10_ENKUlT_T0_E_clISt17integral_constantIbLb0EES17_IbLb1EEEEDaS13_S14_EUlS13_E_NS1_11comp_targetILNS1_3genE8ELNS1_11target_archE1030ELNS1_3gpuE2ELNS1_3repE0EEENS1_30default_config_static_selectorELNS0_4arch9wavefront6targetE0EEEvT1_,@function
_ZN7rocprim17ROCPRIM_400000_NS6detail17trampoline_kernelINS0_14default_configENS1_25partition_config_selectorILNS1_17partition_subalgoE9EddbEEZZNS1_14partition_implILS5_9ELb0ES3_jN6thrust23THRUST_200600_302600_NS6detail15normal_iteratorINS9_10device_ptrIdEEEESE_PNS0_10empty_typeENS0_5tupleIJSE_SF_EEENSH_IJSE_SG_EEENS0_18inequality_wrapperINS9_8equal_toIdEEEEPmJSF_EEE10hipError_tPvRmT3_T4_T5_T6_T7_T9_mT8_P12ihipStream_tbDpT10_ENKUlT_T0_E_clISt17integral_constantIbLb0EES17_IbLb1EEEEDaS13_S14_EUlS13_E_NS1_11comp_targetILNS1_3genE8ELNS1_11target_archE1030ELNS1_3gpuE2ELNS1_3repE0EEENS1_30default_config_static_selectorELNS0_4arch9wavefront6targetE0EEEvT1_: ; @_ZN7rocprim17ROCPRIM_400000_NS6detail17trampoline_kernelINS0_14default_configENS1_25partition_config_selectorILNS1_17partition_subalgoE9EddbEEZZNS1_14partition_implILS5_9ELb0ES3_jN6thrust23THRUST_200600_302600_NS6detail15normal_iteratorINS9_10device_ptrIdEEEESE_PNS0_10empty_typeENS0_5tupleIJSE_SF_EEENSH_IJSE_SG_EEENS0_18inequality_wrapperINS9_8equal_toIdEEEEPmJSF_EEE10hipError_tPvRmT3_T4_T5_T6_T7_T9_mT8_P12ihipStream_tbDpT10_ENKUlT_T0_E_clISt17integral_constantIbLb0EES17_IbLb1EEEEDaS13_S14_EUlS13_E_NS1_11comp_targetILNS1_3genE8ELNS1_11target_archE1030ELNS1_3gpuE2ELNS1_3repE0EEENS1_30default_config_static_selectorELNS0_4arch9wavefront6targetE0EEEvT1_
; %bb.0:
	.section	.rodata,"a",@progbits
	.p2align	6, 0x0
	.amdhsa_kernel _ZN7rocprim17ROCPRIM_400000_NS6detail17trampoline_kernelINS0_14default_configENS1_25partition_config_selectorILNS1_17partition_subalgoE9EddbEEZZNS1_14partition_implILS5_9ELb0ES3_jN6thrust23THRUST_200600_302600_NS6detail15normal_iteratorINS9_10device_ptrIdEEEESE_PNS0_10empty_typeENS0_5tupleIJSE_SF_EEENSH_IJSE_SG_EEENS0_18inequality_wrapperINS9_8equal_toIdEEEEPmJSF_EEE10hipError_tPvRmT3_T4_T5_T6_T7_T9_mT8_P12ihipStream_tbDpT10_ENKUlT_T0_E_clISt17integral_constantIbLb0EES17_IbLb1EEEEDaS13_S14_EUlS13_E_NS1_11comp_targetILNS1_3genE8ELNS1_11target_archE1030ELNS1_3gpuE2ELNS1_3repE0EEENS1_30default_config_static_selectorELNS0_4arch9wavefront6targetE0EEEvT1_
		.amdhsa_group_segment_fixed_size 0
		.amdhsa_private_segment_fixed_size 0
		.amdhsa_kernarg_size 128
		.amdhsa_user_sgpr_count 15
		.amdhsa_user_sgpr_dispatch_ptr 0
		.amdhsa_user_sgpr_queue_ptr 0
		.amdhsa_user_sgpr_kernarg_segment_ptr 1
		.amdhsa_user_sgpr_dispatch_id 0
		.amdhsa_user_sgpr_private_segment_size 0
		.amdhsa_wavefront_size32 1
		.amdhsa_uses_dynamic_stack 0
		.amdhsa_enable_private_segment 0
		.amdhsa_system_sgpr_workgroup_id_x 1
		.amdhsa_system_sgpr_workgroup_id_y 0
		.amdhsa_system_sgpr_workgroup_id_z 0
		.amdhsa_system_sgpr_workgroup_info 0
		.amdhsa_system_vgpr_workitem_id 0
		.amdhsa_next_free_vgpr 1
		.amdhsa_next_free_sgpr 1
		.amdhsa_reserve_vcc 0
		.amdhsa_float_round_mode_32 0
		.amdhsa_float_round_mode_16_64 0
		.amdhsa_float_denorm_mode_32 3
		.amdhsa_float_denorm_mode_16_64 3
		.amdhsa_dx10_clamp 1
		.amdhsa_ieee_mode 1
		.amdhsa_fp16_overflow 0
		.amdhsa_workgroup_processor_mode 1
		.amdhsa_memory_ordered 1
		.amdhsa_forward_progress 0
		.amdhsa_shared_vgpr_count 0
		.amdhsa_exception_fp_ieee_invalid_op 0
		.amdhsa_exception_fp_denorm_src 0
		.amdhsa_exception_fp_ieee_div_zero 0
		.amdhsa_exception_fp_ieee_overflow 0
		.amdhsa_exception_fp_ieee_underflow 0
		.amdhsa_exception_fp_ieee_inexact 0
		.amdhsa_exception_int_div_zero 0
	.end_amdhsa_kernel
	.section	.text._ZN7rocprim17ROCPRIM_400000_NS6detail17trampoline_kernelINS0_14default_configENS1_25partition_config_selectorILNS1_17partition_subalgoE9EddbEEZZNS1_14partition_implILS5_9ELb0ES3_jN6thrust23THRUST_200600_302600_NS6detail15normal_iteratorINS9_10device_ptrIdEEEESE_PNS0_10empty_typeENS0_5tupleIJSE_SF_EEENSH_IJSE_SG_EEENS0_18inequality_wrapperINS9_8equal_toIdEEEEPmJSF_EEE10hipError_tPvRmT3_T4_T5_T6_T7_T9_mT8_P12ihipStream_tbDpT10_ENKUlT_T0_E_clISt17integral_constantIbLb0EES17_IbLb1EEEEDaS13_S14_EUlS13_E_NS1_11comp_targetILNS1_3genE8ELNS1_11target_archE1030ELNS1_3gpuE2ELNS1_3repE0EEENS1_30default_config_static_selectorELNS0_4arch9wavefront6targetE0EEEvT1_,"axG",@progbits,_ZN7rocprim17ROCPRIM_400000_NS6detail17trampoline_kernelINS0_14default_configENS1_25partition_config_selectorILNS1_17partition_subalgoE9EddbEEZZNS1_14partition_implILS5_9ELb0ES3_jN6thrust23THRUST_200600_302600_NS6detail15normal_iteratorINS9_10device_ptrIdEEEESE_PNS0_10empty_typeENS0_5tupleIJSE_SF_EEENSH_IJSE_SG_EEENS0_18inequality_wrapperINS9_8equal_toIdEEEEPmJSF_EEE10hipError_tPvRmT3_T4_T5_T6_T7_T9_mT8_P12ihipStream_tbDpT10_ENKUlT_T0_E_clISt17integral_constantIbLb0EES17_IbLb1EEEEDaS13_S14_EUlS13_E_NS1_11comp_targetILNS1_3genE8ELNS1_11target_archE1030ELNS1_3gpuE2ELNS1_3repE0EEENS1_30default_config_static_selectorELNS0_4arch9wavefront6targetE0EEEvT1_,comdat
.Lfunc_end46:
	.size	_ZN7rocprim17ROCPRIM_400000_NS6detail17trampoline_kernelINS0_14default_configENS1_25partition_config_selectorILNS1_17partition_subalgoE9EddbEEZZNS1_14partition_implILS5_9ELb0ES3_jN6thrust23THRUST_200600_302600_NS6detail15normal_iteratorINS9_10device_ptrIdEEEESE_PNS0_10empty_typeENS0_5tupleIJSE_SF_EEENSH_IJSE_SG_EEENS0_18inequality_wrapperINS9_8equal_toIdEEEEPmJSF_EEE10hipError_tPvRmT3_T4_T5_T6_T7_T9_mT8_P12ihipStream_tbDpT10_ENKUlT_T0_E_clISt17integral_constantIbLb0EES17_IbLb1EEEEDaS13_S14_EUlS13_E_NS1_11comp_targetILNS1_3genE8ELNS1_11target_archE1030ELNS1_3gpuE2ELNS1_3repE0EEENS1_30default_config_static_selectorELNS0_4arch9wavefront6targetE0EEEvT1_, .Lfunc_end46-_ZN7rocprim17ROCPRIM_400000_NS6detail17trampoline_kernelINS0_14default_configENS1_25partition_config_selectorILNS1_17partition_subalgoE9EddbEEZZNS1_14partition_implILS5_9ELb0ES3_jN6thrust23THRUST_200600_302600_NS6detail15normal_iteratorINS9_10device_ptrIdEEEESE_PNS0_10empty_typeENS0_5tupleIJSE_SF_EEENSH_IJSE_SG_EEENS0_18inequality_wrapperINS9_8equal_toIdEEEEPmJSF_EEE10hipError_tPvRmT3_T4_T5_T6_T7_T9_mT8_P12ihipStream_tbDpT10_ENKUlT_T0_E_clISt17integral_constantIbLb0EES17_IbLb1EEEEDaS13_S14_EUlS13_E_NS1_11comp_targetILNS1_3genE8ELNS1_11target_archE1030ELNS1_3gpuE2ELNS1_3repE0EEENS1_30default_config_static_selectorELNS0_4arch9wavefront6targetE0EEEvT1_
                                        ; -- End function
	.section	.AMDGPU.csdata,"",@progbits
; Kernel info:
; codeLenInByte = 0
; NumSgprs: 0
; NumVgprs: 0
; ScratchSize: 0
; MemoryBound: 0
; FloatMode: 240
; IeeeMode: 1
; LDSByteSize: 0 bytes/workgroup (compile time only)
; SGPRBlocks: 0
; VGPRBlocks: 0
; NumSGPRsForWavesPerEU: 1
; NumVGPRsForWavesPerEU: 1
; Occupancy: 16
; WaveLimiterHint : 0
; COMPUTE_PGM_RSRC2:SCRATCH_EN: 0
; COMPUTE_PGM_RSRC2:USER_SGPR: 15
; COMPUTE_PGM_RSRC2:TRAP_HANDLER: 0
; COMPUTE_PGM_RSRC2:TGID_X_EN: 1
; COMPUTE_PGM_RSRC2:TGID_Y_EN: 0
; COMPUTE_PGM_RSRC2:TGID_Z_EN: 0
; COMPUTE_PGM_RSRC2:TIDIG_COMP_CNT: 0
	.section	.text._ZN7rocprim17ROCPRIM_400000_NS6detail17trampoline_kernelINS0_14default_configENS1_25partition_config_selectorILNS1_17partition_subalgoE9EddbEEZZNS1_14partition_implILS5_9ELb0ES3_jN6thrust23THRUST_200600_302600_NS6detail15normal_iteratorINS9_10device_ptrIdEEEESE_PNS0_10empty_typeENS0_5tupleIJSE_SF_EEENSH_IJSE_SG_EEENS0_18inequality_wrapperI22is_equal_div_10_uniqueIdEEEPmJSF_EEE10hipError_tPvRmT3_T4_T5_T6_T7_T9_mT8_P12ihipStream_tbDpT10_ENKUlT_T0_E_clISt17integral_constantIbLb0EES18_EEDaS13_S14_EUlS13_E_NS1_11comp_targetILNS1_3genE0ELNS1_11target_archE4294967295ELNS1_3gpuE0ELNS1_3repE0EEENS1_30default_config_static_selectorELNS0_4arch9wavefront6targetE0EEEvT1_,"axG",@progbits,_ZN7rocprim17ROCPRIM_400000_NS6detail17trampoline_kernelINS0_14default_configENS1_25partition_config_selectorILNS1_17partition_subalgoE9EddbEEZZNS1_14partition_implILS5_9ELb0ES3_jN6thrust23THRUST_200600_302600_NS6detail15normal_iteratorINS9_10device_ptrIdEEEESE_PNS0_10empty_typeENS0_5tupleIJSE_SF_EEENSH_IJSE_SG_EEENS0_18inequality_wrapperI22is_equal_div_10_uniqueIdEEEPmJSF_EEE10hipError_tPvRmT3_T4_T5_T6_T7_T9_mT8_P12ihipStream_tbDpT10_ENKUlT_T0_E_clISt17integral_constantIbLb0EES18_EEDaS13_S14_EUlS13_E_NS1_11comp_targetILNS1_3genE0ELNS1_11target_archE4294967295ELNS1_3gpuE0ELNS1_3repE0EEENS1_30default_config_static_selectorELNS0_4arch9wavefront6targetE0EEEvT1_,comdat
	.protected	_ZN7rocprim17ROCPRIM_400000_NS6detail17trampoline_kernelINS0_14default_configENS1_25partition_config_selectorILNS1_17partition_subalgoE9EddbEEZZNS1_14partition_implILS5_9ELb0ES3_jN6thrust23THRUST_200600_302600_NS6detail15normal_iteratorINS9_10device_ptrIdEEEESE_PNS0_10empty_typeENS0_5tupleIJSE_SF_EEENSH_IJSE_SG_EEENS0_18inequality_wrapperI22is_equal_div_10_uniqueIdEEEPmJSF_EEE10hipError_tPvRmT3_T4_T5_T6_T7_T9_mT8_P12ihipStream_tbDpT10_ENKUlT_T0_E_clISt17integral_constantIbLb0EES18_EEDaS13_S14_EUlS13_E_NS1_11comp_targetILNS1_3genE0ELNS1_11target_archE4294967295ELNS1_3gpuE0ELNS1_3repE0EEENS1_30default_config_static_selectorELNS0_4arch9wavefront6targetE0EEEvT1_ ; -- Begin function _ZN7rocprim17ROCPRIM_400000_NS6detail17trampoline_kernelINS0_14default_configENS1_25partition_config_selectorILNS1_17partition_subalgoE9EddbEEZZNS1_14partition_implILS5_9ELb0ES3_jN6thrust23THRUST_200600_302600_NS6detail15normal_iteratorINS9_10device_ptrIdEEEESE_PNS0_10empty_typeENS0_5tupleIJSE_SF_EEENSH_IJSE_SG_EEENS0_18inequality_wrapperI22is_equal_div_10_uniqueIdEEEPmJSF_EEE10hipError_tPvRmT3_T4_T5_T6_T7_T9_mT8_P12ihipStream_tbDpT10_ENKUlT_T0_E_clISt17integral_constantIbLb0EES18_EEDaS13_S14_EUlS13_E_NS1_11comp_targetILNS1_3genE0ELNS1_11target_archE4294967295ELNS1_3gpuE0ELNS1_3repE0EEENS1_30default_config_static_selectorELNS0_4arch9wavefront6targetE0EEEvT1_
	.globl	_ZN7rocprim17ROCPRIM_400000_NS6detail17trampoline_kernelINS0_14default_configENS1_25partition_config_selectorILNS1_17partition_subalgoE9EddbEEZZNS1_14partition_implILS5_9ELb0ES3_jN6thrust23THRUST_200600_302600_NS6detail15normal_iteratorINS9_10device_ptrIdEEEESE_PNS0_10empty_typeENS0_5tupleIJSE_SF_EEENSH_IJSE_SG_EEENS0_18inequality_wrapperI22is_equal_div_10_uniqueIdEEEPmJSF_EEE10hipError_tPvRmT3_T4_T5_T6_T7_T9_mT8_P12ihipStream_tbDpT10_ENKUlT_T0_E_clISt17integral_constantIbLb0EES18_EEDaS13_S14_EUlS13_E_NS1_11comp_targetILNS1_3genE0ELNS1_11target_archE4294967295ELNS1_3gpuE0ELNS1_3repE0EEENS1_30default_config_static_selectorELNS0_4arch9wavefront6targetE0EEEvT1_
	.p2align	8
	.type	_ZN7rocprim17ROCPRIM_400000_NS6detail17trampoline_kernelINS0_14default_configENS1_25partition_config_selectorILNS1_17partition_subalgoE9EddbEEZZNS1_14partition_implILS5_9ELb0ES3_jN6thrust23THRUST_200600_302600_NS6detail15normal_iteratorINS9_10device_ptrIdEEEESE_PNS0_10empty_typeENS0_5tupleIJSE_SF_EEENSH_IJSE_SG_EEENS0_18inequality_wrapperI22is_equal_div_10_uniqueIdEEEPmJSF_EEE10hipError_tPvRmT3_T4_T5_T6_T7_T9_mT8_P12ihipStream_tbDpT10_ENKUlT_T0_E_clISt17integral_constantIbLb0EES18_EEDaS13_S14_EUlS13_E_NS1_11comp_targetILNS1_3genE0ELNS1_11target_archE4294967295ELNS1_3gpuE0ELNS1_3repE0EEENS1_30default_config_static_selectorELNS0_4arch9wavefront6targetE0EEEvT1_,@function
_ZN7rocprim17ROCPRIM_400000_NS6detail17trampoline_kernelINS0_14default_configENS1_25partition_config_selectorILNS1_17partition_subalgoE9EddbEEZZNS1_14partition_implILS5_9ELb0ES3_jN6thrust23THRUST_200600_302600_NS6detail15normal_iteratorINS9_10device_ptrIdEEEESE_PNS0_10empty_typeENS0_5tupleIJSE_SF_EEENSH_IJSE_SG_EEENS0_18inequality_wrapperI22is_equal_div_10_uniqueIdEEEPmJSF_EEE10hipError_tPvRmT3_T4_T5_T6_T7_T9_mT8_P12ihipStream_tbDpT10_ENKUlT_T0_E_clISt17integral_constantIbLb0EES18_EEDaS13_S14_EUlS13_E_NS1_11comp_targetILNS1_3genE0ELNS1_11target_archE4294967295ELNS1_3gpuE0ELNS1_3repE0EEENS1_30default_config_static_selectorELNS0_4arch9wavefront6targetE0EEEvT1_: ; @_ZN7rocprim17ROCPRIM_400000_NS6detail17trampoline_kernelINS0_14default_configENS1_25partition_config_selectorILNS1_17partition_subalgoE9EddbEEZZNS1_14partition_implILS5_9ELb0ES3_jN6thrust23THRUST_200600_302600_NS6detail15normal_iteratorINS9_10device_ptrIdEEEESE_PNS0_10empty_typeENS0_5tupleIJSE_SF_EEENSH_IJSE_SG_EEENS0_18inequality_wrapperI22is_equal_div_10_uniqueIdEEEPmJSF_EEE10hipError_tPvRmT3_T4_T5_T6_T7_T9_mT8_P12ihipStream_tbDpT10_ENKUlT_T0_E_clISt17integral_constantIbLb0EES18_EEDaS13_S14_EUlS13_E_NS1_11comp_targetILNS1_3genE0ELNS1_11target_archE4294967295ELNS1_3gpuE0ELNS1_3repE0EEENS1_30default_config_static_selectorELNS0_4arch9wavefront6targetE0EEEvT1_
; %bb.0:
	.section	.rodata,"a",@progbits
	.p2align	6, 0x0
	.amdhsa_kernel _ZN7rocprim17ROCPRIM_400000_NS6detail17trampoline_kernelINS0_14default_configENS1_25partition_config_selectorILNS1_17partition_subalgoE9EddbEEZZNS1_14partition_implILS5_9ELb0ES3_jN6thrust23THRUST_200600_302600_NS6detail15normal_iteratorINS9_10device_ptrIdEEEESE_PNS0_10empty_typeENS0_5tupleIJSE_SF_EEENSH_IJSE_SG_EEENS0_18inequality_wrapperI22is_equal_div_10_uniqueIdEEEPmJSF_EEE10hipError_tPvRmT3_T4_T5_T6_T7_T9_mT8_P12ihipStream_tbDpT10_ENKUlT_T0_E_clISt17integral_constantIbLb0EES18_EEDaS13_S14_EUlS13_E_NS1_11comp_targetILNS1_3genE0ELNS1_11target_archE4294967295ELNS1_3gpuE0ELNS1_3repE0EEENS1_30default_config_static_selectorELNS0_4arch9wavefront6targetE0EEEvT1_
		.amdhsa_group_segment_fixed_size 0
		.amdhsa_private_segment_fixed_size 0
		.amdhsa_kernarg_size 112
		.amdhsa_user_sgpr_count 15
		.amdhsa_user_sgpr_dispatch_ptr 0
		.amdhsa_user_sgpr_queue_ptr 0
		.amdhsa_user_sgpr_kernarg_segment_ptr 1
		.amdhsa_user_sgpr_dispatch_id 0
		.amdhsa_user_sgpr_private_segment_size 0
		.amdhsa_wavefront_size32 1
		.amdhsa_uses_dynamic_stack 0
		.amdhsa_enable_private_segment 0
		.amdhsa_system_sgpr_workgroup_id_x 1
		.amdhsa_system_sgpr_workgroup_id_y 0
		.amdhsa_system_sgpr_workgroup_id_z 0
		.amdhsa_system_sgpr_workgroup_info 0
		.amdhsa_system_vgpr_workitem_id 0
		.amdhsa_next_free_vgpr 1
		.amdhsa_next_free_sgpr 1
		.amdhsa_reserve_vcc 0
		.amdhsa_float_round_mode_32 0
		.amdhsa_float_round_mode_16_64 0
		.amdhsa_float_denorm_mode_32 3
		.amdhsa_float_denorm_mode_16_64 3
		.amdhsa_dx10_clamp 1
		.amdhsa_ieee_mode 1
		.amdhsa_fp16_overflow 0
		.amdhsa_workgroup_processor_mode 1
		.amdhsa_memory_ordered 1
		.amdhsa_forward_progress 0
		.amdhsa_shared_vgpr_count 0
		.amdhsa_exception_fp_ieee_invalid_op 0
		.amdhsa_exception_fp_denorm_src 0
		.amdhsa_exception_fp_ieee_div_zero 0
		.amdhsa_exception_fp_ieee_overflow 0
		.amdhsa_exception_fp_ieee_underflow 0
		.amdhsa_exception_fp_ieee_inexact 0
		.amdhsa_exception_int_div_zero 0
	.end_amdhsa_kernel
	.section	.text._ZN7rocprim17ROCPRIM_400000_NS6detail17trampoline_kernelINS0_14default_configENS1_25partition_config_selectorILNS1_17partition_subalgoE9EddbEEZZNS1_14partition_implILS5_9ELb0ES3_jN6thrust23THRUST_200600_302600_NS6detail15normal_iteratorINS9_10device_ptrIdEEEESE_PNS0_10empty_typeENS0_5tupleIJSE_SF_EEENSH_IJSE_SG_EEENS0_18inequality_wrapperI22is_equal_div_10_uniqueIdEEEPmJSF_EEE10hipError_tPvRmT3_T4_T5_T6_T7_T9_mT8_P12ihipStream_tbDpT10_ENKUlT_T0_E_clISt17integral_constantIbLb0EES18_EEDaS13_S14_EUlS13_E_NS1_11comp_targetILNS1_3genE0ELNS1_11target_archE4294967295ELNS1_3gpuE0ELNS1_3repE0EEENS1_30default_config_static_selectorELNS0_4arch9wavefront6targetE0EEEvT1_,"axG",@progbits,_ZN7rocprim17ROCPRIM_400000_NS6detail17trampoline_kernelINS0_14default_configENS1_25partition_config_selectorILNS1_17partition_subalgoE9EddbEEZZNS1_14partition_implILS5_9ELb0ES3_jN6thrust23THRUST_200600_302600_NS6detail15normal_iteratorINS9_10device_ptrIdEEEESE_PNS0_10empty_typeENS0_5tupleIJSE_SF_EEENSH_IJSE_SG_EEENS0_18inequality_wrapperI22is_equal_div_10_uniqueIdEEEPmJSF_EEE10hipError_tPvRmT3_T4_T5_T6_T7_T9_mT8_P12ihipStream_tbDpT10_ENKUlT_T0_E_clISt17integral_constantIbLb0EES18_EEDaS13_S14_EUlS13_E_NS1_11comp_targetILNS1_3genE0ELNS1_11target_archE4294967295ELNS1_3gpuE0ELNS1_3repE0EEENS1_30default_config_static_selectorELNS0_4arch9wavefront6targetE0EEEvT1_,comdat
.Lfunc_end47:
	.size	_ZN7rocprim17ROCPRIM_400000_NS6detail17trampoline_kernelINS0_14default_configENS1_25partition_config_selectorILNS1_17partition_subalgoE9EddbEEZZNS1_14partition_implILS5_9ELb0ES3_jN6thrust23THRUST_200600_302600_NS6detail15normal_iteratorINS9_10device_ptrIdEEEESE_PNS0_10empty_typeENS0_5tupleIJSE_SF_EEENSH_IJSE_SG_EEENS0_18inequality_wrapperI22is_equal_div_10_uniqueIdEEEPmJSF_EEE10hipError_tPvRmT3_T4_T5_T6_T7_T9_mT8_P12ihipStream_tbDpT10_ENKUlT_T0_E_clISt17integral_constantIbLb0EES18_EEDaS13_S14_EUlS13_E_NS1_11comp_targetILNS1_3genE0ELNS1_11target_archE4294967295ELNS1_3gpuE0ELNS1_3repE0EEENS1_30default_config_static_selectorELNS0_4arch9wavefront6targetE0EEEvT1_, .Lfunc_end47-_ZN7rocprim17ROCPRIM_400000_NS6detail17trampoline_kernelINS0_14default_configENS1_25partition_config_selectorILNS1_17partition_subalgoE9EddbEEZZNS1_14partition_implILS5_9ELb0ES3_jN6thrust23THRUST_200600_302600_NS6detail15normal_iteratorINS9_10device_ptrIdEEEESE_PNS0_10empty_typeENS0_5tupleIJSE_SF_EEENSH_IJSE_SG_EEENS0_18inequality_wrapperI22is_equal_div_10_uniqueIdEEEPmJSF_EEE10hipError_tPvRmT3_T4_T5_T6_T7_T9_mT8_P12ihipStream_tbDpT10_ENKUlT_T0_E_clISt17integral_constantIbLb0EES18_EEDaS13_S14_EUlS13_E_NS1_11comp_targetILNS1_3genE0ELNS1_11target_archE4294967295ELNS1_3gpuE0ELNS1_3repE0EEENS1_30default_config_static_selectorELNS0_4arch9wavefront6targetE0EEEvT1_
                                        ; -- End function
	.section	.AMDGPU.csdata,"",@progbits
; Kernel info:
; codeLenInByte = 0
; NumSgprs: 0
; NumVgprs: 0
; ScratchSize: 0
; MemoryBound: 0
; FloatMode: 240
; IeeeMode: 1
; LDSByteSize: 0 bytes/workgroup (compile time only)
; SGPRBlocks: 0
; VGPRBlocks: 0
; NumSGPRsForWavesPerEU: 1
; NumVGPRsForWavesPerEU: 1
; Occupancy: 16
; WaveLimiterHint : 0
; COMPUTE_PGM_RSRC2:SCRATCH_EN: 0
; COMPUTE_PGM_RSRC2:USER_SGPR: 15
; COMPUTE_PGM_RSRC2:TRAP_HANDLER: 0
; COMPUTE_PGM_RSRC2:TGID_X_EN: 1
; COMPUTE_PGM_RSRC2:TGID_Y_EN: 0
; COMPUTE_PGM_RSRC2:TGID_Z_EN: 0
; COMPUTE_PGM_RSRC2:TIDIG_COMP_CNT: 0
	.section	.text._ZN7rocprim17ROCPRIM_400000_NS6detail17trampoline_kernelINS0_14default_configENS1_25partition_config_selectorILNS1_17partition_subalgoE9EddbEEZZNS1_14partition_implILS5_9ELb0ES3_jN6thrust23THRUST_200600_302600_NS6detail15normal_iteratorINS9_10device_ptrIdEEEESE_PNS0_10empty_typeENS0_5tupleIJSE_SF_EEENSH_IJSE_SG_EEENS0_18inequality_wrapperI22is_equal_div_10_uniqueIdEEEPmJSF_EEE10hipError_tPvRmT3_T4_T5_T6_T7_T9_mT8_P12ihipStream_tbDpT10_ENKUlT_T0_E_clISt17integral_constantIbLb0EES18_EEDaS13_S14_EUlS13_E_NS1_11comp_targetILNS1_3genE5ELNS1_11target_archE942ELNS1_3gpuE9ELNS1_3repE0EEENS1_30default_config_static_selectorELNS0_4arch9wavefront6targetE0EEEvT1_,"axG",@progbits,_ZN7rocprim17ROCPRIM_400000_NS6detail17trampoline_kernelINS0_14default_configENS1_25partition_config_selectorILNS1_17partition_subalgoE9EddbEEZZNS1_14partition_implILS5_9ELb0ES3_jN6thrust23THRUST_200600_302600_NS6detail15normal_iteratorINS9_10device_ptrIdEEEESE_PNS0_10empty_typeENS0_5tupleIJSE_SF_EEENSH_IJSE_SG_EEENS0_18inequality_wrapperI22is_equal_div_10_uniqueIdEEEPmJSF_EEE10hipError_tPvRmT3_T4_T5_T6_T7_T9_mT8_P12ihipStream_tbDpT10_ENKUlT_T0_E_clISt17integral_constantIbLb0EES18_EEDaS13_S14_EUlS13_E_NS1_11comp_targetILNS1_3genE5ELNS1_11target_archE942ELNS1_3gpuE9ELNS1_3repE0EEENS1_30default_config_static_selectorELNS0_4arch9wavefront6targetE0EEEvT1_,comdat
	.protected	_ZN7rocprim17ROCPRIM_400000_NS6detail17trampoline_kernelINS0_14default_configENS1_25partition_config_selectorILNS1_17partition_subalgoE9EddbEEZZNS1_14partition_implILS5_9ELb0ES3_jN6thrust23THRUST_200600_302600_NS6detail15normal_iteratorINS9_10device_ptrIdEEEESE_PNS0_10empty_typeENS0_5tupleIJSE_SF_EEENSH_IJSE_SG_EEENS0_18inequality_wrapperI22is_equal_div_10_uniqueIdEEEPmJSF_EEE10hipError_tPvRmT3_T4_T5_T6_T7_T9_mT8_P12ihipStream_tbDpT10_ENKUlT_T0_E_clISt17integral_constantIbLb0EES18_EEDaS13_S14_EUlS13_E_NS1_11comp_targetILNS1_3genE5ELNS1_11target_archE942ELNS1_3gpuE9ELNS1_3repE0EEENS1_30default_config_static_selectorELNS0_4arch9wavefront6targetE0EEEvT1_ ; -- Begin function _ZN7rocprim17ROCPRIM_400000_NS6detail17trampoline_kernelINS0_14default_configENS1_25partition_config_selectorILNS1_17partition_subalgoE9EddbEEZZNS1_14partition_implILS5_9ELb0ES3_jN6thrust23THRUST_200600_302600_NS6detail15normal_iteratorINS9_10device_ptrIdEEEESE_PNS0_10empty_typeENS0_5tupleIJSE_SF_EEENSH_IJSE_SG_EEENS0_18inequality_wrapperI22is_equal_div_10_uniqueIdEEEPmJSF_EEE10hipError_tPvRmT3_T4_T5_T6_T7_T9_mT8_P12ihipStream_tbDpT10_ENKUlT_T0_E_clISt17integral_constantIbLb0EES18_EEDaS13_S14_EUlS13_E_NS1_11comp_targetILNS1_3genE5ELNS1_11target_archE942ELNS1_3gpuE9ELNS1_3repE0EEENS1_30default_config_static_selectorELNS0_4arch9wavefront6targetE0EEEvT1_
	.globl	_ZN7rocprim17ROCPRIM_400000_NS6detail17trampoline_kernelINS0_14default_configENS1_25partition_config_selectorILNS1_17partition_subalgoE9EddbEEZZNS1_14partition_implILS5_9ELb0ES3_jN6thrust23THRUST_200600_302600_NS6detail15normal_iteratorINS9_10device_ptrIdEEEESE_PNS0_10empty_typeENS0_5tupleIJSE_SF_EEENSH_IJSE_SG_EEENS0_18inequality_wrapperI22is_equal_div_10_uniqueIdEEEPmJSF_EEE10hipError_tPvRmT3_T4_T5_T6_T7_T9_mT8_P12ihipStream_tbDpT10_ENKUlT_T0_E_clISt17integral_constantIbLb0EES18_EEDaS13_S14_EUlS13_E_NS1_11comp_targetILNS1_3genE5ELNS1_11target_archE942ELNS1_3gpuE9ELNS1_3repE0EEENS1_30default_config_static_selectorELNS0_4arch9wavefront6targetE0EEEvT1_
	.p2align	8
	.type	_ZN7rocprim17ROCPRIM_400000_NS6detail17trampoline_kernelINS0_14default_configENS1_25partition_config_selectorILNS1_17partition_subalgoE9EddbEEZZNS1_14partition_implILS5_9ELb0ES3_jN6thrust23THRUST_200600_302600_NS6detail15normal_iteratorINS9_10device_ptrIdEEEESE_PNS0_10empty_typeENS0_5tupleIJSE_SF_EEENSH_IJSE_SG_EEENS0_18inequality_wrapperI22is_equal_div_10_uniqueIdEEEPmJSF_EEE10hipError_tPvRmT3_T4_T5_T6_T7_T9_mT8_P12ihipStream_tbDpT10_ENKUlT_T0_E_clISt17integral_constantIbLb0EES18_EEDaS13_S14_EUlS13_E_NS1_11comp_targetILNS1_3genE5ELNS1_11target_archE942ELNS1_3gpuE9ELNS1_3repE0EEENS1_30default_config_static_selectorELNS0_4arch9wavefront6targetE0EEEvT1_,@function
_ZN7rocprim17ROCPRIM_400000_NS6detail17trampoline_kernelINS0_14default_configENS1_25partition_config_selectorILNS1_17partition_subalgoE9EddbEEZZNS1_14partition_implILS5_9ELb0ES3_jN6thrust23THRUST_200600_302600_NS6detail15normal_iteratorINS9_10device_ptrIdEEEESE_PNS0_10empty_typeENS0_5tupleIJSE_SF_EEENSH_IJSE_SG_EEENS0_18inequality_wrapperI22is_equal_div_10_uniqueIdEEEPmJSF_EEE10hipError_tPvRmT3_T4_T5_T6_T7_T9_mT8_P12ihipStream_tbDpT10_ENKUlT_T0_E_clISt17integral_constantIbLb0EES18_EEDaS13_S14_EUlS13_E_NS1_11comp_targetILNS1_3genE5ELNS1_11target_archE942ELNS1_3gpuE9ELNS1_3repE0EEENS1_30default_config_static_selectorELNS0_4arch9wavefront6targetE0EEEvT1_: ; @_ZN7rocprim17ROCPRIM_400000_NS6detail17trampoline_kernelINS0_14default_configENS1_25partition_config_selectorILNS1_17partition_subalgoE9EddbEEZZNS1_14partition_implILS5_9ELb0ES3_jN6thrust23THRUST_200600_302600_NS6detail15normal_iteratorINS9_10device_ptrIdEEEESE_PNS0_10empty_typeENS0_5tupleIJSE_SF_EEENSH_IJSE_SG_EEENS0_18inequality_wrapperI22is_equal_div_10_uniqueIdEEEPmJSF_EEE10hipError_tPvRmT3_T4_T5_T6_T7_T9_mT8_P12ihipStream_tbDpT10_ENKUlT_T0_E_clISt17integral_constantIbLb0EES18_EEDaS13_S14_EUlS13_E_NS1_11comp_targetILNS1_3genE5ELNS1_11target_archE942ELNS1_3gpuE9ELNS1_3repE0EEENS1_30default_config_static_selectorELNS0_4arch9wavefront6targetE0EEEvT1_
; %bb.0:
	.section	.rodata,"a",@progbits
	.p2align	6, 0x0
	.amdhsa_kernel _ZN7rocprim17ROCPRIM_400000_NS6detail17trampoline_kernelINS0_14default_configENS1_25partition_config_selectorILNS1_17partition_subalgoE9EddbEEZZNS1_14partition_implILS5_9ELb0ES3_jN6thrust23THRUST_200600_302600_NS6detail15normal_iteratorINS9_10device_ptrIdEEEESE_PNS0_10empty_typeENS0_5tupleIJSE_SF_EEENSH_IJSE_SG_EEENS0_18inequality_wrapperI22is_equal_div_10_uniqueIdEEEPmJSF_EEE10hipError_tPvRmT3_T4_T5_T6_T7_T9_mT8_P12ihipStream_tbDpT10_ENKUlT_T0_E_clISt17integral_constantIbLb0EES18_EEDaS13_S14_EUlS13_E_NS1_11comp_targetILNS1_3genE5ELNS1_11target_archE942ELNS1_3gpuE9ELNS1_3repE0EEENS1_30default_config_static_selectorELNS0_4arch9wavefront6targetE0EEEvT1_
		.amdhsa_group_segment_fixed_size 0
		.amdhsa_private_segment_fixed_size 0
		.amdhsa_kernarg_size 112
		.amdhsa_user_sgpr_count 15
		.amdhsa_user_sgpr_dispatch_ptr 0
		.amdhsa_user_sgpr_queue_ptr 0
		.amdhsa_user_sgpr_kernarg_segment_ptr 1
		.amdhsa_user_sgpr_dispatch_id 0
		.amdhsa_user_sgpr_private_segment_size 0
		.amdhsa_wavefront_size32 1
		.amdhsa_uses_dynamic_stack 0
		.amdhsa_enable_private_segment 0
		.amdhsa_system_sgpr_workgroup_id_x 1
		.amdhsa_system_sgpr_workgroup_id_y 0
		.amdhsa_system_sgpr_workgroup_id_z 0
		.amdhsa_system_sgpr_workgroup_info 0
		.amdhsa_system_vgpr_workitem_id 0
		.amdhsa_next_free_vgpr 1
		.amdhsa_next_free_sgpr 1
		.amdhsa_reserve_vcc 0
		.amdhsa_float_round_mode_32 0
		.amdhsa_float_round_mode_16_64 0
		.amdhsa_float_denorm_mode_32 3
		.amdhsa_float_denorm_mode_16_64 3
		.amdhsa_dx10_clamp 1
		.amdhsa_ieee_mode 1
		.amdhsa_fp16_overflow 0
		.amdhsa_workgroup_processor_mode 1
		.amdhsa_memory_ordered 1
		.amdhsa_forward_progress 0
		.amdhsa_shared_vgpr_count 0
		.amdhsa_exception_fp_ieee_invalid_op 0
		.amdhsa_exception_fp_denorm_src 0
		.amdhsa_exception_fp_ieee_div_zero 0
		.amdhsa_exception_fp_ieee_overflow 0
		.amdhsa_exception_fp_ieee_underflow 0
		.amdhsa_exception_fp_ieee_inexact 0
		.amdhsa_exception_int_div_zero 0
	.end_amdhsa_kernel
	.section	.text._ZN7rocprim17ROCPRIM_400000_NS6detail17trampoline_kernelINS0_14default_configENS1_25partition_config_selectorILNS1_17partition_subalgoE9EddbEEZZNS1_14partition_implILS5_9ELb0ES3_jN6thrust23THRUST_200600_302600_NS6detail15normal_iteratorINS9_10device_ptrIdEEEESE_PNS0_10empty_typeENS0_5tupleIJSE_SF_EEENSH_IJSE_SG_EEENS0_18inequality_wrapperI22is_equal_div_10_uniqueIdEEEPmJSF_EEE10hipError_tPvRmT3_T4_T5_T6_T7_T9_mT8_P12ihipStream_tbDpT10_ENKUlT_T0_E_clISt17integral_constantIbLb0EES18_EEDaS13_S14_EUlS13_E_NS1_11comp_targetILNS1_3genE5ELNS1_11target_archE942ELNS1_3gpuE9ELNS1_3repE0EEENS1_30default_config_static_selectorELNS0_4arch9wavefront6targetE0EEEvT1_,"axG",@progbits,_ZN7rocprim17ROCPRIM_400000_NS6detail17trampoline_kernelINS0_14default_configENS1_25partition_config_selectorILNS1_17partition_subalgoE9EddbEEZZNS1_14partition_implILS5_9ELb0ES3_jN6thrust23THRUST_200600_302600_NS6detail15normal_iteratorINS9_10device_ptrIdEEEESE_PNS0_10empty_typeENS0_5tupleIJSE_SF_EEENSH_IJSE_SG_EEENS0_18inequality_wrapperI22is_equal_div_10_uniqueIdEEEPmJSF_EEE10hipError_tPvRmT3_T4_T5_T6_T7_T9_mT8_P12ihipStream_tbDpT10_ENKUlT_T0_E_clISt17integral_constantIbLb0EES18_EEDaS13_S14_EUlS13_E_NS1_11comp_targetILNS1_3genE5ELNS1_11target_archE942ELNS1_3gpuE9ELNS1_3repE0EEENS1_30default_config_static_selectorELNS0_4arch9wavefront6targetE0EEEvT1_,comdat
.Lfunc_end48:
	.size	_ZN7rocprim17ROCPRIM_400000_NS6detail17trampoline_kernelINS0_14default_configENS1_25partition_config_selectorILNS1_17partition_subalgoE9EddbEEZZNS1_14partition_implILS5_9ELb0ES3_jN6thrust23THRUST_200600_302600_NS6detail15normal_iteratorINS9_10device_ptrIdEEEESE_PNS0_10empty_typeENS0_5tupleIJSE_SF_EEENSH_IJSE_SG_EEENS0_18inequality_wrapperI22is_equal_div_10_uniqueIdEEEPmJSF_EEE10hipError_tPvRmT3_T4_T5_T6_T7_T9_mT8_P12ihipStream_tbDpT10_ENKUlT_T0_E_clISt17integral_constantIbLb0EES18_EEDaS13_S14_EUlS13_E_NS1_11comp_targetILNS1_3genE5ELNS1_11target_archE942ELNS1_3gpuE9ELNS1_3repE0EEENS1_30default_config_static_selectorELNS0_4arch9wavefront6targetE0EEEvT1_, .Lfunc_end48-_ZN7rocprim17ROCPRIM_400000_NS6detail17trampoline_kernelINS0_14default_configENS1_25partition_config_selectorILNS1_17partition_subalgoE9EddbEEZZNS1_14partition_implILS5_9ELb0ES3_jN6thrust23THRUST_200600_302600_NS6detail15normal_iteratorINS9_10device_ptrIdEEEESE_PNS0_10empty_typeENS0_5tupleIJSE_SF_EEENSH_IJSE_SG_EEENS0_18inequality_wrapperI22is_equal_div_10_uniqueIdEEEPmJSF_EEE10hipError_tPvRmT3_T4_T5_T6_T7_T9_mT8_P12ihipStream_tbDpT10_ENKUlT_T0_E_clISt17integral_constantIbLb0EES18_EEDaS13_S14_EUlS13_E_NS1_11comp_targetILNS1_3genE5ELNS1_11target_archE942ELNS1_3gpuE9ELNS1_3repE0EEENS1_30default_config_static_selectorELNS0_4arch9wavefront6targetE0EEEvT1_
                                        ; -- End function
	.section	.AMDGPU.csdata,"",@progbits
; Kernel info:
; codeLenInByte = 0
; NumSgprs: 0
; NumVgprs: 0
; ScratchSize: 0
; MemoryBound: 0
; FloatMode: 240
; IeeeMode: 1
; LDSByteSize: 0 bytes/workgroup (compile time only)
; SGPRBlocks: 0
; VGPRBlocks: 0
; NumSGPRsForWavesPerEU: 1
; NumVGPRsForWavesPerEU: 1
; Occupancy: 16
; WaveLimiterHint : 0
; COMPUTE_PGM_RSRC2:SCRATCH_EN: 0
; COMPUTE_PGM_RSRC2:USER_SGPR: 15
; COMPUTE_PGM_RSRC2:TRAP_HANDLER: 0
; COMPUTE_PGM_RSRC2:TGID_X_EN: 1
; COMPUTE_PGM_RSRC2:TGID_Y_EN: 0
; COMPUTE_PGM_RSRC2:TGID_Z_EN: 0
; COMPUTE_PGM_RSRC2:TIDIG_COMP_CNT: 0
	.section	.text._ZN7rocprim17ROCPRIM_400000_NS6detail17trampoline_kernelINS0_14default_configENS1_25partition_config_selectorILNS1_17partition_subalgoE9EddbEEZZNS1_14partition_implILS5_9ELb0ES3_jN6thrust23THRUST_200600_302600_NS6detail15normal_iteratorINS9_10device_ptrIdEEEESE_PNS0_10empty_typeENS0_5tupleIJSE_SF_EEENSH_IJSE_SG_EEENS0_18inequality_wrapperI22is_equal_div_10_uniqueIdEEEPmJSF_EEE10hipError_tPvRmT3_T4_T5_T6_T7_T9_mT8_P12ihipStream_tbDpT10_ENKUlT_T0_E_clISt17integral_constantIbLb0EES18_EEDaS13_S14_EUlS13_E_NS1_11comp_targetILNS1_3genE4ELNS1_11target_archE910ELNS1_3gpuE8ELNS1_3repE0EEENS1_30default_config_static_selectorELNS0_4arch9wavefront6targetE0EEEvT1_,"axG",@progbits,_ZN7rocprim17ROCPRIM_400000_NS6detail17trampoline_kernelINS0_14default_configENS1_25partition_config_selectorILNS1_17partition_subalgoE9EddbEEZZNS1_14partition_implILS5_9ELb0ES3_jN6thrust23THRUST_200600_302600_NS6detail15normal_iteratorINS9_10device_ptrIdEEEESE_PNS0_10empty_typeENS0_5tupleIJSE_SF_EEENSH_IJSE_SG_EEENS0_18inequality_wrapperI22is_equal_div_10_uniqueIdEEEPmJSF_EEE10hipError_tPvRmT3_T4_T5_T6_T7_T9_mT8_P12ihipStream_tbDpT10_ENKUlT_T0_E_clISt17integral_constantIbLb0EES18_EEDaS13_S14_EUlS13_E_NS1_11comp_targetILNS1_3genE4ELNS1_11target_archE910ELNS1_3gpuE8ELNS1_3repE0EEENS1_30default_config_static_selectorELNS0_4arch9wavefront6targetE0EEEvT1_,comdat
	.protected	_ZN7rocprim17ROCPRIM_400000_NS6detail17trampoline_kernelINS0_14default_configENS1_25partition_config_selectorILNS1_17partition_subalgoE9EddbEEZZNS1_14partition_implILS5_9ELb0ES3_jN6thrust23THRUST_200600_302600_NS6detail15normal_iteratorINS9_10device_ptrIdEEEESE_PNS0_10empty_typeENS0_5tupleIJSE_SF_EEENSH_IJSE_SG_EEENS0_18inequality_wrapperI22is_equal_div_10_uniqueIdEEEPmJSF_EEE10hipError_tPvRmT3_T4_T5_T6_T7_T9_mT8_P12ihipStream_tbDpT10_ENKUlT_T0_E_clISt17integral_constantIbLb0EES18_EEDaS13_S14_EUlS13_E_NS1_11comp_targetILNS1_3genE4ELNS1_11target_archE910ELNS1_3gpuE8ELNS1_3repE0EEENS1_30default_config_static_selectorELNS0_4arch9wavefront6targetE0EEEvT1_ ; -- Begin function _ZN7rocprim17ROCPRIM_400000_NS6detail17trampoline_kernelINS0_14default_configENS1_25partition_config_selectorILNS1_17partition_subalgoE9EddbEEZZNS1_14partition_implILS5_9ELb0ES3_jN6thrust23THRUST_200600_302600_NS6detail15normal_iteratorINS9_10device_ptrIdEEEESE_PNS0_10empty_typeENS0_5tupleIJSE_SF_EEENSH_IJSE_SG_EEENS0_18inequality_wrapperI22is_equal_div_10_uniqueIdEEEPmJSF_EEE10hipError_tPvRmT3_T4_T5_T6_T7_T9_mT8_P12ihipStream_tbDpT10_ENKUlT_T0_E_clISt17integral_constantIbLb0EES18_EEDaS13_S14_EUlS13_E_NS1_11comp_targetILNS1_3genE4ELNS1_11target_archE910ELNS1_3gpuE8ELNS1_3repE0EEENS1_30default_config_static_selectorELNS0_4arch9wavefront6targetE0EEEvT1_
	.globl	_ZN7rocprim17ROCPRIM_400000_NS6detail17trampoline_kernelINS0_14default_configENS1_25partition_config_selectorILNS1_17partition_subalgoE9EddbEEZZNS1_14partition_implILS5_9ELb0ES3_jN6thrust23THRUST_200600_302600_NS6detail15normal_iteratorINS9_10device_ptrIdEEEESE_PNS0_10empty_typeENS0_5tupleIJSE_SF_EEENSH_IJSE_SG_EEENS0_18inequality_wrapperI22is_equal_div_10_uniqueIdEEEPmJSF_EEE10hipError_tPvRmT3_T4_T5_T6_T7_T9_mT8_P12ihipStream_tbDpT10_ENKUlT_T0_E_clISt17integral_constantIbLb0EES18_EEDaS13_S14_EUlS13_E_NS1_11comp_targetILNS1_3genE4ELNS1_11target_archE910ELNS1_3gpuE8ELNS1_3repE0EEENS1_30default_config_static_selectorELNS0_4arch9wavefront6targetE0EEEvT1_
	.p2align	8
	.type	_ZN7rocprim17ROCPRIM_400000_NS6detail17trampoline_kernelINS0_14default_configENS1_25partition_config_selectorILNS1_17partition_subalgoE9EddbEEZZNS1_14partition_implILS5_9ELb0ES3_jN6thrust23THRUST_200600_302600_NS6detail15normal_iteratorINS9_10device_ptrIdEEEESE_PNS0_10empty_typeENS0_5tupleIJSE_SF_EEENSH_IJSE_SG_EEENS0_18inequality_wrapperI22is_equal_div_10_uniqueIdEEEPmJSF_EEE10hipError_tPvRmT3_T4_T5_T6_T7_T9_mT8_P12ihipStream_tbDpT10_ENKUlT_T0_E_clISt17integral_constantIbLb0EES18_EEDaS13_S14_EUlS13_E_NS1_11comp_targetILNS1_3genE4ELNS1_11target_archE910ELNS1_3gpuE8ELNS1_3repE0EEENS1_30default_config_static_selectorELNS0_4arch9wavefront6targetE0EEEvT1_,@function
_ZN7rocprim17ROCPRIM_400000_NS6detail17trampoline_kernelINS0_14default_configENS1_25partition_config_selectorILNS1_17partition_subalgoE9EddbEEZZNS1_14partition_implILS5_9ELb0ES3_jN6thrust23THRUST_200600_302600_NS6detail15normal_iteratorINS9_10device_ptrIdEEEESE_PNS0_10empty_typeENS0_5tupleIJSE_SF_EEENSH_IJSE_SG_EEENS0_18inequality_wrapperI22is_equal_div_10_uniqueIdEEEPmJSF_EEE10hipError_tPvRmT3_T4_T5_T6_T7_T9_mT8_P12ihipStream_tbDpT10_ENKUlT_T0_E_clISt17integral_constantIbLb0EES18_EEDaS13_S14_EUlS13_E_NS1_11comp_targetILNS1_3genE4ELNS1_11target_archE910ELNS1_3gpuE8ELNS1_3repE0EEENS1_30default_config_static_selectorELNS0_4arch9wavefront6targetE0EEEvT1_: ; @_ZN7rocprim17ROCPRIM_400000_NS6detail17trampoline_kernelINS0_14default_configENS1_25partition_config_selectorILNS1_17partition_subalgoE9EddbEEZZNS1_14partition_implILS5_9ELb0ES3_jN6thrust23THRUST_200600_302600_NS6detail15normal_iteratorINS9_10device_ptrIdEEEESE_PNS0_10empty_typeENS0_5tupleIJSE_SF_EEENSH_IJSE_SG_EEENS0_18inequality_wrapperI22is_equal_div_10_uniqueIdEEEPmJSF_EEE10hipError_tPvRmT3_T4_T5_T6_T7_T9_mT8_P12ihipStream_tbDpT10_ENKUlT_T0_E_clISt17integral_constantIbLb0EES18_EEDaS13_S14_EUlS13_E_NS1_11comp_targetILNS1_3genE4ELNS1_11target_archE910ELNS1_3gpuE8ELNS1_3repE0EEENS1_30default_config_static_selectorELNS0_4arch9wavefront6targetE0EEEvT1_
; %bb.0:
	.section	.rodata,"a",@progbits
	.p2align	6, 0x0
	.amdhsa_kernel _ZN7rocprim17ROCPRIM_400000_NS6detail17trampoline_kernelINS0_14default_configENS1_25partition_config_selectorILNS1_17partition_subalgoE9EddbEEZZNS1_14partition_implILS5_9ELb0ES3_jN6thrust23THRUST_200600_302600_NS6detail15normal_iteratorINS9_10device_ptrIdEEEESE_PNS0_10empty_typeENS0_5tupleIJSE_SF_EEENSH_IJSE_SG_EEENS0_18inequality_wrapperI22is_equal_div_10_uniqueIdEEEPmJSF_EEE10hipError_tPvRmT3_T4_T5_T6_T7_T9_mT8_P12ihipStream_tbDpT10_ENKUlT_T0_E_clISt17integral_constantIbLb0EES18_EEDaS13_S14_EUlS13_E_NS1_11comp_targetILNS1_3genE4ELNS1_11target_archE910ELNS1_3gpuE8ELNS1_3repE0EEENS1_30default_config_static_selectorELNS0_4arch9wavefront6targetE0EEEvT1_
		.amdhsa_group_segment_fixed_size 0
		.amdhsa_private_segment_fixed_size 0
		.amdhsa_kernarg_size 112
		.amdhsa_user_sgpr_count 15
		.amdhsa_user_sgpr_dispatch_ptr 0
		.amdhsa_user_sgpr_queue_ptr 0
		.amdhsa_user_sgpr_kernarg_segment_ptr 1
		.amdhsa_user_sgpr_dispatch_id 0
		.amdhsa_user_sgpr_private_segment_size 0
		.amdhsa_wavefront_size32 1
		.amdhsa_uses_dynamic_stack 0
		.amdhsa_enable_private_segment 0
		.amdhsa_system_sgpr_workgroup_id_x 1
		.amdhsa_system_sgpr_workgroup_id_y 0
		.amdhsa_system_sgpr_workgroup_id_z 0
		.amdhsa_system_sgpr_workgroup_info 0
		.amdhsa_system_vgpr_workitem_id 0
		.amdhsa_next_free_vgpr 1
		.amdhsa_next_free_sgpr 1
		.amdhsa_reserve_vcc 0
		.amdhsa_float_round_mode_32 0
		.amdhsa_float_round_mode_16_64 0
		.amdhsa_float_denorm_mode_32 3
		.amdhsa_float_denorm_mode_16_64 3
		.amdhsa_dx10_clamp 1
		.amdhsa_ieee_mode 1
		.amdhsa_fp16_overflow 0
		.amdhsa_workgroup_processor_mode 1
		.amdhsa_memory_ordered 1
		.amdhsa_forward_progress 0
		.amdhsa_shared_vgpr_count 0
		.amdhsa_exception_fp_ieee_invalid_op 0
		.amdhsa_exception_fp_denorm_src 0
		.amdhsa_exception_fp_ieee_div_zero 0
		.amdhsa_exception_fp_ieee_overflow 0
		.amdhsa_exception_fp_ieee_underflow 0
		.amdhsa_exception_fp_ieee_inexact 0
		.amdhsa_exception_int_div_zero 0
	.end_amdhsa_kernel
	.section	.text._ZN7rocprim17ROCPRIM_400000_NS6detail17trampoline_kernelINS0_14default_configENS1_25partition_config_selectorILNS1_17partition_subalgoE9EddbEEZZNS1_14partition_implILS5_9ELb0ES3_jN6thrust23THRUST_200600_302600_NS6detail15normal_iteratorINS9_10device_ptrIdEEEESE_PNS0_10empty_typeENS0_5tupleIJSE_SF_EEENSH_IJSE_SG_EEENS0_18inequality_wrapperI22is_equal_div_10_uniqueIdEEEPmJSF_EEE10hipError_tPvRmT3_T4_T5_T6_T7_T9_mT8_P12ihipStream_tbDpT10_ENKUlT_T0_E_clISt17integral_constantIbLb0EES18_EEDaS13_S14_EUlS13_E_NS1_11comp_targetILNS1_3genE4ELNS1_11target_archE910ELNS1_3gpuE8ELNS1_3repE0EEENS1_30default_config_static_selectorELNS0_4arch9wavefront6targetE0EEEvT1_,"axG",@progbits,_ZN7rocprim17ROCPRIM_400000_NS6detail17trampoline_kernelINS0_14default_configENS1_25partition_config_selectorILNS1_17partition_subalgoE9EddbEEZZNS1_14partition_implILS5_9ELb0ES3_jN6thrust23THRUST_200600_302600_NS6detail15normal_iteratorINS9_10device_ptrIdEEEESE_PNS0_10empty_typeENS0_5tupleIJSE_SF_EEENSH_IJSE_SG_EEENS0_18inequality_wrapperI22is_equal_div_10_uniqueIdEEEPmJSF_EEE10hipError_tPvRmT3_T4_T5_T6_T7_T9_mT8_P12ihipStream_tbDpT10_ENKUlT_T0_E_clISt17integral_constantIbLb0EES18_EEDaS13_S14_EUlS13_E_NS1_11comp_targetILNS1_3genE4ELNS1_11target_archE910ELNS1_3gpuE8ELNS1_3repE0EEENS1_30default_config_static_selectorELNS0_4arch9wavefront6targetE0EEEvT1_,comdat
.Lfunc_end49:
	.size	_ZN7rocprim17ROCPRIM_400000_NS6detail17trampoline_kernelINS0_14default_configENS1_25partition_config_selectorILNS1_17partition_subalgoE9EddbEEZZNS1_14partition_implILS5_9ELb0ES3_jN6thrust23THRUST_200600_302600_NS6detail15normal_iteratorINS9_10device_ptrIdEEEESE_PNS0_10empty_typeENS0_5tupleIJSE_SF_EEENSH_IJSE_SG_EEENS0_18inequality_wrapperI22is_equal_div_10_uniqueIdEEEPmJSF_EEE10hipError_tPvRmT3_T4_T5_T6_T7_T9_mT8_P12ihipStream_tbDpT10_ENKUlT_T0_E_clISt17integral_constantIbLb0EES18_EEDaS13_S14_EUlS13_E_NS1_11comp_targetILNS1_3genE4ELNS1_11target_archE910ELNS1_3gpuE8ELNS1_3repE0EEENS1_30default_config_static_selectorELNS0_4arch9wavefront6targetE0EEEvT1_, .Lfunc_end49-_ZN7rocprim17ROCPRIM_400000_NS6detail17trampoline_kernelINS0_14default_configENS1_25partition_config_selectorILNS1_17partition_subalgoE9EddbEEZZNS1_14partition_implILS5_9ELb0ES3_jN6thrust23THRUST_200600_302600_NS6detail15normal_iteratorINS9_10device_ptrIdEEEESE_PNS0_10empty_typeENS0_5tupleIJSE_SF_EEENSH_IJSE_SG_EEENS0_18inequality_wrapperI22is_equal_div_10_uniqueIdEEEPmJSF_EEE10hipError_tPvRmT3_T4_T5_T6_T7_T9_mT8_P12ihipStream_tbDpT10_ENKUlT_T0_E_clISt17integral_constantIbLb0EES18_EEDaS13_S14_EUlS13_E_NS1_11comp_targetILNS1_3genE4ELNS1_11target_archE910ELNS1_3gpuE8ELNS1_3repE0EEENS1_30default_config_static_selectorELNS0_4arch9wavefront6targetE0EEEvT1_
                                        ; -- End function
	.section	.AMDGPU.csdata,"",@progbits
; Kernel info:
; codeLenInByte = 0
; NumSgprs: 0
; NumVgprs: 0
; ScratchSize: 0
; MemoryBound: 0
; FloatMode: 240
; IeeeMode: 1
; LDSByteSize: 0 bytes/workgroup (compile time only)
; SGPRBlocks: 0
; VGPRBlocks: 0
; NumSGPRsForWavesPerEU: 1
; NumVGPRsForWavesPerEU: 1
; Occupancy: 16
; WaveLimiterHint : 0
; COMPUTE_PGM_RSRC2:SCRATCH_EN: 0
; COMPUTE_PGM_RSRC2:USER_SGPR: 15
; COMPUTE_PGM_RSRC2:TRAP_HANDLER: 0
; COMPUTE_PGM_RSRC2:TGID_X_EN: 1
; COMPUTE_PGM_RSRC2:TGID_Y_EN: 0
; COMPUTE_PGM_RSRC2:TGID_Z_EN: 0
; COMPUTE_PGM_RSRC2:TIDIG_COMP_CNT: 0
	.section	.text._ZN7rocprim17ROCPRIM_400000_NS6detail17trampoline_kernelINS0_14default_configENS1_25partition_config_selectorILNS1_17partition_subalgoE9EddbEEZZNS1_14partition_implILS5_9ELb0ES3_jN6thrust23THRUST_200600_302600_NS6detail15normal_iteratorINS9_10device_ptrIdEEEESE_PNS0_10empty_typeENS0_5tupleIJSE_SF_EEENSH_IJSE_SG_EEENS0_18inequality_wrapperI22is_equal_div_10_uniqueIdEEEPmJSF_EEE10hipError_tPvRmT3_T4_T5_T6_T7_T9_mT8_P12ihipStream_tbDpT10_ENKUlT_T0_E_clISt17integral_constantIbLb0EES18_EEDaS13_S14_EUlS13_E_NS1_11comp_targetILNS1_3genE3ELNS1_11target_archE908ELNS1_3gpuE7ELNS1_3repE0EEENS1_30default_config_static_selectorELNS0_4arch9wavefront6targetE0EEEvT1_,"axG",@progbits,_ZN7rocprim17ROCPRIM_400000_NS6detail17trampoline_kernelINS0_14default_configENS1_25partition_config_selectorILNS1_17partition_subalgoE9EddbEEZZNS1_14partition_implILS5_9ELb0ES3_jN6thrust23THRUST_200600_302600_NS6detail15normal_iteratorINS9_10device_ptrIdEEEESE_PNS0_10empty_typeENS0_5tupleIJSE_SF_EEENSH_IJSE_SG_EEENS0_18inequality_wrapperI22is_equal_div_10_uniqueIdEEEPmJSF_EEE10hipError_tPvRmT3_T4_T5_T6_T7_T9_mT8_P12ihipStream_tbDpT10_ENKUlT_T0_E_clISt17integral_constantIbLb0EES18_EEDaS13_S14_EUlS13_E_NS1_11comp_targetILNS1_3genE3ELNS1_11target_archE908ELNS1_3gpuE7ELNS1_3repE0EEENS1_30default_config_static_selectorELNS0_4arch9wavefront6targetE0EEEvT1_,comdat
	.protected	_ZN7rocprim17ROCPRIM_400000_NS6detail17trampoline_kernelINS0_14default_configENS1_25partition_config_selectorILNS1_17partition_subalgoE9EddbEEZZNS1_14partition_implILS5_9ELb0ES3_jN6thrust23THRUST_200600_302600_NS6detail15normal_iteratorINS9_10device_ptrIdEEEESE_PNS0_10empty_typeENS0_5tupleIJSE_SF_EEENSH_IJSE_SG_EEENS0_18inequality_wrapperI22is_equal_div_10_uniqueIdEEEPmJSF_EEE10hipError_tPvRmT3_T4_T5_T6_T7_T9_mT8_P12ihipStream_tbDpT10_ENKUlT_T0_E_clISt17integral_constantIbLb0EES18_EEDaS13_S14_EUlS13_E_NS1_11comp_targetILNS1_3genE3ELNS1_11target_archE908ELNS1_3gpuE7ELNS1_3repE0EEENS1_30default_config_static_selectorELNS0_4arch9wavefront6targetE0EEEvT1_ ; -- Begin function _ZN7rocprim17ROCPRIM_400000_NS6detail17trampoline_kernelINS0_14default_configENS1_25partition_config_selectorILNS1_17partition_subalgoE9EddbEEZZNS1_14partition_implILS5_9ELb0ES3_jN6thrust23THRUST_200600_302600_NS6detail15normal_iteratorINS9_10device_ptrIdEEEESE_PNS0_10empty_typeENS0_5tupleIJSE_SF_EEENSH_IJSE_SG_EEENS0_18inequality_wrapperI22is_equal_div_10_uniqueIdEEEPmJSF_EEE10hipError_tPvRmT3_T4_T5_T6_T7_T9_mT8_P12ihipStream_tbDpT10_ENKUlT_T0_E_clISt17integral_constantIbLb0EES18_EEDaS13_S14_EUlS13_E_NS1_11comp_targetILNS1_3genE3ELNS1_11target_archE908ELNS1_3gpuE7ELNS1_3repE0EEENS1_30default_config_static_selectorELNS0_4arch9wavefront6targetE0EEEvT1_
	.globl	_ZN7rocprim17ROCPRIM_400000_NS6detail17trampoline_kernelINS0_14default_configENS1_25partition_config_selectorILNS1_17partition_subalgoE9EddbEEZZNS1_14partition_implILS5_9ELb0ES3_jN6thrust23THRUST_200600_302600_NS6detail15normal_iteratorINS9_10device_ptrIdEEEESE_PNS0_10empty_typeENS0_5tupleIJSE_SF_EEENSH_IJSE_SG_EEENS0_18inequality_wrapperI22is_equal_div_10_uniqueIdEEEPmJSF_EEE10hipError_tPvRmT3_T4_T5_T6_T7_T9_mT8_P12ihipStream_tbDpT10_ENKUlT_T0_E_clISt17integral_constantIbLb0EES18_EEDaS13_S14_EUlS13_E_NS1_11comp_targetILNS1_3genE3ELNS1_11target_archE908ELNS1_3gpuE7ELNS1_3repE0EEENS1_30default_config_static_selectorELNS0_4arch9wavefront6targetE0EEEvT1_
	.p2align	8
	.type	_ZN7rocprim17ROCPRIM_400000_NS6detail17trampoline_kernelINS0_14default_configENS1_25partition_config_selectorILNS1_17partition_subalgoE9EddbEEZZNS1_14partition_implILS5_9ELb0ES3_jN6thrust23THRUST_200600_302600_NS6detail15normal_iteratorINS9_10device_ptrIdEEEESE_PNS0_10empty_typeENS0_5tupleIJSE_SF_EEENSH_IJSE_SG_EEENS0_18inequality_wrapperI22is_equal_div_10_uniqueIdEEEPmJSF_EEE10hipError_tPvRmT3_T4_T5_T6_T7_T9_mT8_P12ihipStream_tbDpT10_ENKUlT_T0_E_clISt17integral_constantIbLb0EES18_EEDaS13_S14_EUlS13_E_NS1_11comp_targetILNS1_3genE3ELNS1_11target_archE908ELNS1_3gpuE7ELNS1_3repE0EEENS1_30default_config_static_selectorELNS0_4arch9wavefront6targetE0EEEvT1_,@function
_ZN7rocprim17ROCPRIM_400000_NS6detail17trampoline_kernelINS0_14default_configENS1_25partition_config_selectorILNS1_17partition_subalgoE9EddbEEZZNS1_14partition_implILS5_9ELb0ES3_jN6thrust23THRUST_200600_302600_NS6detail15normal_iteratorINS9_10device_ptrIdEEEESE_PNS0_10empty_typeENS0_5tupleIJSE_SF_EEENSH_IJSE_SG_EEENS0_18inequality_wrapperI22is_equal_div_10_uniqueIdEEEPmJSF_EEE10hipError_tPvRmT3_T4_T5_T6_T7_T9_mT8_P12ihipStream_tbDpT10_ENKUlT_T0_E_clISt17integral_constantIbLb0EES18_EEDaS13_S14_EUlS13_E_NS1_11comp_targetILNS1_3genE3ELNS1_11target_archE908ELNS1_3gpuE7ELNS1_3repE0EEENS1_30default_config_static_selectorELNS0_4arch9wavefront6targetE0EEEvT1_: ; @_ZN7rocprim17ROCPRIM_400000_NS6detail17trampoline_kernelINS0_14default_configENS1_25partition_config_selectorILNS1_17partition_subalgoE9EddbEEZZNS1_14partition_implILS5_9ELb0ES3_jN6thrust23THRUST_200600_302600_NS6detail15normal_iteratorINS9_10device_ptrIdEEEESE_PNS0_10empty_typeENS0_5tupleIJSE_SF_EEENSH_IJSE_SG_EEENS0_18inequality_wrapperI22is_equal_div_10_uniqueIdEEEPmJSF_EEE10hipError_tPvRmT3_T4_T5_T6_T7_T9_mT8_P12ihipStream_tbDpT10_ENKUlT_T0_E_clISt17integral_constantIbLb0EES18_EEDaS13_S14_EUlS13_E_NS1_11comp_targetILNS1_3genE3ELNS1_11target_archE908ELNS1_3gpuE7ELNS1_3repE0EEENS1_30default_config_static_selectorELNS0_4arch9wavefront6targetE0EEEvT1_
; %bb.0:
	.section	.rodata,"a",@progbits
	.p2align	6, 0x0
	.amdhsa_kernel _ZN7rocprim17ROCPRIM_400000_NS6detail17trampoline_kernelINS0_14default_configENS1_25partition_config_selectorILNS1_17partition_subalgoE9EddbEEZZNS1_14partition_implILS5_9ELb0ES3_jN6thrust23THRUST_200600_302600_NS6detail15normal_iteratorINS9_10device_ptrIdEEEESE_PNS0_10empty_typeENS0_5tupleIJSE_SF_EEENSH_IJSE_SG_EEENS0_18inequality_wrapperI22is_equal_div_10_uniqueIdEEEPmJSF_EEE10hipError_tPvRmT3_T4_T5_T6_T7_T9_mT8_P12ihipStream_tbDpT10_ENKUlT_T0_E_clISt17integral_constantIbLb0EES18_EEDaS13_S14_EUlS13_E_NS1_11comp_targetILNS1_3genE3ELNS1_11target_archE908ELNS1_3gpuE7ELNS1_3repE0EEENS1_30default_config_static_selectorELNS0_4arch9wavefront6targetE0EEEvT1_
		.amdhsa_group_segment_fixed_size 0
		.amdhsa_private_segment_fixed_size 0
		.amdhsa_kernarg_size 112
		.amdhsa_user_sgpr_count 15
		.amdhsa_user_sgpr_dispatch_ptr 0
		.amdhsa_user_sgpr_queue_ptr 0
		.amdhsa_user_sgpr_kernarg_segment_ptr 1
		.amdhsa_user_sgpr_dispatch_id 0
		.amdhsa_user_sgpr_private_segment_size 0
		.amdhsa_wavefront_size32 1
		.amdhsa_uses_dynamic_stack 0
		.amdhsa_enable_private_segment 0
		.amdhsa_system_sgpr_workgroup_id_x 1
		.amdhsa_system_sgpr_workgroup_id_y 0
		.amdhsa_system_sgpr_workgroup_id_z 0
		.amdhsa_system_sgpr_workgroup_info 0
		.amdhsa_system_vgpr_workitem_id 0
		.amdhsa_next_free_vgpr 1
		.amdhsa_next_free_sgpr 1
		.amdhsa_reserve_vcc 0
		.amdhsa_float_round_mode_32 0
		.amdhsa_float_round_mode_16_64 0
		.amdhsa_float_denorm_mode_32 3
		.amdhsa_float_denorm_mode_16_64 3
		.amdhsa_dx10_clamp 1
		.amdhsa_ieee_mode 1
		.amdhsa_fp16_overflow 0
		.amdhsa_workgroup_processor_mode 1
		.amdhsa_memory_ordered 1
		.amdhsa_forward_progress 0
		.amdhsa_shared_vgpr_count 0
		.amdhsa_exception_fp_ieee_invalid_op 0
		.amdhsa_exception_fp_denorm_src 0
		.amdhsa_exception_fp_ieee_div_zero 0
		.amdhsa_exception_fp_ieee_overflow 0
		.amdhsa_exception_fp_ieee_underflow 0
		.amdhsa_exception_fp_ieee_inexact 0
		.amdhsa_exception_int_div_zero 0
	.end_amdhsa_kernel
	.section	.text._ZN7rocprim17ROCPRIM_400000_NS6detail17trampoline_kernelINS0_14default_configENS1_25partition_config_selectorILNS1_17partition_subalgoE9EddbEEZZNS1_14partition_implILS5_9ELb0ES3_jN6thrust23THRUST_200600_302600_NS6detail15normal_iteratorINS9_10device_ptrIdEEEESE_PNS0_10empty_typeENS0_5tupleIJSE_SF_EEENSH_IJSE_SG_EEENS0_18inequality_wrapperI22is_equal_div_10_uniqueIdEEEPmJSF_EEE10hipError_tPvRmT3_T4_T5_T6_T7_T9_mT8_P12ihipStream_tbDpT10_ENKUlT_T0_E_clISt17integral_constantIbLb0EES18_EEDaS13_S14_EUlS13_E_NS1_11comp_targetILNS1_3genE3ELNS1_11target_archE908ELNS1_3gpuE7ELNS1_3repE0EEENS1_30default_config_static_selectorELNS0_4arch9wavefront6targetE0EEEvT1_,"axG",@progbits,_ZN7rocprim17ROCPRIM_400000_NS6detail17trampoline_kernelINS0_14default_configENS1_25partition_config_selectorILNS1_17partition_subalgoE9EddbEEZZNS1_14partition_implILS5_9ELb0ES3_jN6thrust23THRUST_200600_302600_NS6detail15normal_iteratorINS9_10device_ptrIdEEEESE_PNS0_10empty_typeENS0_5tupleIJSE_SF_EEENSH_IJSE_SG_EEENS0_18inequality_wrapperI22is_equal_div_10_uniqueIdEEEPmJSF_EEE10hipError_tPvRmT3_T4_T5_T6_T7_T9_mT8_P12ihipStream_tbDpT10_ENKUlT_T0_E_clISt17integral_constantIbLb0EES18_EEDaS13_S14_EUlS13_E_NS1_11comp_targetILNS1_3genE3ELNS1_11target_archE908ELNS1_3gpuE7ELNS1_3repE0EEENS1_30default_config_static_selectorELNS0_4arch9wavefront6targetE0EEEvT1_,comdat
.Lfunc_end50:
	.size	_ZN7rocprim17ROCPRIM_400000_NS6detail17trampoline_kernelINS0_14default_configENS1_25partition_config_selectorILNS1_17partition_subalgoE9EddbEEZZNS1_14partition_implILS5_9ELb0ES3_jN6thrust23THRUST_200600_302600_NS6detail15normal_iteratorINS9_10device_ptrIdEEEESE_PNS0_10empty_typeENS0_5tupleIJSE_SF_EEENSH_IJSE_SG_EEENS0_18inequality_wrapperI22is_equal_div_10_uniqueIdEEEPmJSF_EEE10hipError_tPvRmT3_T4_T5_T6_T7_T9_mT8_P12ihipStream_tbDpT10_ENKUlT_T0_E_clISt17integral_constantIbLb0EES18_EEDaS13_S14_EUlS13_E_NS1_11comp_targetILNS1_3genE3ELNS1_11target_archE908ELNS1_3gpuE7ELNS1_3repE0EEENS1_30default_config_static_selectorELNS0_4arch9wavefront6targetE0EEEvT1_, .Lfunc_end50-_ZN7rocprim17ROCPRIM_400000_NS6detail17trampoline_kernelINS0_14default_configENS1_25partition_config_selectorILNS1_17partition_subalgoE9EddbEEZZNS1_14partition_implILS5_9ELb0ES3_jN6thrust23THRUST_200600_302600_NS6detail15normal_iteratorINS9_10device_ptrIdEEEESE_PNS0_10empty_typeENS0_5tupleIJSE_SF_EEENSH_IJSE_SG_EEENS0_18inequality_wrapperI22is_equal_div_10_uniqueIdEEEPmJSF_EEE10hipError_tPvRmT3_T4_T5_T6_T7_T9_mT8_P12ihipStream_tbDpT10_ENKUlT_T0_E_clISt17integral_constantIbLb0EES18_EEDaS13_S14_EUlS13_E_NS1_11comp_targetILNS1_3genE3ELNS1_11target_archE908ELNS1_3gpuE7ELNS1_3repE0EEENS1_30default_config_static_selectorELNS0_4arch9wavefront6targetE0EEEvT1_
                                        ; -- End function
	.section	.AMDGPU.csdata,"",@progbits
; Kernel info:
; codeLenInByte = 0
; NumSgprs: 0
; NumVgprs: 0
; ScratchSize: 0
; MemoryBound: 0
; FloatMode: 240
; IeeeMode: 1
; LDSByteSize: 0 bytes/workgroup (compile time only)
; SGPRBlocks: 0
; VGPRBlocks: 0
; NumSGPRsForWavesPerEU: 1
; NumVGPRsForWavesPerEU: 1
; Occupancy: 16
; WaveLimiterHint : 0
; COMPUTE_PGM_RSRC2:SCRATCH_EN: 0
; COMPUTE_PGM_RSRC2:USER_SGPR: 15
; COMPUTE_PGM_RSRC2:TRAP_HANDLER: 0
; COMPUTE_PGM_RSRC2:TGID_X_EN: 1
; COMPUTE_PGM_RSRC2:TGID_Y_EN: 0
; COMPUTE_PGM_RSRC2:TGID_Z_EN: 0
; COMPUTE_PGM_RSRC2:TIDIG_COMP_CNT: 0
	.section	.text._ZN7rocprim17ROCPRIM_400000_NS6detail17trampoline_kernelINS0_14default_configENS1_25partition_config_selectorILNS1_17partition_subalgoE9EddbEEZZNS1_14partition_implILS5_9ELb0ES3_jN6thrust23THRUST_200600_302600_NS6detail15normal_iteratorINS9_10device_ptrIdEEEESE_PNS0_10empty_typeENS0_5tupleIJSE_SF_EEENSH_IJSE_SG_EEENS0_18inequality_wrapperI22is_equal_div_10_uniqueIdEEEPmJSF_EEE10hipError_tPvRmT3_T4_T5_T6_T7_T9_mT8_P12ihipStream_tbDpT10_ENKUlT_T0_E_clISt17integral_constantIbLb0EES18_EEDaS13_S14_EUlS13_E_NS1_11comp_targetILNS1_3genE2ELNS1_11target_archE906ELNS1_3gpuE6ELNS1_3repE0EEENS1_30default_config_static_selectorELNS0_4arch9wavefront6targetE0EEEvT1_,"axG",@progbits,_ZN7rocprim17ROCPRIM_400000_NS6detail17trampoline_kernelINS0_14default_configENS1_25partition_config_selectorILNS1_17partition_subalgoE9EddbEEZZNS1_14partition_implILS5_9ELb0ES3_jN6thrust23THRUST_200600_302600_NS6detail15normal_iteratorINS9_10device_ptrIdEEEESE_PNS0_10empty_typeENS0_5tupleIJSE_SF_EEENSH_IJSE_SG_EEENS0_18inequality_wrapperI22is_equal_div_10_uniqueIdEEEPmJSF_EEE10hipError_tPvRmT3_T4_T5_T6_T7_T9_mT8_P12ihipStream_tbDpT10_ENKUlT_T0_E_clISt17integral_constantIbLb0EES18_EEDaS13_S14_EUlS13_E_NS1_11comp_targetILNS1_3genE2ELNS1_11target_archE906ELNS1_3gpuE6ELNS1_3repE0EEENS1_30default_config_static_selectorELNS0_4arch9wavefront6targetE0EEEvT1_,comdat
	.protected	_ZN7rocprim17ROCPRIM_400000_NS6detail17trampoline_kernelINS0_14default_configENS1_25partition_config_selectorILNS1_17partition_subalgoE9EddbEEZZNS1_14partition_implILS5_9ELb0ES3_jN6thrust23THRUST_200600_302600_NS6detail15normal_iteratorINS9_10device_ptrIdEEEESE_PNS0_10empty_typeENS0_5tupleIJSE_SF_EEENSH_IJSE_SG_EEENS0_18inequality_wrapperI22is_equal_div_10_uniqueIdEEEPmJSF_EEE10hipError_tPvRmT3_T4_T5_T6_T7_T9_mT8_P12ihipStream_tbDpT10_ENKUlT_T0_E_clISt17integral_constantIbLb0EES18_EEDaS13_S14_EUlS13_E_NS1_11comp_targetILNS1_3genE2ELNS1_11target_archE906ELNS1_3gpuE6ELNS1_3repE0EEENS1_30default_config_static_selectorELNS0_4arch9wavefront6targetE0EEEvT1_ ; -- Begin function _ZN7rocprim17ROCPRIM_400000_NS6detail17trampoline_kernelINS0_14default_configENS1_25partition_config_selectorILNS1_17partition_subalgoE9EddbEEZZNS1_14partition_implILS5_9ELb0ES3_jN6thrust23THRUST_200600_302600_NS6detail15normal_iteratorINS9_10device_ptrIdEEEESE_PNS0_10empty_typeENS0_5tupleIJSE_SF_EEENSH_IJSE_SG_EEENS0_18inequality_wrapperI22is_equal_div_10_uniqueIdEEEPmJSF_EEE10hipError_tPvRmT3_T4_T5_T6_T7_T9_mT8_P12ihipStream_tbDpT10_ENKUlT_T0_E_clISt17integral_constantIbLb0EES18_EEDaS13_S14_EUlS13_E_NS1_11comp_targetILNS1_3genE2ELNS1_11target_archE906ELNS1_3gpuE6ELNS1_3repE0EEENS1_30default_config_static_selectorELNS0_4arch9wavefront6targetE0EEEvT1_
	.globl	_ZN7rocprim17ROCPRIM_400000_NS6detail17trampoline_kernelINS0_14default_configENS1_25partition_config_selectorILNS1_17partition_subalgoE9EddbEEZZNS1_14partition_implILS5_9ELb0ES3_jN6thrust23THRUST_200600_302600_NS6detail15normal_iteratorINS9_10device_ptrIdEEEESE_PNS0_10empty_typeENS0_5tupleIJSE_SF_EEENSH_IJSE_SG_EEENS0_18inequality_wrapperI22is_equal_div_10_uniqueIdEEEPmJSF_EEE10hipError_tPvRmT3_T4_T5_T6_T7_T9_mT8_P12ihipStream_tbDpT10_ENKUlT_T0_E_clISt17integral_constantIbLb0EES18_EEDaS13_S14_EUlS13_E_NS1_11comp_targetILNS1_3genE2ELNS1_11target_archE906ELNS1_3gpuE6ELNS1_3repE0EEENS1_30default_config_static_selectorELNS0_4arch9wavefront6targetE0EEEvT1_
	.p2align	8
	.type	_ZN7rocprim17ROCPRIM_400000_NS6detail17trampoline_kernelINS0_14default_configENS1_25partition_config_selectorILNS1_17partition_subalgoE9EddbEEZZNS1_14partition_implILS5_9ELb0ES3_jN6thrust23THRUST_200600_302600_NS6detail15normal_iteratorINS9_10device_ptrIdEEEESE_PNS0_10empty_typeENS0_5tupleIJSE_SF_EEENSH_IJSE_SG_EEENS0_18inequality_wrapperI22is_equal_div_10_uniqueIdEEEPmJSF_EEE10hipError_tPvRmT3_T4_T5_T6_T7_T9_mT8_P12ihipStream_tbDpT10_ENKUlT_T0_E_clISt17integral_constantIbLb0EES18_EEDaS13_S14_EUlS13_E_NS1_11comp_targetILNS1_3genE2ELNS1_11target_archE906ELNS1_3gpuE6ELNS1_3repE0EEENS1_30default_config_static_selectorELNS0_4arch9wavefront6targetE0EEEvT1_,@function
_ZN7rocprim17ROCPRIM_400000_NS6detail17trampoline_kernelINS0_14default_configENS1_25partition_config_selectorILNS1_17partition_subalgoE9EddbEEZZNS1_14partition_implILS5_9ELb0ES3_jN6thrust23THRUST_200600_302600_NS6detail15normal_iteratorINS9_10device_ptrIdEEEESE_PNS0_10empty_typeENS0_5tupleIJSE_SF_EEENSH_IJSE_SG_EEENS0_18inequality_wrapperI22is_equal_div_10_uniqueIdEEEPmJSF_EEE10hipError_tPvRmT3_T4_T5_T6_T7_T9_mT8_P12ihipStream_tbDpT10_ENKUlT_T0_E_clISt17integral_constantIbLb0EES18_EEDaS13_S14_EUlS13_E_NS1_11comp_targetILNS1_3genE2ELNS1_11target_archE906ELNS1_3gpuE6ELNS1_3repE0EEENS1_30default_config_static_selectorELNS0_4arch9wavefront6targetE0EEEvT1_: ; @_ZN7rocprim17ROCPRIM_400000_NS6detail17trampoline_kernelINS0_14default_configENS1_25partition_config_selectorILNS1_17partition_subalgoE9EddbEEZZNS1_14partition_implILS5_9ELb0ES3_jN6thrust23THRUST_200600_302600_NS6detail15normal_iteratorINS9_10device_ptrIdEEEESE_PNS0_10empty_typeENS0_5tupleIJSE_SF_EEENSH_IJSE_SG_EEENS0_18inequality_wrapperI22is_equal_div_10_uniqueIdEEEPmJSF_EEE10hipError_tPvRmT3_T4_T5_T6_T7_T9_mT8_P12ihipStream_tbDpT10_ENKUlT_T0_E_clISt17integral_constantIbLb0EES18_EEDaS13_S14_EUlS13_E_NS1_11comp_targetILNS1_3genE2ELNS1_11target_archE906ELNS1_3gpuE6ELNS1_3repE0EEENS1_30default_config_static_selectorELNS0_4arch9wavefront6targetE0EEEvT1_
; %bb.0:
	.section	.rodata,"a",@progbits
	.p2align	6, 0x0
	.amdhsa_kernel _ZN7rocprim17ROCPRIM_400000_NS6detail17trampoline_kernelINS0_14default_configENS1_25partition_config_selectorILNS1_17partition_subalgoE9EddbEEZZNS1_14partition_implILS5_9ELb0ES3_jN6thrust23THRUST_200600_302600_NS6detail15normal_iteratorINS9_10device_ptrIdEEEESE_PNS0_10empty_typeENS0_5tupleIJSE_SF_EEENSH_IJSE_SG_EEENS0_18inequality_wrapperI22is_equal_div_10_uniqueIdEEEPmJSF_EEE10hipError_tPvRmT3_T4_T5_T6_T7_T9_mT8_P12ihipStream_tbDpT10_ENKUlT_T0_E_clISt17integral_constantIbLb0EES18_EEDaS13_S14_EUlS13_E_NS1_11comp_targetILNS1_3genE2ELNS1_11target_archE906ELNS1_3gpuE6ELNS1_3repE0EEENS1_30default_config_static_selectorELNS0_4arch9wavefront6targetE0EEEvT1_
		.amdhsa_group_segment_fixed_size 0
		.amdhsa_private_segment_fixed_size 0
		.amdhsa_kernarg_size 112
		.amdhsa_user_sgpr_count 15
		.amdhsa_user_sgpr_dispatch_ptr 0
		.amdhsa_user_sgpr_queue_ptr 0
		.amdhsa_user_sgpr_kernarg_segment_ptr 1
		.amdhsa_user_sgpr_dispatch_id 0
		.amdhsa_user_sgpr_private_segment_size 0
		.amdhsa_wavefront_size32 1
		.amdhsa_uses_dynamic_stack 0
		.amdhsa_enable_private_segment 0
		.amdhsa_system_sgpr_workgroup_id_x 1
		.amdhsa_system_sgpr_workgroup_id_y 0
		.amdhsa_system_sgpr_workgroup_id_z 0
		.amdhsa_system_sgpr_workgroup_info 0
		.amdhsa_system_vgpr_workitem_id 0
		.amdhsa_next_free_vgpr 1
		.amdhsa_next_free_sgpr 1
		.amdhsa_reserve_vcc 0
		.amdhsa_float_round_mode_32 0
		.amdhsa_float_round_mode_16_64 0
		.amdhsa_float_denorm_mode_32 3
		.amdhsa_float_denorm_mode_16_64 3
		.amdhsa_dx10_clamp 1
		.amdhsa_ieee_mode 1
		.amdhsa_fp16_overflow 0
		.amdhsa_workgroup_processor_mode 1
		.amdhsa_memory_ordered 1
		.amdhsa_forward_progress 0
		.amdhsa_shared_vgpr_count 0
		.amdhsa_exception_fp_ieee_invalid_op 0
		.amdhsa_exception_fp_denorm_src 0
		.amdhsa_exception_fp_ieee_div_zero 0
		.amdhsa_exception_fp_ieee_overflow 0
		.amdhsa_exception_fp_ieee_underflow 0
		.amdhsa_exception_fp_ieee_inexact 0
		.amdhsa_exception_int_div_zero 0
	.end_amdhsa_kernel
	.section	.text._ZN7rocprim17ROCPRIM_400000_NS6detail17trampoline_kernelINS0_14default_configENS1_25partition_config_selectorILNS1_17partition_subalgoE9EddbEEZZNS1_14partition_implILS5_9ELb0ES3_jN6thrust23THRUST_200600_302600_NS6detail15normal_iteratorINS9_10device_ptrIdEEEESE_PNS0_10empty_typeENS0_5tupleIJSE_SF_EEENSH_IJSE_SG_EEENS0_18inequality_wrapperI22is_equal_div_10_uniqueIdEEEPmJSF_EEE10hipError_tPvRmT3_T4_T5_T6_T7_T9_mT8_P12ihipStream_tbDpT10_ENKUlT_T0_E_clISt17integral_constantIbLb0EES18_EEDaS13_S14_EUlS13_E_NS1_11comp_targetILNS1_3genE2ELNS1_11target_archE906ELNS1_3gpuE6ELNS1_3repE0EEENS1_30default_config_static_selectorELNS0_4arch9wavefront6targetE0EEEvT1_,"axG",@progbits,_ZN7rocprim17ROCPRIM_400000_NS6detail17trampoline_kernelINS0_14default_configENS1_25partition_config_selectorILNS1_17partition_subalgoE9EddbEEZZNS1_14partition_implILS5_9ELb0ES3_jN6thrust23THRUST_200600_302600_NS6detail15normal_iteratorINS9_10device_ptrIdEEEESE_PNS0_10empty_typeENS0_5tupleIJSE_SF_EEENSH_IJSE_SG_EEENS0_18inequality_wrapperI22is_equal_div_10_uniqueIdEEEPmJSF_EEE10hipError_tPvRmT3_T4_T5_T6_T7_T9_mT8_P12ihipStream_tbDpT10_ENKUlT_T0_E_clISt17integral_constantIbLb0EES18_EEDaS13_S14_EUlS13_E_NS1_11comp_targetILNS1_3genE2ELNS1_11target_archE906ELNS1_3gpuE6ELNS1_3repE0EEENS1_30default_config_static_selectorELNS0_4arch9wavefront6targetE0EEEvT1_,comdat
.Lfunc_end51:
	.size	_ZN7rocprim17ROCPRIM_400000_NS6detail17trampoline_kernelINS0_14default_configENS1_25partition_config_selectorILNS1_17partition_subalgoE9EddbEEZZNS1_14partition_implILS5_9ELb0ES3_jN6thrust23THRUST_200600_302600_NS6detail15normal_iteratorINS9_10device_ptrIdEEEESE_PNS0_10empty_typeENS0_5tupleIJSE_SF_EEENSH_IJSE_SG_EEENS0_18inequality_wrapperI22is_equal_div_10_uniqueIdEEEPmJSF_EEE10hipError_tPvRmT3_T4_T5_T6_T7_T9_mT8_P12ihipStream_tbDpT10_ENKUlT_T0_E_clISt17integral_constantIbLb0EES18_EEDaS13_S14_EUlS13_E_NS1_11comp_targetILNS1_3genE2ELNS1_11target_archE906ELNS1_3gpuE6ELNS1_3repE0EEENS1_30default_config_static_selectorELNS0_4arch9wavefront6targetE0EEEvT1_, .Lfunc_end51-_ZN7rocprim17ROCPRIM_400000_NS6detail17trampoline_kernelINS0_14default_configENS1_25partition_config_selectorILNS1_17partition_subalgoE9EddbEEZZNS1_14partition_implILS5_9ELb0ES3_jN6thrust23THRUST_200600_302600_NS6detail15normal_iteratorINS9_10device_ptrIdEEEESE_PNS0_10empty_typeENS0_5tupleIJSE_SF_EEENSH_IJSE_SG_EEENS0_18inequality_wrapperI22is_equal_div_10_uniqueIdEEEPmJSF_EEE10hipError_tPvRmT3_T4_T5_T6_T7_T9_mT8_P12ihipStream_tbDpT10_ENKUlT_T0_E_clISt17integral_constantIbLb0EES18_EEDaS13_S14_EUlS13_E_NS1_11comp_targetILNS1_3genE2ELNS1_11target_archE906ELNS1_3gpuE6ELNS1_3repE0EEENS1_30default_config_static_selectorELNS0_4arch9wavefront6targetE0EEEvT1_
                                        ; -- End function
	.section	.AMDGPU.csdata,"",@progbits
; Kernel info:
; codeLenInByte = 0
; NumSgprs: 0
; NumVgprs: 0
; ScratchSize: 0
; MemoryBound: 0
; FloatMode: 240
; IeeeMode: 1
; LDSByteSize: 0 bytes/workgroup (compile time only)
; SGPRBlocks: 0
; VGPRBlocks: 0
; NumSGPRsForWavesPerEU: 1
; NumVGPRsForWavesPerEU: 1
; Occupancy: 16
; WaveLimiterHint : 0
; COMPUTE_PGM_RSRC2:SCRATCH_EN: 0
; COMPUTE_PGM_RSRC2:USER_SGPR: 15
; COMPUTE_PGM_RSRC2:TRAP_HANDLER: 0
; COMPUTE_PGM_RSRC2:TGID_X_EN: 1
; COMPUTE_PGM_RSRC2:TGID_Y_EN: 0
; COMPUTE_PGM_RSRC2:TGID_Z_EN: 0
; COMPUTE_PGM_RSRC2:TIDIG_COMP_CNT: 0
	.section	.text._ZN7rocprim17ROCPRIM_400000_NS6detail17trampoline_kernelINS0_14default_configENS1_25partition_config_selectorILNS1_17partition_subalgoE9EddbEEZZNS1_14partition_implILS5_9ELb0ES3_jN6thrust23THRUST_200600_302600_NS6detail15normal_iteratorINS9_10device_ptrIdEEEESE_PNS0_10empty_typeENS0_5tupleIJSE_SF_EEENSH_IJSE_SG_EEENS0_18inequality_wrapperI22is_equal_div_10_uniqueIdEEEPmJSF_EEE10hipError_tPvRmT3_T4_T5_T6_T7_T9_mT8_P12ihipStream_tbDpT10_ENKUlT_T0_E_clISt17integral_constantIbLb0EES18_EEDaS13_S14_EUlS13_E_NS1_11comp_targetILNS1_3genE10ELNS1_11target_archE1200ELNS1_3gpuE4ELNS1_3repE0EEENS1_30default_config_static_selectorELNS0_4arch9wavefront6targetE0EEEvT1_,"axG",@progbits,_ZN7rocprim17ROCPRIM_400000_NS6detail17trampoline_kernelINS0_14default_configENS1_25partition_config_selectorILNS1_17partition_subalgoE9EddbEEZZNS1_14partition_implILS5_9ELb0ES3_jN6thrust23THRUST_200600_302600_NS6detail15normal_iteratorINS9_10device_ptrIdEEEESE_PNS0_10empty_typeENS0_5tupleIJSE_SF_EEENSH_IJSE_SG_EEENS0_18inequality_wrapperI22is_equal_div_10_uniqueIdEEEPmJSF_EEE10hipError_tPvRmT3_T4_T5_T6_T7_T9_mT8_P12ihipStream_tbDpT10_ENKUlT_T0_E_clISt17integral_constantIbLb0EES18_EEDaS13_S14_EUlS13_E_NS1_11comp_targetILNS1_3genE10ELNS1_11target_archE1200ELNS1_3gpuE4ELNS1_3repE0EEENS1_30default_config_static_selectorELNS0_4arch9wavefront6targetE0EEEvT1_,comdat
	.protected	_ZN7rocprim17ROCPRIM_400000_NS6detail17trampoline_kernelINS0_14default_configENS1_25partition_config_selectorILNS1_17partition_subalgoE9EddbEEZZNS1_14partition_implILS5_9ELb0ES3_jN6thrust23THRUST_200600_302600_NS6detail15normal_iteratorINS9_10device_ptrIdEEEESE_PNS0_10empty_typeENS0_5tupleIJSE_SF_EEENSH_IJSE_SG_EEENS0_18inequality_wrapperI22is_equal_div_10_uniqueIdEEEPmJSF_EEE10hipError_tPvRmT3_T4_T5_T6_T7_T9_mT8_P12ihipStream_tbDpT10_ENKUlT_T0_E_clISt17integral_constantIbLb0EES18_EEDaS13_S14_EUlS13_E_NS1_11comp_targetILNS1_3genE10ELNS1_11target_archE1200ELNS1_3gpuE4ELNS1_3repE0EEENS1_30default_config_static_selectorELNS0_4arch9wavefront6targetE0EEEvT1_ ; -- Begin function _ZN7rocprim17ROCPRIM_400000_NS6detail17trampoline_kernelINS0_14default_configENS1_25partition_config_selectorILNS1_17partition_subalgoE9EddbEEZZNS1_14partition_implILS5_9ELb0ES3_jN6thrust23THRUST_200600_302600_NS6detail15normal_iteratorINS9_10device_ptrIdEEEESE_PNS0_10empty_typeENS0_5tupleIJSE_SF_EEENSH_IJSE_SG_EEENS0_18inequality_wrapperI22is_equal_div_10_uniqueIdEEEPmJSF_EEE10hipError_tPvRmT3_T4_T5_T6_T7_T9_mT8_P12ihipStream_tbDpT10_ENKUlT_T0_E_clISt17integral_constantIbLb0EES18_EEDaS13_S14_EUlS13_E_NS1_11comp_targetILNS1_3genE10ELNS1_11target_archE1200ELNS1_3gpuE4ELNS1_3repE0EEENS1_30default_config_static_selectorELNS0_4arch9wavefront6targetE0EEEvT1_
	.globl	_ZN7rocprim17ROCPRIM_400000_NS6detail17trampoline_kernelINS0_14default_configENS1_25partition_config_selectorILNS1_17partition_subalgoE9EddbEEZZNS1_14partition_implILS5_9ELb0ES3_jN6thrust23THRUST_200600_302600_NS6detail15normal_iteratorINS9_10device_ptrIdEEEESE_PNS0_10empty_typeENS0_5tupleIJSE_SF_EEENSH_IJSE_SG_EEENS0_18inequality_wrapperI22is_equal_div_10_uniqueIdEEEPmJSF_EEE10hipError_tPvRmT3_T4_T5_T6_T7_T9_mT8_P12ihipStream_tbDpT10_ENKUlT_T0_E_clISt17integral_constantIbLb0EES18_EEDaS13_S14_EUlS13_E_NS1_11comp_targetILNS1_3genE10ELNS1_11target_archE1200ELNS1_3gpuE4ELNS1_3repE0EEENS1_30default_config_static_selectorELNS0_4arch9wavefront6targetE0EEEvT1_
	.p2align	8
	.type	_ZN7rocprim17ROCPRIM_400000_NS6detail17trampoline_kernelINS0_14default_configENS1_25partition_config_selectorILNS1_17partition_subalgoE9EddbEEZZNS1_14partition_implILS5_9ELb0ES3_jN6thrust23THRUST_200600_302600_NS6detail15normal_iteratorINS9_10device_ptrIdEEEESE_PNS0_10empty_typeENS0_5tupleIJSE_SF_EEENSH_IJSE_SG_EEENS0_18inequality_wrapperI22is_equal_div_10_uniqueIdEEEPmJSF_EEE10hipError_tPvRmT3_T4_T5_T6_T7_T9_mT8_P12ihipStream_tbDpT10_ENKUlT_T0_E_clISt17integral_constantIbLb0EES18_EEDaS13_S14_EUlS13_E_NS1_11comp_targetILNS1_3genE10ELNS1_11target_archE1200ELNS1_3gpuE4ELNS1_3repE0EEENS1_30default_config_static_selectorELNS0_4arch9wavefront6targetE0EEEvT1_,@function
_ZN7rocprim17ROCPRIM_400000_NS6detail17trampoline_kernelINS0_14default_configENS1_25partition_config_selectorILNS1_17partition_subalgoE9EddbEEZZNS1_14partition_implILS5_9ELb0ES3_jN6thrust23THRUST_200600_302600_NS6detail15normal_iteratorINS9_10device_ptrIdEEEESE_PNS0_10empty_typeENS0_5tupleIJSE_SF_EEENSH_IJSE_SG_EEENS0_18inequality_wrapperI22is_equal_div_10_uniqueIdEEEPmJSF_EEE10hipError_tPvRmT3_T4_T5_T6_T7_T9_mT8_P12ihipStream_tbDpT10_ENKUlT_T0_E_clISt17integral_constantIbLb0EES18_EEDaS13_S14_EUlS13_E_NS1_11comp_targetILNS1_3genE10ELNS1_11target_archE1200ELNS1_3gpuE4ELNS1_3repE0EEENS1_30default_config_static_selectorELNS0_4arch9wavefront6targetE0EEEvT1_: ; @_ZN7rocprim17ROCPRIM_400000_NS6detail17trampoline_kernelINS0_14default_configENS1_25partition_config_selectorILNS1_17partition_subalgoE9EddbEEZZNS1_14partition_implILS5_9ELb0ES3_jN6thrust23THRUST_200600_302600_NS6detail15normal_iteratorINS9_10device_ptrIdEEEESE_PNS0_10empty_typeENS0_5tupleIJSE_SF_EEENSH_IJSE_SG_EEENS0_18inequality_wrapperI22is_equal_div_10_uniqueIdEEEPmJSF_EEE10hipError_tPvRmT3_T4_T5_T6_T7_T9_mT8_P12ihipStream_tbDpT10_ENKUlT_T0_E_clISt17integral_constantIbLb0EES18_EEDaS13_S14_EUlS13_E_NS1_11comp_targetILNS1_3genE10ELNS1_11target_archE1200ELNS1_3gpuE4ELNS1_3repE0EEENS1_30default_config_static_selectorELNS0_4arch9wavefront6targetE0EEEvT1_
; %bb.0:
	.section	.rodata,"a",@progbits
	.p2align	6, 0x0
	.amdhsa_kernel _ZN7rocprim17ROCPRIM_400000_NS6detail17trampoline_kernelINS0_14default_configENS1_25partition_config_selectorILNS1_17partition_subalgoE9EddbEEZZNS1_14partition_implILS5_9ELb0ES3_jN6thrust23THRUST_200600_302600_NS6detail15normal_iteratorINS9_10device_ptrIdEEEESE_PNS0_10empty_typeENS0_5tupleIJSE_SF_EEENSH_IJSE_SG_EEENS0_18inequality_wrapperI22is_equal_div_10_uniqueIdEEEPmJSF_EEE10hipError_tPvRmT3_T4_T5_T6_T7_T9_mT8_P12ihipStream_tbDpT10_ENKUlT_T0_E_clISt17integral_constantIbLb0EES18_EEDaS13_S14_EUlS13_E_NS1_11comp_targetILNS1_3genE10ELNS1_11target_archE1200ELNS1_3gpuE4ELNS1_3repE0EEENS1_30default_config_static_selectorELNS0_4arch9wavefront6targetE0EEEvT1_
		.amdhsa_group_segment_fixed_size 0
		.amdhsa_private_segment_fixed_size 0
		.amdhsa_kernarg_size 112
		.amdhsa_user_sgpr_count 15
		.amdhsa_user_sgpr_dispatch_ptr 0
		.amdhsa_user_sgpr_queue_ptr 0
		.amdhsa_user_sgpr_kernarg_segment_ptr 1
		.amdhsa_user_sgpr_dispatch_id 0
		.amdhsa_user_sgpr_private_segment_size 0
		.amdhsa_wavefront_size32 1
		.amdhsa_uses_dynamic_stack 0
		.amdhsa_enable_private_segment 0
		.amdhsa_system_sgpr_workgroup_id_x 1
		.amdhsa_system_sgpr_workgroup_id_y 0
		.amdhsa_system_sgpr_workgroup_id_z 0
		.amdhsa_system_sgpr_workgroup_info 0
		.amdhsa_system_vgpr_workitem_id 0
		.amdhsa_next_free_vgpr 1
		.amdhsa_next_free_sgpr 1
		.amdhsa_reserve_vcc 0
		.amdhsa_float_round_mode_32 0
		.amdhsa_float_round_mode_16_64 0
		.amdhsa_float_denorm_mode_32 3
		.amdhsa_float_denorm_mode_16_64 3
		.amdhsa_dx10_clamp 1
		.amdhsa_ieee_mode 1
		.amdhsa_fp16_overflow 0
		.amdhsa_workgroup_processor_mode 1
		.amdhsa_memory_ordered 1
		.amdhsa_forward_progress 0
		.amdhsa_shared_vgpr_count 0
		.amdhsa_exception_fp_ieee_invalid_op 0
		.amdhsa_exception_fp_denorm_src 0
		.amdhsa_exception_fp_ieee_div_zero 0
		.amdhsa_exception_fp_ieee_overflow 0
		.amdhsa_exception_fp_ieee_underflow 0
		.amdhsa_exception_fp_ieee_inexact 0
		.amdhsa_exception_int_div_zero 0
	.end_amdhsa_kernel
	.section	.text._ZN7rocprim17ROCPRIM_400000_NS6detail17trampoline_kernelINS0_14default_configENS1_25partition_config_selectorILNS1_17partition_subalgoE9EddbEEZZNS1_14partition_implILS5_9ELb0ES3_jN6thrust23THRUST_200600_302600_NS6detail15normal_iteratorINS9_10device_ptrIdEEEESE_PNS0_10empty_typeENS0_5tupleIJSE_SF_EEENSH_IJSE_SG_EEENS0_18inequality_wrapperI22is_equal_div_10_uniqueIdEEEPmJSF_EEE10hipError_tPvRmT3_T4_T5_T6_T7_T9_mT8_P12ihipStream_tbDpT10_ENKUlT_T0_E_clISt17integral_constantIbLb0EES18_EEDaS13_S14_EUlS13_E_NS1_11comp_targetILNS1_3genE10ELNS1_11target_archE1200ELNS1_3gpuE4ELNS1_3repE0EEENS1_30default_config_static_selectorELNS0_4arch9wavefront6targetE0EEEvT1_,"axG",@progbits,_ZN7rocprim17ROCPRIM_400000_NS6detail17trampoline_kernelINS0_14default_configENS1_25partition_config_selectorILNS1_17partition_subalgoE9EddbEEZZNS1_14partition_implILS5_9ELb0ES3_jN6thrust23THRUST_200600_302600_NS6detail15normal_iteratorINS9_10device_ptrIdEEEESE_PNS0_10empty_typeENS0_5tupleIJSE_SF_EEENSH_IJSE_SG_EEENS0_18inequality_wrapperI22is_equal_div_10_uniqueIdEEEPmJSF_EEE10hipError_tPvRmT3_T4_T5_T6_T7_T9_mT8_P12ihipStream_tbDpT10_ENKUlT_T0_E_clISt17integral_constantIbLb0EES18_EEDaS13_S14_EUlS13_E_NS1_11comp_targetILNS1_3genE10ELNS1_11target_archE1200ELNS1_3gpuE4ELNS1_3repE0EEENS1_30default_config_static_selectorELNS0_4arch9wavefront6targetE0EEEvT1_,comdat
.Lfunc_end52:
	.size	_ZN7rocprim17ROCPRIM_400000_NS6detail17trampoline_kernelINS0_14default_configENS1_25partition_config_selectorILNS1_17partition_subalgoE9EddbEEZZNS1_14partition_implILS5_9ELb0ES3_jN6thrust23THRUST_200600_302600_NS6detail15normal_iteratorINS9_10device_ptrIdEEEESE_PNS0_10empty_typeENS0_5tupleIJSE_SF_EEENSH_IJSE_SG_EEENS0_18inequality_wrapperI22is_equal_div_10_uniqueIdEEEPmJSF_EEE10hipError_tPvRmT3_T4_T5_T6_T7_T9_mT8_P12ihipStream_tbDpT10_ENKUlT_T0_E_clISt17integral_constantIbLb0EES18_EEDaS13_S14_EUlS13_E_NS1_11comp_targetILNS1_3genE10ELNS1_11target_archE1200ELNS1_3gpuE4ELNS1_3repE0EEENS1_30default_config_static_selectorELNS0_4arch9wavefront6targetE0EEEvT1_, .Lfunc_end52-_ZN7rocprim17ROCPRIM_400000_NS6detail17trampoline_kernelINS0_14default_configENS1_25partition_config_selectorILNS1_17partition_subalgoE9EddbEEZZNS1_14partition_implILS5_9ELb0ES3_jN6thrust23THRUST_200600_302600_NS6detail15normal_iteratorINS9_10device_ptrIdEEEESE_PNS0_10empty_typeENS0_5tupleIJSE_SF_EEENSH_IJSE_SG_EEENS0_18inequality_wrapperI22is_equal_div_10_uniqueIdEEEPmJSF_EEE10hipError_tPvRmT3_T4_T5_T6_T7_T9_mT8_P12ihipStream_tbDpT10_ENKUlT_T0_E_clISt17integral_constantIbLb0EES18_EEDaS13_S14_EUlS13_E_NS1_11comp_targetILNS1_3genE10ELNS1_11target_archE1200ELNS1_3gpuE4ELNS1_3repE0EEENS1_30default_config_static_selectorELNS0_4arch9wavefront6targetE0EEEvT1_
                                        ; -- End function
	.section	.AMDGPU.csdata,"",@progbits
; Kernel info:
; codeLenInByte = 0
; NumSgprs: 0
; NumVgprs: 0
; ScratchSize: 0
; MemoryBound: 0
; FloatMode: 240
; IeeeMode: 1
; LDSByteSize: 0 bytes/workgroup (compile time only)
; SGPRBlocks: 0
; VGPRBlocks: 0
; NumSGPRsForWavesPerEU: 1
; NumVGPRsForWavesPerEU: 1
; Occupancy: 15
; WaveLimiterHint : 0
; COMPUTE_PGM_RSRC2:SCRATCH_EN: 0
; COMPUTE_PGM_RSRC2:USER_SGPR: 15
; COMPUTE_PGM_RSRC2:TRAP_HANDLER: 0
; COMPUTE_PGM_RSRC2:TGID_X_EN: 1
; COMPUTE_PGM_RSRC2:TGID_Y_EN: 0
; COMPUTE_PGM_RSRC2:TGID_Z_EN: 0
; COMPUTE_PGM_RSRC2:TIDIG_COMP_CNT: 0
	.section	.text._ZN7rocprim17ROCPRIM_400000_NS6detail17trampoline_kernelINS0_14default_configENS1_25partition_config_selectorILNS1_17partition_subalgoE9EddbEEZZNS1_14partition_implILS5_9ELb0ES3_jN6thrust23THRUST_200600_302600_NS6detail15normal_iteratorINS9_10device_ptrIdEEEESE_PNS0_10empty_typeENS0_5tupleIJSE_SF_EEENSH_IJSE_SG_EEENS0_18inequality_wrapperI22is_equal_div_10_uniqueIdEEEPmJSF_EEE10hipError_tPvRmT3_T4_T5_T6_T7_T9_mT8_P12ihipStream_tbDpT10_ENKUlT_T0_E_clISt17integral_constantIbLb0EES18_EEDaS13_S14_EUlS13_E_NS1_11comp_targetILNS1_3genE9ELNS1_11target_archE1100ELNS1_3gpuE3ELNS1_3repE0EEENS1_30default_config_static_selectorELNS0_4arch9wavefront6targetE0EEEvT1_,"axG",@progbits,_ZN7rocprim17ROCPRIM_400000_NS6detail17trampoline_kernelINS0_14default_configENS1_25partition_config_selectorILNS1_17partition_subalgoE9EddbEEZZNS1_14partition_implILS5_9ELb0ES3_jN6thrust23THRUST_200600_302600_NS6detail15normal_iteratorINS9_10device_ptrIdEEEESE_PNS0_10empty_typeENS0_5tupleIJSE_SF_EEENSH_IJSE_SG_EEENS0_18inequality_wrapperI22is_equal_div_10_uniqueIdEEEPmJSF_EEE10hipError_tPvRmT3_T4_T5_T6_T7_T9_mT8_P12ihipStream_tbDpT10_ENKUlT_T0_E_clISt17integral_constantIbLb0EES18_EEDaS13_S14_EUlS13_E_NS1_11comp_targetILNS1_3genE9ELNS1_11target_archE1100ELNS1_3gpuE3ELNS1_3repE0EEENS1_30default_config_static_selectorELNS0_4arch9wavefront6targetE0EEEvT1_,comdat
	.protected	_ZN7rocprim17ROCPRIM_400000_NS6detail17trampoline_kernelINS0_14default_configENS1_25partition_config_selectorILNS1_17partition_subalgoE9EddbEEZZNS1_14partition_implILS5_9ELb0ES3_jN6thrust23THRUST_200600_302600_NS6detail15normal_iteratorINS9_10device_ptrIdEEEESE_PNS0_10empty_typeENS0_5tupleIJSE_SF_EEENSH_IJSE_SG_EEENS0_18inequality_wrapperI22is_equal_div_10_uniqueIdEEEPmJSF_EEE10hipError_tPvRmT3_T4_T5_T6_T7_T9_mT8_P12ihipStream_tbDpT10_ENKUlT_T0_E_clISt17integral_constantIbLb0EES18_EEDaS13_S14_EUlS13_E_NS1_11comp_targetILNS1_3genE9ELNS1_11target_archE1100ELNS1_3gpuE3ELNS1_3repE0EEENS1_30default_config_static_selectorELNS0_4arch9wavefront6targetE0EEEvT1_ ; -- Begin function _ZN7rocprim17ROCPRIM_400000_NS6detail17trampoline_kernelINS0_14default_configENS1_25partition_config_selectorILNS1_17partition_subalgoE9EddbEEZZNS1_14partition_implILS5_9ELb0ES3_jN6thrust23THRUST_200600_302600_NS6detail15normal_iteratorINS9_10device_ptrIdEEEESE_PNS0_10empty_typeENS0_5tupleIJSE_SF_EEENSH_IJSE_SG_EEENS0_18inequality_wrapperI22is_equal_div_10_uniqueIdEEEPmJSF_EEE10hipError_tPvRmT3_T4_T5_T6_T7_T9_mT8_P12ihipStream_tbDpT10_ENKUlT_T0_E_clISt17integral_constantIbLb0EES18_EEDaS13_S14_EUlS13_E_NS1_11comp_targetILNS1_3genE9ELNS1_11target_archE1100ELNS1_3gpuE3ELNS1_3repE0EEENS1_30default_config_static_selectorELNS0_4arch9wavefront6targetE0EEEvT1_
	.globl	_ZN7rocprim17ROCPRIM_400000_NS6detail17trampoline_kernelINS0_14default_configENS1_25partition_config_selectorILNS1_17partition_subalgoE9EddbEEZZNS1_14partition_implILS5_9ELb0ES3_jN6thrust23THRUST_200600_302600_NS6detail15normal_iteratorINS9_10device_ptrIdEEEESE_PNS0_10empty_typeENS0_5tupleIJSE_SF_EEENSH_IJSE_SG_EEENS0_18inequality_wrapperI22is_equal_div_10_uniqueIdEEEPmJSF_EEE10hipError_tPvRmT3_T4_T5_T6_T7_T9_mT8_P12ihipStream_tbDpT10_ENKUlT_T0_E_clISt17integral_constantIbLb0EES18_EEDaS13_S14_EUlS13_E_NS1_11comp_targetILNS1_3genE9ELNS1_11target_archE1100ELNS1_3gpuE3ELNS1_3repE0EEENS1_30default_config_static_selectorELNS0_4arch9wavefront6targetE0EEEvT1_
	.p2align	8
	.type	_ZN7rocprim17ROCPRIM_400000_NS6detail17trampoline_kernelINS0_14default_configENS1_25partition_config_selectorILNS1_17partition_subalgoE9EddbEEZZNS1_14partition_implILS5_9ELb0ES3_jN6thrust23THRUST_200600_302600_NS6detail15normal_iteratorINS9_10device_ptrIdEEEESE_PNS0_10empty_typeENS0_5tupleIJSE_SF_EEENSH_IJSE_SG_EEENS0_18inequality_wrapperI22is_equal_div_10_uniqueIdEEEPmJSF_EEE10hipError_tPvRmT3_T4_T5_T6_T7_T9_mT8_P12ihipStream_tbDpT10_ENKUlT_T0_E_clISt17integral_constantIbLb0EES18_EEDaS13_S14_EUlS13_E_NS1_11comp_targetILNS1_3genE9ELNS1_11target_archE1100ELNS1_3gpuE3ELNS1_3repE0EEENS1_30default_config_static_selectorELNS0_4arch9wavefront6targetE0EEEvT1_,@function
_ZN7rocprim17ROCPRIM_400000_NS6detail17trampoline_kernelINS0_14default_configENS1_25partition_config_selectorILNS1_17partition_subalgoE9EddbEEZZNS1_14partition_implILS5_9ELb0ES3_jN6thrust23THRUST_200600_302600_NS6detail15normal_iteratorINS9_10device_ptrIdEEEESE_PNS0_10empty_typeENS0_5tupleIJSE_SF_EEENSH_IJSE_SG_EEENS0_18inequality_wrapperI22is_equal_div_10_uniqueIdEEEPmJSF_EEE10hipError_tPvRmT3_T4_T5_T6_T7_T9_mT8_P12ihipStream_tbDpT10_ENKUlT_T0_E_clISt17integral_constantIbLb0EES18_EEDaS13_S14_EUlS13_E_NS1_11comp_targetILNS1_3genE9ELNS1_11target_archE1100ELNS1_3gpuE3ELNS1_3repE0EEENS1_30default_config_static_selectorELNS0_4arch9wavefront6targetE0EEEvT1_: ; @_ZN7rocprim17ROCPRIM_400000_NS6detail17trampoline_kernelINS0_14default_configENS1_25partition_config_selectorILNS1_17partition_subalgoE9EddbEEZZNS1_14partition_implILS5_9ELb0ES3_jN6thrust23THRUST_200600_302600_NS6detail15normal_iteratorINS9_10device_ptrIdEEEESE_PNS0_10empty_typeENS0_5tupleIJSE_SF_EEENSH_IJSE_SG_EEENS0_18inequality_wrapperI22is_equal_div_10_uniqueIdEEEPmJSF_EEE10hipError_tPvRmT3_T4_T5_T6_T7_T9_mT8_P12ihipStream_tbDpT10_ENKUlT_T0_E_clISt17integral_constantIbLb0EES18_EEDaS13_S14_EUlS13_E_NS1_11comp_targetILNS1_3genE9ELNS1_11target_archE1100ELNS1_3gpuE3ELNS1_3repE0EEENS1_30default_config_static_selectorELNS0_4arch9wavefront6targetE0EEEvT1_
; %bb.0:
	s_clause 0x4
	s_load_b128 s[4:7], s[0:1], 0x8
	s_load_b32 s14, s[0:1], 0x68
	s_load_b128 s[16:19], s[0:1], 0x40
	s_load_b64 s[2:3], s[0:1], 0x50
	s_load_b64 s[8:9], s[0:1], 0x18
	s_mov_b32 s21, 0
	v_lshlrev_b32_e32 v55, 3, v0
	v_lshrrev_b32_e32 v33, 2, v0
	v_or_b32_e32 v38, 0x200, v0
	v_or_b32_e32 v36, 0x400, v0
	;; [unrolled: 1-line block ×7, first 2 shown]
	s_waitcnt lgkmcnt(0)
	s_lshl_b64 s[12:13], s[6:7], 3
	s_delay_alu instid0(SALU_CYCLE_1)
	s_add_u32 s22, s4, s12
	s_addc_u32 s23, s5, s13
	s_add_i32 s24, s14, -1
	s_load_b64 s[10:11], s[18:19], 0x0
	s_lshl_b32 s4, s24, 12
	s_lshl_b32 s5, s14, 12
	s_add_i32 s4, s6, s4
	s_lshl_b32 s20, s15, 12
	s_sub_i32 s19, s2, s4
	s_add_u32 s4, s6, s5
	s_addc_u32 s5, s7, 0
	s_cmp_eq_u32 s15, s24
	v_cmp_ge_u64_e64 s2, s[4:5], s[2:3]
	s_cselect_b32 s14, -1, 0
	s_lshl_b64 s[4:5], s[20:21], 3
	s_delay_alu instid0(VALU_DEP_1) | instskip(NEXT) | instid1(SALU_CYCLE_1)
	s_and_b32 s3, s14, s2
	s_xor_b32 s18, s3, -1
	s_add_u32 s21, s22, s4
	s_addc_u32 s20, s23, s5
	s_and_b32 vcc_lo, exec_lo, s18
	s_mov_b32 s22, -1
	s_cbranch_vccz .LBB53_2
; %bb.1:
	v_add_co_u32 v1, s2, s21, v55
	s_delay_alu instid0(VALU_DEP_1) | instskip(SKIP_1) | instid1(VALU_DEP_3)
	v_add_co_ci_u32_e64 v2, null, s20, 0, s2
	v_lshrrev_b32_e32 v18, 2, v38
	v_add_co_u32 v3, vcc_lo, 0x1000, v1
	s_delay_alu instid0(VALU_DEP_3)
	v_add_co_ci_u32_e32 v4, vcc_lo, 0, v2, vcc_lo
	v_add_co_u32 v5, vcc_lo, 0x2000, v1
	v_add_co_ci_u32_e32 v6, vcc_lo, 0, v2, vcc_lo
	v_add_co_u32 v7, vcc_lo, 0x3000, v1
	;; [unrolled: 2-line block ×6, first 2 shown]
	v_add_co_ci_u32_e32 v16, vcc_lo, 0, v2, vcc_lo
	s_clause 0x7
	flat_load_b64 v[1:2], v[1:2]
	flat_load_b64 v[3:4], v[3:4]
	flat_load_b64 v[5:6], v[5:6]
	flat_load_b64 v[7:8], v[7:8]
	flat_load_b64 v[9:10], v[9:10]
	flat_load_b64 v[11:12], v[11:12]
	flat_load_b64 v[13:14], v[13:14]
	flat_load_b64 v[15:16], v[15:16]
	v_lshrrev_b32_e32 v19, 2, v36
	v_lshrrev_b32_e32 v20, 2, v40
	;; [unrolled: 1-line block ×3, first 2 shown]
	v_and_b32_e32 v17, 0x78, v33
	v_lshrrev_b32_e32 v22, 2, v37
	v_lshrrev_b32_e32 v23, 2, v34
	;; [unrolled: 1-line block ×3, first 2 shown]
	v_and_b32_e32 v18, 0xf8, v18
	v_and_b32_e32 v19, 0x178, v19
	;; [unrolled: 1-line block ×4, first 2 shown]
	v_add_nc_u32_e32 v17, v17, v55
	v_and_b32_e32 v22, 0x2f8, v22
	v_and_b32_e32 v23, 0x378, v23
	v_and_b32_e32 v24, 0x3f8, v24
	v_add_nc_u32_e32 v18, v18, v55
	v_add_nc_u32_e32 v19, v19, v55
	;; [unrolled: 1-line block ×4, first 2 shown]
	s_mov_b32 s22, 0
	v_add_nc_u32_e32 v22, v22, v55
	v_add_nc_u32_e32 v23, v23, v55
	;; [unrolled: 1-line block ×3, first 2 shown]
	s_waitcnt vmcnt(7) lgkmcnt(0)
	ds_store_b64 v17, v[1:2]
	s_waitcnt vmcnt(6)
	ds_store_b64 v18, v[3:4] offset:4096
	s_waitcnt vmcnt(5)
	ds_store_b64 v19, v[5:6] offset:8192
	;; [unrolled: 2-line block ×7, first 2 shown]
	s_waitcnt lgkmcnt(0)
	s_barrier
.LBB53_2:
	v_cmp_gt_u32_e64 s2, s19, v0
	s_and_not1_b32 vcc_lo, exec_lo, s22
	s_cbranch_vccnz .LBB53_20
; %bb.3:
                                        ; implicit-def: $vgpr1_vgpr2_vgpr3_vgpr4_vgpr5_vgpr6_vgpr7_vgpr8_vgpr9_vgpr10_vgpr11_vgpr12_vgpr13_vgpr14_vgpr15_vgpr16
	s_delay_alu instid0(VALU_DEP_1)
	s_and_saveexec_b32 s22, s2
	s_cbranch_execz .LBB53_11
; %bb.4:
	v_add_co_u32 v1, s2, s21, v55
	s_delay_alu instid0(VALU_DEP_1) | instskip(SKIP_2) | instid1(SALU_CYCLE_1)
	v_add_co_ci_u32_e64 v2, null, s20, 0, s2
	flat_load_b64 v[1:2], v[1:2]
	s_or_b32 exec_lo, exec_lo, s22
	s_mov_b32 s2, exec_lo
	v_cmpx_gt_u32_e64 s19, v38
	s_cbranch_execnz .LBB53_12
.LBB53_5:
	s_or_b32 exec_lo, exec_lo, s2
	s_delay_alu instid0(SALU_CYCLE_1)
	s_mov_b32 s2, exec_lo
	v_cmpx_gt_u32_e64 s19, v36
	s_cbranch_execz .LBB53_13
.LBB53_6:
	v_lshlrev_b32_e32 v5, 3, v36
	s_delay_alu instid0(VALU_DEP_1) | instskip(NEXT) | instid1(VALU_DEP_1)
	v_add_co_u32 v5, s22, s21, v5
	v_add_co_ci_u32_e64 v6, null, s20, 0, s22
	flat_load_b64 v[5:6], v[5:6]
	s_or_b32 exec_lo, exec_lo, s2
	s_delay_alu instid0(SALU_CYCLE_1)
	s_mov_b32 s2, exec_lo
	v_cmpx_gt_u32_e64 s19, v40
	s_cbranch_execnz .LBB53_14
.LBB53_7:
	s_or_b32 exec_lo, exec_lo, s2
	s_delay_alu instid0(SALU_CYCLE_1)
	s_mov_b32 s2, exec_lo
	v_cmpx_gt_u32_e64 s19, v39
	s_cbranch_execz .LBB53_15
.LBB53_8:
	v_lshlrev_b32_e32 v9, 3, v39
	s_delay_alu instid0(VALU_DEP_1) | instskip(NEXT) | instid1(VALU_DEP_1)
	v_add_co_u32 v9, s22, s21, v9
	v_add_co_ci_u32_e64 v10, null, s20, 0, s22
	flat_load_b64 v[9:10], v[9:10]
	s_or_b32 exec_lo, exec_lo, s2
	s_delay_alu instid0(SALU_CYCLE_1)
	s_mov_b32 s2, exec_lo
	v_cmpx_gt_u32_e64 s19, v37
	s_cbranch_execnz .LBB53_16
.LBB53_9:
	s_or_b32 exec_lo, exec_lo, s2
	s_delay_alu instid0(SALU_CYCLE_1)
	s_mov_b32 s2, exec_lo
	v_cmpx_gt_u32_e64 s19, v34
	s_cbranch_execz .LBB53_17
.LBB53_10:
	v_lshlrev_b32_e32 v13, 3, v34
	s_delay_alu instid0(VALU_DEP_1) | instskip(NEXT) | instid1(VALU_DEP_1)
	v_add_co_u32 v13, s22, s21, v13
	v_add_co_ci_u32_e64 v14, null, s20, 0, s22
	flat_load_b64 v[13:14], v[13:14]
	s_or_b32 exec_lo, exec_lo, s2
	s_delay_alu instid0(SALU_CYCLE_1)
	s_mov_b32 s2, exec_lo
	v_cmpx_gt_u32_e64 s19, v35
	s_cbranch_execnz .LBB53_18
	s_branch .LBB53_19
.LBB53_11:
	s_or_b32 exec_lo, exec_lo, s22
	s_delay_alu instid0(SALU_CYCLE_1)
	s_mov_b32 s2, exec_lo
	v_cmpx_gt_u32_e64 s19, v38
	s_cbranch_execz .LBB53_5
.LBB53_12:
	v_lshlrev_b32_e32 v3, 3, v38
	s_delay_alu instid0(VALU_DEP_1) | instskip(NEXT) | instid1(VALU_DEP_1)
	v_add_co_u32 v3, s22, s21, v3
	v_add_co_ci_u32_e64 v4, null, s20, 0, s22
	flat_load_b64 v[3:4], v[3:4]
	s_or_b32 exec_lo, exec_lo, s2
	s_delay_alu instid0(SALU_CYCLE_1)
	s_mov_b32 s2, exec_lo
	v_cmpx_gt_u32_e64 s19, v36
	s_cbranch_execnz .LBB53_6
.LBB53_13:
	s_or_b32 exec_lo, exec_lo, s2
	s_delay_alu instid0(SALU_CYCLE_1)
	s_mov_b32 s2, exec_lo
	v_cmpx_gt_u32_e64 s19, v40
	s_cbranch_execz .LBB53_7
.LBB53_14:
	v_lshlrev_b32_e32 v7, 3, v40
	s_delay_alu instid0(VALU_DEP_1) | instskip(NEXT) | instid1(VALU_DEP_1)
	v_add_co_u32 v7, s22, s21, v7
	v_add_co_ci_u32_e64 v8, null, s20, 0, s22
	flat_load_b64 v[7:8], v[7:8]
	s_or_b32 exec_lo, exec_lo, s2
	s_delay_alu instid0(SALU_CYCLE_1)
	s_mov_b32 s2, exec_lo
	v_cmpx_gt_u32_e64 s19, v39
	s_cbranch_execnz .LBB53_8
.LBB53_15:
	s_or_b32 exec_lo, exec_lo, s2
	s_delay_alu instid0(SALU_CYCLE_1)
	s_mov_b32 s2, exec_lo
	v_cmpx_gt_u32_e64 s19, v37
	s_cbranch_execz .LBB53_9
.LBB53_16:
	v_lshlrev_b32_e32 v11, 3, v37
	s_delay_alu instid0(VALU_DEP_1) | instskip(NEXT) | instid1(VALU_DEP_1)
	v_add_co_u32 v11, s22, s21, v11
	v_add_co_ci_u32_e64 v12, null, s20, 0, s22
	flat_load_b64 v[11:12], v[11:12]
	s_or_b32 exec_lo, exec_lo, s2
	s_delay_alu instid0(SALU_CYCLE_1)
	s_mov_b32 s2, exec_lo
	v_cmpx_gt_u32_e64 s19, v34
	s_cbranch_execnz .LBB53_10
.LBB53_17:
	s_or_b32 exec_lo, exec_lo, s2
	s_delay_alu instid0(SALU_CYCLE_1)
	s_mov_b32 s2, exec_lo
	v_cmpx_gt_u32_e64 s19, v35
	s_cbranch_execz .LBB53_19
.LBB53_18:
	v_lshlrev_b32_e32 v15, 3, v35
	s_delay_alu instid0(VALU_DEP_1) | instskip(NEXT) | instid1(VALU_DEP_1)
	v_add_co_u32 v15, s22, s21, v15
	v_add_co_ci_u32_e64 v16, null, s20, 0, s22
	flat_load_b64 v[15:16], v[15:16]
.LBB53_19:
	s_or_b32 exec_lo, exec_lo, s2
	v_lshrrev_b32_e32 v17, 2, v38
	v_lshrrev_b32_e32 v18, 2, v36
	;; [unrolled: 1-line block ×4, first 2 shown]
	v_and_b32_e32 v19, 0x78, v33
	v_lshrrev_b32_e32 v22, 2, v37
	v_lshrrev_b32_e32 v23, 2, v34
	;; [unrolled: 1-line block ×3, first 2 shown]
	v_and_b32_e32 v17, 0xf8, v17
	v_and_b32_e32 v18, 0x1f8, v18
	v_and_b32_e32 v20, 0x1f8, v20
	v_and_b32_e32 v21, 0x3f8, v21
	v_add_nc_u32_e32 v19, v19, v55
	v_and_b32_e32 v22, 0x3f8, v22
	v_and_b32_e32 v23, 0x3f8, v23
	;; [unrolled: 1-line block ×3, first 2 shown]
	v_add_nc_u32_e32 v17, v17, v55
	v_add_nc_u32_e32 v18, v18, v55
	;; [unrolled: 1-line block ×7, first 2 shown]
	s_waitcnt vmcnt(0) lgkmcnt(0)
	ds_store_b64 v19, v[1:2]
	ds_store_b64 v17, v[3:4] offset:4096
	ds_store_b64 v18, v[5:6] offset:8192
	;; [unrolled: 1-line block ×7, first 2 shown]
	s_waitcnt lgkmcnt(0)
	s_barrier
.LBB53_20:
	v_add_lshl_u32 v41, v33, v55, 3
	s_waitcnt lgkmcnt(0)
	buffer_gl0_inv
	s_add_u32 s2, s8, s12
	s_addc_u32 s8, s9, s13
	s_add_u32 s2, s2, s4
	ds_load_2addr_b64 v[29:32], v41 offset1:1
	ds_load_2addr_b64 v[25:28], v41 offset0:2 offset1:3
	ds_load_2addr_b64 v[21:24], v41 offset0:4 offset1:5
	;; [unrolled: 1-line block ×3, first 2 shown]
	s_addc_u32 s4, s8, s5
	s_and_b32 vcc_lo, exec_lo, s18
	s_mov_b32 s5, -1
	s_waitcnt lgkmcnt(0)
	s_barrier
	buffer_gl0_inv
	s_cbranch_vccz .LBB53_22
; %bb.21:
	v_add_co_u32 v1, s5, s2, v55
	s_delay_alu instid0(VALU_DEP_1) | instskip(SKIP_1) | instid1(VALU_DEP_3)
	v_add_co_ci_u32_e64 v2, null, s4, 0, s5
	v_lshrrev_b32_e32 v43, 2, v38
	v_add_co_u32 v3, vcc_lo, 0x1000, v1
	s_delay_alu instid0(VALU_DEP_3)
	v_add_co_ci_u32_e32 v4, vcc_lo, 0, v2, vcc_lo
	v_add_co_u32 v5, vcc_lo, 0x2000, v1
	v_add_co_ci_u32_e32 v6, vcc_lo, 0, v2, vcc_lo
	v_add_co_u32 v7, vcc_lo, 0x3000, v1
	;; [unrolled: 2-line block ×6, first 2 shown]
	v_add_co_ci_u32_e32 v16, vcc_lo, 0, v2, vcc_lo
	s_clause 0x7
	flat_load_b64 v[1:2], v[1:2]
	flat_load_b64 v[3:4], v[3:4]
	flat_load_b64 v[5:6], v[5:6]
	flat_load_b64 v[7:8], v[7:8]
	flat_load_b64 v[9:10], v[9:10]
	flat_load_b64 v[11:12], v[11:12]
	flat_load_b64 v[13:14], v[13:14]
	flat_load_b64 v[15:16], v[15:16]
	v_lshrrev_b32_e32 v44, 2, v36
	v_lshrrev_b32_e32 v45, 2, v40
	;; [unrolled: 1-line block ×3, first 2 shown]
	v_and_b32_e32 v42, 0x78, v33
	v_lshrrev_b32_e32 v47, 2, v37
	v_lshrrev_b32_e32 v48, 2, v34
	;; [unrolled: 1-line block ×3, first 2 shown]
	v_and_b32_e32 v43, 0xf8, v43
	v_and_b32_e32 v44, 0x178, v44
	;; [unrolled: 1-line block ×4, first 2 shown]
	v_add_nc_u32_e32 v42, v42, v55
	v_and_b32_e32 v47, 0x2f8, v47
	v_and_b32_e32 v48, 0x378, v48
	;; [unrolled: 1-line block ×3, first 2 shown]
	v_add_nc_u32_e32 v43, v43, v55
	v_add_nc_u32_e32 v44, v44, v55
	;; [unrolled: 1-line block ×4, first 2 shown]
	s_mov_b32 s5, 0
	v_add_nc_u32_e32 v47, v47, v55
	v_add_nc_u32_e32 v48, v48, v55
	;; [unrolled: 1-line block ×3, first 2 shown]
	s_waitcnt vmcnt(7) lgkmcnt(7)
	ds_store_b64 v42, v[1:2]
	s_waitcnt vmcnt(6) lgkmcnt(7)
	ds_store_b64 v43, v[3:4] offset:4096
	s_waitcnt vmcnt(5) lgkmcnt(7)
	ds_store_b64 v44, v[5:6] offset:8192
	;; [unrolled: 2-line block ×7, first 2 shown]
	s_waitcnt lgkmcnt(0)
	s_barrier
.LBB53_22:
	s_and_not1_b32 vcc_lo, exec_lo, s5
	s_cbranch_vccnz .LBB53_40
; %bb.23:
	s_mov_b32 s5, exec_lo
                                        ; implicit-def: $vgpr1_vgpr2
	v_cmpx_gt_u32_e64 s19, v0
	s_cbranch_execz .LBB53_25
; %bb.24:
	v_add_co_u32 v1, s8, s2, v55
	s_delay_alu instid0(VALU_DEP_1)
	v_add_co_ci_u32_e64 v2, null, s4, 0, s8
	flat_load_b64 v[1:2], v[1:2]
.LBB53_25:
	s_or_b32 exec_lo, exec_lo, s5
	s_delay_alu instid0(SALU_CYCLE_1)
	s_mov_b32 s5, exec_lo
                                        ; implicit-def: $vgpr3_vgpr4
	v_cmpx_gt_u32_e64 s19, v38
	s_cbranch_execz .LBB53_27
; %bb.26:
	v_lshlrev_b32_e32 v3, 3, v38
	s_delay_alu instid0(VALU_DEP_1) | instskip(NEXT) | instid1(VALU_DEP_1)
	v_add_co_u32 v3, s8, s2, v3
	v_add_co_ci_u32_e64 v4, null, s4, 0, s8
	flat_load_b64 v[3:4], v[3:4]
.LBB53_27:
	s_or_b32 exec_lo, exec_lo, s5
	s_delay_alu instid0(SALU_CYCLE_1)
	s_mov_b32 s5, exec_lo
                                        ; implicit-def: $vgpr5_vgpr6
	v_cmpx_gt_u32_e64 s19, v36
	s_cbranch_execz .LBB53_29
; %bb.28:
	v_lshlrev_b32_e32 v5, 3, v36
	s_delay_alu instid0(VALU_DEP_1) | instskip(NEXT) | instid1(VALU_DEP_1)
	v_add_co_u32 v5, s8, s2, v5
	v_add_co_ci_u32_e64 v6, null, s4, 0, s8
	flat_load_b64 v[5:6], v[5:6]
.LBB53_29:
	s_or_b32 exec_lo, exec_lo, s5
	s_delay_alu instid0(SALU_CYCLE_1)
	s_mov_b32 s5, exec_lo
                                        ; implicit-def: $vgpr7_vgpr8
	v_cmpx_gt_u32_e64 s19, v40
	s_cbranch_execz .LBB53_31
; %bb.30:
	v_lshlrev_b32_e32 v7, 3, v40
	s_delay_alu instid0(VALU_DEP_1) | instskip(NEXT) | instid1(VALU_DEP_1)
	v_add_co_u32 v7, s8, s2, v7
	v_add_co_ci_u32_e64 v8, null, s4, 0, s8
	flat_load_b64 v[7:8], v[7:8]
.LBB53_31:
	s_or_b32 exec_lo, exec_lo, s5
	s_delay_alu instid0(SALU_CYCLE_1)
	s_mov_b32 s5, exec_lo
                                        ; implicit-def: $vgpr9_vgpr10
	v_cmpx_gt_u32_e64 s19, v39
	s_cbranch_execz .LBB53_33
; %bb.32:
	v_lshlrev_b32_e32 v9, 3, v39
	s_delay_alu instid0(VALU_DEP_1) | instskip(NEXT) | instid1(VALU_DEP_1)
	v_add_co_u32 v9, s8, s2, v9
	v_add_co_ci_u32_e64 v10, null, s4, 0, s8
	flat_load_b64 v[9:10], v[9:10]
.LBB53_33:
	s_or_b32 exec_lo, exec_lo, s5
	s_delay_alu instid0(SALU_CYCLE_1)
	s_mov_b32 s5, exec_lo
                                        ; implicit-def: $vgpr11_vgpr12
	v_cmpx_gt_u32_e64 s19, v37
	s_cbranch_execz .LBB53_35
; %bb.34:
	v_lshlrev_b32_e32 v11, 3, v37
	s_delay_alu instid0(VALU_DEP_1) | instskip(NEXT) | instid1(VALU_DEP_1)
	v_add_co_u32 v11, s8, s2, v11
	v_add_co_ci_u32_e64 v12, null, s4, 0, s8
	flat_load_b64 v[11:12], v[11:12]
.LBB53_35:
	s_or_b32 exec_lo, exec_lo, s5
	s_delay_alu instid0(SALU_CYCLE_1)
	s_mov_b32 s5, exec_lo
                                        ; implicit-def: $vgpr13_vgpr14
	v_cmpx_gt_u32_e64 s19, v34
	s_cbranch_execz .LBB53_37
; %bb.36:
	v_lshlrev_b32_e32 v13, 3, v34
	s_delay_alu instid0(VALU_DEP_1) | instskip(NEXT) | instid1(VALU_DEP_1)
	v_add_co_u32 v13, s8, s2, v13
	v_add_co_ci_u32_e64 v14, null, s4, 0, s8
	flat_load_b64 v[13:14], v[13:14]
.LBB53_37:
	s_or_b32 exec_lo, exec_lo, s5
	s_delay_alu instid0(SALU_CYCLE_1)
	s_mov_b32 s5, exec_lo
                                        ; implicit-def: $vgpr15_vgpr16
	v_cmpx_gt_u32_e64 s19, v35
	s_cbranch_execz .LBB53_39
; %bb.38:
	v_lshlrev_b32_e32 v15, 3, v35
	s_delay_alu instid0(VALU_DEP_1) | instskip(NEXT) | instid1(VALU_DEP_1)
	v_add_co_u32 v15, s2, s2, v15
	v_add_co_ci_u32_e64 v16, null, s4, 0, s2
	flat_load_b64 v[15:16], v[15:16]
.LBB53_39:
	s_or_b32 exec_lo, exec_lo, s5
	v_lshrrev_b32_e32 v38, 2, v38
	v_lshrrev_b32_e32 v36, 2, v36
	;; [unrolled: 1-line block ×4, first 2 shown]
	v_and_b32_e32 v33, 0x78, v33
	v_lshrrev_b32_e32 v37, 2, v37
	v_lshrrev_b32_e32 v34, 2, v34
	;; [unrolled: 1-line block ×3, first 2 shown]
	v_and_b32_e32 v38, 0xf8, v38
	v_and_b32_e32 v36, 0x1f8, v36
	;; [unrolled: 1-line block ×4, first 2 shown]
	v_add_nc_u32_e32 v33, v33, v55
	v_and_b32_e32 v37, 0x3f8, v37
	v_and_b32_e32 v34, 0x3f8, v34
	;; [unrolled: 1-line block ×3, first 2 shown]
	v_add_nc_u32_e32 v38, v38, v55
	v_add_nc_u32_e32 v36, v36, v55
	;; [unrolled: 1-line block ×7, first 2 shown]
	s_waitcnt vmcnt(0) lgkmcnt(0)
	ds_store_b64 v33, v[1:2]
	ds_store_b64 v38, v[3:4] offset:4096
	ds_store_b64 v36, v[5:6] offset:8192
	;; [unrolled: 1-line block ×7, first 2 shown]
	s_waitcnt lgkmcnt(0)
	s_barrier
.LBB53_40:
	buffer_gl0_inv
	ds_load_2addr_b64 v[13:16], v41 offset1:1
	ds_load_2addr_b64 v[9:12], v41 offset0:2 offset1:3
	ds_load_2addr_b64 v[5:8], v41 offset0:4 offset1:5
	;; [unrolled: 1-line block ×3, first 2 shown]
	s_cmp_lg_u32 s15, 0
	s_waitcnt lgkmcnt(0)
	s_cselect_b32 s8, -1, 0
	s_cmp_lg_u64 s[6:7], 0
	s_barrier
	s_cselect_b32 s2, -1, 0
	buffer_gl0_inv
	s_or_b32 s2, s8, s2
	s_delay_alu instid0(SALU_CYCLE_1)
	s_and_b32 vcc_lo, exec_lo, s2
	s_mov_b32 s2, 0
	s_cbranch_vccz .LBB53_45
; %bb.41:
	v_add_co_u32 v33, s2, -8, s21
	s_delay_alu instid0(VALU_DEP_1)
	v_add_co_ci_u32_e64 v34, null, -1, s20, s2
	s_mov_b32 s2, -1
	s_and_b32 vcc_lo, exec_lo, s18
	flat_load_b64 v[35:36], v[33:34]
	ds_store_b64 v55, v[19:20]
	s_cbranch_vccz .LBB53_46
; %bb.42:
	s_waitcnt vmcnt(0) lgkmcnt(1)
	v_dual_mov_b32 v33, v35 :: v_dual_mov_b32 v34, v36
	s_mov_b32 s2, 0
	s_mov_b32 s4, exec_lo
	s_waitcnt lgkmcnt(0)
	s_barrier
	buffer_gl0_inv
	v_cmpx_ne_u32_e32 0, v0
	s_cbranch_execz .LBB53_44
; %bb.43:
	v_add_nc_u32_e32 v33, -8, v55
	ds_load_b64 v[33:34], v33
.LBB53_44:
	s_or_b32 exec_lo, exec_lo, s4
	v_cvt_i32_f64_e32 v37, v[17:18]
	v_cvt_i32_f64_e32 v38, v[19:20]
	;; [unrolled: 1-line block ×8, first 2 shown]
	s_waitcnt lgkmcnt(0)
	v_cvt_i32_f64_e32 v33, v[33:34]
	v_mul_hi_i32 v34, 0x66666667, v37
	v_mul_hi_i32 v37, 0x66666667, v38
	;; [unrolled: 1-line block ×8, first 2 shown]
	v_lshrrev_b32_e32 v44, 31, v34
	v_ashrrev_i32_e32 v34, 2, v34
	v_lshrrev_b32_e32 v45, 31, v37
	v_ashrrev_i32_e32 v37, 2, v37
	;; [unrolled: 2-line block ×3, first 2 shown]
	v_add_nc_u32_e32 v34, v34, v44
	v_lshrrev_b32_e32 v47, 31, v39
	v_add_nc_u32_e32 v37, v37, v45
	v_ashrrev_i32_e32 v39, 2, v39
	v_add_nc_u32_e32 v38, v38, v46
	v_lshrrev_b32_e32 v48, 31, v40
	v_ashrrev_i32_e32 v40, 2, v40
	v_cmp_ne_u32_e32 vcc_lo, v34, v37
	v_add_nc_u32_e32 v39, v39, v47
	v_lshrrev_b32_e32 v49, 31, v41
	v_ashrrev_i32_e32 v41, 2, v41
	v_add_nc_u32_e32 v40, v40, v48
	v_cndmask_b32_e64 v37, 0, 1, vcc_lo
	v_cmp_ne_u32_e32 vcc_lo, v38, v34
	v_lshrrev_b32_e32 v50, 31, v42
	v_ashrrev_i32_e32 v42, 2, v42
	v_add_nc_u32_e32 v41, v41, v49
	v_lshrrev_b32_e32 v51, 31, v43
	v_cndmask_b32_e64 v34, 0, 1, vcc_lo
	v_cmp_ne_u32_e32 vcc_lo, v39, v38
	v_ashrrev_i32_e32 v43, 2, v43
	v_add_nc_u32_e32 v42, v42, v50
	v_mul_hi_i32 v33, 0x66666667, v33
	v_lshlrev_b16 v37, 8, v37
	v_cndmask_b32_e64 v38, 0, 1, vcc_lo
	v_cmp_ne_u32_e32 vcc_lo, v40, v39
	v_add_nc_u32_e32 v43, v43, v51
	s_delay_alu instid0(VALU_DEP_4) | instskip(NEXT) | instid1(VALU_DEP_4)
	v_or_b32_e32 v34, v34, v37
	v_lshlrev_b16 v38, 8, v38
	v_cndmask_b32_e64 v39, 0, 1, vcc_lo
	v_cmp_ne_u32_e32 vcc_lo, v41, v40
	v_lshrrev_b32_e32 v52, 31, v33
	v_ashrrev_i32_e32 v33, 2, v33
	v_lshlrev_b32_e32 v34, 16, v34
	v_or_b32_e32 v38, v39, v38
	v_cndmask_b32_e64 v40, 0, 1, vcc_lo
	v_cmp_ne_u32_e32 vcc_lo, v42, v41
	v_add_nc_u32_e32 v33, v33, v52
	s_delay_alu instid0(VALU_DEP_4) | instskip(NEXT) | instid1(VALU_DEP_4)
	v_and_b32_e32 v38, 0xffff, v38
	v_lshlrev_b16 v40, 8, v40
	v_cndmask_b32_e64 v41, 0, 1, vcc_lo
	v_cmp_ne_u32_e32 vcc_lo, v43, v42
	v_cmp_ne_u32_e64 s4, v33, v43
	v_or_b32_e32 v34, v38, v34
	s_delay_alu instid0(VALU_DEP_4) | instskip(SKIP_1) | instid1(VALU_DEP_2)
	v_or_b32_e32 v40, v41, v40
	v_cndmask_b32_e64 v42, 0, 1, vcc_lo
	v_lshlrev_b32_e32 v39, 16, v40
	s_delay_alu instid0(VALU_DEP_2) | instskip(NEXT) | instid1(VALU_DEP_1)
	v_lshlrev_b16 v42, 8, v42
	v_and_b32_e32 v37, 0xffff, v42
	s_delay_alu instid0(VALU_DEP_1)
	v_or_b32_e32 v33, v37, v39
	s_and_b32 vcc_lo, exec_lo, s2
	s_cbranch_vccnz .LBB53_47
	s_branch .LBB53_66
.LBB53_45:
                                        ; implicit-def: $sgpr4
                                        ; implicit-def: $vgpr34
	s_branch .LBB53_67
.LBB53_46:
                                        ; implicit-def: $sgpr4
                                        ; implicit-def: $vgpr34
	s_and_b32 vcc_lo, exec_lo, s2
	s_cbranch_vccz .LBB53_66
.LBB53_47:
	v_or_b32_e32 v33, 7, v55
	s_mov_b32 s2, 0
	s_mov_b32 s4, 0
	s_mov_b32 s5, exec_lo
	s_delay_alu instid0(VALU_DEP_1)
	v_cmpx_gt_u32_e64 s19, v33
	s_cbranch_execz .LBB53_49
; %bb.48:
	v_cvt_i32_f64_e32 v33, v[17:18]
	v_cvt_i32_f64_e32 v34, v[19:20]
	s_delay_alu instid0(VALU_DEP_2) | instskip(NEXT) | instid1(VALU_DEP_2)
	v_mul_hi_i32 v33, 0x66666667, v33
	v_mul_hi_i32 v34, 0x66666667, v34
	s_delay_alu instid0(VALU_DEP_2) | instskip(SKIP_1) | instid1(VALU_DEP_3)
	v_lshrrev_b32_e32 v37, 31, v33
	v_ashrrev_i32_e32 v33, 2, v33
	v_lshrrev_b32_e32 v38, 31, v34
	v_ashrrev_i32_e32 v34, 2, v34
	s_delay_alu instid0(VALU_DEP_3) | instskip(NEXT) | instid1(VALU_DEP_2)
	v_add_nc_u32_e32 v33, v33, v37
	v_add_nc_u32_e32 v34, v34, v38
	s_delay_alu instid0(VALU_DEP_1)
	v_cmp_ne_u32_e32 vcc_lo, v33, v34
	s_and_b32 s4, vcc_lo, exec_lo
.LBB53_49:
	s_or_b32 exec_lo, exec_lo, s5
	v_or_b32_e32 v33, 6, v55
	s_mov_b32 s5, exec_lo
	s_delay_alu instid0(VALU_DEP_1)
	v_cmpx_gt_u32_e64 s19, v33
	s_cbranch_execz .LBB53_51
; %bb.50:
	v_cvt_i32_f64_e32 v33, v[23:24]
	v_cvt_i32_f64_e32 v34, v[17:18]
	s_delay_alu instid0(VALU_DEP_2) | instskip(NEXT) | instid1(VALU_DEP_2)
	v_mul_hi_i32 v33, 0x66666667, v33
	v_mul_hi_i32 v34, 0x66666667, v34
	s_delay_alu instid0(VALU_DEP_2) | instskip(SKIP_1) | instid1(VALU_DEP_3)
	v_lshrrev_b32_e32 v37, 31, v33
	v_ashrrev_i32_e32 v33, 2, v33
	v_lshrrev_b32_e32 v38, 31, v34
	v_ashrrev_i32_e32 v34, 2, v34
	s_delay_alu instid0(VALU_DEP_3) | instskip(NEXT) | instid1(VALU_DEP_2)
	v_add_nc_u32_e32 v33, v33, v37
	v_add_nc_u32_e32 v34, v34, v38
	s_delay_alu instid0(VALU_DEP_1)
	v_cmp_ne_u32_e32 vcc_lo, v33, v34
	s_and_b32 s2, vcc_lo, exec_lo
.LBB53_51:
	s_or_b32 exec_lo, exec_lo, s5
	v_or_b32_e32 v33, 5, v55
	s_mov_b32 s6, 0
	s_mov_b32 s5, 0
	s_mov_b32 s7, exec_lo
	s_delay_alu instid0(VALU_DEP_1)
	v_cmpx_gt_u32_e64 s19, v33
	s_cbranch_execz .LBB53_53
; %bb.52:
	v_cvt_i32_f64_e32 v33, v[21:22]
	v_cvt_i32_f64_e32 v34, v[23:24]
	s_delay_alu instid0(VALU_DEP_2) | instskip(NEXT) | instid1(VALU_DEP_2)
	v_mul_hi_i32 v33, 0x66666667, v33
	v_mul_hi_i32 v34, 0x66666667, v34
	s_delay_alu instid0(VALU_DEP_2) | instskip(SKIP_1) | instid1(VALU_DEP_3)
	v_lshrrev_b32_e32 v37, 31, v33
	v_ashrrev_i32_e32 v33, 2, v33
	v_lshrrev_b32_e32 v38, 31, v34
	v_ashrrev_i32_e32 v34, 2, v34
	s_delay_alu instid0(VALU_DEP_3) | instskip(NEXT) | instid1(VALU_DEP_2)
	v_add_nc_u32_e32 v33, v33, v37
	v_add_nc_u32_e32 v34, v34, v38
	s_delay_alu instid0(VALU_DEP_1)
	v_cmp_ne_u32_e32 vcc_lo, v33, v34
	s_and_b32 s5, vcc_lo, exec_lo
.LBB53_53:
	s_or_b32 exec_lo, exec_lo, s7
	v_or_b32_e32 v33, 4, v55
	s_mov_b32 s7, exec_lo
	s_delay_alu instid0(VALU_DEP_1)
	v_cmpx_gt_u32_e64 s19, v33
	s_cbranch_execz .LBB53_55
; %bb.54:
	v_cvt_i32_f64_e32 v33, v[27:28]
	v_cvt_i32_f64_e32 v34, v[21:22]
	s_delay_alu instid0(VALU_DEP_2) | instskip(NEXT) | instid1(VALU_DEP_2)
	v_mul_hi_i32 v33, 0x66666667, v33
	v_mul_hi_i32 v34, 0x66666667, v34
	s_delay_alu instid0(VALU_DEP_2) | instskip(SKIP_1) | instid1(VALU_DEP_3)
	v_lshrrev_b32_e32 v37, 31, v33
	v_ashrrev_i32_e32 v33, 2, v33
	v_lshrrev_b32_e32 v38, 31, v34
	v_ashrrev_i32_e32 v34, 2, v34
	s_delay_alu instid0(VALU_DEP_3) | instskip(NEXT) | instid1(VALU_DEP_2)
	v_add_nc_u32_e32 v33, v33, v37
	v_add_nc_u32_e32 v34, v34, v38
	s_delay_alu instid0(VALU_DEP_1)
	v_cmp_ne_u32_e32 vcc_lo, v33, v34
	s_and_b32 s6, vcc_lo, exec_lo
.LBB53_55:
	s_or_b32 exec_lo, exec_lo, s7
	;; [unrolled: 50-line block ×3, first 2 shown]
	v_or_b32_e32 v33, 1, v55
	s_mov_b32 s12, 0
	s_mov_b32 s13, exec_lo
	s_delay_alu instid0(VALU_DEP_1)
	v_cmpx_gt_u32_e64 s19, v33
	s_cbranch_execz .LBB53_61
; %bb.60:
	v_cvt_i32_f64_e32 v33, v[29:30]
	v_cvt_i32_f64_e32 v34, v[31:32]
	s_delay_alu instid0(VALU_DEP_2) | instskip(NEXT) | instid1(VALU_DEP_2)
	v_mul_hi_i32 v33, 0x66666667, v33
	v_mul_hi_i32 v34, 0x66666667, v34
	s_delay_alu instid0(VALU_DEP_2) | instskip(SKIP_1) | instid1(VALU_DEP_3)
	v_lshrrev_b32_e32 v37, 31, v33
	v_ashrrev_i32_e32 v33, 2, v33
	v_lshrrev_b32_e32 v38, 31, v34
	v_ashrrev_i32_e32 v34, 2, v34
	s_delay_alu instid0(VALU_DEP_3) | instskip(NEXT) | instid1(VALU_DEP_2)
	v_add_nc_u32_e32 v33, v33, v37
	v_add_nc_u32_e32 v34, v34, v38
	s_delay_alu instid0(VALU_DEP_1)
	v_cmp_ne_u32_e32 vcc_lo, v33, v34
	s_and_b32 s12, vcc_lo, exec_lo
.LBB53_61:
	s_or_b32 exec_lo, exec_lo, s13
	s_delay_alu instid0(SALU_CYCLE_1)
	s_mov_b32 s13, exec_lo
	s_waitcnt vmcnt(0) lgkmcnt(0)
	s_barrier
	buffer_gl0_inv
	v_cmpx_ne_u32_e32 0, v0
	s_cbranch_execz .LBB53_63
; %bb.62:
	v_add_nc_u32_e32 v33, -8, v55
	ds_load_b64 v[35:36], v33
.LBB53_63:
	s_or_b32 exec_lo, exec_lo, s13
	v_cndmask_b32_e64 v34, 0, 1, s7
	v_cndmask_b32_e64 v38, 0, 1, s5
	v_cndmask_b32_e64 v39, 0, 1, s4
	v_cndmask_b32_e64 v33, 0, 1, s9
	v_cndmask_b32_e64 v37, 0, 1, s6
	v_cndmask_b32_e64 v40, 0, 1, s2
	v_cndmask_b32_e64 v41, 0, 1, s12
	v_lshlrev_b16 v34, 8, v34
	v_lshlrev_b16 v38, 8, v38
	;; [unrolled: 1-line block ×3, first 2 shown]
	s_mov_b32 s4, 0
	v_lshlrev_b16 v41, 8, v41
	v_or_b32_e32 v34, v33, v34
	v_or_b32_e32 v37, v37, v38
	;; [unrolled: 1-line block ×3, first 2 shown]
	s_mov_b32 s2, exec_lo
	v_and_b32_e32 v33, 0xffff, v41
	v_lshlrev_b32_e32 v34, 16, v34
	v_and_b32_e32 v37, 0xffff, v37
	v_lshlrev_b32_e32 v38, 16, v38
	v_cmpx_gt_u32_e64 s19, v55
	s_cbranch_execz .LBB53_65
; %bb.64:
	s_waitcnt lgkmcnt(0)
	v_cvt_i32_f64_e32 v35, v[35:36]
	v_cvt_i32_f64_e32 v36, v[29:30]
	s_delay_alu instid0(VALU_DEP_2) | instskip(NEXT) | instid1(VALU_DEP_2)
	v_mul_hi_i32 v35, 0x66666667, v35
	v_mul_hi_i32 v36, 0x66666667, v36
	s_delay_alu instid0(VALU_DEP_2) | instskip(SKIP_1) | instid1(VALU_DEP_3)
	v_lshrrev_b32_e32 v39, 31, v35
	v_ashrrev_i32_e32 v35, 2, v35
	v_lshrrev_b32_e32 v40, 31, v36
	v_ashrrev_i32_e32 v36, 2, v36
	s_delay_alu instid0(VALU_DEP_3) | instskip(NEXT) | instid1(VALU_DEP_2)
	v_add_nc_u32_e32 v35, v35, v39
	v_add_nc_u32_e32 v36, v36, v40
	s_delay_alu instid0(VALU_DEP_1)
	v_cmp_ne_u32_e32 vcc_lo, v35, v36
	s_and_b32 s4, vcc_lo, exec_lo
.LBB53_65:
	s_or_b32 exec_lo, exec_lo, s2
	v_or_b32_e32 v33, v33, v34
	v_or_b32_e32 v34, v37, v38
.LBB53_66:
	s_mov_b32 s2, -1
	s_cbranch_execnz .LBB53_91
.LBB53_67:
	v_cvt_i32_f64_e32 v33, v[17:18]
	v_cvt_i32_f64_e32 v34, v[23:24]
	s_waitcnt vmcnt(0) lgkmcnt(0)
	v_cvt_i32_f64_e32 v35, v[21:22]
	v_cvt_i32_f64_e32 v36, v[27:28]
	;; [unrolled: 1-line block ×4, first 2 shown]
	s_and_b32 vcc_lo, exec_lo, s18
	ds_store_b64 v55, v[19:20]
	v_mul_hi_i32 v40, 0x66666667, v33
	v_mul_hi_i32 v39, 0x66666667, v34
	v_mul_hi_i32 v38, 0x66666667, v35
	v_mul_hi_i32 v37, 0x66666667, v36
	v_mul_hi_i32 v36, 0x66666667, v41
	v_mul_hi_i32 v35, 0x66666667, v42
	s_cbranch_vccz .LBB53_71
; %bb.68:
	v_cvt_i32_f64_e32 v33, v[19:20]
	v_cvt_i32_f64_e32 v34, v[29:30]
	v_lshrrev_b32_e32 v41, 31, v40
	v_ashrrev_i32_e32 v42, 2, v40
	v_lshrrev_b32_e32 v43, 31, v39
	v_ashrrev_i32_e32 v44, 2, v39
	;; [unrolled: 2-line block ×3, first 2 shown]
	v_add_nc_u32_e32 v42, v42, v41
	v_lshrrev_b32_e32 v47, 31, v37
	v_add_nc_u32_e32 v41, v44, v43
	v_ashrrev_i32_e32 v48, 2, v37
	v_add_nc_u32_e32 v43, v46, v45
	v_lshrrev_b32_e32 v49, 31, v36
	v_ashrrev_i32_e32 v50, 2, v36
	v_cmp_ne_u32_e32 vcc_lo, v41, v42
	v_add_nc_u32_e32 v44, v48, v47
	v_lshrrev_b32_e32 v51, 31, v35
	v_ashrrev_i32_e32 v52, 2, v35
	v_add_nc_u32_e32 v45, v50, v49
	v_cndmask_b32_e64 v47, 0, 1, vcc_lo
	v_cmp_ne_u32_e32 vcc_lo, v43, v41
	s_mov_b32 s5, 0
	v_add_nc_u32_e32 v46, v52, v51
	s_mov_b32 s6, exec_lo
	s_waitcnt lgkmcnt(0)
	v_cndmask_b32_e64 v50, 0, 1, vcc_lo
	v_cmp_ne_u32_e32 vcc_lo, v44, v43
	s_barrier
	buffer_gl0_inv
                                        ; implicit-def: $sgpr4
	v_cndmask_b32_e64 v43, 0, 1, vcc_lo
	v_cmp_ne_u32_e32 vcc_lo, v45, v44
	v_mul_hi_i32 v33, 0x66666667, v33
	v_mul_hi_i32 v34, 0x66666667, v34
	s_delay_alu instid0(VALU_DEP_2) | instskip(SKIP_1) | instid1(VALU_DEP_3)
	v_lshrrev_b32_e32 v48, 31, v33
	v_ashrrev_i32_e32 v33, 2, v33
	v_lshrrev_b32_e32 v49, 31, v34
	v_ashrrev_i32_e32 v34, 2, v34
	s_delay_alu instid0(VALU_DEP_3) | instskip(NEXT) | instid1(VALU_DEP_2)
	v_add_nc_u32_e32 v33, v33, v48
	v_add_nc_u32_e32 v41, v34, v49
	v_cndmask_b32_e64 v34, 0, 1, vcc_lo
	s_delay_alu instid0(VALU_DEP_3) | instskip(NEXT) | instid1(VALU_DEP_2)
	v_cmp_ne_u32_e32 vcc_lo, v42, v33
	v_lshlrev_b16 v34, 8, v34
	v_cndmask_b32_e64 v33, 0, 1, vcc_lo
	v_cmp_ne_u32_e32 vcc_lo, v41, v46
	s_delay_alu instid0(VALU_DEP_2) | instskip(SKIP_3) | instid1(VALU_DEP_4)
	v_lshlrev_b16 v33, 8, v33
	v_cndmask_b32_e64 v42, 0, 1, vcc_lo
	v_cmp_ne_u32_e32 vcc_lo, v46, v45
	v_lshlrev_b16 v45, 8, v50
	v_or_b32_e32 v33, v47, v33
	s_delay_alu instid0(VALU_DEP_4) | instskip(SKIP_1) | instid1(VALU_DEP_4)
	v_lshlrev_b16 v42, 8, v42
	v_cndmask_b32_e64 v44, 0, 1, vcc_lo
	v_or_b32_e32 v43, v43, v45
	s_delay_alu instid0(VALU_DEP_4) | instskip(NEXT) | instid1(VALU_DEP_4)
	v_lshlrev_b32_e32 v33, 16, v33
	v_or_b32_e32 v42, 1, v42
	s_delay_alu instid0(VALU_DEP_4) | instskip(NEXT) | instid1(VALU_DEP_4)
	v_or_b32_e32 v34, v44, v34
	v_and_b32_e32 v43, 0xffff, v43
	s_delay_alu instid0(VALU_DEP_3) | instskip(NEXT) | instid1(VALU_DEP_3)
	v_and_b32_e32 v42, 0xffff, v42
	v_lshlrev_b32_e32 v44, 16, v34
	s_delay_alu instid0(VALU_DEP_3) | instskip(NEXT) | instid1(VALU_DEP_2)
	v_or_b32_e32 v34, v43, v33
	v_or_b32_e32 v33, v42, v44
	v_cmpx_ne_u32_e32 0, v0
	s_xor_b32 s6, exec_lo, s6
	s_cbranch_execz .LBB53_70
; %bb.69:
	v_add_nc_u32_e32 v42, -8, v55
	s_or_b32 s2, s2, exec_lo
	ds_load_b64 v[42:43], v42
	s_waitcnt lgkmcnt(0)
	v_cvt_i32_f64_e32 v42, v[42:43]
	s_delay_alu instid0(VALU_DEP_1) | instskip(NEXT) | instid1(VALU_DEP_1)
	v_mul_hi_i32 v42, 0x66666667, v42
	v_lshrrev_b32_e32 v43, 31, v42
	v_ashrrev_i32_e32 v42, 2, v42
	s_delay_alu instid0(VALU_DEP_1) | instskip(NEXT) | instid1(VALU_DEP_1)
	v_add_nc_u32_e32 v42, v42, v43
	v_cmp_ne_u32_e32 vcc_lo, v42, v41
	s_and_b32 s4, vcc_lo, exec_lo
.LBB53_70:
	s_or_b32 exec_lo, exec_lo, s6
	s_delay_alu instid0(SALU_CYCLE_1)
	s_and_b32 vcc_lo, exec_lo, s5
	s_cbranch_vccnz .LBB53_72
	s_branch .LBB53_91
.LBB53_71:
                                        ; implicit-def: $sgpr4
                                        ; implicit-def: $vgpr34
	s_cbranch_execz .LBB53_91
.LBB53_72:
	v_or_b32_e32 v33, 7, v55
	s_mov_b32 s4, 0
	s_mov_b32 s5, 0
	s_mov_b32 s6, exec_lo
	s_delay_alu instid0(VALU_DEP_1)
	v_cmpx_gt_u32_e64 s19, v33
; %bb.73:
	v_cvt_i32_f64_e32 v33, v[19:20]
	v_lshrrev_b32_e32 v34, 31, v40
	v_ashrrev_i32_e32 v41, 2, v40
	s_delay_alu instid0(VALU_DEP_1) | instskip(NEXT) | instid1(VALU_DEP_4)
	v_add_nc_u32_e32 v34, v41, v34
	v_mul_hi_i32 v33, 0x66666667, v33
	s_delay_alu instid0(VALU_DEP_1) | instskip(SKIP_1) | instid1(VALU_DEP_1)
	v_lshrrev_b32_e32 v42, 31, v33
	v_ashrrev_i32_e32 v33, 2, v33
	v_add_nc_u32_e32 v33, v33, v42
	s_delay_alu instid0(VALU_DEP_1)
	v_cmp_ne_u32_e32 vcc_lo, v34, v33
	s_and_b32 s5, vcc_lo, exec_lo
; %bb.74:
	s_or_b32 exec_lo, exec_lo, s6
	v_or_b32_e32 v33, 6, v55
	s_mov_b32 s6, exec_lo
	s_delay_alu instid0(VALU_DEP_1)
	v_cmpx_gt_u32_e64 s19, v33
; %bb.75:
	v_lshrrev_b32_e32 v33, 31, v39
	v_ashrrev_i32_e32 v34, 2, v39
	v_lshrrev_b32_e32 v41, 31, v40
	v_ashrrev_i32_e32 v40, 2, v40
	s_delay_alu instid0(VALU_DEP_3) | instskip(NEXT) | instid1(VALU_DEP_2)
	v_add_nc_u32_e32 v33, v34, v33
	v_add_nc_u32_e32 v34, v40, v41
	s_delay_alu instid0(VALU_DEP_1)
	v_cmp_ne_u32_e32 vcc_lo, v33, v34
	s_and_b32 s4, vcc_lo, exec_lo
; %bb.76:
	s_or_b32 exec_lo, exec_lo, s6
	v_or_b32_e32 v33, 5, v55
	s_mov_b32 s6, 0
	s_mov_b32 s7, 0
	s_mov_b32 s9, exec_lo
	s_delay_alu instid0(VALU_DEP_1)
	v_cmpx_gt_u32_e64 s19, v33
; %bb.77:
	v_lshrrev_b32_e32 v33, 31, v38
	v_ashrrev_i32_e32 v34, 2, v38
	v_lshrrev_b32_e32 v40, 31, v39
	v_ashrrev_i32_e32 v39, 2, v39
	s_delay_alu instid0(VALU_DEP_3) | instskip(NEXT) | instid1(VALU_DEP_2)
	v_add_nc_u32_e32 v33, v34, v33
	v_add_nc_u32_e32 v34, v39, v40
	s_delay_alu instid0(VALU_DEP_1)
	v_cmp_ne_u32_e32 vcc_lo, v33, v34
	s_and_b32 s7, vcc_lo, exec_lo
; %bb.78:
	s_or_b32 exec_lo, exec_lo, s9
	v_or_b32_e32 v33, 4, v55
	s_mov_b32 s9, exec_lo
	s_delay_alu instid0(VALU_DEP_1)
	v_cmpx_gt_u32_e64 s19, v33
; %bb.79:
	v_lshrrev_b32_e32 v33, 31, v37
	v_ashrrev_i32_e32 v34, 2, v37
	v_lshrrev_b32_e32 v39, 31, v38
	v_ashrrev_i32_e32 v38, 2, v38
	s_delay_alu instid0(VALU_DEP_3) | instskip(NEXT) | instid1(VALU_DEP_2)
	v_add_nc_u32_e32 v33, v34, v33
	v_add_nc_u32_e32 v34, v38, v39
	s_delay_alu instid0(VALU_DEP_1)
	v_cmp_ne_u32_e32 vcc_lo, v33, v34
	s_and_b32 s6, vcc_lo, exec_lo
; %bb.80:
	s_or_b32 exec_lo, exec_lo, s9
	v_or_b32_e32 v33, 3, v55
	s_mov_b32 s12, 0
	s_mov_b32 s9, 0
	s_mov_b32 s13, exec_lo
	s_delay_alu instid0(VALU_DEP_1)
	v_cmpx_gt_u32_e64 s19, v33
; %bb.81:
	v_lshrrev_b32_e32 v33, 31, v36
	v_ashrrev_i32_e32 v34, 2, v36
	v_lshrrev_b32_e32 v38, 31, v37
	v_ashrrev_i32_e32 v37, 2, v37
	s_delay_alu instid0(VALU_DEP_3) | instskip(NEXT) | instid1(VALU_DEP_2)
	v_add_nc_u32_e32 v33, v34, v33
	v_add_nc_u32_e32 v34, v37, v38
	s_delay_alu instid0(VALU_DEP_1)
	v_cmp_ne_u32_e32 vcc_lo, v33, v34
	s_and_b32 s9, vcc_lo, exec_lo
; %bb.82:
	s_or_b32 exec_lo, exec_lo, s13
	v_or_b32_e32 v33, 2, v55
	s_mov_b32 s13, exec_lo
	s_delay_alu instid0(VALU_DEP_1)
	v_cmpx_gt_u32_e64 s19, v33
; %bb.83:
	v_lshrrev_b32_e32 v33, 31, v35
	v_ashrrev_i32_e32 v34, 2, v35
	v_lshrrev_b32_e32 v37, 31, v36
	v_ashrrev_i32_e32 v36, 2, v36
	s_delay_alu instid0(VALU_DEP_3) | instskip(NEXT) | instid1(VALU_DEP_2)
	v_add_nc_u32_e32 v33, v34, v33
	v_add_nc_u32_e32 v34, v36, v37
	s_delay_alu instid0(VALU_DEP_1)
	v_cmp_ne_u32_e32 vcc_lo, v33, v34
	s_and_b32 s12, vcc_lo, exec_lo
; %bb.84:
	s_or_b32 exec_lo, exec_lo, s13
	v_or_b32_e32 v33, 1, v55
	s_mov_b32 s20, 0
	s_mov_b32 s13, exec_lo
	s_delay_alu instid0(VALU_DEP_1)
	v_cmpx_gt_u32_e64 s19, v33
; %bb.85:
	v_cvt_i32_f64_e32 v33, v[29:30]
	v_lshrrev_b32_e32 v34, 31, v35
	v_ashrrev_i32_e32 v35, 2, v35
	s_delay_alu instid0(VALU_DEP_1) | instskip(NEXT) | instid1(VALU_DEP_4)
	v_add_nc_u32_e32 v34, v35, v34
	v_mul_hi_i32 v33, 0x66666667, v33
	s_delay_alu instid0(VALU_DEP_1) | instskip(SKIP_1) | instid1(VALU_DEP_1)
	v_lshrrev_b32_e32 v36, 31, v33
	v_ashrrev_i32_e32 v33, 2, v33
	v_add_nc_u32_e32 v33, v33, v36
	s_delay_alu instid0(VALU_DEP_1)
	v_cmp_ne_u32_e32 vcc_lo, v33, v34
	s_and_b32 s20, vcc_lo, exec_lo
; %bb.86:
	s_or_b32 exec_lo, exec_lo, s13
	v_cndmask_b32_e64 v34, 0, 1, s9
	v_cndmask_b32_e64 v35, 0, 1, s7
	;; [unrolled: 1-line block ×7, first 2 shown]
	v_lshlrev_b16 v35, 8, v35
	v_lshlrev_b16 v36, 8, v36
	;; [unrolled: 1-line block ×4, first 2 shown]
	s_mov_b32 s5, exec_lo
	v_or_b32_e32 v35, v38, v35
	v_or_b32_e32 v36, v39, v36
	;; [unrolled: 1-line block ×4, first 2 shown]
	s_waitcnt lgkmcnt(0)
	v_and_b32_e32 v34, 0xffff, v35
	v_lshlrev_b32_e32 v35, 16, v36
	v_and_b32_e32 v36, 0xffff, v37
	v_lshlrev_b32_e32 v33, 16, v33
	s_barrier
	buffer_gl0_inv
	v_or_b32_e32 v34, v34, v35
                                        ; implicit-def: $sgpr4
	v_or_b32_e32 v33, v36, v33
	v_cmpx_ne_u32_e32 0, v0
	s_cbranch_execz .LBB53_90
; %bb.87:
	s_mov_b32 s6, 0
	s_mov_b32 s4, exec_lo
	v_cmpx_gt_u32_e64 s19, v55
	s_cbranch_execz .LBB53_89
; %bb.88:
	v_add_nc_u32_e32 v35, -8, v55
	v_cvt_i32_f64_e32 v37, v[29:30]
	ds_load_b64 v[35:36], v35
	s_waitcnt lgkmcnt(0)
	v_cvt_i32_f64_e32 v35, v[35:36]
	v_mul_hi_i32 v36, 0x66666667, v37
	s_delay_alu instid0(VALU_DEP_1) | instskip(SKIP_1) | instid1(VALU_DEP_1)
	v_lshrrev_b32_e32 v37, 31, v36
	v_ashrrev_i32_e32 v36, 2, v36
	v_add_nc_u32_e32 v36, v36, v37
	v_mul_hi_i32 v35, 0x66666667, v35
	s_delay_alu instid0(VALU_DEP_1) | instskip(SKIP_1) | instid1(VALU_DEP_1)
	v_lshrrev_b32_e32 v38, 31, v35
	v_ashrrev_i32_e32 v35, 2, v35
	v_add_nc_u32_e32 v35, v35, v38
	s_delay_alu instid0(VALU_DEP_1)
	v_cmp_ne_u32_e32 vcc_lo, v35, v36
	s_and_b32 s6, vcc_lo, exec_lo
.LBB53_89:
	s_or_b32 exec_lo, exec_lo, s4
	s_delay_alu instid0(SALU_CYCLE_1)
	s_and_b32 s4, s6, exec_lo
	s_or_b32 s2, s2, exec_lo
.LBB53_90:
	s_or_b32 exec_lo, exec_lo, s5
.LBB53_91:
	s_and_saveexec_b32 s5, s2
	s_cbranch_execz .LBB53_93
; %bb.92:
	s_waitcnt vmcnt(0) lgkmcnt(0)
	v_and_b32_e32 v35, 0xffffff00, v33
	v_cndmask_b32_e64 v36, 0, 1, s4
	s_delay_alu instid0(VALU_DEP_1) | instskip(NEXT) | instid1(VALU_DEP_1)
	v_or_b32_e32 v35, v36, v35
	v_and_b32_e32 v35, 0xffff, v35
	s_delay_alu instid0(VALU_DEP_1)
	v_and_or_b32 v33, 0xffff0000, v33, v35
.LBB53_93:
	s_or_b32 exec_lo, exec_lo, s5
	s_load_b64 s[12:13], s[0:1], 0x60
	s_and_not1_b32 vcc_lo, exec_lo, s3
	s_cbranch_vccnz .LBB53_95
; %bb.94:
	v_cmp_gt_u32_e32 vcc_lo, s19, v55
	s_waitcnt vmcnt(0) lgkmcnt(0)
	v_or_b32_e32 v36, 1, v55
	v_and_b32_e32 v37, 0xffffff00, v34
	v_or_b32_e32 v38, 2, v55
	v_cndmask_b32_e32 v35, 0, v33, vcc_lo
	s_delay_alu instid0(VALU_DEP_4) | instskip(SKIP_1) | instid1(VALU_DEP_4)
	v_cmp_gt_u32_e32 vcc_lo, s19, v36
	v_or_b32_e32 v36, 4, v55
	v_cmp_gt_u32_e64 s2, s19, v38
	v_or_b32_e32 v38, 3, v55
	v_and_b32_e32 v35, 0xff, v35
	s_delay_alu instid0(VALU_DEP_2) | instskip(NEXT) | instid1(VALU_DEP_2)
	v_cmp_gt_u32_e64 s3, s19, v38
	v_cndmask_b32_e32 v35, v35, v33, vcc_lo
	v_cmp_gt_u32_e32 vcc_lo, s19, v36
	v_cndmask_b32_e32 v36, v37, v34, vcc_lo
	v_or_b32_e32 v37, 5, v55
	s_delay_alu instid0(VALU_DEP_2) | instskip(SKIP_1) | instid1(VALU_DEP_1)
	v_and_b32_e32 v36, 0xffff00ff, v36
	v_and_b32_e32 v35, 0xffff, v35
	v_cndmask_b32_e64 v35, v35, v33, s2
	s_delay_alu instid0(VALU_DEP_4) | instskip(SKIP_1) | instid1(VALU_DEP_3)
	v_cmp_gt_u32_e64 s2, s19, v37
	v_or_b32_e32 v37, 6, v55
	v_and_b32_e32 v35, 0xffffff, v35
	s_delay_alu instid0(VALU_DEP_3) | instskip(NEXT) | instid1(VALU_DEP_2)
	v_cndmask_b32_e64 v36, v36, v34, s2
	v_cndmask_b32_e64 v35, v35, v33, s3
	s_delay_alu instid0(VALU_DEP_1) | instskip(SKIP_2) | instid1(VALU_DEP_3)
	v_dual_cndmask_b32 v35, v35, v33 :: v_dual_and_b32 v36, 0xff00ffff, v36
	v_cmp_gt_u32_e32 vcc_lo, s19, v37
	v_or_b32_e32 v37, 7, v55
	v_cndmask_b32_e64 v35, v35, v33, s2
	s_delay_alu instid0(VALU_DEP_1) | instskip(NEXT) | instid1(VALU_DEP_1)
	v_dual_cndmask_b32 v36, v36, v34 :: v_dual_cndmask_b32 v35, v35, v33
	v_and_b32_e32 v36, 0xffffff, v36
	s_delay_alu instid0(VALU_DEP_4) | instskip(NEXT) | instid1(VALU_DEP_2)
	v_cmp_gt_u32_e32 vcc_lo, s19, v37
	v_dual_cndmask_b32 v34, v36, v34 :: v_dual_cndmask_b32 v33, v35, v33
.LBB53_95:
	s_delay_alu instid0(VALU_DEP_1) | instskip(SKIP_1) | instid1(VALU_DEP_2)
	v_and_b32_e32 v44, 0xff, v33
	s_waitcnt vmcnt(0) lgkmcnt(0)
	v_alignbit_b32 v35, v34, v33, 24
	v_bfe_u32 v46, v33, 8, 8
	v_bfe_u32 v48, v33, 16, 8
	v_and_b32_e32 v52, 0xff, v34
	v_bfe_u32 v54, v34, 8, 8
	v_and_b32_e32 v50, 0xff, v35
	v_add_nc_u32_e32 v35, v46, v44
	v_mbcnt_lo_u32_b32 v58, -1, 0
	v_bfe_u32 v57, v34, 16, 8
	v_lshrrev_b32_e32 v56, 24, v34
	v_lshrrev_b32_e32 v59, 5, v0
	v_add3_u32 v35, v35, v48, v50
	v_and_b32_e32 v36, 15, v58
	v_and_b32_e32 v37, 16, v58
	s_and_b32 vcc_lo, exec_lo, s8
	s_mov_b32 s9, -1
	v_add3_u32 v35, v35, v52, v54
	v_cmp_eq_u32_e64 s4, 0, v36
	v_cmp_lt_u32_e64 s2, 1, v36
	v_cmp_lt_u32_e64 s5, 3, v36
	v_cmp_lt_u32_e64 s3, 7, v36
	v_add3_u32 v60, v35, v57, v56
	v_or_b32_e32 v35, 31, v0
	v_cmp_eq_u32_e64 s7, 0, v37
	s_barrier
	buffer_gl0_inv
	v_cmp_eq_u32_e64 s6, v35, v0
	s_cbranch_vccz .LBB53_121
; %bb.96:
	v_mov_b32_dpp v35, v60 row_shr:1 row_mask:0xf bank_mask:0xf
	s_delay_alu instid0(VALU_DEP_1) | instskip(NEXT) | instid1(VALU_DEP_1)
	v_cndmask_b32_e64 v35, v35, 0, s4
	v_add_nc_u32_e32 v35, v35, v60
	s_delay_alu instid0(VALU_DEP_1) | instskip(NEXT) | instid1(VALU_DEP_1)
	v_mov_b32_dpp v36, v35 row_shr:2 row_mask:0xf bank_mask:0xf
	v_cndmask_b32_e64 v36, 0, v36, s2
	s_delay_alu instid0(VALU_DEP_1) | instskip(NEXT) | instid1(VALU_DEP_1)
	v_add_nc_u32_e32 v35, v35, v36
	v_mov_b32_dpp v36, v35 row_shr:4 row_mask:0xf bank_mask:0xf
	s_delay_alu instid0(VALU_DEP_1) | instskip(NEXT) | instid1(VALU_DEP_1)
	v_cndmask_b32_e64 v36, 0, v36, s5
	v_add_nc_u32_e32 v35, v35, v36
	s_delay_alu instid0(VALU_DEP_1) | instskip(NEXT) | instid1(VALU_DEP_1)
	v_mov_b32_dpp v36, v35 row_shr:8 row_mask:0xf bank_mask:0xf
	v_cndmask_b32_e64 v36, 0, v36, s3
	s_delay_alu instid0(VALU_DEP_1) | instskip(SKIP_3) | instid1(VALU_DEP_1)
	v_add_nc_u32_e32 v35, v35, v36
	ds_swizzle_b32 v36, v35 offset:swizzle(BROADCAST,32,15)
	s_waitcnt lgkmcnt(0)
	v_cndmask_b32_e64 v36, v36, 0, s7
	v_add_nc_u32_e32 v35, v35, v36
	s_and_saveexec_b32 s8, s6
	s_cbranch_execz .LBB53_98
; %bb.97:
	v_lshlrev_b32_e32 v36, 2, v59
	ds_store_b32 v36, v35
.LBB53_98:
	s_or_b32 exec_lo, exec_lo, s8
	s_delay_alu instid0(SALU_CYCLE_1)
	s_mov_b32 s8, exec_lo
	s_waitcnt lgkmcnt(0)
	s_barrier
	buffer_gl0_inv
	v_cmpx_gt_u32_e32 16, v0
	s_cbranch_execz .LBB53_100
; %bb.99:
	v_lshlrev_b32_e32 v36, 2, v0
	ds_load_b32 v37, v36
	s_waitcnt lgkmcnt(0)
	v_mov_b32_dpp v38, v37 row_shr:1 row_mask:0xf bank_mask:0xf
	s_delay_alu instid0(VALU_DEP_1) | instskip(NEXT) | instid1(VALU_DEP_1)
	v_cndmask_b32_e64 v38, v38, 0, s4
	v_add_nc_u32_e32 v37, v38, v37
	s_delay_alu instid0(VALU_DEP_1) | instskip(NEXT) | instid1(VALU_DEP_1)
	v_mov_b32_dpp v38, v37 row_shr:2 row_mask:0xf bank_mask:0xf
	v_cndmask_b32_e64 v38, 0, v38, s2
	s_delay_alu instid0(VALU_DEP_1) | instskip(NEXT) | instid1(VALU_DEP_1)
	v_add_nc_u32_e32 v37, v37, v38
	v_mov_b32_dpp v38, v37 row_shr:4 row_mask:0xf bank_mask:0xf
	s_delay_alu instid0(VALU_DEP_1) | instskip(NEXT) | instid1(VALU_DEP_1)
	v_cndmask_b32_e64 v38, 0, v38, s5
	v_add_nc_u32_e32 v37, v37, v38
	s_delay_alu instid0(VALU_DEP_1) | instskip(NEXT) | instid1(VALU_DEP_1)
	v_mov_b32_dpp v38, v37 row_shr:8 row_mask:0xf bank_mask:0xf
	v_cndmask_b32_e64 v38, 0, v38, s3
	s_delay_alu instid0(VALU_DEP_1)
	v_add_nc_u32_e32 v37, v37, v38
	ds_store_b32 v36, v37
.LBB53_100:
	s_or_b32 exec_lo, exec_lo, s8
	v_cmp_gt_u32_e32 vcc_lo, 32, v0
	s_mov_b32 s9, exec_lo
	s_waitcnt lgkmcnt(0)
	s_barrier
	buffer_gl0_inv
                                        ; implicit-def: $vgpr43
	v_cmpx_lt_u32_e32 31, v0
	s_cbranch_execz .LBB53_102
; %bb.101:
	v_lshl_add_u32 v36, v59, 2, -4
	ds_load_b32 v43, v36
	s_waitcnt lgkmcnt(0)
	v_add_nc_u32_e32 v35, v43, v35
.LBB53_102:
	s_or_b32 exec_lo, exec_lo, s9
	v_add_nc_u32_e32 v36, -1, v58
	s_delay_alu instid0(VALU_DEP_1) | instskip(NEXT) | instid1(VALU_DEP_1)
	v_cmp_gt_i32_e64 s8, 0, v36
	v_cndmask_b32_e64 v36, v36, v58, s8
	v_cmp_eq_u32_e64 s8, 0, v58
	s_delay_alu instid0(VALU_DEP_2)
	v_lshlrev_b32_e32 v36, 2, v36
	ds_bpermute_b32 v45, v36, v35
	s_and_saveexec_b32 s9, vcc_lo
	s_cbranch_execz .LBB53_120
; %bb.103:
	v_mov_b32_e32 v39, 0
	ds_load_b32 v35, v39 offset:60
	s_and_saveexec_b32 s19, s8
	s_cbranch_execz .LBB53_105
; %bb.104:
	s_add_i32 s20, s15, 32
	s_mov_b32 s21, 0
	v_mov_b32_e32 v36, 1
	s_lshl_b64 s[20:21], s[20:21], 3
	s_delay_alu instid0(SALU_CYCLE_1)
	s_add_u32 s20, s12, s20
	s_addc_u32 s21, s13, s21
	s_waitcnt lgkmcnt(0)
	global_store_b64 v39, v[35:36], s[20:21]
.LBB53_105:
	s_or_b32 exec_lo, exec_lo, s19
	v_xad_u32 v37, v58, -1, s15
	s_mov_b32 s20, 0
	s_mov_b32 s19, exec_lo
	s_delay_alu instid0(VALU_DEP_1) | instskip(NEXT) | instid1(VALU_DEP_1)
	v_add_nc_u32_e32 v38, 32, v37
	v_lshlrev_b64 v[38:39], 3, v[38:39]
	s_delay_alu instid0(VALU_DEP_1) | instskip(NEXT) | instid1(VALU_DEP_2)
	v_add_co_u32 v41, vcc_lo, s12, v38
	v_add_co_ci_u32_e32 v42, vcc_lo, s13, v39, vcc_lo
	global_load_b64 v[39:40], v[41:42], off glc
	s_waitcnt vmcnt(0)
	v_and_b32_e32 v36, 0xff, v40
	s_delay_alu instid0(VALU_DEP_1)
	v_cmpx_eq_u16_e32 0, v36
	s_cbranch_execz .LBB53_108
.LBB53_106:                             ; =>This Inner Loop Header: Depth=1
	global_load_b64 v[39:40], v[41:42], off glc
	s_waitcnt vmcnt(0)
	v_and_b32_e32 v36, 0xff, v40
	s_delay_alu instid0(VALU_DEP_1) | instskip(SKIP_1) | instid1(SALU_CYCLE_1)
	v_cmp_ne_u16_e32 vcc_lo, 0, v36
	s_or_b32 s20, vcc_lo, s20
	s_and_not1_b32 exec_lo, exec_lo, s20
	s_cbranch_execnz .LBB53_106
; %bb.107:
	s_or_b32 exec_lo, exec_lo, s20
.LBB53_108:
	s_delay_alu instid0(SALU_CYCLE_1)
	s_or_b32 exec_lo, exec_lo, s19
	v_cmp_ne_u32_e32 vcc_lo, 31, v58
	v_lshlrev_b32_e64 v49, v58, -1
	v_add_nc_u32_e32 v53, 2, v58
	v_add_nc_u32_e32 v66, 16, v58
	v_add_co_ci_u32_e32 v36, vcc_lo, 0, v58, vcc_lo
	s_delay_alu instid0(VALU_DEP_1)
	v_lshlrev_b32_e32 v47, 2, v36
	v_and_b32_e32 v36, 0xff, v40
	ds_bpermute_b32 v38, v47, v39
	v_cmp_eq_u16_e32 vcc_lo, 2, v36
	v_and_or_b32 v36, vcc_lo, v49, 0x80000000
	v_cmp_gt_u32_e32 vcc_lo, 30, v58
	s_delay_alu instid0(VALU_DEP_2) | instskip(SKIP_1) | instid1(VALU_DEP_2)
	v_ctz_i32_b32_e32 v36, v36
	v_cndmask_b32_e64 v41, 0, 1, vcc_lo
	v_cmp_lt_u32_e32 vcc_lo, v58, v36
	s_waitcnt lgkmcnt(0)
	s_delay_alu instid0(VALU_DEP_2) | instskip(NEXT) | instid1(VALU_DEP_1)
	v_dual_cndmask_b32 v38, 0, v38 :: v_dual_lshlrev_b32 v41, 1, v41
	v_add_lshl_u32 v51, v41, v58, 2
	v_cmp_gt_u32_e32 vcc_lo, 28, v58
	s_delay_alu instid0(VALU_DEP_3) | instskip(SKIP_4) | instid1(VALU_DEP_1)
	v_add_nc_u32_e32 v38, v38, v39
	v_cndmask_b32_e64 v41, 0, 1, vcc_lo
	v_cmp_le_u32_e32 vcc_lo, v53, v36
	ds_bpermute_b32 v39, v51, v38
	v_lshlrev_b32_e32 v41, 2, v41
	v_add_lshl_u32 v61, v41, v58, 2
	s_waitcnt lgkmcnt(0)
	v_cndmask_b32_e32 v39, 0, v39, vcc_lo
	v_cmp_gt_u32_e32 vcc_lo, 24, v58
	s_delay_alu instid0(VALU_DEP_2) | instskip(SKIP_4) | instid1(VALU_DEP_2)
	v_add_nc_u32_e32 v38, v38, v39
	v_cndmask_b32_e64 v41, 0, 1, vcc_lo
	ds_bpermute_b32 v39, v61, v38
	v_add_nc_u32_e32 v62, 4, v58
	v_lshlrev_b32_e32 v41, 3, v41
	v_cmp_le_u32_e32 vcc_lo, v62, v36
	s_delay_alu instid0(VALU_DEP_2) | instskip(SKIP_3) | instid1(VALU_DEP_2)
	v_add_lshl_u32 v63, v41, v58, 2
	s_waitcnt lgkmcnt(0)
	v_cndmask_b32_e32 v39, 0, v39, vcc_lo
	v_cmp_gt_u32_e32 vcc_lo, 16, v58
	v_add_nc_u32_e32 v38, v38, v39
	v_cndmask_b32_e64 v41, 0, 1, vcc_lo
	ds_bpermute_b32 v39, v63, v38
	v_add_nc_u32_e32 v64, 8, v58
	v_lshlrev_b32_e32 v41, 4, v41
	s_delay_alu instid0(VALU_DEP_2) | instskip(NEXT) | instid1(VALU_DEP_2)
	v_cmp_le_u32_e32 vcc_lo, v64, v36
	v_add_lshl_u32 v65, v41, v58, 2
	s_waitcnt lgkmcnt(0)
	v_cndmask_b32_e32 v39, 0, v39, vcc_lo
	v_cmp_le_u32_e32 vcc_lo, v66, v36
	s_delay_alu instid0(VALU_DEP_2) | instskip(SKIP_3) | instid1(VALU_DEP_1)
	v_add_nc_u32_e32 v38, v38, v39
	ds_bpermute_b32 v39, v65, v38
	s_waitcnt lgkmcnt(0)
	v_cndmask_b32_e32 v36, 0, v39, vcc_lo
	v_dual_mov_b32 v38, 0 :: v_dual_add_nc_u32 v39, v38, v36
	s_branch .LBB53_110
.LBB53_109:                             ;   in Loop: Header=BB53_110 Depth=1
	s_or_b32 exec_lo, exec_lo, s19
	ds_bpermute_b32 v42, v47, v39
	v_and_b32_e32 v41, 0xff, v40
	v_subrev_nc_u32_e32 v37, 32, v37
	s_delay_alu instid0(VALU_DEP_2) | instskip(SKIP_1) | instid1(VALU_DEP_1)
	v_cmp_eq_u16_e32 vcc_lo, 2, v41
	v_and_or_b32 v41, vcc_lo, v49, 0x80000000
	v_ctz_i32_b32_e32 v41, v41
	s_delay_alu instid0(VALU_DEP_1) | instskip(SKIP_3) | instid1(VALU_DEP_2)
	v_cmp_lt_u32_e32 vcc_lo, v58, v41
	s_waitcnt lgkmcnt(0)
	v_cndmask_b32_e32 v42, 0, v42, vcc_lo
	v_cmp_le_u32_e32 vcc_lo, v53, v41
	v_add_nc_u32_e32 v39, v42, v39
	ds_bpermute_b32 v42, v51, v39
	s_waitcnt lgkmcnt(0)
	v_cndmask_b32_e32 v42, 0, v42, vcc_lo
	v_cmp_le_u32_e32 vcc_lo, v62, v41
	s_delay_alu instid0(VALU_DEP_2) | instskip(SKIP_4) | instid1(VALU_DEP_2)
	v_add_nc_u32_e32 v39, v39, v42
	ds_bpermute_b32 v42, v61, v39
	s_waitcnt lgkmcnt(0)
	v_cndmask_b32_e32 v42, 0, v42, vcc_lo
	v_cmp_le_u32_e32 vcc_lo, v64, v41
	v_add_nc_u32_e32 v39, v39, v42
	ds_bpermute_b32 v42, v63, v39
	s_waitcnt lgkmcnt(0)
	v_cndmask_b32_e32 v42, 0, v42, vcc_lo
	v_cmp_le_u32_e32 vcc_lo, v66, v41
	s_delay_alu instid0(VALU_DEP_2) | instskip(SKIP_3) | instid1(VALU_DEP_1)
	v_add_nc_u32_e32 v39, v39, v42
	ds_bpermute_b32 v42, v65, v39
	s_waitcnt lgkmcnt(0)
	v_cndmask_b32_e32 v41, 0, v42, vcc_lo
	v_add3_u32 v39, v41, v36, v39
.LBB53_110:                             ; =>This Loop Header: Depth=1
                                        ;     Child Loop BB53_113 Depth 2
	v_and_b32_e32 v36, 0xff, v40
	s_delay_alu instid0(VALU_DEP_1) | instskip(SKIP_2) | instid1(VALU_DEP_1)
	v_cmp_ne_u16_e32 vcc_lo, 2, v36
	v_cndmask_b32_e64 v36, 0, 1, vcc_lo
	;;#ASMSTART
	;;#ASMEND
	v_cmp_ne_u32_e32 vcc_lo, 0, v36
	v_mov_b32_e32 v36, v39
	s_cmp_lg_u32 vcc_lo, exec_lo
	s_cbranch_scc1 .LBB53_115
; %bb.111:                              ;   in Loop: Header=BB53_110 Depth=1
	v_lshlrev_b64 v[39:40], 3, v[37:38]
	s_mov_b32 s19, exec_lo
	s_delay_alu instid0(VALU_DEP_1) | instskip(NEXT) | instid1(VALU_DEP_2)
	v_add_co_u32 v41, vcc_lo, s12, v39
	v_add_co_ci_u32_e32 v42, vcc_lo, s13, v40, vcc_lo
	global_load_b64 v[39:40], v[41:42], off glc
	s_waitcnt vmcnt(0)
	v_and_b32_e32 v67, 0xff, v40
	s_delay_alu instid0(VALU_DEP_1)
	v_cmpx_eq_u16_e32 0, v67
	s_cbranch_execz .LBB53_109
; %bb.112:                              ;   in Loop: Header=BB53_110 Depth=1
	s_mov_b32 s20, 0
.LBB53_113:                             ;   Parent Loop BB53_110 Depth=1
                                        ; =>  This Inner Loop Header: Depth=2
	global_load_b64 v[39:40], v[41:42], off glc
	s_waitcnt vmcnt(0)
	v_and_b32_e32 v67, 0xff, v40
	s_delay_alu instid0(VALU_DEP_1) | instskip(SKIP_1) | instid1(SALU_CYCLE_1)
	v_cmp_ne_u16_e32 vcc_lo, 0, v67
	s_or_b32 s20, vcc_lo, s20
	s_and_not1_b32 exec_lo, exec_lo, s20
	s_cbranch_execnz .LBB53_113
; %bb.114:                              ;   in Loop: Header=BB53_110 Depth=1
	s_or_b32 exec_lo, exec_lo, s20
	s_branch .LBB53_109
.LBB53_115:                             ;   in Loop: Header=BB53_110 Depth=1
                                        ; implicit-def: $vgpr39
                                        ; implicit-def: $vgpr40
	s_cbranch_execz .LBB53_110
; %bb.116:
	s_and_saveexec_b32 s19, s8
	s_cbranch_execz .LBB53_118
; %bb.117:
	s_add_i32 s20, s15, 32
	s_mov_b32 s21, 0
	v_dual_mov_b32 v38, 2 :: v_dual_add_nc_u32 v37, v36, v35
	s_lshl_b64 s[20:21], s[20:21], 3
	v_mov_b32_e32 v39, 0
	s_add_u32 s20, s12, s20
	s_addc_u32 s21, s13, s21
	global_store_b64 v39, v[37:38], s[20:21]
	ds_store_b64 v39, v[35:36] offset:33792
.LBB53_118:
	s_or_b32 exec_lo, exec_lo, s19
	v_cmp_eq_u32_e32 vcc_lo, 0, v0
	s_and_b32 exec_lo, exec_lo, vcc_lo
	s_cbranch_execz .LBB53_120
; %bb.119:
	v_mov_b32_e32 v35, 0
	ds_store_b32 v35, v36 offset:60
.LBB53_120:
	s_or_b32 exec_lo, exec_lo, s9
	v_mov_b32_e32 v35, 0
	s_waitcnt lgkmcnt(0)
	s_waitcnt_vscnt null, 0x0
	s_barrier
	buffer_gl0_inv
	v_cndmask_b32_e64 v37, v45, v43, s8
	ds_load_b32 v36, v35 offset:60
	v_cmp_ne_u32_e32 vcc_lo, 0, v0
	s_waitcnt lgkmcnt(0)
	s_barrier
	buffer_gl0_inv
	v_cndmask_b32_e32 v37, 0, v37, vcc_lo
	s_delay_alu instid0(VALU_DEP_1) | instskip(SKIP_2) | instid1(VALU_DEP_1)
	v_add_nc_u32_e32 v53, v36, v37
	ds_load_b64 v[35:36], v35 offset:33792
	v_add_nc_u32_e32 v51, v53, v44
	v_add_nc_u32_e32 v49, v51, v46
	s_delay_alu instid0(VALU_DEP_1) | instskip(NEXT) | instid1(VALU_DEP_1)
	v_add_nc_u32_e32 v47, v49, v48
	v_add_nc_u32_e32 v45, v47, v50
	s_waitcnt lgkmcnt(0)
	v_readfirstlane_b32 s8, v36
	s_delay_alu instid0(VALU_DEP_2) | instskip(NEXT) | instid1(VALU_DEP_1)
	v_add_nc_u32_e32 v43, v45, v52
	v_add_nc_u32_e32 v41, v43, v54
	s_delay_alu instid0(VALU_DEP_1)
	v_add_nc_u32_e32 v39, v41, v57
	v_lshrrev_b64 v[37:38], 24, v[33:34]
	s_branch .LBB53_131
.LBB53_121:
                                        ; implicit-def: $vgpr39
                                        ; implicit-def: $vgpr41
                                        ; implicit-def: $vgpr43
                                        ; implicit-def: $vgpr45
                                        ; implicit-def: $vgpr47
                                        ; implicit-def: $vgpr49
                                        ; implicit-def: $vgpr51
                                        ; implicit-def: $vgpr53
                                        ; implicit-def: $sgpr8
                                        ; implicit-def: $vgpr35
	v_lshrrev_b64 v[37:38], 24, v[33:34]
	s_and_b32 vcc_lo, exec_lo, s9
	s_cbranch_vccz .LBB53_131
; %bb.122:
	v_mov_b32_dpp v35, v60 row_shr:1 row_mask:0xf bank_mask:0xf
	s_delay_alu instid0(VALU_DEP_1) | instskip(NEXT) | instid1(VALU_DEP_1)
	v_cndmask_b32_e64 v35, v35, 0, s4
	v_add_nc_u32_e32 v35, v35, v60
	s_delay_alu instid0(VALU_DEP_1) | instskip(NEXT) | instid1(VALU_DEP_1)
	v_mov_b32_dpp v36, v35 row_shr:2 row_mask:0xf bank_mask:0xf
	v_cndmask_b32_e64 v36, 0, v36, s2
	s_delay_alu instid0(VALU_DEP_1) | instskip(NEXT) | instid1(VALU_DEP_1)
	v_add_nc_u32_e32 v35, v35, v36
	v_mov_b32_dpp v36, v35 row_shr:4 row_mask:0xf bank_mask:0xf
	s_delay_alu instid0(VALU_DEP_1) | instskip(NEXT) | instid1(VALU_DEP_1)
	v_cndmask_b32_e64 v36, 0, v36, s5
	v_add_nc_u32_e32 v35, v35, v36
	s_delay_alu instid0(VALU_DEP_1) | instskip(NEXT) | instid1(VALU_DEP_1)
	v_mov_b32_dpp v36, v35 row_shr:8 row_mask:0xf bank_mask:0xf
	v_cndmask_b32_e64 v36, 0, v36, s3
	s_delay_alu instid0(VALU_DEP_1) | instskip(SKIP_3) | instid1(VALU_DEP_1)
	v_add_nc_u32_e32 v35, v35, v36
	ds_swizzle_b32 v36, v35 offset:swizzle(BROADCAST,32,15)
	s_waitcnt lgkmcnt(0)
	v_cndmask_b32_e64 v36, v36, 0, s7
	v_add_nc_u32_e32 v35, v35, v36
	s_and_saveexec_b32 s7, s6
	s_cbranch_execz .LBB53_124
; %bb.123:
	v_lshlrev_b32_e32 v36, 2, v59
	ds_store_b32 v36, v35
.LBB53_124:
	s_or_b32 exec_lo, exec_lo, s7
	s_delay_alu instid0(SALU_CYCLE_1)
	s_mov_b32 s6, exec_lo
	s_waitcnt lgkmcnt(0)
	s_barrier
	buffer_gl0_inv
	v_cmpx_gt_u32_e32 16, v0
	s_cbranch_execz .LBB53_126
; %bb.125:
	v_lshlrev_b32_e32 v36, 2, v0
	ds_load_b32 v38, v36
	s_waitcnt lgkmcnt(0)
	v_mov_b32_dpp v39, v38 row_shr:1 row_mask:0xf bank_mask:0xf
	s_delay_alu instid0(VALU_DEP_1) | instskip(NEXT) | instid1(VALU_DEP_1)
	v_cndmask_b32_e64 v39, v39, 0, s4
	v_add_nc_u32_e32 v38, v39, v38
	s_delay_alu instid0(VALU_DEP_1) | instskip(NEXT) | instid1(VALU_DEP_1)
	v_mov_b32_dpp v39, v38 row_shr:2 row_mask:0xf bank_mask:0xf
	v_cndmask_b32_e64 v39, 0, v39, s2
	s_delay_alu instid0(VALU_DEP_1) | instskip(NEXT) | instid1(VALU_DEP_1)
	v_add_nc_u32_e32 v38, v38, v39
	v_mov_b32_dpp v39, v38 row_shr:4 row_mask:0xf bank_mask:0xf
	s_delay_alu instid0(VALU_DEP_1) | instskip(NEXT) | instid1(VALU_DEP_1)
	v_cndmask_b32_e64 v39, 0, v39, s5
	v_add_nc_u32_e32 v38, v38, v39
	s_delay_alu instid0(VALU_DEP_1) | instskip(NEXT) | instid1(VALU_DEP_1)
	v_mov_b32_dpp v39, v38 row_shr:8 row_mask:0xf bank_mask:0xf
	v_cndmask_b32_e64 v39, 0, v39, s3
	s_delay_alu instid0(VALU_DEP_1)
	v_add_nc_u32_e32 v38, v38, v39
	ds_store_b32 v36, v38
.LBB53_126:
	s_or_b32 exec_lo, exec_lo, s6
	v_mov_b32_e32 v36, 0
	v_mov_b32_e32 v38, 0
	s_mov_b32 s2, exec_lo
	s_waitcnt lgkmcnt(0)
	s_barrier
	buffer_gl0_inv
	v_cmpx_lt_u32_e32 31, v0
	s_cbranch_execz .LBB53_128
; %bb.127:
	v_lshl_add_u32 v38, v59, 2, -4
	ds_load_b32 v38, v38
.LBB53_128:
	s_or_b32 exec_lo, exec_lo, s2
	v_add_nc_u32_e32 v39, -1, v58
	s_waitcnt lgkmcnt(0)
	v_add_nc_u32_e32 v35, v38, v35
	s_mov_b32 s8, 0
	s_delay_alu instid0(VALU_DEP_2) | instskip(SKIP_2) | instid1(VALU_DEP_2)
	v_cmp_gt_i32_e32 vcc_lo, 0, v39
	v_cndmask_b32_e32 v39, v39, v58, vcc_lo
	v_cmp_eq_u32_e32 vcc_lo, 0, v0
	v_lshlrev_b32_e32 v39, 2, v39
	ds_bpermute_b32 v39, v39, v35
	ds_load_b32 v35, v36 offset:60
	s_and_saveexec_b32 s2, vcc_lo
	s_cbranch_execz .LBB53_130
; %bb.129:
	v_mov_b32_e32 v40, 0
	v_mov_b32_e32 v36, 2
	s_waitcnt lgkmcnt(0)
	global_store_b64 v40, v[35:36], s[12:13] offset:256
.LBB53_130:
	s_or_b32 exec_lo, exec_lo, s2
	v_cmp_eq_u32_e64 s2, 0, v58
	s_waitcnt lgkmcnt(0)
	s_waitcnt_vscnt null, 0x0
	s_barrier
	buffer_gl0_inv
	v_cndmask_b32_e64 v36, v39, v38, s2
	s_delay_alu instid0(VALU_DEP_1) | instskip(NEXT) | instid1(VALU_DEP_1)
	v_cndmask_b32_e64 v53, v36, 0, vcc_lo
	v_add_nc_u32_e32 v51, v53, v44
	s_delay_alu instid0(VALU_DEP_1) | instskip(NEXT) | instid1(VALU_DEP_1)
	v_add_nc_u32_e32 v49, v51, v46
	v_add_nc_u32_e32 v47, v49, v48
	s_delay_alu instid0(VALU_DEP_1) | instskip(NEXT) | instid1(VALU_DEP_1)
	v_add_nc_u32_e32 v45, v47, v50
	;; [unrolled: 3-line block ×3, first 2 shown]
	v_add_nc_u32_e32 v39, v41, v57
.LBB53_131:
	s_load_b128 s[4:7], s[0:1], 0x28
	v_add_nc_u32_e32 v59, s8, v35
	v_cmp_gt_u32_e64 s0, 0x201, v35
	v_lshrrev_b32_e32 v58, 8, v33
	v_lshrrev_b32_e32 v57, 16, v33
	;; [unrolled: 1-line block ×4, first 2 shown]
	v_cmp_lt_u32_e64 s1, v53, v59
	s_and_b32 vcc_lo, exec_lo, s0
	s_mov_b32 s2, -1
	s_cbranch_vccz .LBB53_157
; %bb.132:
	s_lshl_b64 s[2:3], s[10:11], 3
	s_waitcnt lgkmcnt(0)
	s_add_u32 s2, s4, s2
	s_addc_u32 s3, s5, s3
	s_or_b32 s9, s18, s1
	s_delay_alu instid0(SALU_CYCLE_1)
	s_and_saveexec_b32 s1, s9
	s_cbranch_execz .LBB53_135
; %bb.133:
	v_and_b32_e32 v40, 1, v33
	s_delay_alu instid0(VALU_DEP_1)
	v_cmp_eq_u32_e32 vcc_lo, 1, v40
	s_and_b32 exec_lo, exec_lo, vcc_lo
	s_cbranch_execz .LBB53_135
; %bb.134:
	v_mov_b32_e32 v54, 0
	s_delay_alu instid0(VALU_DEP_1) | instskip(NEXT) | instid1(VALU_DEP_1)
	v_lshlrev_b64 v[60:61], 3, v[53:54]
	v_add_co_u32 v60, vcc_lo, s2, v60
	s_delay_alu instid0(VALU_DEP_2)
	v_add_co_ci_u32_e32 v61, vcc_lo, s3, v61, vcc_lo
	global_store_b64 v[60:61], v[29:30], off
.LBB53_135:
	s_or_b32 exec_lo, exec_lo, s1
	v_cmp_lt_u32_e32 vcc_lo, v51, v59
	s_or_b32 s9, s18, vcc_lo
	s_delay_alu instid0(SALU_CYCLE_1)
	s_and_saveexec_b32 s1, s9
	s_cbranch_execz .LBB53_138
; %bb.136:
	v_and_b32_e32 v40, 1, v58
	s_delay_alu instid0(VALU_DEP_1)
	v_cmp_eq_u32_e32 vcc_lo, 1, v40
	s_and_b32 exec_lo, exec_lo, vcc_lo
	s_cbranch_execz .LBB53_138
; %bb.137:
	v_mov_b32_e32 v52, 0
	s_delay_alu instid0(VALU_DEP_1) | instskip(NEXT) | instid1(VALU_DEP_1)
	v_lshlrev_b64 v[60:61], 3, v[51:52]
	v_add_co_u32 v60, vcc_lo, s2, v60
	s_delay_alu instid0(VALU_DEP_2)
	v_add_co_ci_u32_e32 v61, vcc_lo, s3, v61, vcc_lo
	global_store_b64 v[60:61], v[31:32], off
.LBB53_138:
	s_or_b32 exec_lo, exec_lo, s1
	v_cmp_lt_u32_e32 vcc_lo, v49, v59
	s_or_b32 s9, s18, vcc_lo
	;; [unrolled: 21-line block ×7, first 2 shown]
	s_delay_alu instid0(SALU_CYCLE_1)
	s_and_saveexec_b32 s1, s9
	s_cbranch_execz .LBB53_156
; %bb.154:
	v_and_b32_e32 v40, 1, v56
	s_delay_alu instid0(VALU_DEP_1)
	v_cmp_eq_u32_e32 vcc_lo, 1, v40
	s_and_b32 exec_lo, exec_lo, vcc_lo
	s_cbranch_execz .LBB53_156
; %bb.155:
	v_mov_b32_e32 v40, 0
	s_delay_alu instid0(VALU_DEP_1) | instskip(NEXT) | instid1(VALU_DEP_1)
	v_lshlrev_b64 v[60:61], 3, v[39:40]
	v_add_co_u32 v60, vcc_lo, s2, v60
	s_delay_alu instid0(VALU_DEP_2)
	v_add_co_ci_u32_e32 v61, vcc_lo, s3, v61, vcc_lo
	global_store_b64 v[60:61], v[19:20], off
.LBB53_156:
	s_or_b32 exec_lo, exec_lo, s1
	s_mov_b32 s2, 0
.LBB53_157:
	v_and_b32_e32 v33, 1, v33
	s_and_b32 vcc_lo, exec_lo, s2
	s_delay_alu instid0(VALU_DEP_1)
	v_cmp_eq_u32_e64 s1, 1, v33
	s_cbranch_vccz .LBB53_178
; %bb.158:
	s_delay_alu instid0(VALU_DEP_1)
	s_and_saveexec_b32 s2, s1
	s_cbranch_execz .LBB53_160
; %bb.159:
	v_subrev_nc_u32_e32 v40, s8, v53
	s_delay_alu instid0(VALU_DEP_1)
	v_lshlrev_b32_e32 v40, 3, v40
	ds_store_b64 v40, v[29:30]
.LBB53_160:
	s_or_b32 exec_lo, exec_lo, s2
	v_and_b32_e32 v29, 1, v58
	s_mov_b32 s1, exec_lo
	s_delay_alu instid0(VALU_DEP_1)
	v_cmpx_eq_u32_e32 1, v29
	s_cbranch_execz .LBB53_162
; %bb.161:
	v_subrev_nc_u32_e32 v29, s8, v51
	s_delay_alu instid0(VALU_DEP_1)
	v_lshlrev_b32_e32 v29, 3, v29
	ds_store_b64 v29, v[31:32]
.LBB53_162:
	s_or_b32 exec_lo, exec_lo, s1
	v_and_b32_e32 v29, 1, v57
	s_mov_b32 s1, exec_lo
	s_delay_alu instid0(VALU_DEP_1)
	v_cmpx_eq_u32_e32 1, v29
	;; [unrolled: 12-line block ×7, first 2 shown]
	s_cbranch_execz .LBB53_174
; %bb.173:
	v_subrev_nc_u32_e32 v17, s8, v39
	s_delay_alu instid0(VALU_DEP_1)
	v_lshlrev_b32_e32 v17, 3, v17
	ds_store_b64 v17, v[19:20]
.LBB53_174:
	s_or_b32 exec_lo, exec_lo, s1
	s_delay_alu instid0(SALU_CYCLE_1)
	s_mov_b32 s2, exec_lo
	s_waitcnt lgkmcnt(0)
	s_waitcnt_vscnt null, 0x0
	s_barrier
	buffer_gl0_inv
	v_cmpx_lt_u32_e64 v0, v35
	s_cbranch_execz .LBB53_177
; %bb.175:
	s_mov_b32 s9, 0
	s_lshl_b64 s[12:13], s[10:11], 3
	s_lshl_b64 s[20:21], s[8:9], 3
	v_dual_mov_b32 v19, v55 :: v_dual_mov_b32 v20, v0
	s_add_u32 s1, s12, s20
	s_addc_u32 s3, s13, s21
	s_add_u32 s1, s4, s1
	s_addc_u32 s3, s5, s3
	v_add_co_u32 v17, s1, s1, v55
	s_delay_alu instid0(VALU_DEP_1)
	v_add_co_ci_u32_e64 v18, null, s3, 0, s1
	.p2align	6
.LBB53_176:                             ; =>This Inner Loop Header: Depth=1
	ds_load_b64 v[21:22], v19
	v_add_nc_u32_e32 v20, 0x200, v20
	v_add_nc_u32_e32 v19, 0x1000, v19
	s_delay_alu instid0(VALU_DEP_2) | instskip(SKIP_4) | instid1(VALU_DEP_1)
	v_cmp_ge_u32_e32 vcc_lo, v20, v35
	s_or_b32 s9, vcc_lo, s9
	s_waitcnt lgkmcnt(0)
	global_store_b64 v[17:18], v[21:22], off
	v_add_co_u32 v17, s1, 0x1000, v17
	v_add_co_ci_u32_e64 v18, s1, 0, v18, s1
	s_and_not1_b32 exec_lo, exec_lo, s9
	s_cbranch_execnz .LBB53_176
.LBB53_177:
	s_or_b32 exec_lo, exec_lo, s2
.LBB53_178:
	s_delay_alu instid0(SALU_CYCLE_1)
	s_and_b32 vcc_lo, exec_lo, s0
	s_mov_b32 s0, -1
	s_waitcnt lgkmcnt(0)
	s_waitcnt_vscnt null, 0x0
	s_barrier
	buffer_gl0_inv
	s_cbranch_vccz .LBB53_206
; %bb.179:
	v_cmp_lt_u32_e32 vcc_lo, v53, v59
	s_lshl_b64 s[0:1], s[10:11], 3
	s_delay_alu instid0(SALU_CYCLE_1) | instskip(SKIP_2) | instid1(SALU_CYCLE_1)
	s_add_u32 s0, s6, s0
	s_addc_u32 s1, s7, s1
	s_or_b32 s3, s18, vcc_lo
	s_and_saveexec_b32 s2, s3
	s_cbranch_execz .LBB53_182
; %bb.180:
	v_cmp_eq_u32_e32 vcc_lo, 1, v33
	s_and_b32 exec_lo, exec_lo, vcc_lo
	s_cbranch_execz .LBB53_182
; %bb.181:
	v_mov_b32_e32 v54, 0
	s_delay_alu instid0(VALU_DEP_1) | instskip(NEXT) | instid1(VALU_DEP_1)
	v_lshlrev_b64 v[17:18], 3, v[53:54]
	v_add_co_u32 v17, vcc_lo, s0, v17
	s_delay_alu instid0(VALU_DEP_2)
	v_add_co_ci_u32_e32 v18, vcc_lo, s1, v18, vcc_lo
	global_store_b64 v[17:18], v[13:14], off
.LBB53_182:
	s_or_b32 exec_lo, exec_lo, s2
	v_cmp_lt_u32_e32 vcc_lo, v51, v59
	s_or_b32 s3, s18, vcc_lo
	s_delay_alu instid0(SALU_CYCLE_1)
	s_and_saveexec_b32 s2, s3
	s_cbranch_execz .LBB53_185
; %bb.183:
	v_and_b32_e32 v17, 1, v58
	s_delay_alu instid0(VALU_DEP_1)
	v_cmp_eq_u32_e32 vcc_lo, 1, v17
	s_and_b32 exec_lo, exec_lo, vcc_lo
	s_cbranch_execz .LBB53_185
; %bb.184:
	v_mov_b32_e32 v52, 0
	s_delay_alu instid0(VALU_DEP_1) | instskip(NEXT) | instid1(VALU_DEP_1)
	v_lshlrev_b64 v[17:18], 3, v[51:52]
	v_add_co_u32 v17, vcc_lo, s0, v17
	s_delay_alu instid0(VALU_DEP_2)
	v_add_co_ci_u32_e32 v18, vcc_lo, s1, v18, vcc_lo
	global_store_b64 v[17:18], v[15:16], off
.LBB53_185:
	s_or_b32 exec_lo, exec_lo, s2
	v_cmp_lt_u32_e32 vcc_lo, v49, v59
	s_or_b32 s3, s18, vcc_lo
	s_delay_alu instid0(SALU_CYCLE_1)
	s_and_saveexec_b32 s2, s3
	s_cbranch_execz .LBB53_188
; %bb.186:
	v_and_b32_e32 v17, 1, v57
	s_delay_alu instid0(VALU_DEP_1)
	v_cmp_eq_u32_e32 vcc_lo, 1, v17
	s_and_b32 exec_lo, exec_lo, vcc_lo
	s_cbranch_execz .LBB53_188
; %bb.187:
	v_mov_b32_e32 v50, 0
	s_delay_alu instid0(VALU_DEP_1) | instskip(NEXT) | instid1(VALU_DEP_1)
	v_lshlrev_b64 v[17:18], 3, v[49:50]
	v_add_co_u32 v17, vcc_lo, s0, v17
	s_delay_alu instid0(VALU_DEP_2)
	v_add_co_ci_u32_e32 v18, vcc_lo, s1, v18, vcc_lo
	global_store_b64 v[17:18], v[9:10], off
.LBB53_188:
	;; [unrolled: 21-line block ×7, first 2 shown]
	s_or_b32 exec_lo, exec_lo, s2
.LBB53_204:
	v_cmp_eq_u32_e32 vcc_lo, 0, v0
	s_and_b32 s0, vcc_lo, s14
	s_delay_alu instid0(SALU_CYCLE_1)
	s_and_saveexec_b32 s1, s0
	s_cbranch_execz .LBB53_227
.LBB53_205:
	v_add_co_u32 v0, s0, s10, v35
	s_delay_alu instid0(VALU_DEP_1) | instskip(SKIP_1) | instid1(VALU_DEP_3)
	v_add_co_ci_u32_e64 v1, null, s11, 0, s0
	v_mov_b32_e32 v2, 0
	v_add_co_u32 v0, vcc_lo, v0, s8
	s_delay_alu instid0(VALU_DEP_3)
	v_add_co_ci_u32_e32 v1, vcc_lo, 0, v1, vcc_lo
	global_store_b64 v2, v[0:1], s[16:17]
	s_nop 0
	s_sendmsg sendmsg(MSG_DEALLOC_VGPRS)
	s_endpgm
.LBB53_206:
	s_and_b32 vcc_lo, exec_lo, s0
	s_cbranch_vccz .LBB53_204
; %bb.207:
	s_mov_b32 s0, exec_lo
	v_cmpx_eq_u32_e32 1, v33
	s_cbranch_execz .LBB53_209
; %bb.208:
	v_subrev_nc_u32_e32 v17, s8, v53
	s_delay_alu instid0(VALU_DEP_1)
	v_lshlrev_b32_e32 v17, 3, v17
	ds_store_b64 v17, v[13:14]
.LBB53_209:
	s_or_b32 exec_lo, exec_lo, s0
	v_and_b32_e32 v13, 1, v58
	s_mov_b32 s0, exec_lo
	s_delay_alu instid0(VALU_DEP_1)
	v_cmpx_eq_u32_e32 1, v13
	s_cbranch_execz .LBB53_211
; %bb.210:
	v_subrev_nc_u32_e32 v13, s8, v51
	s_delay_alu instid0(VALU_DEP_1)
	v_lshlrev_b32_e32 v13, 3, v13
	ds_store_b64 v13, v[15:16]
.LBB53_211:
	s_or_b32 exec_lo, exec_lo, s0
	v_and_b32_e32 v13, 1, v57
	s_mov_b32 s0, exec_lo
	s_delay_alu instid0(VALU_DEP_1)
	v_cmpx_eq_u32_e32 1, v13
	s_cbranch_execz .LBB53_213
; %bb.212:
	v_subrev_nc_u32_e32 v13, s8, v49
	s_delay_alu instid0(VALU_DEP_1)
	v_lshlrev_b32_e32 v13, 3, v13
	ds_store_b64 v13, v[9:10]
.LBB53_213:
	s_or_b32 exec_lo, exec_lo, s0
	v_and_b32_e32 v9, 1, v37
	s_mov_b32 s0, exec_lo
	s_delay_alu instid0(VALU_DEP_1)
	v_cmpx_eq_u32_e32 1, v9
	s_cbranch_execz .LBB53_215
; %bb.214:
	v_subrev_nc_u32_e32 v9, s8, v47
	s_delay_alu instid0(VALU_DEP_1)
	v_lshlrev_b32_e32 v9, 3, v9
	ds_store_b64 v9, v[11:12]
.LBB53_215:
	s_or_b32 exec_lo, exec_lo, s0
	v_and_b32_e32 v9, 1, v34
	s_mov_b32 s0, exec_lo
	s_delay_alu instid0(VALU_DEP_1)
	v_cmpx_eq_u32_e32 1, v9
	s_cbranch_execz .LBB53_217
; %bb.216:
	v_subrev_nc_u32_e32 v9, s8, v45
	s_delay_alu instid0(VALU_DEP_1)
	v_lshlrev_b32_e32 v9, 3, v9
	ds_store_b64 v9, v[5:6]
.LBB53_217:
	s_or_b32 exec_lo, exec_lo, s0
	v_and_b32_e32 v5, 1, v38
	s_mov_b32 s0, exec_lo
	s_delay_alu instid0(VALU_DEP_1)
	v_cmpx_eq_u32_e32 1, v5
	s_cbranch_execz .LBB53_219
; %bb.218:
	v_subrev_nc_u32_e32 v5, s8, v43
	s_delay_alu instid0(VALU_DEP_1)
	v_lshlrev_b32_e32 v5, 3, v5
	ds_store_b64 v5, v[7:8]
.LBB53_219:
	s_or_b32 exec_lo, exec_lo, s0
	v_and_b32_e32 v5, 1, v36
	s_mov_b32 s0, exec_lo
	s_delay_alu instid0(VALU_DEP_1)
	v_cmpx_eq_u32_e32 1, v5
	s_cbranch_execz .LBB53_221
; %bb.220:
	v_subrev_nc_u32_e32 v5, s8, v41
	s_delay_alu instid0(VALU_DEP_1)
	v_lshlrev_b32_e32 v5, 3, v5
	ds_store_b64 v5, v[1:2]
.LBB53_221:
	s_or_b32 exec_lo, exec_lo, s0
	v_and_b32_e32 v1, 1, v56
	s_mov_b32 s0, exec_lo
	s_delay_alu instid0(VALU_DEP_1)
	v_cmpx_eq_u32_e32 1, v1
	s_cbranch_execz .LBB53_223
; %bb.222:
	v_subrev_nc_u32_e32 v1, s8, v39
	s_delay_alu instid0(VALU_DEP_1)
	v_lshlrev_b32_e32 v1, 3, v1
	ds_store_b64 v1, v[3:4]
.LBB53_223:
	s_or_b32 exec_lo, exec_lo, s0
	s_delay_alu instid0(SALU_CYCLE_1)
	s_mov_b32 s1, exec_lo
	s_waitcnt lgkmcnt(0)
	s_waitcnt_vscnt null, 0x0
	s_barrier
	buffer_gl0_inv
	v_cmpx_lt_u32_e64 v0, v35
	s_cbranch_execz .LBB53_226
; %bb.224:
	s_mov_b32 s9, 0
	s_lshl_b64 s[2:3], s[10:11], 3
	s_lshl_b64 s[4:5], s[8:9], 3
	v_mov_b32_e32 v3, v0
	s_add_u32 s0, s2, s4
	s_addc_u32 s2, s3, s5
	s_add_u32 s0, s6, s0
	s_addc_u32 s2, s7, s2
	v_add_co_u32 v1, s0, s0, v55
	s_delay_alu instid0(VALU_DEP_1)
	v_add_co_ci_u32_e64 v2, null, s2, 0, s0
	.p2align	6
.LBB53_225:                             ; =>This Inner Loop Header: Depth=1
	ds_load_b64 v[4:5], v55
	v_add_nc_u32_e32 v3, 0x200, v3
	v_add_nc_u32_e32 v55, 0x1000, v55
	s_delay_alu instid0(VALU_DEP_2) | instskip(SKIP_4) | instid1(VALU_DEP_1)
	v_cmp_ge_u32_e32 vcc_lo, v3, v35
	s_or_b32 s9, vcc_lo, s9
	s_waitcnt lgkmcnt(0)
	global_store_b64 v[1:2], v[4:5], off
	v_add_co_u32 v1, s0, 0x1000, v1
	v_add_co_ci_u32_e64 v2, s0, 0, v2, s0
	s_and_not1_b32 exec_lo, exec_lo, s9
	s_cbranch_execnz .LBB53_225
.LBB53_226:
	s_or_b32 exec_lo, exec_lo, s1
	v_cmp_eq_u32_e32 vcc_lo, 0, v0
	s_and_b32 s0, vcc_lo, s14
	s_delay_alu instid0(SALU_CYCLE_1)
	s_and_saveexec_b32 s1, s0
	s_cbranch_execnz .LBB53_205
.LBB53_227:
	s_nop 0
	s_sendmsg sendmsg(MSG_DEALLOC_VGPRS)
	s_endpgm
	.section	.rodata,"a",@progbits
	.p2align	6, 0x0
	.amdhsa_kernel _ZN7rocprim17ROCPRIM_400000_NS6detail17trampoline_kernelINS0_14default_configENS1_25partition_config_selectorILNS1_17partition_subalgoE9EddbEEZZNS1_14partition_implILS5_9ELb0ES3_jN6thrust23THRUST_200600_302600_NS6detail15normal_iteratorINS9_10device_ptrIdEEEESE_PNS0_10empty_typeENS0_5tupleIJSE_SF_EEENSH_IJSE_SG_EEENS0_18inequality_wrapperI22is_equal_div_10_uniqueIdEEEPmJSF_EEE10hipError_tPvRmT3_T4_T5_T6_T7_T9_mT8_P12ihipStream_tbDpT10_ENKUlT_T0_E_clISt17integral_constantIbLb0EES18_EEDaS13_S14_EUlS13_E_NS1_11comp_targetILNS1_3genE9ELNS1_11target_archE1100ELNS1_3gpuE3ELNS1_3repE0EEENS1_30default_config_static_selectorELNS0_4arch9wavefront6targetE0EEEvT1_
		.amdhsa_group_segment_fixed_size 33800
		.amdhsa_private_segment_fixed_size 0
		.amdhsa_kernarg_size 112
		.amdhsa_user_sgpr_count 15
		.amdhsa_user_sgpr_dispatch_ptr 0
		.amdhsa_user_sgpr_queue_ptr 0
		.amdhsa_user_sgpr_kernarg_segment_ptr 1
		.amdhsa_user_sgpr_dispatch_id 0
		.amdhsa_user_sgpr_private_segment_size 0
		.amdhsa_wavefront_size32 1
		.amdhsa_uses_dynamic_stack 0
		.amdhsa_enable_private_segment 0
		.amdhsa_system_sgpr_workgroup_id_x 1
		.amdhsa_system_sgpr_workgroup_id_y 0
		.amdhsa_system_sgpr_workgroup_id_z 0
		.amdhsa_system_sgpr_workgroup_info 0
		.amdhsa_system_vgpr_workitem_id 0
		.amdhsa_next_free_vgpr 68
		.amdhsa_next_free_sgpr 25
		.amdhsa_reserve_vcc 1
		.amdhsa_float_round_mode_32 0
		.amdhsa_float_round_mode_16_64 0
		.amdhsa_float_denorm_mode_32 3
		.amdhsa_float_denorm_mode_16_64 3
		.amdhsa_dx10_clamp 1
		.amdhsa_ieee_mode 1
		.amdhsa_fp16_overflow 0
		.amdhsa_workgroup_processor_mode 1
		.amdhsa_memory_ordered 1
		.amdhsa_forward_progress 0
		.amdhsa_shared_vgpr_count 0
		.amdhsa_exception_fp_ieee_invalid_op 0
		.amdhsa_exception_fp_denorm_src 0
		.amdhsa_exception_fp_ieee_div_zero 0
		.amdhsa_exception_fp_ieee_overflow 0
		.amdhsa_exception_fp_ieee_underflow 0
		.amdhsa_exception_fp_ieee_inexact 0
		.amdhsa_exception_int_div_zero 0
	.end_amdhsa_kernel
	.section	.text._ZN7rocprim17ROCPRIM_400000_NS6detail17trampoline_kernelINS0_14default_configENS1_25partition_config_selectorILNS1_17partition_subalgoE9EddbEEZZNS1_14partition_implILS5_9ELb0ES3_jN6thrust23THRUST_200600_302600_NS6detail15normal_iteratorINS9_10device_ptrIdEEEESE_PNS0_10empty_typeENS0_5tupleIJSE_SF_EEENSH_IJSE_SG_EEENS0_18inequality_wrapperI22is_equal_div_10_uniqueIdEEEPmJSF_EEE10hipError_tPvRmT3_T4_T5_T6_T7_T9_mT8_P12ihipStream_tbDpT10_ENKUlT_T0_E_clISt17integral_constantIbLb0EES18_EEDaS13_S14_EUlS13_E_NS1_11comp_targetILNS1_3genE9ELNS1_11target_archE1100ELNS1_3gpuE3ELNS1_3repE0EEENS1_30default_config_static_selectorELNS0_4arch9wavefront6targetE0EEEvT1_,"axG",@progbits,_ZN7rocprim17ROCPRIM_400000_NS6detail17trampoline_kernelINS0_14default_configENS1_25partition_config_selectorILNS1_17partition_subalgoE9EddbEEZZNS1_14partition_implILS5_9ELb0ES3_jN6thrust23THRUST_200600_302600_NS6detail15normal_iteratorINS9_10device_ptrIdEEEESE_PNS0_10empty_typeENS0_5tupleIJSE_SF_EEENSH_IJSE_SG_EEENS0_18inequality_wrapperI22is_equal_div_10_uniqueIdEEEPmJSF_EEE10hipError_tPvRmT3_T4_T5_T6_T7_T9_mT8_P12ihipStream_tbDpT10_ENKUlT_T0_E_clISt17integral_constantIbLb0EES18_EEDaS13_S14_EUlS13_E_NS1_11comp_targetILNS1_3genE9ELNS1_11target_archE1100ELNS1_3gpuE3ELNS1_3repE0EEENS1_30default_config_static_selectorELNS0_4arch9wavefront6targetE0EEEvT1_,comdat
.Lfunc_end53:
	.size	_ZN7rocprim17ROCPRIM_400000_NS6detail17trampoline_kernelINS0_14default_configENS1_25partition_config_selectorILNS1_17partition_subalgoE9EddbEEZZNS1_14partition_implILS5_9ELb0ES3_jN6thrust23THRUST_200600_302600_NS6detail15normal_iteratorINS9_10device_ptrIdEEEESE_PNS0_10empty_typeENS0_5tupleIJSE_SF_EEENSH_IJSE_SG_EEENS0_18inequality_wrapperI22is_equal_div_10_uniqueIdEEEPmJSF_EEE10hipError_tPvRmT3_T4_T5_T6_T7_T9_mT8_P12ihipStream_tbDpT10_ENKUlT_T0_E_clISt17integral_constantIbLb0EES18_EEDaS13_S14_EUlS13_E_NS1_11comp_targetILNS1_3genE9ELNS1_11target_archE1100ELNS1_3gpuE3ELNS1_3repE0EEENS1_30default_config_static_selectorELNS0_4arch9wavefront6targetE0EEEvT1_, .Lfunc_end53-_ZN7rocprim17ROCPRIM_400000_NS6detail17trampoline_kernelINS0_14default_configENS1_25partition_config_selectorILNS1_17partition_subalgoE9EddbEEZZNS1_14partition_implILS5_9ELb0ES3_jN6thrust23THRUST_200600_302600_NS6detail15normal_iteratorINS9_10device_ptrIdEEEESE_PNS0_10empty_typeENS0_5tupleIJSE_SF_EEENSH_IJSE_SG_EEENS0_18inequality_wrapperI22is_equal_div_10_uniqueIdEEEPmJSF_EEE10hipError_tPvRmT3_T4_T5_T6_T7_T9_mT8_P12ihipStream_tbDpT10_ENKUlT_T0_E_clISt17integral_constantIbLb0EES18_EEDaS13_S14_EUlS13_E_NS1_11comp_targetILNS1_3genE9ELNS1_11target_archE1100ELNS1_3gpuE3ELNS1_3repE0EEENS1_30default_config_static_selectorELNS0_4arch9wavefront6targetE0EEEvT1_
                                        ; -- End function
	.section	.AMDGPU.csdata,"",@progbits
; Kernel info:
; codeLenInByte = 11004
; NumSgprs: 27
; NumVgprs: 68
; ScratchSize: 0
; MemoryBound: 0
; FloatMode: 240
; IeeeMode: 1
; LDSByteSize: 33800 bytes/workgroup (compile time only)
; SGPRBlocks: 3
; VGPRBlocks: 8
; NumSGPRsForWavesPerEU: 27
; NumVGPRsForWavesPerEU: 68
; Occupancy: 12
; WaveLimiterHint : 1
; COMPUTE_PGM_RSRC2:SCRATCH_EN: 0
; COMPUTE_PGM_RSRC2:USER_SGPR: 15
; COMPUTE_PGM_RSRC2:TRAP_HANDLER: 0
; COMPUTE_PGM_RSRC2:TGID_X_EN: 1
; COMPUTE_PGM_RSRC2:TGID_Y_EN: 0
; COMPUTE_PGM_RSRC2:TGID_Z_EN: 0
; COMPUTE_PGM_RSRC2:TIDIG_COMP_CNT: 0
	.section	.text._ZN7rocprim17ROCPRIM_400000_NS6detail17trampoline_kernelINS0_14default_configENS1_25partition_config_selectorILNS1_17partition_subalgoE9EddbEEZZNS1_14partition_implILS5_9ELb0ES3_jN6thrust23THRUST_200600_302600_NS6detail15normal_iteratorINS9_10device_ptrIdEEEESE_PNS0_10empty_typeENS0_5tupleIJSE_SF_EEENSH_IJSE_SG_EEENS0_18inequality_wrapperI22is_equal_div_10_uniqueIdEEEPmJSF_EEE10hipError_tPvRmT3_T4_T5_T6_T7_T9_mT8_P12ihipStream_tbDpT10_ENKUlT_T0_E_clISt17integral_constantIbLb0EES18_EEDaS13_S14_EUlS13_E_NS1_11comp_targetILNS1_3genE8ELNS1_11target_archE1030ELNS1_3gpuE2ELNS1_3repE0EEENS1_30default_config_static_selectorELNS0_4arch9wavefront6targetE0EEEvT1_,"axG",@progbits,_ZN7rocprim17ROCPRIM_400000_NS6detail17trampoline_kernelINS0_14default_configENS1_25partition_config_selectorILNS1_17partition_subalgoE9EddbEEZZNS1_14partition_implILS5_9ELb0ES3_jN6thrust23THRUST_200600_302600_NS6detail15normal_iteratorINS9_10device_ptrIdEEEESE_PNS0_10empty_typeENS0_5tupleIJSE_SF_EEENSH_IJSE_SG_EEENS0_18inequality_wrapperI22is_equal_div_10_uniqueIdEEEPmJSF_EEE10hipError_tPvRmT3_T4_T5_T6_T7_T9_mT8_P12ihipStream_tbDpT10_ENKUlT_T0_E_clISt17integral_constantIbLb0EES18_EEDaS13_S14_EUlS13_E_NS1_11comp_targetILNS1_3genE8ELNS1_11target_archE1030ELNS1_3gpuE2ELNS1_3repE0EEENS1_30default_config_static_selectorELNS0_4arch9wavefront6targetE0EEEvT1_,comdat
	.protected	_ZN7rocprim17ROCPRIM_400000_NS6detail17trampoline_kernelINS0_14default_configENS1_25partition_config_selectorILNS1_17partition_subalgoE9EddbEEZZNS1_14partition_implILS5_9ELb0ES3_jN6thrust23THRUST_200600_302600_NS6detail15normal_iteratorINS9_10device_ptrIdEEEESE_PNS0_10empty_typeENS0_5tupleIJSE_SF_EEENSH_IJSE_SG_EEENS0_18inequality_wrapperI22is_equal_div_10_uniqueIdEEEPmJSF_EEE10hipError_tPvRmT3_T4_T5_T6_T7_T9_mT8_P12ihipStream_tbDpT10_ENKUlT_T0_E_clISt17integral_constantIbLb0EES18_EEDaS13_S14_EUlS13_E_NS1_11comp_targetILNS1_3genE8ELNS1_11target_archE1030ELNS1_3gpuE2ELNS1_3repE0EEENS1_30default_config_static_selectorELNS0_4arch9wavefront6targetE0EEEvT1_ ; -- Begin function _ZN7rocprim17ROCPRIM_400000_NS6detail17trampoline_kernelINS0_14default_configENS1_25partition_config_selectorILNS1_17partition_subalgoE9EddbEEZZNS1_14partition_implILS5_9ELb0ES3_jN6thrust23THRUST_200600_302600_NS6detail15normal_iteratorINS9_10device_ptrIdEEEESE_PNS0_10empty_typeENS0_5tupleIJSE_SF_EEENSH_IJSE_SG_EEENS0_18inequality_wrapperI22is_equal_div_10_uniqueIdEEEPmJSF_EEE10hipError_tPvRmT3_T4_T5_T6_T7_T9_mT8_P12ihipStream_tbDpT10_ENKUlT_T0_E_clISt17integral_constantIbLb0EES18_EEDaS13_S14_EUlS13_E_NS1_11comp_targetILNS1_3genE8ELNS1_11target_archE1030ELNS1_3gpuE2ELNS1_3repE0EEENS1_30default_config_static_selectorELNS0_4arch9wavefront6targetE0EEEvT1_
	.globl	_ZN7rocprim17ROCPRIM_400000_NS6detail17trampoline_kernelINS0_14default_configENS1_25partition_config_selectorILNS1_17partition_subalgoE9EddbEEZZNS1_14partition_implILS5_9ELb0ES3_jN6thrust23THRUST_200600_302600_NS6detail15normal_iteratorINS9_10device_ptrIdEEEESE_PNS0_10empty_typeENS0_5tupleIJSE_SF_EEENSH_IJSE_SG_EEENS0_18inequality_wrapperI22is_equal_div_10_uniqueIdEEEPmJSF_EEE10hipError_tPvRmT3_T4_T5_T6_T7_T9_mT8_P12ihipStream_tbDpT10_ENKUlT_T0_E_clISt17integral_constantIbLb0EES18_EEDaS13_S14_EUlS13_E_NS1_11comp_targetILNS1_3genE8ELNS1_11target_archE1030ELNS1_3gpuE2ELNS1_3repE0EEENS1_30default_config_static_selectorELNS0_4arch9wavefront6targetE0EEEvT1_
	.p2align	8
	.type	_ZN7rocprim17ROCPRIM_400000_NS6detail17trampoline_kernelINS0_14default_configENS1_25partition_config_selectorILNS1_17partition_subalgoE9EddbEEZZNS1_14partition_implILS5_9ELb0ES3_jN6thrust23THRUST_200600_302600_NS6detail15normal_iteratorINS9_10device_ptrIdEEEESE_PNS0_10empty_typeENS0_5tupleIJSE_SF_EEENSH_IJSE_SG_EEENS0_18inequality_wrapperI22is_equal_div_10_uniqueIdEEEPmJSF_EEE10hipError_tPvRmT3_T4_T5_T6_T7_T9_mT8_P12ihipStream_tbDpT10_ENKUlT_T0_E_clISt17integral_constantIbLb0EES18_EEDaS13_S14_EUlS13_E_NS1_11comp_targetILNS1_3genE8ELNS1_11target_archE1030ELNS1_3gpuE2ELNS1_3repE0EEENS1_30default_config_static_selectorELNS0_4arch9wavefront6targetE0EEEvT1_,@function
_ZN7rocprim17ROCPRIM_400000_NS6detail17trampoline_kernelINS0_14default_configENS1_25partition_config_selectorILNS1_17partition_subalgoE9EddbEEZZNS1_14partition_implILS5_9ELb0ES3_jN6thrust23THRUST_200600_302600_NS6detail15normal_iteratorINS9_10device_ptrIdEEEESE_PNS0_10empty_typeENS0_5tupleIJSE_SF_EEENSH_IJSE_SG_EEENS0_18inequality_wrapperI22is_equal_div_10_uniqueIdEEEPmJSF_EEE10hipError_tPvRmT3_T4_T5_T6_T7_T9_mT8_P12ihipStream_tbDpT10_ENKUlT_T0_E_clISt17integral_constantIbLb0EES18_EEDaS13_S14_EUlS13_E_NS1_11comp_targetILNS1_3genE8ELNS1_11target_archE1030ELNS1_3gpuE2ELNS1_3repE0EEENS1_30default_config_static_selectorELNS0_4arch9wavefront6targetE0EEEvT1_: ; @_ZN7rocprim17ROCPRIM_400000_NS6detail17trampoline_kernelINS0_14default_configENS1_25partition_config_selectorILNS1_17partition_subalgoE9EddbEEZZNS1_14partition_implILS5_9ELb0ES3_jN6thrust23THRUST_200600_302600_NS6detail15normal_iteratorINS9_10device_ptrIdEEEESE_PNS0_10empty_typeENS0_5tupleIJSE_SF_EEENSH_IJSE_SG_EEENS0_18inequality_wrapperI22is_equal_div_10_uniqueIdEEEPmJSF_EEE10hipError_tPvRmT3_T4_T5_T6_T7_T9_mT8_P12ihipStream_tbDpT10_ENKUlT_T0_E_clISt17integral_constantIbLb0EES18_EEDaS13_S14_EUlS13_E_NS1_11comp_targetILNS1_3genE8ELNS1_11target_archE1030ELNS1_3gpuE2ELNS1_3repE0EEENS1_30default_config_static_selectorELNS0_4arch9wavefront6targetE0EEEvT1_
; %bb.0:
	.section	.rodata,"a",@progbits
	.p2align	6, 0x0
	.amdhsa_kernel _ZN7rocprim17ROCPRIM_400000_NS6detail17trampoline_kernelINS0_14default_configENS1_25partition_config_selectorILNS1_17partition_subalgoE9EddbEEZZNS1_14partition_implILS5_9ELb0ES3_jN6thrust23THRUST_200600_302600_NS6detail15normal_iteratorINS9_10device_ptrIdEEEESE_PNS0_10empty_typeENS0_5tupleIJSE_SF_EEENSH_IJSE_SG_EEENS0_18inequality_wrapperI22is_equal_div_10_uniqueIdEEEPmJSF_EEE10hipError_tPvRmT3_T4_T5_T6_T7_T9_mT8_P12ihipStream_tbDpT10_ENKUlT_T0_E_clISt17integral_constantIbLb0EES18_EEDaS13_S14_EUlS13_E_NS1_11comp_targetILNS1_3genE8ELNS1_11target_archE1030ELNS1_3gpuE2ELNS1_3repE0EEENS1_30default_config_static_selectorELNS0_4arch9wavefront6targetE0EEEvT1_
		.amdhsa_group_segment_fixed_size 0
		.amdhsa_private_segment_fixed_size 0
		.amdhsa_kernarg_size 112
		.amdhsa_user_sgpr_count 15
		.amdhsa_user_sgpr_dispatch_ptr 0
		.amdhsa_user_sgpr_queue_ptr 0
		.amdhsa_user_sgpr_kernarg_segment_ptr 1
		.amdhsa_user_sgpr_dispatch_id 0
		.amdhsa_user_sgpr_private_segment_size 0
		.amdhsa_wavefront_size32 1
		.amdhsa_uses_dynamic_stack 0
		.amdhsa_enable_private_segment 0
		.amdhsa_system_sgpr_workgroup_id_x 1
		.amdhsa_system_sgpr_workgroup_id_y 0
		.amdhsa_system_sgpr_workgroup_id_z 0
		.amdhsa_system_sgpr_workgroup_info 0
		.amdhsa_system_vgpr_workitem_id 0
		.amdhsa_next_free_vgpr 1
		.amdhsa_next_free_sgpr 1
		.amdhsa_reserve_vcc 0
		.amdhsa_float_round_mode_32 0
		.amdhsa_float_round_mode_16_64 0
		.amdhsa_float_denorm_mode_32 3
		.amdhsa_float_denorm_mode_16_64 3
		.amdhsa_dx10_clamp 1
		.amdhsa_ieee_mode 1
		.amdhsa_fp16_overflow 0
		.amdhsa_workgroup_processor_mode 1
		.amdhsa_memory_ordered 1
		.amdhsa_forward_progress 0
		.amdhsa_shared_vgpr_count 0
		.amdhsa_exception_fp_ieee_invalid_op 0
		.amdhsa_exception_fp_denorm_src 0
		.amdhsa_exception_fp_ieee_div_zero 0
		.amdhsa_exception_fp_ieee_overflow 0
		.amdhsa_exception_fp_ieee_underflow 0
		.amdhsa_exception_fp_ieee_inexact 0
		.amdhsa_exception_int_div_zero 0
	.end_amdhsa_kernel
	.section	.text._ZN7rocprim17ROCPRIM_400000_NS6detail17trampoline_kernelINS0_14default_configENS1_25partition_config_selectorILNS1_17partition_subalgoE9EddbEEZZNS1_14partition_implILS5_9ELb0ES3_jN6thrust23THRUST_200600_302600_NS6detail15normal_iteratorINS9_10device_ptrIdEEEESE_PNS0_10empty_typeENS0_5tupleIJSE_SF_EEENSH_IJSE_SG_EEENS0_18inequality_wrapperI22is_equal_div_10_uniqueIdEEEPmJSF_EEE10hipError_tPvRmT3_T4_T5_T6_T7_T9_mT8_P12ihipStream_tbDpT10_ENKUlT_T0_E_clISt17integral_constantIbLb0EES18_EEDaS13_S14_EUlS13_E_NS1_11comp_targetILNS1_3genE8ELNS1_11target_archE1030ELNS1_3gpuE2ELNS1_3repE0EEENS1_30default_config_static_selectorELNS0_4arch9wavefront6targetE0EEEvT1_,"axG",@progbits,_ZN7rocprim17ROCPRIM_400000_NS6detail17trampoline_kernelINS0_14default_configENS1_25partition_config_selectorILNS1_17partition_subalgoE9EddbEEZZNS1_14partition_implILS5_9ELb0ES3_jN6thrust23THRUST_200600_302600_NS6detail15normal_iteratorINS9_10device_ptrIdEEEESE_PNS0_10empty_typeENS0_5tupleIJSE_SF_EEENSH_IJSE_SG_EEENS0_18inequality_wrapperI22is_equal_div_10_uniqueIdEEEPmJSF_EEE10hipError_tPvRmT3_T4_T5_T6_T7_T9_mT8_P12ihipStream_tbDpT10_ENKUlT_T0_E_clISt17integral_constantIbLb0EES18_EEDaS13_S14_EUlS13_E_NS1_11comp_targetILNS1_3genE8ELNS1_11target_archE1030ELNS1_3gpuE2ELNS1_3repE0EEENS1_30default_config_static_selectorELNS0_4arch9wavefront6targetE0EEEvT1_,comdat
.Lfunc_end54:
	.size	_ZN7rocprim17ROCPRIM_400000_NS6detail17trampoline_kernelINS0_14default_configENS1_25partition_config_selectorILNS1_17partition_subalgoE9EddbEEZZNS1_14partition_implILS5_9ELb0ES3_jN6thrust23THRUST_200600_302600_NS6detail15normal_iteratorINS9_10device_ptrIdEEEESE_PNS0_10empty_typeENS0_5tupleIJSE_SF_EEENSH_IJSE_SG_EEENS0_18inequality_wrapperI22is_equal_div_10_uniqueIdEEEPmJSF_EEE10hipError_tPvRmT3_T4_T5_T6_T7_T9_mT8_P12ihipStream_tbDpT10_ENKUlT_T0_E_clISt17integral_constantIbLb0EES18_EEDaS13_S14_EUlS13_E_NS1_11comp_targetILNS1_3genE8ELNS1_11target_archE1030ELNS1_3gpuE2ELNS1_3repE0EEENS1_30default_config_static_selectorELNS0_4arch9wavefront6targetE0EEEvT1_, .Lfunc_end54-_ZN7rocprim17ROCPRIM_400000_NS6detail17trampoline_kernelINS0_14default_configENS1_25partition_config_selectorILNS1_17partition_subalgoE9EddbEEZZNS1_14partition_implILS5_9ELb0ES3_jN6thrust23THRUST_200600_302600_NS6detail15normal_iteratorINS9_10device_ptrIdEEEESE_PNS0_10empty_typeENS0_5tupleIJSE_SF_EEENSH_IJSE_SG_EEENS0_18inequality_wrapperI22is_equal_div_10_uniqueIdEEEPmJSF_EEE10hipError_tPvRmT3_T4_T5_T6_T7_T9_mT8_P12ihipStream_tbDpT10_ENKUlT_T0_E_clISt17integral_constantIbLb0EES18_EEDaS13_S14_EUlS13_E_NS1_11comp_targetILNS1_3genE8ELNS1_11target_archE1030ELNS1_3gpuE2ELNS1_3repE0EEENS1_30default_config_static_selectorELNS0_4arch9wavefront6targetE0EEEvT1_
                                        ; -- End function
	.section	.AMDGPU.csdata,"",@progbits
; Kernel info:
; codeLenInByte = 0
; NumSgprs: 0
; NumVgprs: 0
; ScratchSize: 0
; MemoryBound: 0
; FloatMode: 240
; IeeeMode: 1
; LDSByteSize: 0 bytes/workgroup (compile time only)
; SGPRBlocks: 0
; VGPRBlocks: 0
; NumSGPRsForWavesPerEU: 1
; NumVGPRsForWavesPerEU: 1
; Occupancy: 16
; WaveLimiterHint : 0
; COMPUTE_PGM_RSRC2:SCRATCH_EN: 0
; COMPUTE_PGM_RSRC2:USER_SGPR: 15
; COMPUTE_PGM_RSRC2:TRAP_HANDLER: 0
; COMPUTE_PGM_RSRC2:TGID_X_EN: 1
; COMPUTE_PGM_RSRC2:TGID_Y_EN: 0
; COMPUTE_PGM_RSRC2:TGID_Z_EN: 0
; COMPUTE_PGM_RSRC2:TIDIG_COMP_CNT: 0
	.section	.text._ZN7rocprim17ROCPRIM_400000_NS6detail17trampoline_kernelINS0_14default_configENS1_25partition_config_selectorILNS1_17partition_subalgoE9EddbEEZZNS1_14partition_implILS5_9ELb0ES3_jN6thrust23THRUST_200600_302600_NS6detail15normal_iteratorINS9_10device_ptrIdEEEESE_PNS0_10empty_typeENS0_5tupleIJSE_SF_EEENSH_IJSE_SG_EEENS0_18inequality_wrapperI22is_equal_div_10_uniqueIdEEEPmJSF_EEE10hipError_tPvRmT3_T4_T5_T6_T7_T9_mT8_P12ihipStream_tbDpT10_ENKUlT_T0_E_clISt17integral_constantIbLb1EES18_EEDaS13_S14_EUlS13_E_NS1_11comp_targetILNS1_3genE0ELNS1_11target_archE4294967295ELNS1_3gpuE0ELNS1_3repE0EEENS1_30default_config_static_selectorELNS0_4arch9wavefront6targetE0EEEvT1_,"axG",@progbits,_ZN7rocprim17ROCPRIM_400000_NS6detail17trampoline_kernelINS0_14default_configENS1_25partition_config_selectorILNS1_17partition_subalgoE9EddbEEZZNS1_14partition_implILS5_9ELb0ES3_jN6thrust23THRUST_200600_302600_NS6detail15normal_iteratorINS9_10device_ptrIdEEEESE_PNS0_10empty_typeENS0_5tupleIJSE_SF_EEENSH_IJSE_SG_EEENS0_18inequality_wrapperI22is_equal_div_10_uniqueIdEEEPmJSF_EEE10hipError_tPvRmT3_T4_T5_T6_T7_T9_mT8_P12ihipStream_tbDpT10_ENKUlT_T0_E_clISt17integral_constantIbLb1EES18_EEDaS13_S14_EUlS13_E_NS1_11comp_targetILNS1_3genE0ELNS1_11target_archE4294967295ELNS1_3gpuE0ELNS1_3repE0EEENS1_30default_config_static_selectorELNS0_4arch9wavefront6targetE0EEEvT1_,comdat
	.protected	_ZN7rocprim17ROCPRIM_400000_NS6detail17trampoline_kernelINS0_14default_configENS1_25partition_config_selectorILNS1_17partition_subalgoE9EddbEEZZNS1_14partition_implILS5_9ELb0ES3_jN6thrust23THRUST_200600_302600_NS6detail15normal_iteratorINS9_10device_ptrIdEEEESE_PNS0_10empty_typeENS0_5tupleIJSE_SF_EEENSH_IJSE_SG_EEENS0_18inequality_wrapperI22is_equal_div_10_uniqueIdEEEPmJSF_EEE10hipError_tPvRmT3_T4_T5_T6_T7_T9_mT8_P12ihipStream_tbDpT10_ENKUlT_T0_E_clISt17integral_constantIbLb1EES18_EEDaS13_S14_EUlS13_E_NS1_11comp_targetILNS1_3genE0ELNS1_11target_archE4294967295ELNS1_3gpuE0ELNS1_3repE0EEENS1_30default_config_static_selectorELNS0_4arch9wavefront6targetE0EEEvT1_ ; -- Begin function _ZN7rocprim17ROCPRIM_400000_NS6detail17trampoline_kernelINS0_14default_configENS1_25partition_config_selectorILNS1_17partition_subalgoE9EddbEEZZNS1_14partition_implILS5_9ELb0ES3_jN6thrust23THRUST_200600_302600_NS6detail15normal_iteratorINS9_10device_ptrIdEEEESE_PNS0_10empty_typeENS0_5tupleIJSE_SF_EEENSH_IJSE_SG_EEENS0_18inequality_wrapperI22is_equal_div_10_uniqueIdEEEPmJSF_EEE10hipError_tPvRmT3_T4_T5_T6_T7_T9_mT8_P12ihipStream_tbDpT10_ENKUlT_T0_E_clISt17integral_constantIbLb1EES18_EEDaS13_S14_EUlS13_E_NS1_11comp_targetILNS1_3genE0ELNS1_11target_archE4294967295ELNS1_3gpuE0ELNS1_3repE0EEENS1_30default_config_static_selectorELNS0_4arch9wavefront6targetE0EEEvT1_
	.globl	_ZN7rocprim17ROCPRIM_400000_NS6detail17trampoline_kernelINS0_14default_configENS1_25partition_config_selectorILNS1_17partition_subalgoE9EddbEEZZNS1_14partition_implILS5_9ELb0ES3_jN6thrust23THRUST_200600_302600_NS6detail15normal_iteratorINS9_10device_ptrIdEEEESE_PNS0_10empty_typeENS0_5tupleIJSE_SF_EEENSH_IJSE_SG_EEENS0_18inequality_wrapperI22is_equal_div_10_uniqueIdEEEPmJSF_EEE10hipError_tPvRmT3_T4_T5_T6_T7_T9_mT8_P12ihipStream_tbDpT10_ENKUlT_T0_E_clISt17integral_constantIbLb1EES18_EEDaS13_S14_EUlS13_E_NS1_11comp_targetILNS1_3genE0ELNS1_11target_archE4294967295ELNS1_3gpuE0ELNS1_3repE0EEENS1_30default_config_static_selectorELNS0_4arch9wavefront6targetE0EEEvT1_
	.p2align	8
	.type	_ZN7rocprim17ROCPRIM_400000_NS6detail17trampoline_kernelINS0_14default_configENS1_25partition_config_selectorILNS1_17partition_subalgoE9EddbEEZZNS1_14partition_implILS5_9ELb0ES3_jN6thrust23THRUST_200600_302600_NS6detail15normal_iteratorINS9_10device_ptrIdEEEESE_PNS0_10empty_typeENS0_5tupleIJSE_SF_EEENSH_IJSE_SG_EEENS0_18inequality_wrapperI22is_equal_div_10_uniqueIdEEEPmJSF_EEE10hipError_tPvRmT3_T4_T5_T6_T7_T9_mT8_P12ihipStream_tbDpT10_ENKUlT_T0_E_clISt17integral_constantIbLb1EES18_EEDaS13_S14_EUlS13_E_NS1_11comp_targetILNS1_3genE0ELNS1_11target_archE4294967295ELNS1_3gpuE0ELNS1_3repE0EEENS1_30default_config_static_selectorELNS0_4arch9wavefront6targetE0EEEvT1_,@function
_ZN7rocprim17ROCPRIM_400000_NS6detail17trampoline_kernelINS0_14default_configENS1_25partition_config_selectorILNS1_17partition_subalgoE9EddbEEZZNS1_14partition_implILS5_9ELb0ES3_jN6thrust23THRUST_200600_302600_NS6detail15normal_iteratorINS9_10device_ptrIdEEEESE_PNS0_10empty_typeENS0_5tupleIJSE_SF_EEENSH_IJSE_SG_EEENS0_18inequality_wrapperI22is_equal_div_10_uniqueIdEEEPmJSF_EEE10hipError_tPvRmT3_T4_T5_T6_T7_T9_mT8_P12ihipStream_tbDpT10_ENKUlT_T0_E_clISt17integral_constantIbLb1EES18_EEDaS13_S14_EUlS13_E_NS1_11comp_targetILNS1_3genE0ELNS1_11target_archE4294967295ELNS1_3gpuE0ELNS1_3repE0EEENS1_30default_config_static_selectorELNS0_4arch9wavefront6targetE0EEEvT1_: ; @_ZN7rocprim17ROCPRIM_400000_NS6detail17trampoline_kernelINS0_14default_configENS1_25partition_config_selectorILNS1_17partition_subalgoE9EddbEEZZNS1_14partition_implILS5_9ELb0ES3_jN6thrust23THRUST_200600_302600_NS6detail15normal_iteratorINS9_10device_ptrIdEEEESE_PNS0_10empty_typeENS0_5tupleIJSE_SF_EEENSH_IJSE_SG_EEENS0_18inequality_wrapperI22is_equal_div_10_uniqueIdEEEPmJSF_EEE10hipError_tPvRmT3_T4_T5_T6_T7_T9_mT8_P12ihipStream_tbDpT10_ENKUlT_T0_E_clISt17integral_constantIbLb1EES18_EEDaS13_S14_EUlS13_E_NS1_11comp_targetILNS1_3genE0ELNS1_11target_archE4294967295ELNS1_3gpuE0ELNS1_3repE0EEENS1_30default_config_static_selectorELNS0_4arch9wavefront6targetE0EEEvT1_
; %bb.0:
	.section	.rodata,"a",@progbits
	.p2align	6, 0x0
	.amdhsa_kernel _ZN7rocprim17ROCPRIM_400000_NS6detail17trampoline_kernelINS0_14default_configENS1_25partition_config_selectorILNS1_17partition_subalgoE9EddbEEZZNS1_14partition_implILS5_9ELb0ES3_jN6thrust23THRUST_200600_302600_NS6detail15normal_iteratorINS9_10device_ptrIdEEEESE_PNS0_10empty_typeENS0_5tupleIJSE_SF_EEENSH_IJSE_SG_EEENS0_18inequality_wrapperI22is_equal_div_10_uniqueIdEEEPmJSF_EEE10hipError_tPvRmT3_T4_T5_T6_T7_T9_mT8_P12ihipStream_tbDpT10_ENKUlT_T0_E_clISt17integral_constantIbLb1EES18_EEDaS13_S14_EUlS13_E_NS1_11comp_targetILNS1_3genE0ELNS1_11target_archE4294967295ELNS1_3gpuE0ELNS1_3repE0EEENS1_30default_config_static_selectorELNS0_4arch9wavefront6targetE0EEEvT1_
		.amdhsa_group_segment_fixed_size 0
		.amdhsa_private_segment_fixed_size 0
		.amdhsa_kernarg_size 128
		.amdhsa_user_sgpr_count 15
		.amdhsa_user_sgpr_dispatch_ptr 0
		.amdhsa_user_sgpr_queue_ptr 0
		.amdhsa_user_sgpr_kernarg_segment_ptr 1
		.amdhsa_user_sgpr_dispatch_id 0
		.amdhsa_user_sgpr_private_segment_size 0
		.amdhsa_wavefront_size32 1
		.amdhsa_uses_dynamic_stack 0
		.amdhsa_enable_private_segment 0
		.amdhsa_system_sgpr_workgroup_id_x 1
		.amdhsa_system_sgpr_workgroup_id_y 0
		.amdhsa_system_sgpr_workgroup_id_z 0
		.amdhsa_system_sgpr_workgroup_info 0
		.amdhsa_system_vgpr_workitem_id 0
		.amdhsa_next_free_vgpr 1
		.amdhsa_next_free_sgpr 1
		.amdhsa_reserve_vcc 0
		.amdhsa_float_round_mode_32 0
		.amdhsa_float_round_mode_16_64 0
		.amdhsa_float_denorm_mode_32 3
		.amdhsa_float_denorm_mode_16_64 3
		.amdhsa_dx10_clamp 1
		.amdhsa_ieee_mode 1
		.amdhsa_fp16_overflow 0
		.amdhsa_workgroup_processor_mode 1
		.amdhsa_memory_ordered 1
		.amdhsa_forward_progress 0
		.amdhsa_shared_vgpr_count 0
		.amdhsa_exception_fp_ieee_invalid_op 0
		.amdhsa_exception_fp_denorm_src 0
		.amdhsa_exception_fp_ieee_div_zero 0
		.amdhsa_exception_fp_ieee_overflow 0
		.amdhsa_exception_fp_ieee_underflow 0
		.amdhsa_exception_fp_ieee_inexact 0
		.amdhsa_exception_int_div_zero 0
	.end_amdhsa_kernel
	.section	.text._ZN7rocprim17ROCPRIM_400000_NS6detail17trampoline_kernelINS0_14default_configENS1_25partition_config_selectorILNS1_17partition_subalgoE9EddbEEZZNS1_14partition_implILS5_9ELb0ES3_jN6thrust23THRUST_200600_302600_NS6detail15normal_iteratorINS9_10device_ptrIdEEEESE_PNS0_10empty_typeENS0_5tupleIJSE_SF_EEENSH_IJSE_SG_EEENS0_18inequality_wrapperI22is_equal_div_10_uniqueIdEEEPmJSF_EEE10hipError_tPvRmT3_T4_T5_T6_T7_T9_mT8_P12ihipStream_tbDpT10_ENKUlT_T0_E_clISt17integral_constantIbLb1EES18_EEDaS13_S14_EUlS13_E_NS1_11comp_targetILNS1_3genE0ELNS1_11target_archE4294967295ELNS1_3gpuE0ELNS1_3repE0EEENS1_30default_config_static_selectorELNS0_4arch9wavefront6targetE0EEEvT1_,"axG",@progbits,_ZN7rocprim17ROCPRIM_400000_NS6detail17trampoline_kernelINS0_14default_configENS1_25partition_config_selectorILNS1_17partition_subalgoE9EddbEEZZNS1_14partition_implILS5_9ELb0ES3_jN6thrust23THRUST_200600_302600_NS6detail15normal_iteratorINS9_10device_ptrIdEEEESE_PNS0_10empty_typeENS0_5tupleIJSE_SF_EEENSH_IJSE_SG_EEENS0_18inequality_wrapperI22is_equal_div_10_uniqueIdEEEPmJSF_EEE10hipError_tPvRmT3_T4_T5_T6_T7_T9_mT8_P12ihipStream_tbDpT10_ENKUlT_T0_E_clISt17integral_constantIbLb1EES18_EEDaS13_S14_EUlS13_E_NS1_11comp_targetILNS1_3genE0ELNS1_11target_archE4294967295ELNS1_3gpuE0ELNS1_3repE0EEENS1_30default_config_static_selectorELNS0_4arch9wavefront6targetE0EEEvT1_,comdat
.Lfunc_end55:
	.size	_ZN7rocprim17ROCPRIM_400000_NS6detail17trampoline_kernelINS0_14default_configENS1_25partition_config_selectorILNS1_17partition_subalgoE9EddbEEZZNS1_14partition_implILS5_9ELb0ES3_jN6thrust23THRUST_200600_302600_NS6detail15normal_iteratorINS9_10device_ptrIdEEEESE_PNS0_10empty_typeENS0_5tupleIJSE_SF_EEENSH_IJSE_SG_EEENS0_18inequality_wrapperI22is_equal_div_10_uniqueIdEEEPmJSF_EEE10hipError_tPvRmT3_T4_T5_T6_T7_T9_mT8_P12ihipStream_tbDpT10_ENKUlT_T0_E_clISt17integral_constantIbLb1EES18_EEDaS13_S14_EUlS13_E_NS1_11comp_targetILNS1_3genE0ELNS1_11target_archE4294967295ELNS1_3gpuE0ELNS1_3repE0EEENS1_30default_config_static_selectorELNS0_4arch9wavefront6targetE0EEEvT1_, .Lfunc_end55-_ZN7rocprim17ROCPRIM_400000_NS6detail17trampoline_kernelINS0_14default_configENS1_25partition_config_selectorILNS1_17partition_subalgoE9EddbEEZZNS1_14partition_implILS5_9ELb0ES3_jN6thrust23THRUST_200600_302600_NS6detail15normal_iteratorINS9_10device_ptrIdEEEESE_PNS0_10empty_typeENS0_5tupleIJSE_SF_EEENSH_IJSE_SG_EEENS0_18inequality_wrapperI22is_equal_div_10_uniqueIdEEEPmJSF_EEE10hipError_tPvRmT3_T4_T5_T6_T7_T9_mT8_P12ihipStream_tbDpT10_ENKUlT_T0_E_clISt17integral_constantIbLb1EES18_EEDaS13_S14_EUlS13_E_NS1_11comp_targetILNS1_3genE0ELNS1_11target_archE4294967295ELNS1_3gpuE0ELNS1_3repE0EEENS1_30default_config_static_selectorELNS0_4arch9wavefront6targetE0EEEvT1_
                                        ; -- End function
	.section	.AMDGPU.csdata,"",@progbits
; Kernel info:
; codeLenInByte = 0
; NumSgprs: 0
; NumVgprs: 0
; ScratchSize: 0
; MemoryBound: 0
; FloatMode: 240
; IeeeMode: 1
; LDSByteSize: 0 bytes/workgroup (compile time only)
; SGPRBlocks: 0
; VGPRBlocks: 0
; NumSGPRsForWavesPerEU: 1
; NumVGPRsForWavesPerEU: 1
; Occupancy: 16
; WaveLimiterHint : 0
; COMPUTE_PGM_RSRC2:SCRATCH_EN: 0
; COMPUTE_PGM_RSRC2:USER_SGPR: 15
; COMPUTE_PGM_RSRC2:TRAP_HANDLER: 0
; COMPUTE_PGM_RSRC2:TGID_X_EN: 1
; COMPUTE_PGM_RSRC2:TGID_Y_EN: 0
; COMPUTE_PGM_RSRC2:TGID_Z_EN: 0
; COMPUTE_PGM_RSRC2:TIDIG_COMP_CNT: 0
	.section	.text._ZN7rocprim17ROCPRIM_400000_NS6detail17trampoline_kernelINS0_14default_configENS1_25partition_config_selectorILNS1_17partition_subalgoE9EddbEEZZNS1_14partition_implILS5_9ELb0ES3_jN6thrust23THRUST_200600_302600_NS6detail15normal_iteratorINS9_10device_ptrIdEEEESE_PNS0_10empty_typeENS0_5tupleIJSE_SF_EEENSH_IJSE_SG_EEENS0_18inequality_wrapperI22is_equal_div_10_uniqueIdEEEPmJSF_EEE10hipError_tPvRmT3_T4_T5_T6_T7_T9_mT8_P12ihipStream_tbDpT10_ENKUlT_T0_E_clISt17integral_constantIbLb1EES18_EEDaS13_S14_EUlS13_E_NS1_11comp_targetILNS1_3genE5ELNS1_11target_archE942ELNS1_3gpuE9ELNS1_3repE0EEENS1_30default_config_static_selectorELNS0_4arch9wavefront6targetE0EEEvT1_,"axG",@progbits,_ZN7rocprim17ROCPRIM_400000_NS6detail17trampoline_kernelINS0_14default_configENS1_25partition_config_selectorILNS1_17partition_subalgoE9EddbEEZZNS1_14partition_implILS5_9ELb0ES3_jN6thrust23THRUST_200600_302600_NS6detail15normal_iteratorINS9_10device_ptrIdEEEESE_PNS0_10empty_typeENS0_5tupleIJSE_SF_EEENSH_IJSE_SG_EEENS0_18inequality_wrapperI22is_equal_div_10_uniqueIdEEEPmJSF_EEE10hipError_tPvRmT3_T4_T5_T6_T7_T9_mT8_P12ihipStream_tbDpT10_ENKUlT_T0_E_clISt17integral_constantIbLb1EES18_EEDaS13_S14_EUlS13_E_NS1_11comp_targetILNS1_3genE5ELNS1_11target_archE942ELNS1_3gpuE9ELNS1_3repE0EEENS1_30default_config_static_selectorELNS0_4arch9wavefront6targetE0EEEvT1_,comdat
	.protected	_ZN7rocprim17ROCPRIM_400000_NS6detail17trampoline_kernelINS0_14default_configENS1_25partition_config_selectorILNS1_17partition_subalgoE9EddbEEZZNS1_14partition_implILS5_9ELb0ES3_jN6thrust23THRUST_200600_302600_NS6detail15normal_iteratorINS9_10device_ptrIdEEEESE_PNS0_10empty_typeENS0_5tupleIJSE_SF_EEENSH_IJSE_SG_EEENS0_18inequality_wrapperI22is_equal_div_10_uniqueIdEEEPmJSF_EEE10hipError_tPvRmT3_T4_T5_T6_T7_T9_mT8_P12ihipStream_tbDpT10_ENKUlT_T0_E_clISt17integral_constantIbLb1EES18_EEDaS13_S14_EUlS13_E_NS1_11comp_targetILNS1_3genE5ELNS1_11target_archE942ELNS1_3gpuE9ELNS1_3repE0EEENS1_30default_config_static_selectorELNS0_4arch9wavefront6targetE0EEEvT1_ ; -- Begin function _ZN7rocprim17ROCPRIM_400000_NS6detail17trampoline_kernelINS0_14default_configENS1_25partition_config_selectorILNS1_17partition_subalgoE9EddbEEZZNS1_14partition_implILS5_9ELb0ES3_jN6thrust23THRUST_200600_302600_NS6detail15normal_iteratorINS9_10device_ptrIdEEEESE_PNS0_10empty_typeENS0_5tupleIJSE_SF_EEENSH_IJSE_SG_EEENS0_18inequality_wrapperI22is_equal_div_10_uniqueIdEEEPmJSF_EEE10hipError_tPvRmT3_T4_T5_T6_T7_T9_mT8_P12ihipStream_tbDpT10_ENKUlT_T0_E_clISt17integral_constantIbLb1EES18_EEDaS13_S14_EUlS13_E_NS1_11comp_targetILNS1_3genE5ELNS1_11target_archE942ELNS1_3gpuE9ELNS1_3repE0EEENS1_30default_config_static_selectorELNS0_4arch9wavefront6targetE0EEEvT1_
	.globl	_ZN7rocprim17ROCPRIM_400000_NS6detail17trampoline_kernelINS0_14default_configENS1_25partition_config_selectorILNS1_17partition_subalgoE9EddbEEZZNS1_14partition_implILS5_9ELb0ES3_jN6thrust23THRUST_200600_302600_NS6detail15normal_iteratorINS9_10device_ptrIdEEEESE_PNS0_10empty_typeENS0_5tupleIJSE_SF_EEENSH_IJSE_SG_EEENS0_18inequality_wrapperI22is_equal_div_10_uniqueIdEEEPmJSF_EEE10hipError_tPvRmT3_T4_T5_T6_T7_T9_mT8_P12ihipStream_tbDpT10_ENKUlT_T0_E_clISt17integral_constantIbLb1EES18_EEDaS13_S14_EUlS13_E_NS1_11comp_targetILNS1_3genE5ELNS1_11target_archE942ELNS1_3gpuE9ELNS1_3repE0EEENS1_30default_config_static_selectorELNS0_4arch9wavefront6targetE0EEEvT1_
	.p2align	8
	.type	_ZN7rocprim17ROCPRIM_400000_NS6detail17trampoline_kernelINS0_14default_configENS1_25partition_config_selectorILNS1_17partition_subalgoE9EddbEEZZNS1_14partition_implILS5_9ELb0ES3_jN6thrust23THRUST_200600_302600_NS6detail15normal_iteratorINS9_10device_ptrIdEEEESE_PNS0_10empty_typeENS0_5tupleIJSE_SF_EEENSH_IJSE_SG_EEENS0_18inequality_wrapperI22is_equal_div_10_uniqueIdEEEPmJSF_EEE10hipError_tPvRmT3_T4_T5_T6_T7_T9_mT8_P12ihipStream_tbDpT10_ENKUlT_T0_E_clISt17integral_constantIbLb1EES18_EEDaS13_S14_EUlS13_E_NS1_11comp_targetILNS1_3genE5ELNS1_11target_archE942ELNS1_3gpuE9ELNS1_3repE0EEENS1_30default_config_static_selectorELNS0_4arch9wavefront6targetE0EEEvT1_,@function
_ZN7rocprim17ROCPRIM_400000_NS6detail17trampoline_kernelINS0_14default_configENS1_25partition_config_selectorILNS1_17partition_subalgoE9EddbEEZZNS1_14partition_implILS5_9ELb0ES3_jN6thrust23THRUST_200600_302600_NS6detail15normal_iteratorINS9_10device_ptrIdEEEESE_PNS0_10empty_typeENS0_5tupleIJSE_SF_EEENSH_IJSE_SG_EEENS0_18inequality_wrapperI22is_equal_div_10_uniqueIdEEEPmJSF_EEE10hipError_tPvRmT3_T4_T5_T6_T7_T9_mT8_P12ihipStream_tbDpT10_ENKUlT_T0_E_clISt17integral_constantIbLb1EES18_EEDaS13_S14_EUlS13_E_NS1_11comp_targetILNS1_3genE5ELNS1_11target_archE942ELNS1_3gpuE9ELNS1_3repE0EEENS1_30default_config_static_selectorELNS0_4arch9wavefront6targetE0EEEvT1_: ; @_ZN7rocprim17ROCPRIM_400000_NS6detail17trampoline_kernelINS0_14default_configENS1_25partition_config_selectorILNS1_17partition_subalgoE9EddbEEZZNS1_14partition_implILS5_9ELb0ES3_jN6thrust23THRUST_200600_302600_NS6detail15normal_iteratorINS9_10device_ptrIdEEEESE_PNS0_10empty_typeENS0_5tupleIJSE_SF_EEENSH_IJSE_SG_EEENS0_18inequality_wrapperI22is_equal_div_10_uniqueIdEEEPmJSF_EEE10hipError_tPvRmT3_T4_T5_T6_T7_T9_mT8_P12ihipStream_tbDpT10_ENKUlT_T0_E_clISt17integral_constantIbLb1EES18_EEDaS13_S14_EUlS13_E_NS1_11comp_targetILNS1_3genE5ELNS1_11target_archE942ELNS1_3gpuE9ELNS1_3repE0EEENS1_30default_config_static_selectorELNS0_4arch9wavefront6targetE0EEEvT1_
; %bb.0:
	.section	.rodata,"a",@progbits
	.p2align	6, 0x0
	.amdhsa_kernel _ZN7rocprim17ROCPRIM_400000_NS6detail17trampoline_kernelINS0_14default_configENS1_25partition_config_selectorILNS1_17partition_subalgoE9EddbEEZZNS1_14partition_implILS5_9ELb0ES3_jN6thrust23THRUST_200600_302600_NS6detail15normal_iteratorINS9_10device_ptrIdEEEESE_PNS0_10empty_typeENS0_5tupleIJSE_SF_EEENSH_IJSE_SG_EEENS0_18inequality_wrapperI22is_equal_div_10_uniqueIdEEEPmJSF_EEE10hipError_tPvRmT3_T4_T5_T6_T7_T9_mT8_P12ihipStream_tbDpT10_ENKUlT_T0_E_clISt17integral_constantIbLb1EES18_EEDaS13_S14_EUlS13_E_NS1_11comp_targetILNS1_3genE5ELNS1_11target_archE942ELNS1_3gpuE9ELNS1_3repE0EEENS1_30default_config_static_selectorELNS0_4arch9wavefront6targetE0EEEvT1_
		.amdhsa_group_segment_fixed_size 0
		.amdhsa_private_segment_fixed_size 0
		.amdhsa_kernarg_size 128
		.amdhsa_user_sgpr_count 15
		.amdhsa_user_sgpr_dispatch_ptr 0
		.amdhsa_user_sgpr_queue_ptr 0
		.amdhsa_user_sgpr_kernarg_segment_ptr 1
		.amdhsa_user_sgpr_dispatch_id 0
		.amdhsa_user_sgpr_private_segment_size 0
		.amdhsa_wavefront_size32 1
		.amdhsa_uses_dynamic_stack 0
		.amdhsa_enable_private_segment 0
		.amdhsa_system_sgpr_workgroup_id_x 1
		.amdhsa_system_sgpr_workgroup_id_y 0
		.amdhsa_system_sgpr_workgroup_id_z 0
		.amdhsa_system_sgpr_workgroup_info 0
		.amdhsa_system_vgpr_workitem_id 0
		.amdhsa_next_free_vgpr 1
		.amdhsa_next_free_sgpr 1
		.amdhsa_reserve_vcc 0
		.amdhsa_float_round_mode_32 0
		.amdhsa_float_round_mode_16_64 0
		.amdhsa_float_denorm_mode_32 3
		.amdhsa_float_denorm_mode_16_64 3
		.amdhsa_dx10_clamp 1
		.amdhsa_ieee_mode 1
		.amdhsa_fp16_overflow 0
		.amdhsa_workgroup_processor_mode 1
		.amdhsa_memory_ordered 1
		.amdhsa_forward_progress 0
		.amdhsa_shared_vgpr_count 0
		.amdhsa_exception_fp_ieee_invalid_op 0
		.amdhsa_exception_fp_denorm_src 0
		.amdhsa_exception_fp_ieee_div_zero 0
		.amdhsa_exception_fp_ieee_overflow 0
		.amdhsa_exception_fp_ieee_underflow 0
		.amdhsa_exception_fp_ieee_inexact 0
		.amdhsa_exception_int_div_zero 0
	.end_amdhsa_kernel
	.section	.text._ZN7rocprim17ROCPRIM_400000_NS6detail17trampoline_kernelINS0_14default_configENS1_25partition_config_selectorILNS1_17partition_subalgoE9EddbEEZZNS1_14partition_implILS5_9ELb0ES3_jN6thrust23THRUST_200600_302600_NS6detail15normal_iteratorINS9_10device_ptrIdEEEESE_PNS0_10empty_typeENS0_5tupleIJSE_SF_EEENSH_IJSE_SG_EEENS0_18inequality_wrapperI22is_equal_div_10_uniqueIdEEEPmJSF_EEE10hipError_tPvRmT3_T4_T5_T6_T7_T9_mT8_P12ihipStream_tbDpT10_ENKUlT_T0_E_clISt17integral_constantIbLb1EES18_EEDaS13_S14_EUlS13_E_NS1_11comp_targetILNS1_3genE5ELNS1_11target_archE942ELNS1_3gpuE9ELNS1_3repE0EEENS1_30default_config_static_selectorELNS0_4arch9wavefront6targetE0EEEvT1_,"axG",@progbits,_ZN7rocprim17ROCPRIM_400000_NS6detail17trampoline_kernelINS0_14default_configENS1_25partition_config_selectorILNS1_17partition_subalgoE9EddbEEZZNS1_14partition_implILS5_9ELb0ES3_jN6thrust23THRUST_200600_302600_NS6detail15normal_iteratorINS9_10device_ptrIdEEEESE_PNS0_10empty_typeENS0_5tupleIJSE_SF_EEENSH_IJSE_SG_EEENS0_18inequality_wrapperI22is_equal_div_10_uniqueIdEEEPmJSF_EEE10hipError_tPvRmT3_T4_T5_T6_T7_T9_mT8_P12ihipStream_tbDpT10_ENKUlT_T0_E_clISt17integral_constantIbLb1EES18_EEDaS13_S14_EUlS13_E_NS1_11comp_targetILNS1_3genE5ELNS1_11target_archE942ELNS1_3gpuE9ELNS1_3repE0EEENS1_30default_config_static_selectorELNS0_4arch9wavefront6targetE0EEEvT1_,comdat
.Lfunc_end56:
	.size	_ZN7rocprim17ROCPRIM_400000_NS6detail17trampoline_kernelINS0_14default_configENS1_25partition_config_selectorILNS1_17partition_subalgoE9EddbEEZZNS1_14partition_implILS5_9ELb0ES3_jN6thrust23THRUST_200600_302600_NS6detail15normal_iteratorINS9_10device_ptrIdEEEESE_PNS0_10empty_typeENS0_5tupleIJSE_SF_EEENSH_IJSE_SG_EEENS0_18inequality_wrapperI22is_equal_div_10_uniqueIdEEEPmJSF_EEE10hipError_tPvRmT3_T4_T5_T6_T7_T9_mT8_P12ihipStream_tbDpT10_ENKUlT_T0_E_clISt17integral_constantIbLb1EES18_EEDaS13_S14_EUlS13_E_NS1_11comp_targetILNS1_3genE5ELNS1_11target_archE942ELNS1_3gpuE9ELNS1_3repE0EEENS1_30default_config_static_selectorELNS0_4arch9wavefront6targetE0EEEvT1_, .Lfunc_end56-_ZN7rocprim17ROCPRIM_400000_NS6detail17trampoline_kernelINS0_14default_configENS1_25partition_config_selectorILNS1_17partition_subalgoE9EddbEEZZNS1_14partition_implILS5_9ELb0ES3_jN6thrust23THRUST_200600_302600_NS6detail15normal_iteratorINS9_10device_ptrIdEEEESE_PNS0_10empty_typeENS0_5tupleIJSE_SF_EEENSH_IJSE_SG_EEENS0_18inequality_wrapperI22is_equal_div_10_uniqueIdEEEPmJSF_EEE10hipError_tPvRmT3_T4_T5_T6_T7_T9_mT8_P12ihipStream_tbDpT10_ENKUlT_T0_E_clISt17integral_constantIbLb1EES18_EEDaS13_S14_EUlS13_E_NS1_11comp_targetILNS1_3genE5ELNS1_11target_archE942ELNS1_3gpuE9ELNS1_3repE0EEENS1_30default_config_static_selectorELNS0_4arch9wavefront6targetE0EEEvT1_
                                        ; -- End function
	.section	.AMDGPU.csdata,"",@progbits
; Kernel info:
; codeLenInByte = 0
; NumSgprs: 0
; NumVgprs: 0
; ScratchSize: 0
; MemoryBound: 0
; FloatMode: 240
; IeeeMode: 1
; LDSByteSize: 0 bytes/workgroup (compile time only)
; SGPRBlocks: 0
; VGPRBlocks: 0
; NumSGPRsForWavesPerEU: 1
; NumVGPRsForWavesPerEU: 1
; Occupancy: 16
; WaveLimiterHint : 0
; COMPUTE_PGM_RSRC2:SCRATCH_EN: 0
; COMPUTE_PGM_RSRC2:USER_SGPR: 15
; COMPUTE_PGM_RSRC2:TRAP_HANDLER: 0
; COMPUTE_PGM_RSRC2:TGID_X_EN: 1
; COMPUTE_PGM_RSRC2:TGID_Y_EN: 0
; COMPUTE_PGM_RSRC2:TGID_Z_EN: 0
; COMPUTE_PGM_RSRC2:TIDIG_COMP_CNT: 0
	.section	.text._ZN7rocprim17ROCPRIM_400000_NS6detail17trampoline_kernelINS0_14default_configENS1_25partition_config_selectorILNS1_17partition_subalgoE9EddbEEZZNS1_14partition_implILS5_9ELb0ES3_jN6thrust23THRUST_200600_302600_NS6detail15normal_iteratorINS9_10device_ptrIdEEEESE_PNS0_10empty_typeENS0_5tupleIJSE_SF_EEENSH_IJSE_SG_EEENS0_18inequality_wrapperI22is_equal_div_10_uniqueIdEEEPmJSF_EEE10hipError_tPvRmT3_T4_T5_T6_T7_T9_mT8_P12ihipStream_tbDpT10_ENKUlT_T0_E_clISt17integral_constantIbLb1EES18_EEDaS13_S14_EUlS13_E_NS1_11comp_targetILNS1_3genE4ELNS1_11target_archE910ELNS1_3gpuE8ELNS1_3repE0EEENS1_30default_config_static_selectorELNS0_4arch9wavefront6targetE0EEEvT1_,"axG",@progbits,_ZN7rocprim17ROCPRIM_400000_NS6detail17trampoline_kernelINS0_14default_configENS1_25partition_config_selectorILNS1_17partition_subalgoE9EddbEEZZNS1_14partition_implILS5_9ELb0ES3_jN6thrust23THRUST_200600_302600_NS6detail15normal_iteratorINS9_10device_ptrIdEEEESE_PNS0_10empty_typeENS0_5tupleIJSE_SF_EEENSH_IJSE_SG_EEENS0_18inequality_wrapperI22is_equal_div_10_uniqueIdEEEPmJSF_EEE10hipError_tPvRmT3_T4_T5_T6_T7_T9_mT8_P12ihipStream_tbDpT10_ENKUlT_T0_E_clISt17integral_constantIbLb1EES18_EEDaS13_S14_EUlS13_E_NS1_11comp_targetILNS1_3genE4ELNS1_11target_archE910ELNS1_3gpuE8ELNS1_3repE0EEENS1_30default_config_static_selectorELNS0_4arch9wavefront6targetE0EEEvT1_,comdat
	.protected	_ZN7rocprim17ROCPRIM_400000_NS6detail17trampoline_kernelINS0_14default_configENS1_25partition_config_selectorILNS1_17partition_subalgoE9EddbEEZZNS1_14partition_implILS5_9ELb0ES3_jN6thrust23THRUST_200600_302600_NS6detail15normal_iteratorINS9_10device_ptrIdEEEESE_PNS0_10empty_typeENS0_5tupleIJSE_SF_EEENSH_IJSE_SG_EEENS0_18inequality_wrapperI22is_equal_div_10_uniqueIdEEEPmJSF_EEE10hipError_tPvRmT3_T4_T5_T6_T7_T9_mT8_P12ihipStream_tbDpT10_ENKUlT_T0_E_clISt17integral_constantIbLb1EES18_EEDaS13_S14_EUlS13_E_NS1_11comp_targetILNS1_3genE4ELNS1_11target_archE910ELNS1_3gpuE8ELNS1_3repE0EEENS1_30default_config_static_selectorELNS0_4arch9wavefront6targetE0EEEvT1_ ; -- Begin function _ZN7rocprim17ROCPRIM_400000_NS6detail17trampoline_kernelINS0_14default_configENS1_25partition_config_selectorILNS1_17partition_subalgoE9EddbEEZZNS1_14partition_implILS5_9ELb0ES3_jN6thrust23THRUST_200600_302600_NS6detail15normal_iteratorINS9_10device_ptrIdEEEESE_PNS0_10empty_typeENS0_5tupleIJSE_SF_EEENSH_IJSE_SG_EEENS0_18inequality_wrapperI22is_equal_div_10_uniqueIdEEEPmJSF_EEE10hipError_tPvRmT3_T4_T5_T6_T7_T9_mT8_P12ihipStream_tbDpT10_ENKUlT_T0_E_clISt17integral_constantIbLb1EES18_EEDaS13_S14_EUlS13_E_NS1_11comp_targetILNS1_3genE4ELNS1_11target_archE910ELNS1_3gpuE8ELNS1_3repE0EEENS1_30default_config_static_selectorELNS0_4arch9wavefront6targetE0EEEvT1_
	.globl	_ZN7rocprim17ROCPRIM_400000_NS6detail17trampoline_kernelINS0_14default_configENS1_25partition_config_selectorILNS1_17partition_subalgoE9EddbEEZZNS1_14partition_implILS5_9ELb0ES3_jN6thrust23THRUST_200600_302600_NS6detail15normal_iteratorINS9_10device_ptrIdEEEESE_PNS0_10empty_typeENS0_5tupleIJSE_SF_EEENSH_IJSE_SG_EEENS0_18inequality_wrapperI22is_equal_div_10_uniqueIdEEEPmJSF_EEE10hipError_tPvRmT3_T4_T5_T6_T7_T9_mT8_P12ihipStream_tbDpT10_ENKUlT_T0_E_clISt17integral_constantIbLb1EES18_EEDaS13_S14_EUlS13_E_NS1_11comp_targetILNS1_3genE4ELNS1_11target_archE910ELNS1_3gpuE8ELNS1_3repE0EEENS1_30default_config_static_selectorELNS0_4arch9wavefront6targetE0EEEvT1_
	.p2align	8
	.type	_ZN7rocprim17ROCPRIM_400000_NS6detail17trampoline_kernelINS0_14default_configENS1_25partition_config_selectorILNS1_17partition_subalgoE9EddbEEZZNS1_14partition_implILS5_9ELb0ES3_jN6thrust23THRUST_200600_302600_NS6detail15normal_iteratorINS9_10device_ptrIdEEEESE_PNS0_10empty_typeENS0_5tupleIJSE_SF_EEENSH_IJSE_SG_EEENS0_18inequality_wrapperI22is_equal_div_10_uniqueIdEEEPmJSF_EEE10hipError_tPvRmT3_T4_T5_T6_T7_T9_mT8_P12ihipStream_tbDpT10_ENKUlT_T0_E_clISt17integral_constantIbLb1EES18_EEDaS13_S14_EUlS13_E_NS1_11comp_targetILNS1_3genE4ELNS1_11target_archE910ELNS1_3gpuE8ELNS1_3repE0EEENS1_30default_config_static_selectorELNS0_4arch9wavefront6targetE0EEEvT1_,@function
_ZN7rocprim17ROCPRIM_400000_NS6detail17trampoline_kernelINS0_14default_configENS1_25partition_config_selectorILNS1_17partition_subalgoE9EddbEEZZNS1_14partition_implILS5_9ELb0ES3_jN6thrust23THRUST_200600_302600_NS6detail15normal_iteratorINS9_10device_ptrIdEEEESE_PNS0_10empty_typeENS0_5tupleIJSE_SF_EEENSH_IJSE_SG_EEENS0_18inequality_wrapperI22is_equal_div_10_uniqueIdEEEPmJSF_EEE10hipError_tPvRmT3_T4_T5_T6_T7_T9_mT8_P12ihipStream_tbDpT10_ENKUlT_T0_E_clISt17integral_constantIbLb1EES18_EEDaS13_S14_EUlS13_E_NS1_11comp_targetILNS1_3genE4ELNS1_11target_archE910ELNS1_3gpuE8ELNS1_3repE0EEENS1_30default_config_static_selectorELNS0_4arch9wavefront6targetE0EEEvT1_: ; @_ZN7rocprim17ROCPRIM_400000_NS6detail17trampoline_kernelINS0_14default_configENS1_25partition_config_selectorILNS1_17partition_subalgoE9EddbEEZZNS1_14partition_implILS5_9ELb0ES3_jN6thrust23THRUST_200600_302600_NS6detail15normal_iteratorINS9_10device_ptrIdEEEESE_PNS0_10empty_typeENS0_5tupleIJSE_SF_EEENSH_IJSE_SG_EEENS0_18inequality_wrapperI22is_equal_div_10_uniqueIdEEEPmJSF_EEE10hipError_tPvRmT3_T4_T5_T6_T7_T9_mT8_P12ihipStream_tbDpT10_ENKUlT_T0_E_clISt17integral_constantIbLb1EES18_EEDaS13_S14_EUlS13_E_NS1_11comp_targetILNS1_3genE4ELNS1_11target_archE910ELNS1_3gpuE8ELNS1_3repE0EEENS1_30default_config_static_selectorELNS0_4arch9wavefront6targetE0EEEvT1_
; %bb.0:
	.section	.rodata,"a",@progbits
	.p2align	6, 0x0
	.amdhsa_kernel _ZN7rocprim17ROCPRIM_400000_NS6detail17trampoline_kernelINS0_14default_configENS1_25partition_config_selectorILNS1_17partition_subalgoE9EddbEEZZNS1_14partition_implILS5_9ELb0ES3_jN6thrust23THRUST_200600_302600_NS6detail15normal_iteratorINS9_10device_ptrIdEEEESE_PNS0_10empty_typeENS0_5tupleIJSE_SF_EEENSH_IJSE_SG_EEENS0_18inequality_wrapperI22is_equal_div_10_uniqueIdEEEPmJSF_EEE10hipError_tPvRmT3_T4_T5_T6_T7_T9_mT8_P12ihipStream_tbDpT10_ENKUlT_T0_E_clISt17integral_constantIbLb1EES18_EEDaS13_S14_EUlS13_E_NS1_11comp_targetILNS1_3genE4ELNS1_11target_archE910ELNS1_3gpuE8ELNS1_3repE0EEENS1_30default_config_static_selectorELNS0_4arch9wavefront6targetE0EEEvT1_
		.amdhsa_group_segment_fixed_size 0
		.amdhsa_private_segment_fixed_size 0
		.amdhsa_kernarg_size 128
		.amdhsa_user_sgpr_count 15
		.amdhsa_user_sgpr_dispatch_ptr 0
		.amdhsa_user_sgpr_queue_ptr 0
		.amdhsa_user_sgpr_kernarg_segment_ptr 1
		.amdhsa_user_sgpr_dispatch_id 0
		.amdhsa_user_sgpr_private_segment_size 0
		.amdhsa_wavefront_size32 1
		.amdhsa_uses_dynamic_stack 0
		.amdhsa_enable_private_segment 0
		.amdhsa_system_sgpr_workgroup_id_x 1
		.amdhsa_system_sgpr_workgroup_id_y 0
		.amdhsa_system_sgpr_workgroup_id_z 0
		.amdhsa_system_sgpr_workgroup_info 0
		.amdhsa_system_vgpr_workitem_id 0
		.amdhsa_next_free_vgpr 1
		.amdhsa_next_free_sgpr 1
		.amdhsa_reserve_vcc 0
		.amdhsa_float_round_mode_32 0
		.amdhsa_float_round_mode_16_64 0
		.amdhsa_float_denorm_mode_32 3
		.amdhsa_float_denorm_mode_16_64 3
		.amdhsa_dx10_clamp 1
		.amdhsa_ieee_mode 1
		.amdhsa_fp16_overflow 0
		.amdhsa_workgroup_processor_mode 1
		.amdhsa_memory_ordered 1
		.amdhsa_forward_progress 0
		.amdhsa_shared_vgpr_count 0
		.amdhsa_exception_fp_ieee_invalid_op 0
		.amdhsa_exception_fp_denorm_src 0
		.amdhsa_exception_fp_ieee_div_zero 0
		.amdhsa_exception_fp_ieee_overflow 0
		.amdhsa_exception_fp_ieee_underflow 0
		.amdhsa_exception_fp_ieee_inexact 0
		.amdhsa_exception_int_div_zero 0
	.end_amdhsa_kernel
	.section	.text._ZN7rocprim17ROCPRIM_400000_NS6detail17trampoline_kernelINS0_14default_configENS1_25partition_config_selectorILNS1_17partition_subalgoE9EddbEEZZNS1_14partition_implILS5_9ELb0ES3_jN6thrust23THRUST_200600_302600_NS6detail15normal_iteratorINS9_10device_ptrIdEEEESE_PNS0_10empty_typeENS0_5tupleIJSE_SF_EEENSH_IJSE_SG_EEENS0_18inequality_wrapperI22is_equal_div_10_uniqueIdEEEPmJSF_EEE10hipError_tPvRmT3_T4_T5_T6_T7_T9_mT8_P12ihipStream_tbDpT10_ENKUlT_T0_E_clISt17integral_constantIbLb1EES18_EEDaS13_S14_EUlS13_E_NS1_11comp_targetILNS1_3genE4ELNS1_11target_archE910ELNS1_3gpuE8ELNS1_3repE0EEENS1_30default_config_static_selectorELNS0_4arch9wavefront6targetE0EEEvT1_,"axG",@progbits,_ZN7rocprim17ROCPRIM_400000_NS6detail17trampoline_kernelINS0_14default_configENS1_25partition_config_selectorILNS1_17partition_subalgoE9EddbEEZZNS1_14partition_implILS5_9ELb0ES3_jN6thrust23THRUST_200600_302600_NS6detail15normal_iteratorINS9_10device_ptrIdEEEESE_PNS0_10empty_typeENS0_5tupleIJSE_SF_EEENSH_IJSE_SG_EEENS0_18inequality_wrapperI22is_equal_div_10_uniqueIdEEEPmJSF_EEE10hipError_tPvRmT3_T4_T5_T6_T7_T9_mT8_P12ihipStream_tbDpT10_ENKUlT_T0_E_clISt17integral_constantIbLb1EES18_EEDaS13_S14_EUlS13_E_NS1_11comp_targetILNS1_3genE4ELNS1_11target_archE910ELNS1_3gpuE8ELNS1_3repE0EEENS1_30default_config_static_selectorELNS0_4arch9wavefront6targetE0EEEvT1_,comdat
.Lfunc_end57:
	.size	_ZN7rocprim17ROCPRIM_400000_NS6detail17trampoline_kernelINS0_14default_configENS1_25partition_config_selectorILNS1_17partition_subalgoE9EddbEEZZNS1_14partition_implILS5_9ELb0ES3_jN6thrust23THRUST_200600_302600_NS6detail15normal_iteratorINS9_10device_ptrIdEEEESE_PNS0_10empty_typeENS0_5tupleIJSE_SF_EEENSH_IJSE_SG_EEENS0_18inequality_wrapperI22is_equal_div_10_uniqueIdEEEPmJSF_EEE10hipError_tPvRmT3_T4_T5_T6_T7_T9_mT8_P12ihipStream_tbDpT10_ENKUlT_T0_E_clISt17integral_constantIbLb1EES18_EEDaS13_S14_EUlS13_E_NS1_11comp_targetILNS1_3genE4ELNS1_11target_archE910ELNS1_3gpuE8ELNS1_3repE0EEENS1_30default_config_static_selectorELNS0_4arch9wavefront6targetE0EEEvT1_, .Lfunc_end57-_ZN7rocprim17ROCPRIM_400000_NS6detail17trampoline_kernelINS0_14default_configENS1_25partition_config_selectorILNS1_17partition_subalgoE9EddbEEZZNS1_14partition_implILS5_9ELb0ES3_jN6thrust23THRUST_200600_302600_NS6detail15normal_iteratorINS9_10device_ptrIdEEEESE_PNS0_10empty_typeENS0_5tupleIJSE_SF_EEENSH_IJSE_SG_EEENS0_18inequality_wrapperI22is_equal_div_10_uniqueIdEEEPmJSF_EEE10hipError_tPvRmT3_T4_T5_T6_T7_T9_mT8_P12ihipStream_tbDpT10_ENKUlT_T0_E_clISt17integral_constantIbLb1EES18_EEDaS13_S14_EUlS13_E_NS1_11comp_targetILNS1_3genE4ELNS1_11target_archE910ELNS1_3gpuE8ELNS1_3repE0EEENS1_30default_config_static_selectorELNS0_4arch9wavefront6targetE0EEEvT1_
                                        ; -- End function
	.section	.AMDGPU.csdata,"",@progbits
; Kernel info:
; codeLenInByte = 0
; NumSgprs: 0
; NumVgprs: 0
; ScratchSize: 0
; MemoryBound: 0
; FloatMode: 240
; IeeeMode: 1
; LDSByteSize: 0 bytes/workgroup (compile time only)
; SGPRBlocks: 0
; VGPRBlocks: 0
; NumSGPRsForWavesPerEU: 1
; NumVGPRsForWavesPerEU: 1
; Occupancy: 16
; WaveLimiterHint : 0
; COMPUTE_PGM_RSRC2:SCRATCH_EN: 0
; COMPUTE_PGM_RSRC2:USER_SGPR: 15
; COMPUTE_PGM_RSRC2:TRAP_HANDLER: 0
; COMPUTE_PGM_RSRC2:TGID_X_EN: 1
; COMPUTE_PGM_RSRC2:TGID_Y_EN: 0
; COMPUTE_PGM_RSRC2:TGID_Z_EN: 0
; COMPUTE_PGM_RSRC2:TIDIG_COMP_CNT: 0
	.section	.text._ZN7rocprim17ROCPRIM_400000_NS6detail17trampoline_kernelINS0_14default_configENS1_25partition_config_selectorILNS1_17partition_subalgoE9EddbEEZZNS1_14partition_implILS5_9ELb0ES3_jN6thrust23THRUST_200600_302600_NS6detail15normal_iteratorINS9_10device_ptrIdEEEESE_PNS0_10empty_typeENS0_5tupleIJSE_SF_EEENSH_IJSE_SG_EEENS0_18inequality_wrapperI22is_equal_div_10_uniqueIdEEEPmJSF_EEE10hipError_tPvRmT3_T4_T5_T6_T7_T9_mT8_P12ihipStream_tbDpT10_ENKUlT_T0_E_clISt17integral_constantIbLb1EES18_EEDaS13_S14_EUlS13_E_NS1_11comp_targetILNS1_3genE3ELNS1_11target_archE908ELNS1_3gpuE7ELNS1_3repE0EEENS1_30default_config_static_selectorELNS0_4arch9wavefront6targetE0EEEvT1_,"axG",@progbits,_ZN7rocprim17ROCPRIM_400000_NS6detail17trampoline_kernelINS0_14default_configENS1_25partition_config_selectorILNS1_17partition_subalgoE9EddbEEZZNS1_14partition_implILS5_9ELb0ES3_jN6thrust23THRUST_200600_302600_NS6detail15normal_iteratorINS9_10device_ptrIdEEEESE_PNS0_10empty_typeENS0_5tupleIJSE_SF_EEENSH_IJSE_SG_EEENS0_18inequality_wrapperI22is_equal_div_10_uniqueIdEEEPmJSF_EEE10hipError_tPvRmT3_T4_T5_T6_T7_T9_mT8_P12ihipStream_tbDpT10_ENKUlT_T0_E_clISt17integral_constantIbLb1EES18_EEDaS13_S14_EUlS13_E_NS1_11comp_targetILNS1_3genE3ELNS1_11target_archE908ELNS1_3gpuE7ELNS1_3repE0EEENS1_30default_config_static_selectorELNS0_4arch9wavefront6targetE0EEEvT1_,comdat
	.protected	_ZN7rocprim17ROCPRIM_400000_NS6detail17trampoline_kernelINS0_14default_configENS1_25partition_config_selectorILNS1_17partition_subalgoE9EddbEEZZNS1_14partition_implILS5_9ELb0ES3_jN6thrust23THRUST_200600_302600_NS6detail15normal_iteratorINS9_10device_ptrIdEEEESE_PNS0_10empty_typeENS0_5tupleIJSE_SF_EEENSH_IJSE_SG_EEENS0_18inequality_wrapperI22is_equal_div_10_uniqueIdEEEPmJSF_EEE10hipError_tPvRmT3_T4_T5_T6_T7_T9_mT8_P12ihipStream_tbDpT10_ENKUlT_T0_E_clISt17integral_constantIbLb1EES18_EEDaS13_S14_EUlS13_E_NS1_11comp_targetILNS1_3genE3ELNS1_11target_archE908ELNS1_3gpuE7ELNS1_3repE0EEENS1_30default_config_static_selectorELNS0_4arch9wavefront6targetE0EEEvT1_ ; -- Begin function _ZN7rocprim17ROCPRIM_400000_NS6detail17trampoline_kernelINS0_14default_configENS1_25partition_config_selectorILNS1_17partition_subalgoE9EddbEEZZNS1_14partition_implILS5_9ELb0ES3_jN6thrust23THRUST_200600_302600_NS6detail15normal_iteratorINS9_10device_ptrIdEEEESE_PNS0_10empty_typeENS0_5tupleIJSE_SF_EEENSH_IJSE_SG_EEENS0_18inequality_wrapperI22is_equal_div_10_uniqueIdEEEPmJSF_EEE10hipError_tPvRmT3_T4_T5_T6_T7_T9_mT8_P12ihipStream_tbDpT10_ENKUlT_T0_E_clISt17integral_constantIbLb1EES18_EEDaS13_S14_EUlS13_E_NS1_11comp_targetILNS1_3genE3ELNS1_11target_archE908ELNS1_3gpuE7ELNS1_3repE0EEENS1_30default_config_static_selectorELNS0_4arch9wavefront6targetE0EEEvT1_
	.globl	_ZN7rocprim17ROCPRIM_400000_NS6detail17trampoline_kernelINS0_14default_configENS1_25partition_config_selectorILNS1_17partition_subalgoE9EddbEEZZNS1_14partition_implILS5_9ELb0ES3_jN6thrust23THRUST_200600_302600_NS6detail15normal_iteratorINS9_10device_ptrIdEEEESE_PNS0_10empty_typeENS0_5tupleIJSE_SF_EEENSH_IJSE_SG_EEENS0_18inequality_wrapperI22is_equal_div_10_uniqueIdEEEPmJSF_EEE10hipError_tPvRmT3_T4_T5_T6_T7_T9_mT8_P12ihipStream_tbDpT10_ENKUlT_T0_E_clISt17integral_constantIbLb1EES18_EEDaS13_S14_EUlS13_E_NS1_11comp_targetILNS1_3genE3ELNS1_11target_archE908ELNS1_3gpuE7ELNS1_3repE0EEENS1_30default_config_static_selectorELNS0_4arch9wavefront6targetE0EEEvT1_
	.p2align	8
	.type	_ZN7rocprim17ROCPRIM_400000_NS6detail17trampoline_kernelINS0_14default_configENS1_25partition_config_selectorILNS1_17partition_subalgoE9EddbEEZZNS1_14partition_implILS5_9ELb0ES3_jN6thrust23THRUST_200600_302600_NS6detail15normal_iteratorINS9_10device_ptrIdEEEESE_PNS0_10empty_typeENS0_5tupleIJSE_SF_EEENSH_IJSE_SG_EEENS0_18inequality_wrapperI22is_equal_div_10_uniqueIdEEEPmJSF_EEE10hipError_tPvRmT3_T4_T5_T6_T7_T9_mT8_P12ihipStream_tbDpT10_ENKUlT_T0_E_clISt17integral_constantIbLb1EES18_EEDaS13_S14_EUlS13_E_NS1_11comp_targetILNS1_3genE3ELNS1_11target_archE908ELNS1_3gpuE7ELNS1_3repE0EEENS1_30default_config_static_selectorELNS0_4arch9wavefront6targetE0EEEvT1_,@function
_ZN7rocprim17ROCPRIM_400000_NS6detail17trampoline_kernelINS0_14default_configENS1_25partition_config_selectorILNS1_17partition_subalgoE9EddbEEZZNS1_14partition_implILS5_9ELb0ES3_jN6thrust23THRUST_200600_302600_NS6detail15normal_iteratorINS9_10device_ptrIdEEEESE_PNS0_10empty_typeENS0_5tupleIJSE_SF_EEENSH_IJSE_SG_EEENS0_18inequality_wrapperI22is_equal_div_10_uniqueIdEEEPmJSF_EEE10hipError_tPvRmT3_T4_T5_T6_T7_T9_mT8_P12ihipStream_tbDpT10_ENKUlT_T0_E_clISt17integral_constantIbLb1EES18_EEDaS13_S14_EUlS13_E_NS1_11comp_targetILNS1_3genE3ELNS1_11target_archE908ELNS1_3gpuE7ELNS1_3repE0EEENS1_30default_config_static_selectorELNS0_4arch9wavefront6targetE0EEEvT1_: ; @_ZN7rocprim17ROCPRIM_400000_NS6detail17trampoline_kernelINS0_14default_configENS1_25partition_config_selectorILNS1_17partition_subalgoE9EddbEEZZNS1_14partition_implILS5_9ELb0ES3_jN6thrust23THRUST_200600_302600_NS6detail15normal_iteratorINS9_10device_ptrIdEEEESE_PNS0_10empty_typeENS0_5tupleIJSE_SF_EEENSH_IJSE_SG_EEENS0_18inequality_wrapperI22is_equal_div_10_uniqueIdEEEPmJSF_EEE10hipError_tPvRmT3_T4_T5_T6_T7_T9_mT8_P12ihipStream_tbDpT10_ENKUlT_T0_E_clISt17integral_constantIbLb1EES18_EEDaS13_S14_EUlS13_E_NS1_11comp_targetILNS1_3genE3ELNS1_11target_archE908ELNS1_3gpuE7ELNS1_3repE0EEENS1_30default_config_static_selectorELNS0_4arch9wavefront6targetE0EEEvT1_
; %bb.0:
	.section	.rodata,"a",@progbits
	.p2align	6, 0x0
	.amdhsa_kernel _ZN7rocprim17ROCPRIM_400000_NS6detail17trampoline_kernelINS0_14default_configENS1_25partition_config_selectorILNS1_17partition_subalgoE9EddbEEZZNS1_14partition_implILS5_9ELb0ES3_jN6thrust23THRUST_200600_302600_NS6detail15normal_iteratorINS9_10device_ptrIdEEEESE_PNS0_10empty_typeENS0_5tupleIJSE_SF_EEENSH_IJSE_SG_EEENS0_18inequality_wrapperI22is_equal_div_10_uniqueIdEEEPmJSF_EEE10hipError_tPvRmT3_T4_T5_T6_T7_T9_mT8_P12ihipStream_tbDpT10_ENKUlT_T0_E_clISt17integral_constantIbLb1EES18_EEDaS13_S14_EUlS13_E_NS1_11comp_targetILNS1_3genE3ELNS1_11target_archE908ELNS1_3gpuE7ELNS1_3repE0EEENS1_30default_config_static_selectorELNS0_4arch9wavefront6targetE0EEEvT1_
		.amdhsa_group_segment_fixed_size 0
		.amdhsa_private_segment_fixed_size 0
		.amdhsa_kernarg_size 128
		.amdhsa_user_sgpr_count 15
		.amdhsa_user_sgpr_dispatch_ptr 0
		.amdhsa_user_sgpr_queue_ptr 0
		.amdhsa_user_sgpr_kernarg_segment_ptr 1
		.amdhsa_user_sgpr_dispatch_id 0
		.amdhsa_user_sgpr_private_segment_size 0
		.amdhsa_wavefront_size32 1
		.amdhsa_uses_dynamic_stack 0
		.amdhsa_enable_private_segment 0
		.amdhsa_system_sgpr_workgroup_id_x 1
		.amdhsa_system_sgpr_workgroup_id_y 0
		.amdhsa_system_sgpr_workgroup_id_z 0
		.amdhsa_system_sgpr_workgroup_info 0
		.amdhsa_system_vgpr_workitem_id 0
		.amdhsa_next_free_vgpr 1
		.amdhsa_next_free_sgpr 1
		.amdhsa_reserve_vcc 0
		.amdhsa_float_round_mode_32 0
		.amdhsa_float_round_mode_16_64 0
		.amdhsa_float_denorm_mode_32 3
		.amdhsa_float_denorm_mode_16_64 3
		.amdhsa_dx10_clamp 1
		.amdhsa_ieee_mode 1
		.amdhsa_fp16_overflow 0
		.amdhsa_workgroup_processor_mode 1
		.amdhsa_memory_ordered 1
		.amdhsa_forward_progress 0
		.amdhsa_shared_vgpr_count 0
		.amdhsa_exception_fp_ieee_invalid_op 0
		.amdhsa_exception_fp_denorm_src 0
		.amdhsa_exception_fp_ieee_div_zero 0
		.amdhsa_exception_fp_ieee_overflow 0
		.amdhsa_exception_fp_ieee_underflow 0
		.amdhsa_exception_fp_ieee_inexact 0
		.amdhsa_exception_int_div_zero 0
	.end_amdhsa_kernel
	.section	.text._ZN7rocprim17ROCPRIM_400000_NS6detail17trampoline_kernelINS0_14default_configENS1_25partition_config_selectorILNS1_17partition_subalgoE9EddbEEZZNS1_14partition_implILS5_9ELb0ES3_jN6thrust23THRUST_200600_302600_NS6detail15normal_iteratorINS9_10device_ptrIdEEEESE_PNS0_10empty_typeENS0_5tupleIJSE_SF_EEENSH_IJSE_SG_EEENS0_18inequality_wrapperI22is_equal_div_10_uniqueIdEEEPmJSF_EEE10hipError_tPvRmT3_T4_T5_T6_T7_T9_mT8_P12ihipStream_tbDpT10_ENKUlT_T0_E_clISt17integral_constantIbLb1EES18_EEDaS13_S14_EUlS13_E_NS1_11comp_targetILNS1_3genE3ELNS1_11target_archE908ELNS1_3gpuE7ELNS1_3repE0EEENS1_30default_config_static_selectorELNS0_4arch9wavefront6targetE0EEEvT1_,"axG",@progbits,_ZN7rocprim17ROCPRIM_400000_NS6detail17trampoline_kernelINS0_14default_configENS1_25partition_config_selectorILNS1_17partition_subalgoE9EddbEEZZNS1_14partition_implILS5_9ELb0ES3_jN6thrust23THRUST_200600_302600_NS6detail15normal_iteratorINS9_10device_ptrIdEEEESE_PNS0_10empty_typeENS0_5tupleIJSE_SF_EEENSH_IJSE_SG_EEENS0_18inequality_wrapperI22is_equal_div_10_uniqueIdEEEPmJSF_EEE10hipError_tPvRmT3_T4_T5_T6_T7_T9_mT8_P12ihipStream_tbDpT10_ENKUlT_T0_E_clISt17integral_constantIbLb1EES18_EEDaS13_S14_EUlS13_E_NS1_11comp_targetILNS1_3genE3ELNS1_11target_archE908ELNS1_3gpuE7ELNS1_3repE0EEENS1_30default_config_static_selectorELNS0_4arch9wavefront6targetE0EEEvT1_,comdat
.Lfunc_end58:
	.size	_ZN7rocprim17ROCPRIM_400000_NS6detail17trampoline_kernelINS0_14default_configENS1_25partition_config_selectorILNS1_17partition_subalgoE9EddbEEZZNS1_14partition_implILS5_9ELb0ES3_jN6thrust23THRUST_200600_302600_NS6detail15normal_iteratorINS9_10device_ptrIdEEEESE_PNS0_10empty_typeENS0_5tupleIJSE_SF_EEENSH_IJSE_SG_EEENS0_18inequality_wrapperI22is_equal_div_10_uniqueIdEEEPmJSF_EEE10hipError_tPvRmT3_T4_T5_T6_T7_T9_mT8_P12ihipStream_tbDpT10_ENKUlT_T0_E_clISt17integral_constantIbLb1EES18_EEDaS13_S14_EUlS13_E_NS1_11comp_targetILNS1_3genE3ELNS1_11target_archE908ELNS1_3gpuE7ELNS1_3repE0EEENS1_30default_config_static_selectorELNS0_4arch9wavefront6targetE0EEEvT1_, .Lfunc_end58-_ZN7rocprim17ROCPRIM_400000_NS6detail17trampoline_kernelINS0_14default_configENS1_25partition_config_selectorILNS1_17partition_subalgoE9EddbEEZZNS1_14partition_implILS5_9ELb0ES3_jN6thrust23THRUST_200600_302600_NS6detail15normal_iteratorINS9_10device_ptrIdEEEESE_PNS0_10empty_typeENS0_5tupleIJSE_SF_EEENSH_IJSE_SG_EEENS0_18inequality_wrapperI22is_equal_div_10_uniqueIdEEEPmJSF_EEE10hipError_tPvRmT3_T4_T5_T6_T7_T9_mT8_P12ihipStream_tbDpT10_ENKUlT_T0_E_clISt17integral_constantIbLb1EES18_EEDaS13_S14_EUlS13_E_NS1_11comp_targetILNS1_3genE3ELNS1_11target_archE908ELNS1_3gpuE7ELNS1_3repE0EEENS1_30default_config_static_selectorELNS0_4arch9wavefront6targetE0EEEvT1_
                                        ; -- End function
	.section	.AMDGPU.csdata,"",@progbits
; Kernel info:
; codeLenInByte = 0
; NumSgprs: 0
; NumVgprs: 0
; ScratchSize: 0
; MemoryBound: 0
; FloatMode: 240
; IeeeMode: 1
; LDSByteSize: 0 bytes/workgroup (compile time only)
; SGPRBlocks: 0
; VGPRBlocks: 0
; NumSGPRsForWavesPerEU: 1
; NumVGPRsForWavesPerEU: 1
; Occupancy: 16
; WaveLimiterHint : 0
; COMPUTE_PGM_RSRC2:SCRATCH_EN: 0
; COMPUTE_PGM_RSRC2:USER_SGPR: 15
; COMPUTE_PGM_RSRC2:TRAP_HANDLER: 0
; COMPUTE_PGM_RSRC2:TGID_X_EN: 1
; COMPUTE_PGM_RSRC2:TGID_Y_EN: 0
; COMPUTE_PGM_RSRC2:TGID_Z_EN: 0
; COMPUTE_PGM_RSRC2:TIDIG_COMP_CNT: 0
	.section	.text._ZN7rocprim17ROCPRIM_400000_NS6detail17trampoline_kernelINS0_14default_configENS1_25partition_config_selectorILNS1_17partition_subalgoE9EddbEEZZNS1_14partition_implILS5_9ELb0ES3_jN6thrust23THRUST_200600_302600_NS6detail15normal_iteratorINS9_10device_ptrIdEEEESE_PNS0_10empty_typeENS0_5tupleIJSE_SF_EEENSH_IJSE_SG_EEENS0_18inequality_wrapperI22is_equal_div_10_uniqueIdEEEPmJSF_EEE10hipError_tPvRmT3_T4_T5_T6_T7_T9_mT8_P12ihipStream_tbDpT10_ENKUlT_T0_E_clISt17integral_constantIbLb1EES18_EEDaS13_S14_EUlS13_E_NS1_11comp_targetILNS1_3genE2ELNS1_11target_archE906ELNS1_3gpuE6ELNS1_3repE0EEENS1_30default_config_static_selectorELNS0_4arch9wavefront6targetE0EEEvT1_,"axG",@progbits,_ZN7rocprim17ROCPRIM_400000_NS6detail17trampoline_kernelINS0_14default_configENS1_25partition_config_selectorILNS1_17partition_subalgoE9EddbEEZZNS1_14partition_implILS5_9ELb0ES3_jN6thrust23THRUST_200600_302600_NS6detail15normal_iteratorINS9_10device_ptrIdEEEESE_PNS0_10empty_typeENS0_5tupleIJSE_SF_EEENSH_IJSE_SG_EEENS0_18inequality_wrapperI22is_equal_div_10_uniqueIdEEEPmJSF_EEE10hipError_tPvRmT3_T4_T5_T6_T7_T9_mT8_P12ihipStream_tbDpT10_ENKUlT_T0_E_clISt17integral_constantIbLb1EES18_EEDaS13_S14_EUlS13_E_NS1_11comp_targetILNS1_3genE2ELNS1_11target_archE906ELNS1_3gpuE6ELNS1_3repE0EEENS1_30default_config_static_selectorELNS0_4arch9wavefront6targetE0EEEvT1_,comdat
	.protected	_ZN7rocprim17ROCPRIM_400000_NS6detail17trampoline_kernelINS0_14default_configENS1_25partition_config_selectorILNS1_17partition_subalgoE9EddbEEZZNS1_14partition_implILS5_9ELb0ES3_jN6thrust23THRUST_200600_302600_NS6detail15normal_iteratorINS9_10device_ptrIdEEEESE_PNS0_10empty_typeENS0_5tupleIJSE_SF_EEENSH_IJSE_SG_EEENS0_18inequality_wrapperI22is_equal_div_10_uniqueIdEEEPmJSF_EEE10hipError_tPvRmT3_T4_T5_T6_T7_T9_mT8_P12ihipStream_tbDpT10_ENKUlT_T0_E_clISt17integral_constantIbLb1EES18_EEDaS13_S14_EUlS13_E_NS1_11comp_targetILNS1_3genE2ELNS1_11target_archE906ELNS1_3gpuE6ELNS1_3repE0EEENS1_30default_config_static_selectorELNS0_4arch9wavefront6targetE0EEEvT1_ ; -- Begin function _ZN7rocprim17ROCPRIM_400000_NS6detail17trampoline_kernelINS0_14default_configENS1_25partition_config_selectorILNS1_17partition_subalgoE9EddbEEZZNS1_14partition_implILS5_9ELb0ES3_jN6thrust23THRUST_200600_302600_NS6detail15normal_iteratorINS9_10device_ptrIdEEEESE_PNS0_10empty_typeENS0_5tupleIJSE_SF_EEENSH_IJSE_SG_EEENS0_18inequality_wrapperI22is_equal_div_10_uniqueIdEEEPmJSF_EEE10hipError_tPvRmT3_T4_T5_T6_T7_T9_mT8_P12ihipStream_tbDpT10_ENKUlT_T0_E_clISt17integral_constantIbLb1EES18_EEDaS13_S14_EUlS13_E_NS1_11comp_targetILNS1_3genE2ELNS1_11target_archE906ELNS1_3gpuE6ELNS1_3repE0EEENS1_30default_config_static_selectorELNS0_4arch9wavefront6targetE0EEEvT1_
	.globl	_ZN7rocprim17ROCPRIM_400000_NS6detail17trampoline_kernelINS0_14default_configENS1_25partition_config_selectorILNS1_17partition_subalgoE9EddbEEZZNS1_14partition_implILS5_9ELb0ES3_jN6thrust23THRUST_200600_302600_NS6detail15normal_iteratorINS9_10device_ptrIdEEEESE_PNS0_10empty_typeENS0_5tupleIJSE_SF_EEENSH_IJSE_SG_EEENS0_18inequality_wrapperI22is_equal_div_10_uniqueIdEEEPmJSF_EEE10hipError_tPvRmT3_T4_T5_T6_T7_T9_mT8_P12ihipStream_tbDpT10_ENKUlT_T0_E_clISt17integral_constantIbLb1EES18_EEDaS13_S14_EUlS13_E_NS1_11comp_targetILNS1_3genE2ELNS1_11target_archE906ELNS1_3gpuE6ELNS1_3repE0EEENS1_30default_config_static_selectorELNS0_4arch9wavefront6targetE0EEEvT1_
	.p2align	8
	.type	_ZN7rocprim17ROCPRIM_400000_NS6detail17trampoline_kernelINS0_14default_configENS1_25partition_config_selectorILNS1_17partition_subalgoE9EddbEEZZNS1_14partition_implILS5_9ELb0ES3_jN6thrust23THRUST_200600_302600_NS6detail15normal_iteratorINS9_10device_ptrIdEEEESE_PNS0_10empty_typeENS0_5tupleIJSE_SF_EEENSH_IJSE_SG_EEENS0_18inequality_wrapperI22is_equal_div_10_uniqueIdEEEPmJSF_EEE10hipError_tPvRmT3_T4_T5_T6_T7_T9_mT8_P12ihipStream_tbDpT10_ENKUlT_T0_E_clISt17integral_constantIbLb1EES18_EEDaS13_S14_EUlS13_E_NS1_11comp_targetILNS1_3genE2ELNS1_11target_archE906ELNS1_3gpuE6ELNS1_3repE0EEENS1_30default_config_static_selectorELNS0_4arch9wavefront6targetE0EEEvT1_,@function
_ZN7rocprim17ROCPRIM_400000_NS6detail17trampoline_kernelINS0_14default_configENS1_25partition_config_selectorILNS1_17partition_subalgoE9EddbEEZZNS1_14partition_implILS5_9ELb0ES3_jN6thrust23THRUST_200600_302600_NS6detail15normal_iteratorINS9_10device_ptrIdEEEESE_PNS0_10empty_typeENS0_5tupleIJSE_SF_EEENSH_IJSE_SG_EEENS0_18inequality_wrapperI22is_equal_div_10_uniqueIdEEEPmJSF_EEE10hipError_tPvRmT3_T4_T5_T6_T7_T9_mT8_P12ihipStream_tbDpT10_ENKUlT_T0_E_clISt17integral_constantIbLb1EES18_EEDaS13_S14_EUlS13_E_NS1_11comp_targetILNS1_3genE2ELNS1_11target_archE906ELNS1_3gpuE6ELNS1_3repE0EEENS1_30default_config_static_selectorELNS0_4arch9wavefront6targetE0EEEvT1_: ; @_ZN7rocprim17ROCPRIM_400000_NS6detail17trampoline_kernelINS0_14default_configENS1_25partition_config_selectorILNS1_17partition_subalgoE9EddbEEZZNS1_14partition_implILS5_9ELb0ES3_jN6thrust23THRUST_200600_302600_NS6detail15normal_iteratorINS9_10device_ptrIdEEEESE_PNS0_10empty_typeENS0_5tupleIJSE_SF_EEENSH_IJSE_SG_EEENS0_18inequality_wrapperI22is_equal_div_10_uniqueIdEEEPmJSF_EEE10hipError_tPvRmT3_T4_T5_T6_T7_T9_mT8_P12ihipStream_tbDpT10_ENKUlT_T0_E_clISt17integral_constantIbLb1EES18_EEDaS13_S14_EUlS13_E_NS1_11comp_targetILNS1_3genE2ELNS1_11target_archE906ELNS1_3gpuE6ELNS1_3repE0EEENS1_30default_config_static_selectorELNS0_4arch9wavefront6targetE0EEEvT1_
; %bb.0:
	.section	.rodata,"a",@progbits
	.p2align	6, 0x0
	.amdhsa_kernel _ZN7rocprim17ROCPRIM_400000_NS6detail17trampoline_kernelINS0_14default_configENS1_25partition_config_selectorILNS1_17partition_subalgoE9EddbEEZZNS1_14partition_implILS5_9ELb0ES3_jN6thrust23THRUST_200600_302600_NS6detail15normal_iteratorINS9_10device_ptrIdEEEESE_PNS0_10empty_typeENS0_5tupleIJSE_SF_EEENSH_IJSE_SG_EEENS0_18inequality_wrapperI22is_equal_div_10_uniqueIdEEEPmJSF_EEE10hipError_tPvRmT3_T4_T5_T6_T7_T9_mT8_P12ihipStream_tbDpT10_ENKUlT_T0_E_clISt17integral_constantIbLb1EES18_EEDaS13_S14_EUlS13_E_NS1_11comp_targetILNS1_3genE2ELNS1_11target_archE906ELNS1_3gpuE6ELNS1_3repE0EEENS1_30default_config_static_selectorELNS0_4arch9wavefront6targetE0EEEvT1_
		.amdhsa_group_segment_fixed_size 0
		.amdhsa_private_segment_fixed_size 0
		.amdhsa_kernarg_size 128
		.amdhsa_user_sgpr_count 15
		.amdhsa_user_sgpr_dispatch_ptr 0
		.amdhsa_user_sgpr_queue_ptr 0
		.amdhsa_user_sgpr_kernarg_segment_ptr 1
		.amdhsa_user_sgpr_dispatch_id 0
		.amdhsa_user_sgpr_private_segment_size 0
		.amdhsa_wavefront_size32 1
		.amdhsa_uses_dynamic_stack 0
		.amdhsa_enable_private_segment 0
		.amdhsa_system_sgpr_workgroup_id_x 1
		.amdhsa_system_sgpr_workgroup_id_y 0
		.amdhsa_system_sgpr_workgroup_id_z 0
		.amdhsa_system_sgpr_workgroup_info 0
		.amdhsa_system_vgpr_workitem_id 0
		.amdhsa_next_free_vgpr 1
		.amdhsa_next_free_sgpr 1
		.amdhsa_reserve_vcc 0
		.amdhsa_float_round_mode_32 0
		.amdhsa_float_round_mode_16_64 0
		.amdhsa_float_denorm_mode_32 3
		.amdhsa_float_denorm_mode_16_64 3
		.amdhsa_dx10_clamp 1
		.amdhsa_ieee_mode 1
		.amdhsa_fp16_overflow 0
		.amdhsa_workgroup_processor_mode 1
		.amdhsa_memory_ordered 1
		.amdhsa_forward_progress 0
		.amdhsa_shared_vgpr_count 0
		.amdhsa_exception_fp_ieee_invalid_op 0
		.amdhsa_exception_fp_denorm_src 0
		.amdhsa_exception_fp_ieee_div_zero 0
		.amdhsa_exception_fp_ieee_overflow 0
		.amdhsa_exception_fp_ieee_underflow 0
		.amdhsa_exception_fp_ieee_inexact 0
		.amdhsa_exception_int_div_zero 0
	.end_amdhsa_kernel
	.section	.text._ZN7rocprim17ROCPRIM_400000_NS6detail17trampoline_kernelINS0_14default_configENS1_25partition_config_selectorILNS1_17partition_subalgoE9EddbEEZZNS1_14partition_implILS5_9ELb0ES3_jN6thrust23THRUST_200600_302600_NS6detail15normal_iteratorINS9_10device_ptrIdEEEESE_PNS0_10empty_typeENS0_5tupleIJSE_SF_EEENSH_IJSE_SG_EEENS0_18inequality_wrapperI22is_equal_div_10_uniqueIdEEEPmJSF_EEE10hipError_tPvRmT3_T4_T5_T6_T7_T9_mT8_P12ihipStream_tbDpT10_ENKUlT_T0_E_clISt17integral_constantIbLb1EES18_EEDaS13_S14_EUlS13_E_NS1_11comp_targetILNS1_3genE2ELNS1_11target_archE906ELNS1_3gpuE6ELNS1_3repE0EEENS1_30default_config_static_selectorELNS0_4arch9wavefront6targetE0EEEvT1_,"axG",@progbits,_ZN7rocprim17ROCPRIM_400000_NS6detail17trampoline_kernelINS0_14default_configENS1_25partition_config_selectorILNS1_17partition_subalgoE9EddbEEZZNS1_14partition_implILS5_9ELb0ES3_jN6thrust23THRUST_200600_302600_NS6detail15normal_iteratorINS9_10device_ptrIdEEEESE_PNS0_10empty_typeENS0_5tupleIJSE_SF_EEENSH_IJSE_SG_EEENS0_18inequality_wrapperI22is_equal_div_10_uniqueIdEEEPmJSF_EEE10hipError_tPvRmT3_T4_T5_T6_T7_T9_mT8_P12ihipStream_tbDpT10_ENKUlT_T0_E_clISt17integral_constantIbLb1EES18_EEDaS13_S14_EUlS13_E_NS1_11comp_targetILNS1_3genE2ELNS1_11target_archE906ELNS1_3gpuE6ELNS1_3repE0EEENS1_30default_config_static_selectorELNS0_4arch9wavefront6targetE0EEEvT1_,comdat
.Lfunc_end59:
	.size	_ZN7rocprim17ROCPRIM_400000_NS6detail17trampoline_kernelINS0_14default_configENS1_25partition_config_selectorILNS1_17partition_subalgoE9EddbEEZZNS1_14partition_implILS5_9ELb0ES3_jN6thrust23THRUST_200600_302600_NS6detail15normal_iteratorINS9_10device_ptrIdEEEESE_PNS0_10empty_typeENS0_5tupleIJSE_SF_EEENSH_IJSE_SG_EEENS0_18inequality_wrapperI22is_equal_div_10_uniqueIdEEEPmJSF_EEE10hipError_tPvRmT3_T4_T5_T6_T7_T9_mT8_P12ihipStream_tbDpT10_ENKUlT_T0_E_clISt17integral_constantIbLb1EES18_EEDaS13_S14_EUlS13_E_NS1_11comp_targetILNS1_3genE2ELNS1_11target_archE906ELNS1_3gpuE6ELNS1_3repE0EEENS1_30default_config_static_selectorELNS0_4arch9wavefront6targetE0EEEvT1_, .Lfunc_end59-_ZN7rocprim17ROCPRIM_400000_NS6detail17trampoline_kernelINS0_14default_configENS1_25partition_config_selectorILNS1_17partition_subalgoE9EddbEEZZNS1_14partition_implILS5_9ELb0ES3_jN6thrust23THRUST_200600_302600_NS6detail15normal_iteratorINS9_10device_ptrIdEEEESE_PNS0_10empty_typeENS0_5tupleIJSE_SF_EEENSH_IJSE_SG_EEENS0_18inequality_wrapperI22is_equal_div_10_uniqueIdEEEPmJSF_EEE10hipError_tPvRmT3_T4_T5_T6_T7_T9_mT8_P12ihipStream_tbDpT10_ENKUlT_T0_E_clISt17integral_constantIbLb1EES18_EEDaS13_S14_EUlS13_E_NS1_11comp_targetILNS1_3genE2ELNS1_11target_archE906ELNS1_3gpuE6ELNS1_3repE0EEENS1_30default_config_static_selectorELNS0_4arch9wavefront6targetE0EEEvT1_
                                        ; -- End function
	.section	.AMDGPU.csdata,"",@progbits
; Kernel info:
; codeLenInByte = 0
; NumSgprs: 0
; NumVgprs: 0
; ScratchSize: 0
; MemoryBound: 0
; FloatMode: 240
; IeeeMode: 1
; LDSByteSize: 0 bytes/workgroup (compile time only)
; SGPRBlocks: 0
; VGPRBlocks: 0
; NumSGPRsForWavesPerEU: 1
; NumVGPRsForWavesPerEU: 1
; Occupancy: 16
; WaveLimiterHint : 0
; COMPUTE_PGM_RSRC2:SCRATCH_EN: 0
; COMPUTE_PGM_RSRC2:USER_SGPR: 15
; COMPUTE_PGM_RSRC2:TRAP_HANDLER: 0
; COMPUTE_PGM_RSRC2:TGID_X_EN: 1
; COMPUTE_PGM_RSRC2:TGID_Y_EN: 0
; COMPUTE_PGM_RSRC2:TGID_Z_EN: 0
; COMPUTE_PGM_RSRC2:TIDIG_COMP_CNT: 0
	.section	.text._ZN7rocprim17ROCPRIM_400000_NS6detail17trampoline_kernelINS0_14default_configENS1_25partition_config_selectorILNS1_17partition_subalgoE9EddbEEZZNS1_14partition_implILS5_9ELb0ES3_jN6thrust23THRUST_200600_302600_NS6detail15normal_iteratorINS9_10device_ptrIdEEEESE_PNS0_10empty_typeENS0_5tupleIJSE_SF_EEENSH_IJSE_SG_EEENS0_18inequality_wrapperI22is_equal_div_10_uniqueIdEEEPmJSF_EEE10hipError_tPvRmT3_T4_T5_T6_T7_T9_mT8_P12ihipStream_tbDpT10_ENKUlT_T0_E_clISt17integral_constantIbLb1EES18_EEDaS13_S14_EUlS13_E_NS1_11comp_targetILNS1_3genE10ELNS1_11target_archE1200ELNS1_3gpuE4ELNS1_3repE0EEENS1_30default_config_static_selectorELNS0_4arch9wavefront6targetE0EEEvT1_,"axG",@progbits,_ZN7rocprim17ROCPRIM_400000_NS6detail17trampoline_kernelINS0_14default_configENS1_25partition_config_selectorILNS1_17partition_subalgoE9EddbEEZZNS1_14partition_implILS5_9ELb0ES3_jN6thrust23THRUST_200600_302600_NS6detail15normal_iteratorINS9_10device_ptrIdEEEESE_PNS0_10empty_typeENS0_5tupleIJSE_SF_EEENSH_IJSE_SG_EEENS0_18inequality_wrapperI22is_equal_div_10_uniqueIdEEEPmJSF_EEE10hipError_tPvRmT3_T4_T5_T6_T7_T9_mT8_P12ihipStream_tbDpT10_ENKUlT_T0_E_clISt17integral_constantIbLb1EES18_EEDaS13_S14_EUlS13_E_NS1_11comp_targetILNS1_3genE10ELNS1_11target_archE1200ELNS1_3gpuE4ELNS1_3repE0EEENS1_30default_config_static_selectorELNS0_4arch9wavefront6targetE0EEEvT1_,comdat
	.protected	_ZN7rocprim17ROCPRIM_400000_NS6detail17trampoline_kernelINS0_14default_configENS1_25partition_config_selectorILNS1_17partition_subalgoE9EddbEEZZNS1_14partition_implILS5_9ELb0ES3_jN6thrust23THRUST_200600_302600_NS6detail15normal_iteratorINS9_10device_ptrIdEEEESE_PNS0_10empty_typeENS0_5tupleIJSE_SF_EEENSH_IJSE_SG_EEENS0_18inequality_wrapperI22is_equal_div_10_uniqueIdEEEPmJSF_EEE10hipError_tPvRmT3_T4_T5_T6_T7_T9_mT8_P12ihipStream_tbDpT10_ENKUlT_T0_E_clISt17integral_constantIbLb1EES18_EEDaS13_S14_EUlS13_E_NS1_11comp_targetILNS1_3genE10ELNS1_11target_archE1200ELNS1_3gpuE4ELNS1_3repE0EEENS1_30default_config_static_selectorELNS0_4arch9wavefront6targetE0EEEvT1_ ; -- Begin function _ZN7rocprim17ROCPRIM_400000_NS6detail17trampoline_kernelINS0_14default_configENS1_25partition_config_selectorILNS1_17partition_subalgoE9EddbEEZZNS1_14partition_implILS5_9ELb0ES3_jN6thrust23THRUST_200600_302600_NS6detail15normal_iteratorINS9_10device_ptrIdEEEESE_PNS0_10empty_typeENS0_5tupleIJSE_SF_EEENSH_IJSE_SG_EEENS0_18inequality_wrapperI22is_equal_div_10_uniqueIdEEEPmJSF_EEE10hipError_tPvRmT3_T4_T5_T6_T7_T9_mT8_P12ihipStream_tbDpT10_ENKUlT_T0_E_clISt17integral_constantIbLb1EES18_EEDaS13_S14_EUlS13_E_NS1_11comp_targetILNS1_3genE10ELNS1_11target_archE1200ELNS1_3gpuE4ELNS1_3repE0EEENS1_30default_config_static_selectorELNS0_4arch9wavefront6targetE0EEEvT1_
	.globl	_ZN7rocprim17ROCPRIM_400000_NS6detail17trampoline_kernelINS0_14default_configENS1_25partition_config_selectorILNS1_17partition_subalgoE9EddbEEZZNS1_14partition_implILS5_9ELb0ES3_jN6thrust23THRUST_200600_302600_NS6detail15normal_iteratorINS9_10device_ptrIdEEEESE_PNS0_10empty_typeENS0_5tupleIJSE_SF_EEENSH_IJSE_SG_EEENS0_18inequality_wrapperI22is_equal_div_10_uniqueIdEEEPmJSF_EEE10hipError_tPvRmT3_T4_T5_T6_T7_T9_mT8_P12ihipStream_tbDpT10_ENKUlT_T0_E_clISt17integral_constantIbLb1EES18_EEDaS13_S14_EUlS13_E_NS1_11comp_targetILNS1_3genE10ELNS1_11target_archE1200ELNS1_3gpuE4ELNS1_3repE0EEENS1_30default_config_static_selectorELNS0_4arch9wavefront6targetE0EEEvT1_
	.p2align	8
	.type	_ZN7rocprim17ROCPRIM_400000_NS6detail17trampoline_kernelINS0_14default_configENS1_25partition_config_selectorILNS1_17partition_subalgoE9EddbEEZZNS1_14partition_implILS5_9ELb0ES3_jN6thrust23THRUST_200600_302600_NS6detail15normal_iteratorINS9_10device_ptrIdEEEESE_PNS0_10empty_typeENS0_5tupleIJSE_SF_EEENSH_IJSE_SG_EEENS0_18inequality_wrapperI22is_equal_div_10_uniqueIdEEEPmJSF_EEE10hipError_tPvRmT3_T4_T5_T6_T7_T9_mT8_P12ihipStream_tbDpT10_ENKUlT_T0_E_clISt17integral_constantIbLb1EES18_EEDaS13_S14_EUlS13_E_NS1_11comp_targetILNS1_3genE10ELNS1_11target_archE1200ELNS1_3gpuE4ELNS1_3repE0EEENS1_30default_config_static_selectorELNS0_4arch9wavefront6targetE0EEEvT1_,@function
_ZN7rocprim17ROCPRIM_400000_NS6detail17trampoline_kernelINS0_14default_configENS1_25partition_config_selectorILNS1_17partition_subalgoE9EddbEEZZNS1_14partition_implILS5_9ELb0ES3_jN6thrust23THRUST_200600_302600_NS6detail15normal_iteratorINS9_10device_ptrIdEEEESE_PNS0_10empty_typeENS0_5tupleIJSE_SF_EEENSH_IJSE_SG_EEENS0_18inequality_wrapperI22is_equal_div_10_uniqueIdEEEPmJSF_EEE10hipError_tPvRmT3_T4_T5_T6_T7_T9_mT8_P12ihipStream_tbDpT10_ENKUlT_T0_E_clISt17integral_constantIbLb1EES18_EEDaS13_S14_EUlS13_E_NS1_11comp_targetILNS1_3genE10ELNS1_11target_archE1200ELNS1_3gpuE4ELNS1_3repE0EEENS1_30default_config_static_selectorELNS0_4arch9wavefront6targetE0EEEvT1_: ; @_ZN7rocprim17ROCPRIM_400000_NS6detail17trampoline_kernelINS0_14default_configENS1_25partition_config_selectorILNS1_17partition_subalgoE9EddbEEZZNS1_14partition_implILS5_9ELb0ES3_jN6thrust23THRUST_200600_302600_NS6detail15normal_iteratorINS9_10device_ptrIdEEEESE_PNS0_10empty_typeENS0_5tupleIJSE_SF_EEENSH_IJSE_SG_EEENS0_18inequality_wrapperI22is_equal_div_10_uniqueIdEEEPmJSF_EEE10hipError_tPvRmT3_T4_T5_T6_T7_T9_mT8_P12ihipStream_tbDpT10_ENKUlT_T0_E_clISt17integral_constantIbLb1EES18_EEDaS13_S14_EUlS13_E_NS1_11comp_targetILNS1_3genE10ELNS1_11target_archE1200ELNS1_3gpuE4ELNS1_3repE0EEENS1_30default_config_static_selectorELNS0_4arch9wavefront6targetE0EEEvT1_
; %bb.0:
	.section	.rodata,"a",@progbits
	.p2align	6, 0x0
	.amdhsa_kernel _ZN7rocprim17ROCPRIM_400000_NS6detail17trampoline_kernelINS0_14default_configENS1_25partition_config_selectorILNS1_17partition_subalgoE9EddbEEZZNS1_14partition_implILS5_9ELb0ES3_jN6thrust23THRUST_200600_302600_NS6detail15normal_iteratorINS9_10device_ptrIdEEEESE_PNS0_10empty_typeENS0_5tupleIJSE_SF_EEENSH_IJSE_SG_EEENS0_18inequality_wrapperI22is_equal_div_10_uniqueIdEEEPmJSF_EEE10hipError_tPvRmT3_T4_T5_T6_T7_T9_mT8_P12ihipStream_tbDpT10_ENKUlT_T0_E_clISt17integral_constantIbLb1EES18_EEDaS13_S14_EUlS13_E_NS1_11comp_targetILNS1_3genE10ELNS1_11target_archE1200ELNS1_3gpuE4ELNS1_3repE0EEENS1_30default_config_static_selectorELNS0_4arch9wavefront6targetE0EEEvT1_
		.amdhsa_group_segment_fixed_size 0
		.amdhsa_private_segment_fixed_size 0
		.amdhsa_kernarg_size 128
		.amdhsa_user_sgpr_count 15
		.amdhsa_user_sgpr_dispatch_ptr 0
		.amdhsa_user_sgpr_queue_ptr 0
		.amdhsa_user_sgpr_kernarg_segment_ptr 1
		.amdhsa_user_sgpr_dispatch_id 0
		.amdhsa_user_sgpr_private_segment_size 0
		.amdhsa_wavefront_size32 1
		.amdhsa_uses_dynamic_stack 0
		.amdhsa_enable_private_segment 0
		.amdhsa_system_sgpr_workgroup_id_x 1
		.amdhsa_system_sgpr_workgroup_id_y 0
		.amdhsa_system_sgpr_workgroup_id_z 0
		.amdhsa_system_sgpr_workgroup_info 0
		.amdhsa_system_vgpr_workitem_id 0
		.amdhsa_next_free_vgpr 1
		.amdhsa_next_free_sgpr 1
		.amdhsa_reserve_vcc 0
		.amdhsa_float_round_mode_32 0
		.amdhsa_float_round_mode_16_64 0
		.amdhsa_float_denorm_mode_32 3
		.amdhsa_float_denorm_mode_16_64 3
		.amdhsa_dx10_clamp 1
		.amdhsa_ieee_mode 1
		.amdhsa_fp16_overflow 0
		.amdhsa_workgroup_processor_mode 1
		.amdhsa_memory_ordered 1
		.amdhsa_forward_progress 0
		.amdhsa_shared_vgpr_count 0
		.amdhsa_exception_fp_ieee_invalid_op 0
		.amdhsa_exception_fp_denorm_src 0
		.amdhsa_exception_fp_ieee_div_zero 0
		.amdhsa_exception_fp_ieee_overflow 0
		.amdhsa_exception_fp_ieee_underflow 0
		.amdhsa_exception_fp_ieee_inexact 0
		.amdhsa_exception_int_div_zero 0
	.end_amdhsa_kernel
	.section	.text._ZN7rocprim17ROCPRIM_400000_NS6detail17trampoline_kernelINS0_14default_configENS1_25partition_config_selectorILNS1_17partition_subalgoE9EddbEEZZNS1_14partition_implILS5_9ELb0ES3_jN6thrust23THRUST_200600_302600_NS6detail15normal_iteratorINS9_10device_ptrIdEEEESE_PNS0_10empty_typeENS0_5tupleIJSE_SF_EEENSH_IJSE_SG_EEENS0_18inequality_wrapperI22is_equal_div_10_uniqueIdEEEPmJSF_EEE10hipError_tPvRmT3_T4_T5_T6_T7_T9_mT8_P12ihipStream_tbDpT10_ENKUlT_T0_E_clISt17integral_constantIbLb1EES18_EEDaS13_S14_EUlS13_E_NS1_11comp_targetILNS1_3genE10ELNS1_11target_archE1200ELNS1_3gpuE4ELNS1_3repE0EEENS1_30default_config_static_selectorELNS0_4arch9wavefront6targetE0EEEvT1_,"axG",@progbits,_ZN7rocprim17ROCPRIM_400000_NS6detail17trampoline_kernelINS0_14default_configENS1_25partition_config_selectorILNS1_17partition_subalgoE9EddbEEZZNS1_14partition_implILS5_9ELb0ES3_jN6thrust23THRUST_200600_302600_NS6detail15normal_iteratorINS9_10device_ptrIdEEEESE_PNS0_10empty_typeENS0_5tupleIJSE_SF_EEENSH_IJSE_SG_EEENS0_18inequality_wrapperI22is_equal_div_10_uniqueIdEEEPmJSF_EEE10hipError_tPvRmT3_T4_T5_T6_T7_T9_mT8_P12ihipStream_tbDpT10_ENKUlT_T0_E_clISt17integral_constantIbLb1EES18_EEDaS13_S14_EUlS13_E_NS1_11comp_targetILNS1_3genE10ELNS1_11target_archE1200ELNS1_3gpuE4ELNS1_3repE0EEENS1_30default_config_static_selectorELNS0_4arch9wavefront6targetE0EEEvT1_,comdat
.Lfunc_end60:
	.size	_ZN7rocprim17ROCPRIM_400000_NS6detail17trampoline_kernelINS0_14default_configENS1_25partition_config_selectorILNS1_17partition_subalgoE9EddbEEZZNS1_14partition_implILS5_9ELb0ES3_jN6thrust23THRUST_200600_302600_NS6detail15normal_iteratorINS9_10device_ptrIdEEEESE_PNS0_10empty_typeENS0_5tupleIJSE_SF_EEENSH_IJSE_SG_EEENS0_18inequality_wrapperI22is_equal_div_10_uniqueIdEEEPmJSF_EEE10hipError_tPvRmT3_T4_T5_T6_T7_T9_mT8_P12ihipStream_tbDpT10_ENKUlT_T0_E_clISt17integral_constantIbLb1EES18_EEDaS13_S14_EUlS13_E_NS1_11comp_targetILNS1_3genE10ELNS1_11target_archE1200ELNS1_3gpuE4ELNS1_3repE0EEENS1_30default_config_static_selectorELNS0_4arch9wavefront6targetE0EEEvT1_, .Lfunc_end60-_ZN7rocprim17ROCPRIM_400000_NS6detail17trampoline_kernelINS0_14default_configENS1_25partition_config_selectorILNS1_17partition_subalgoE9EddbEEZZNS1_14partition_implILS5_9ELb0ES3_jN6thrust23THRUST_200600_302600_NS6detail15normal_iteratorINS9_10device_ptrIdEEEESE_PNS0_10empty_typeENS0_5tupleIJSE_SF_EEENSH_IJSE_SG_EEENS0_18inequality_wrapperI22is_equal_div_10_uniqueIdEEEPmJSF_EEE10hipError_tPvRmT3_T4_T5_T6_T7_T9_mT8_P12ihipStream_tbDpT10_ENKUlT_T0_E_clISt17integral_constantIbLb1EES18_EEDaS13_S14_EUlS13_E_NS1_11comp_targetILNS1_3genE10ELNS1_11target_archE1200ELNS1_3gpuE4ELNS1_3repE0EEENS1_30default_config_static_selectorELNS0_4arch9wavefront6targetE0EEEvT1_
                                        ; -- End function
	.section	.AMDGPU.csdata,"",@progbits
; Kernel info:
; codeLenInByte = 0
; NumSgprs: 0
; NumVgprs: 0
; ScratchSize: 0
; MemoryBound: 0
; FloatMode: 240
; IeeeMode: 1
; LDSByteSize: 0 bytes/workgroup (compile time only)
; SGPRBlocks: 0
; VGPRBlocks: 0
; NumSGPRsForWavesPerEU: 1
; NumVGPRsForWavesPerEU: 1
; Occupancy: 15
; WaveLimiterHint : 0
; COMPUTE_PGM_RSRC2:SCRATCH_EN: 0
; COMPUTE_PGM_RSRC2:USER_SGPR: 15
; COMPUTE_PGM_RSRC2:TRAP_HANDLER: 0
; COMPUTE_PGM_RSRC2:TGID_X_EN: 1
; COMPUTE_PGM_RSRC2:TGID_Y_EN: 0
; COMPUTE_PGM_RSRC2:TGID_Z_EN: 0
; COMPUTE_PGM_RSRC2:TIDIG_COMP_CNT: 0
	.section	.text._ZN7rocprim17ROCPRIM_400000_NS6detail17trampoline_kernelINS0_14default_configENS1_25partition_config_selectorILNS1_17partition_subalgoE9EddbEEZZNS1_14partition_implILS5_9ELb0ES3_jN6thrust23THRUST_200600_302600_NS6detail15normal_iteratorINS9_10device_ptrIdEEEESE_PNS0_10empty_typeENS0_5tupleIJSE_SF_EEENSH_IJSE_SG_EEENS0_18inequality_wrapperI22is_equal_div_10_uniqueIdEEEPmJSF_EEE10hipError_tPvRmT3_T4_T5_T6_T7_T9_mT8_P12ihipStream_tbDpT10_ENKUlT_T0_E_clISt17integral_constantIbLb1EES18_EEDaS13_S14_EUlS13_E_NS1_11comp_targetILNS1_3genE9ELNS1_11target_archE1100ELNS1_3gpuE3ELNS1_3repE0EEENS1_30default_config_static_selectorELNS0_4arch9wavefront6targetE0EEEvT1_,"axG",@progbits,_ZN7rocprim17ROCPRIM_400000_NS6detail17trampoline_kernelINS0_14default_configENS1_25partition_config_selectorILNS1_17partition_subalgoE9EddbEEZZNS1_14partition_implILS5_9ELb0ES3_jN6thrust23THRUST_200600_302600_NS6detail15normal_iteratorINS9_10device_ptrIdEEEESE_PNS0_10empty_typeENS0_5tupleIJSE_SF_EEENSH_IJSE_SG_EEENS0_18inequality_wrapperI22is_equal_div_10_uniqueIdEEEPmJSF_EEE10hipError_tPvRmT3_T4_T5_T6_T7_T9_mT8_P12ihipStream_tbDpT10_ENKUlT_T0_E_clISt17integral_constantIbLb1EES18_EEDaS13_S14_EUlS13_E_NS1_11comp_targetILNS1_3genE9ELNS1_11target_archE1100ELNS1_3gpuE3ELNS1_3repE0EEENS1_30default_config_static_selectorELNS0_4arch9wavefront6targetE0EEEvT1_,comdat
	.protected	_ZN7rocprim17ROCPRIM_400000_NS6detail17trampoline_kernelINS0_14default_configENS1_25partition_config_selectorILNS1_17partition_subalgoE9EddbEEZZNS1_14partition_implILS5_9ELb0ES3_jN6thrust23THRUST_200600_302600_NS6detail15normal_iteratorINS9_10device_ptrIdEEEESE_PNS0_10empty_typeENS0_5tupleIJSE_SF_EEENSH_IJSE_SG_EEENS0_18inequality_wrapperI22is_equal_div_10_uniqueIdEEEPmJSF_EEE10hipError_tPvRmT3_T4_T5_T6_T7_T9_mT8_P12ihipStream_tbDpT10_ENKUlT_T0_E_clISt17integral_constantIbLb1EES18_EEDaS13_S14_EUlS13_E_NS1_11comp_targetILNS1_3genE9ELNS1_11target_archE1100ELNS1_3gpuE3ELNS1_3repE0EEENS1_30default_config_static_selectorELNS0_4arch9wavefront6targetE0EEEvT1_ ; -- Begin function _ZN7rocprim17ROCPRIM_400000_NS6detail17trampoline_kernelINS0_14default_configENS1_25partition_config_selectorILNS1_17partition_subalgoE9EddbEEZZNS1_14partition_implILS5_9ELb0ES3_jN6thrust23THRUST_200600_302600_NS6detail15normal_iteratorINS9_10device_ptrIdEEEESE_PNS0_10empty_typeENS0_5tupleIJSE_SF_EEENSH_IJSE_SG_EEENS0_18inequality_wrapperI22is_equal_div_10_uniqueIdEEEPmJSF_EEE10hipError_tPvRmT3_T4_T5_T6_T7_T9_mT8_P12ihipStream_tbDpT10_ENKUlT_T0_E_clISt17integral_constantIbLb1EES18_EEDaS13_S14_EUlS13_E_NS1_11comp_targetILNS1_3genE9ELNS1_11target_archE1100ELNS1_3gpuE3ELNS1_3repE0EEENS1_30default_config_static_selectorELNS0_4arch9wavefront6targetE0EEEvT1_
	.globl	_ZN7rocprim17ROCPRIM_400000_NS6detail17trampoline_kernelINS0_14default_configENS1_25partition_config_selectorILNS1_17partition_subalgoE9EddbEEZZNS1_14partition_implILS5_9ELb0ES3_jN6thrust23THRUST_200600_302600_NS6detail15normal_iteratorINS9_10device_ptrIdEEEESE_PNS0_10empty_typeENS0_5tupleIJSE_SF_EEENSH_IJSE_SG_EEENS0_18inequality_wrapperI22is_equal_div_10_uniqueIdEEEPmJSF_EEE10hipError_tPvRmT3_T4_T5_T6_T7_T9_mT8_P12ihipStream_tbDpT10_ENKUlT_T0_E_clISt17integral_constantIbLb1EES18_EEDaS13_S14_EUlS13_E_NS1_11comp_targetILNS1_3genE9ELNS1_11target_archE1100ELNS1_3gpuE3ELNS1_3repE0EEENS1_30default_config_static_selectorELNS0_4arch9wavefront6targetE0EEEvT1_
	.p2align	8
	.type	_ZN7rocprim17ROCPRIM_400000_NS6detail17trampoline_kernelINS0_14default_configENS1_25partition_config_selectorILNS1_17partition_subalgoE9EddbEEZZNS1_14partition_implILS5_9ELb0ES3_jN6thrust23THRUST_200600_302600_NS6detail15normal_iteratorINS9_10device_ptrIdEEEESE_PNS0_10empty_typeENS0_5tupleIJSE_SF_EEENSH_IJSE_SG_EEENS0_18inequality_wrapperI22is_equal_div_10_uniqueIdEEEPmJSF_EEE10hipError_tPvRmT3_T4_T5_T6_T7_T9_mT8_P12ihipStream_tbDpT10_ENKUlT_T0_E_clISt17integral_constantIbLb1EES18_EEDaS13_S14_EUlS13_E_NS1_11comp_targetILNS1_3genE9ELNS1_11target_archE1100ELNS1_3gpuE3ELNS1_3repE0EEENS1_30default_config_static_selectorELNS0_4arch9wavefront6targetE0EEEvT1_,@function
_ZN7rocprim17ROCPRIM_400000_NS6detail17trampoline_kernelINS0_14default_configENS1_25partition_config_selectorILNS1_17partition_subalgoE9EddbEEZZNS1_14partition_implILS5_9ELb0ES3_jN6thrust23THRUST_200600_302600_NS6detail15normal_iteratorINS9_10device_ptrIdEEEESE_PNS0_10empty_typeENS0_5tupleIJSE_SF_EEENSH_IJSE_SG_EEENS0_18inequality_wrapperI22is_equal_div_10_uniqueIdEEEPmJSF_EEE10hipError_tPvRmT3_T4_T5_T6_T7_T9_mT8_P12ihipStream_tbDpT10_ENKUlT_T0_E_clISt17integral_constantIbLb1EES18_EEDaS13_S14_EUlS13_E_NS1_11comp_targetILNS1_3genE9ELNS1_11target_archE1100ELNS1_3gpuE3ELNS1_3repE0EEENS1_30default_config_static_selectorELNS0_4arch9wavefront6targetE0EEEvT1_: ; @_ZN7rocprim17ROCPRIM_400000_NS6detail17trampoline_kernelINS0_14default_configENS1_25partition_config_selectorILNS1_17partition_subalgoE9EddbEEZZNS1_14partition_implILS5_9ELb0ES3_jN6thrust23THRUST_200600_302600_NS6detail15normal_iteratorINS9_10device_ptrIdEEEESE_PNS0_10empty_typeENS0_5tupleIJSE_SF_EEENSH_IJSE_SG_EEENS0_18inequality_wrapperI22is_equal_div_10_uniqueIdEEEPmJSF_EEE10hipError_tPvRmT3_T4_T5_T6_T7_T9_mT8_P12ihipStream_tbDpT10_ENKUlT_T0_E_clISt17integral_constantIbLb1EES18_EEDaS13_S14_EUlS13_E_NS1_11comp_targetILNS1_3genE9ELNS1_11target_archE1100ELNS1_3gpuE3ELNS1_3repE0EEENS1_30default_config_static_selectorELNS0_4arch9wavefront6targetE0EEEvT1_
; %bb.0:
	s_clause 0x4
	s_load_b128 s[4:7], s[0:1], 0x8
	s_load_b64 s[18:19], s[0:1], 0x18
	s_load_b128 s[8:11], s[0:1], 0x40
	s_load_b64 s[22:23], s[0:1], 0x50
	s_load_b64 s[16:17], s[0:1], 0x60
	v_cmp_ne_u32_e64 s3, 0, v0
	v_cmp_eq_u32_e64 s2, 0, v0
	s_delay_alu instid0(VALU_DEP_1)
	s_and_saveexec_b32 s12, s2
	s_cbranch_execz .LBB61_4
; %bb.1:
	s_mov_b32 s14, exec_lo
	s_mov_b32 s13, exec_lo
	v_mbcnt_lo_u32_b32 v1, s14, 0
                                        ; implicit-def: $vgpr2
	s_delay_alu instid0(VALU_DEP_1)
	v_cmpx_eq_u32_e32 0, v1
	s_cbranch_execz .LBB61_3
; %bb.2:
	s_load_b64 s[20:21], s[0:1], 0x70
	s_bcnt1_i32_b32 s14, s14
	s_delay_alu instid0(SALU_CYCLE_1)
	v_dual_mov_b32 v2, 0 :: v_dual_mov_b32 v3, s14
	s_waitcnt lgkmcnt(0)
	global_atomic_add_u32 v2, v2, v3, s[20:21] glc
.LBB61_3:
	s_or_b32 exec_lo, exec_lo, s13
	s_waitcnt vmcnt(0)
	v_readfirstlane_b32 s13, v2
	s_delay_alu instid0(VALU_DEP_1)
	v_dual_mov_b32 v2, 0 :: v_dual_add_nc_u32 v1, s13, v1
	ds_store_b32 v2, v1
.LBB61_4:
	s_or_b32 exec_lo, exec_lo, s12
	v_mov_b32_e32 v1, 0
	s_clause 0x1
	s_load_b128 s[12:15], s[0:1], 0x28
	s_load_b32 s0, s[0:1], 0x68
	s_waitcnt lgkmcnt(0)
	s_barrier
	buffer_gl0_inv
	ds_load_b32 v3, v1
	s_waitcnt lgkmcnt(0)
	s_barrier
	buffer_gl0_inv
	global_load_b64 v[1:2], v1, s[10:11]
	s_lshl_b64 s[20:21], s[6:7], 3
	s_mov_b32 s11, 0
	s_add_u32 s26, s4, s20
	s_addc_u32 s28, s5, s21
	v_lshlrev_b32_e32 v55, 3, v0
	v_lshrrev_b32_e32 v34, 2, v0
	v_or_b32_e32 v39, 0x200, v0
	v_or_b32_e32 v38, 0x400, v0
	;; [unrolled: 1-line block ×5, first 2 shown]
	s_add_i32 s4, s0, -1
	s_lshl_b32 s0, s0, 12
	s_lshl_b32 s1, s4, 12
	v_or_b32_e32 v33, 0xc00, v0
	v_readfirstlane_b32 s24, v3
	s_add_i32 s1, s6, s1
	v_or_b32_e32 v36, 0xe00, v0
	s_sub_i32 s25, s22, s1
	s_delay_alu instid0(VALU_DEP_2)
	s_lshl_b32 s10, s24, 12
	s_add_u32 s0, s6, s0
	s_addc_u32 s1, s7, 0
	s_cmp_eq_u32 s24, s4
	v_cmp_ge_u64_e64 s0, s[0:1], s[22:23]
	s_cselect_b32 s22, -1, 0
	s_lshl_b64 s[4:5], s[10:11], 3
	s_delay_alu instid0(VALU_DEP_1) | instskip(NEXT) | instid1(SALU_CYCLE_1)
	s_and_b32 s1, s0, s22
	s_xor_b32 s23, s1, -1
	s_add_u32 s27, s26, s4
	s_addc_u32 s26, s28, s5
	s_and_b32 vcc_lo, exec_lo, s23
	s_mov_b32 s28, -1
	s_waitcnt vmcnt(0)
	v_readfirstlane_b32 s10, v1
	v_readfirstlane_b32 s11, v2
	s_cbranch_vccz .LBB61_6
; %bb.5:
	v_add_co_u32 v1, s0, s27, v55
	s_delay_alu instid0(VALU_DEP_1) | instskip(SKIP_1) | instid1(VALU_DEP_3)
	v_add_co_ci_u32_e64 v2, null, s26, 0, s0
	v_lshrrev_b32_e32 v18, 2, v39
	v_add_co_u32 v3, vcc_lo, 0x1000, v1
	s_delay_alu instid0(VALU_DEP_3)
	v_add_co_ci_u32_e32 v4, vcc_lo, 0, v2, vcc_lo
	v_add_co_u32 v5, vcc_lo, 0x2000, v1
	v_add_co_ci_u32_e32 v6, vcc_lo, 0, v2, vcc_lo
	v_add_co_u32 v7, vcc_lo, 0x3000, v1
	;; [unrolled: 2-line block ×6, first 2 shown]
	v_add_co_ci_u32_e32 v16, vcc_lo, 0, v2, vcc_lo
	s_clause 0x7
	flat_load_b64 v[1:2], v[1:2]
	flat_load_b64 v[3:4], v[3:4]
	;; [unrolled: 1-line block ×8, first 2 shown]
	v_lshrrev_b32_e32 v19, 2, v38
	v_lshrrev_b32_e32 v20, 2, v40
	;; [unrolled: 1-line block ×3, first 2 shown]
	v_and_b32_e32 v17, 0x78, v34
	v_lshrrev_b32_e32 v22, 2, v35
	v_lshrrev_b32_e32 v23, 2, v33
	;; [unrolled: 1-line block ×3, first 2 shown]
	v_and_b32_e32 v18, 0xf8, v18
	v_and_b32_e32 v19, 0x178, v19
	;; [unrolled: 1-line block ×4, first 2 shown]
	v_add_nc_u32_e32 v17, v17, v55
	v_and_b32_e32 v22, 0x2f8, v22
	v_and_b32_e32 v23, 0x378, v23
	;; [unrolled: 1-line block ×3, first 2 shown]
	v_add_nc_u32_e32 v18, v18, v55
	v_add_nc_u32_e32 v19, v19, v55
	;; [unrolled: 1-line block ×4, first 2 shown]
	s_mov_b32 s28, 0
	v_add_nc_u32_e32 v22, v22, v55
	v_add_nc_u32_e32 v23, v23, v55
	;; [unrolled: 1-line block ×3, first 2 shown]
	s_waitcnt vmcnt(7) lgkmcnt(7)
	ds_store_b64 v17, v[1:2]
	s_waitcnt vmcnt(6) lgkmcnt(7)
	ds_store_b64 v18, v[3:4] offset:4096
	s_waitcnt vmcnt(5) lgkmcnt(7)
	ds_store_b64 v19, v[5:6] offset:8192
	;; [unrolled: 2-line block ×7, first 2 shown]
	s_waitcnt lgkmcnt(0)
	s_barrier
.LBB61_6:
	v_cmp_gt_u32_e64 s0, s25, v0
	s_and_not1_b32 vcc_lo, exec_lo, s28
	s_cbranch_vccnz .LBB61_24
; %bb.7:
                                        ; implicit-def: $vgpr1_vgpr2_vgpr3_vgpr4_vgpr5_vgpr6_vgpr7_vgpr8_vgpr9_vgpr10_vgpr11_vgpr12_vgpr13_vgpr14_vgpr15_vgpr16
	s_delay_alu instid0(VALU_DEP_1)
	s_and_saveexec_b32 s28, s0
	s_cbranch_execz .LBB61_15
; %bb.8:
	v_add_co_u32 v1, s0, s27, v55
	s_delay_alu instid0(VALU_DEP_1) | instskip(SKIP_2) | instid1(SALU_CYCLE_1)
	v_add_co_ci_u32_e64 v2, null, s26, 0, s0
	flat_load_b64 v[1:2], v[1:2]
	s_or_b32 exec_lo, exec_lo, s28
	s_mov_b32 s0, exec_lo
	v_cmpx_gt_u32_e64 s25, v39
	s_cbranch_execnz .LBB61_16
.LBB61_9:
	s_or_b32 exec_lo, exec_lo, s0
	s_delay_alu instid0(SALU_CYCLE_1)
	s_mov_b32 s0, exec_lo
	v_cmpx_gt_u32_e64 s25, v38
	s_cbranch_execz .LBB61_17
.LBB61_10:
	v_lshlrev_b32_e32 v5, 3, v38
	s_delay_alu instid0(VALU_DEP_1) | instskip(NEXT) | instid1(VALU_DEP_1)
	v_add_co_u32 v5, s28, s27, v5
	v_add_co_ci_u32_e64 v6, null, s26, 0, s28
	flat_load_b64 v[5:6], v[5:6]
	s_or_b32 exec_lo, exec_lo, s0
	s_delay_alu instid0(SALU_CYCLE_1)
	s_mov_b32 s0, exec_lo
	v_cmpx_gt_u32_e64 s25, v40
	s_cbranch_execnz .LBB61_18
.LBB61_11:
	s_or_b32 exec_lo, exec_lo, s0
	s_delay_alu instid0(SALU_CYCLE_1)
	s_mov_b32 s0, exec_lo
	v_cmpx_gt_u32_e64 s25, v37
	s_cbranch_execz .LBB61_19
.LBB61_12:
	v_lshlrev_b32_e32 v9, 3, v37
	s_delay_alu instid0(VALU_DEP_1) | instskip(NEXT) | instid1(VALU_DEP_1)
	v_add_co_u32 v9, s28, s27, v9
	v_add_co_ci_u32_e64 v10, null, s26, 0, s28
	flat_load_b64 v[9:10], v[9:10]
	s_or_b32 exec_lo, exec_lo, s0
	s_delay_alu instid0(SALU_CYCLE_1)
	s_mov_b32 s0, exec_lo
	v_cmpx_gt_u32_e64 s25, v35
	s_cbranch_execnz .LBB61_20
.LBB61_13:
	s_or_b32 exec_lo, exec_lo, s0
	s_delay_alu instid0(SALU_CYCLE_1)
	s_mov_b32 s0, exec_lo
	v_cmpx_gt_u32_e64 s25, v33
	s_cbranch_execz .LBB61_21
.LBB61_14:
	v_lshlrev_b32_e32 v13, 3, v33
	s_delay_alu instid0(VALU_DEP_1) | instskip(NEXT) | instid1(VALU_DEP_1)
	v_add_co_u32 v13, s28, s27, v13
	v_add_co_ci_u32_e64 v14, null, s26, 0, s28
	flat_load_b64 v[13:14], v[13:14]
	s_or_b32 exec_lo, exec_lo, s0
	s_delay_alu instid0(SALU_CYCLE_1)
	s_mov_b32 s0, exec_lo
	v_cmpx_gt_u32_e64 s25, v36
	s_cbranch_execnz .LBB61_22
	s_branch .LBB61_23
.LBB61_15:
	s_or_b32 exec_lo, exec_lo, s28
	s_delay_alu instid0(SALU_CYCLE_1)
	s_mov_b32 s0, exec_lo
	v_cmpx_gt_u32_e64 s25, v39
	s_cbranch_execz .LBB61_9
.LBB61_16:
	v_lshlrev_b32_e32 v3, 3, v39
	s_delay_alu instid0(VALU_DEP_1) | instskip(NEXT) | instid1(VALU_DEP_1)
	v_add_co_u32 v3, s28, s27, v3
	v_add_co_ci_u32_e64 v4, null, s26, 0, s28
	flat_load_b64 v[3:4], v[3:4]
	s_or_b32 exec_lo, exec_lo, s0
	s_delay_alu instid0(SALU_CYCLE_1)
	s_mov_b32 s0, exec_lo
	v_cmpx_gt_u32_e64 s25, v38
	s_cbranch_execnz .LBB61_10
.LBB61_17:
	s_or_b32 exec_lo, exec_lo, s0
	s_delay_alu instid0(SALU_CYCLE_1)
	s_mov_b32 s0, exec_lo
	v_cmpx_gt_u32_e64 s25, v40
	s_cbranch_execz .LBB61_11
.LBB61_18:
	v_lshlrev_b32_e32 v7, 3, v40
	s_delay_alu instid0(VALU_DEP_1) | instskip(NEXT) | instid1(VALU_DEP_1)
	v_add_co_u32 v7, s28, s27, v7
	v_add_co_ci_u32_e64 v8, null, s26, 0, s28
	flat_load_b64 v[7:8], v[7:8]
	s_or_b32 exec_lo, exec_lo, s0
	s_delay_alu instid0(SALU_CYCLE_1)
	s_mov_b32 s0, exec_lo
	v_cmpx_gt_u32_e64 s25, v37
	s_cbranch_execnz .LBB61_12
.LBB61_19:
	s_or_b32 exec_lo, exec_lo, s0
	s_delay_alu instid0(SALU_CYCLE_1)
	s_mov_b32 s0, exec_lo
	v_cmpx_gt_u32_e64 s25, v35
	s_cbranch_execz .LBB61_13
.LBB61_20:
	v_lshlrev_b32_e32 v11, 3, v35
	s_delay_alu instid0(VALU_DEP_1) | instskip(NEXT) | instid1(VALU_DEP_1)
	v_add_co_u32 v11, s28, s27, v11
	v_add_co_ci_u32_e64 v12, null, s26, 0, s28
	flat_load_b64 v[11:12], v[11:12]
	s_or_b32 exec_lo, exec_lo, s0
	s_delay_alu instid0(SALU_CYCLE_1)
	s_mov_b32 s0, exec_lo
	v_cmpx_gt_u32_e64 s25, v33
	s_cbranch_execnz .LBB61_14
.LBB61_21:
	s_or_b32 exec_lo, exec_lo, s0
	s_delay_alu instid0(SALU_CYCLE_1)
	s_mov_b32 s0, exec_lo
	v_cmpx_gt_u32_e64 s25, v36
	s_cbranch_execz .LBB61_23
.LBB61_22:
	v_lshlrev_b32_e32 v15, 3, v36
	s_delay_alu instid0(VALU_DEP_1) | instskip(NEXT) | instid1(VALU_DEP_1)
	v_add_co_u32 v15, s28, s27, v15
	v_add_co_ci_u32_e64 v16, null, s26, 0, s28
	flat_load_b64 v[15:16], v[15:16]
.LBB61_23:
	s_or_b32 exec_lo, exec_lo, s0
	v_lshrrev_b32_e32 v17, 2, v39
	v_lshrrev_b32_e32 v18, 2, v38
	;; [unrolled: 1-line block ×4, first 2 shown]
	v_and_b32_e32 v19, 0x78, v34
	v_lshrrev_b32_e32 v22, 2, v35
	v_lshrrev_b32_e32 v23, 2, v33
	;; [unrolled: 1-line block ×3, first 2 shown]
	v_and_b32_e32 v17, 0xf8, v17
	v_and_b32_e32 v18, 0x1f8, v18
	;; [unrolled: 1-line block ×4, first 2 shown]
	v_add_nc_u32_e32 v19, v19, v55
	v_and_b32_e32 v22, 0x3f8, v22
	v_and_b32_e32 v23, 0x3f8, v23
	;; [unrolled: 1-line block ×3, first 2 shown]
	v_add_nc_u32_e32 v17, v17, v55
	v_add_nc_u32_e32 v18, v18, v55
	;; [unrolled: 1-line block ×7, first 2 shown]
	s_waitcnt vmcnt(0) lgkmcnt(0)
	ds_store_b64 v19, v[1:2]
	ds_store_b64 v17, v[3:4] offset:4096
	ds_store_b64 v18, v[5:6] offset:8192
	;; [unrolled: 1-line block ×7, first 2 shown]
	s_waitcnt lgkmcnt(0)
	s_barrier
.LBB61_24:
	v_add_lshl_u32 v41, v34, v55, 3
	buffer_gl0_inv
	s_add_u32 s0, s18, s20
	s_addc_u32 s18, s19, s21
	s_add_u32 s0, s0, s4
	ds_load_2addr_b64 v[29:32], v41 offset1:1
	ds_load_2addr_b64 v[25:28], v41 offset0:2 offset1:3
	ds_load_2addr_b64 v[21:24], v41 offset0:4 offset1:5
	;; [unrolled: 1-line block ×3, first 2 shown]
	s_addc_u32 s4, s18, s5
	s_and_b32 vcc_lo, exec_lo, s23
	s_mov_b32 s5, -1
	s_waitcnt lgkmcnt(0)
	s_barrier
	buffer_gl0_inv
	s_cbranch_vccz .LBB61_26
; %bb.25:
	v_add_co_u32 v1, s5, s0, v55
	s_delay_alu instid0(VALU_DEP_1) | instskip(SKIP_1) | instid1(VALU_DEP_3)
	v_add_co_ci_u32_e64 v2, null, s4, 0, s5
	v_lshrrev_b32_e32 v43, 2, v39
	v_add_co_u32 v3, vcc_lo, 0x1000, v1
	s_delay_alu instid0(VALU_DEP_3)
	v_add_co_ci_u32_e32 v4, vcc_lo, 0, v2, vcc_lo
	v_add_co_u32 v5, vcc_lo, 0x2000, v1
	v_add_co_ci_u32_e32 v6, vcc_lo, 0, v2, vcc_lo
	v_add_co_u32 v7, vcc_lo, 0x3000, v1
	v_add_co_ci_u32_e32 v8, vcc_lo, 0, v2, vcc_lo
	v_add_co_u32 v9, vcc_lo, 0x4000, v1
	v_add_co_ci_u32_e32 v10, vcc_lo, 0, v2, vcc_lo
	v_add_co_u32 v11, vcc_lo, 0x5000, v1
	v_add_co_ci_u32_e32 v12, vcc_lo, 0, v2, vcc_lo
	v_add_co_u32 v13, vcc_lo, 0x6000, v1
	v_add_co_ci_u32_e32 v14, vcc_lo, 0, v2, vcc_lo
	v_add_co_u32 v15, vcc_lo, 0x7000, v1
	v_add_co_ci_u32_e32 v16, vcc_lo, 0, v2, vcc_lo
	s_clause 0x7
	flat_load_b64 v[1:2], v[1:2]
	flat_load_b64 v[3:4], v[3:4]
	;; [unrolled: 1-line block ×8, first 2 shown]
	v_lshrrev_b32_e32 v44, 2, v38
	v_lshrrev_b32_e32 v45, 2, v40
	;; [unrolled: 1-line block ×3, first 2 shown]
	v_and_b32_e32 v42, 0x78, v34
	v_lshrrev_b32_e32 v47, 2, v35
	v_lshrrev_b32_e32 v48, 2, v33
	;; [unrolled: 1-line block ×3, first 2 shown]
	v_and_b32_e32 v43, 0xf8, v43
	v_and_b32_e32 v44, 0x178, v44
	;; [unrolled: 1-line block ×4, first 2 shown]
	v_add_nc_u32_e32 v42, v42, v55
	v_and_b32_e32 v47, 0x2f8, v47
	v_and_b32_e32 v48, 0x378, v48
	;; [unrolled: 1-line block ×3, first 2 shown]
	v_add_nc_u32_e32 v43, v43, v55
	v_add_nc_u32_e32 v44, v44, v55
	;; [unrolled: 1-line block ×4, first 2 shown]
	s_mov_b32 s5, 0
	v_add_nc_u32_e32 v47, v47, v55
	v_add_nc_u32_e32 v48, v48, v55
	;; [unrolled: 1-line block ×3, first 2 shown]
	s_waitcnt vmcnt(7) lgkmcnt(7)
	ds_store_b64 v42, v[1:2]
	s_waitcnt vmcnt(6) lgkmcnt(7)
	ds_store_b64 v43, v[3:4] offset:4096
	s_waitcnt vmcnt(5) lgkmcnt(7)
	ds_store_b64 v44, v[5:6] offset:8192
	;; [unrolled: 2-line block ×7, first 2 shown]
	s_waitcnt lgkmcnt(0)
	s_barrier
.LBB61_26:
	s_and_not1_b32 vcc_lo, exec_lo, s5
	s_cbranch_vccnz .LBB61_44
; %bb.27:
	s_mov_b32 s5, exec_lo
                                        ; implicit-def: $vgpr1_vgpr2
	v_cmpx_gt_u32_e64 s25, v0
	s_cbranch_execz .LBB61_29
; %bb.28:
	v_add_co_u32 v1, s18, s0, v55
	s_delay_alu instid0(VALU_DEP_1)
	v_add_co_ci_u32_e64 v2, null, s4, 0, s18
	flat_load_b64 v[1:2], v[1:2]
.LBB61_29:
	s_or_b32 exec_lo, exec_lo, s5
	s_delay_alu instid0(SALU_CYCLE_1)
	s_mov_b32 s5, exec_lo
                                        ; implicit-def: $vgpr3_vgpr4
	v_cmpx_gt_u32_e64 s25, v39
	s_cbranch_execz .LBB61_31
; %bb.30:
	v_lshlrev_b32_e32 v3, 3, v39
	s_delay_alu instid0(VALU_DEP_1) | instskip(NEXT) | instid1(VALU_DEP_1)
	v_add_co_u32 v3, s18, s0, v3
	v_add_co_ci_u32_e64 v4, null, s4, 0, s18
	flat_load_b64 v[3:4], v[3:4]
.LBB61_31:
	s_or_b32 exec_lo, exec_lo, s5
	s_delay_alu instid0(SALU_CYCLE_1)
	s_mov_b32 s5, exec_lo
                                        ; implicit-def: $vgpr5_vgpr6
	v_cmpx_gt_u32_e64 s25, v38
	s_cbranch_execz .LBB61_33
; %bb.32:
	v_lshlrev_b32_e32 v5, 3, v38
	s_delay_alu instid0(VALU_DEP_1) | instskip(NEXT) | instid1(VALU_DEP_1)
	v_add_co_u32 v5, s18, s0, v5
	v_add_co_ci_u32_e64 v6, null, s4, 0, s18
	flat_load_b64 v[5:6], v[5:6]
.LBB61_33:
	s_or_b32 exec_lo, exec_lo, s5
	s_delay_alu instid0(SALU_CYCLE_1)
	s_mov_b32 s5, exec_lo
                                        ; implicit-def: $vgpr7_vgpr8
	v_cmpx_gt_u32_e64 s25, v40
	s_cbranch_execz .LBB61_35
; %bb.34:
	v_lshlrev_b32_e32 v7, 3, v40
	s_delay_alu instid0(VALU_DEP_1) | instskip(NEXT) | instid1(VALU_DEP_1)
	v_add_co_u32 v7, s18, s0, v7
	v_add_co_ci_u32_e64 v8, null, s4, 0, s18
	flat_load_b64 v[7:8], v[7:8]
.LBB61_35:
	s_or_b32 exec_lo, exec_lo, s5
	s_delay_alu instid0(SALU_CYCLE_1)
	s_mov_b32 s5, exec_lo
                                        ; implicit-def: $vgpr9_vgpr10
	v_cmpx_gt_u32_e64 s25, v37
	s_cbranch_execz .LBB61_37
; %bb.36:
	v_lshlrev_b32_e32 v9, 3, v37
	s_delay_alu instid0(VALU_DEP_1) | instskip(NEXT) | instid1(VALU_DEP_1)
	v_add_co_u32 v9, s18, s0, v9
	v_add_co_ci_u32_e64 v10, null, s4, 0, s18
	flat_load_b64 v[9:10], v[9:10]
.LBB61_37:
	s_or_b32 exec_lo, exec_lo, s5
	s_delay_alu instid0(SALU_CYCLE_1)
	s_mov_b32 s5, exec_lo
                                        ; implicit-def: $vgpr11_vgpr12
	v_cmpx_gt_u32_e64 s25, v35
	s_cbranch_execz .LBB61_39
; %bb.38:
	v_lshlrev_b32_e32 v11, 3, v35
	s_delay_alu instid0(VALU_DEP_1) | instskip(NEXT) | instid1(VALU_DEP_1)
	v_add_co_u32 v11, s18, s0, v11
	v_add_co_ci_u32_e64 v12, null, s4, 0, s18
	flat_load_b64 v[11:12], v[11:12]
.LBB61_39:
	s_or_b32 exec_lo, exec_lo, s5
	s_delay_alu instid0(SALU_CYCLE_1)
	s_mov_b32 s5, exec_lo
                                        ; implicit-def: $vgpr13_vgpr14
	v_cmpx_gt_u32_e64 s25, v33
	s_cbranch_execz .LBB61_41
; %bb.40:
	v_lshlrev_b32_e32 v13, 3, v33
	s_delay_alu instid0(VALU_DEP_1) | instskip(NEXT) | instid1(VALU_DEP_1)
	v_add_co_u32 v13, s18, s0, v13
	v_add_co_ci_u32_e64 v14, null, s4, 0, s18
	flat_load_b64 v[13:14], v[13:14]
.LBB61_41:
	s_or_b32 exec_lo, exec_lo, s5
	s_delay_alu instid0(SALU_CYCLE_1)
	s_mov_b32 s5, exec_lo
                                        ; implicit-def: $vgpr15_vgpr16
	v_cmpx_gt_u32_e64 s25, v36
	s_cbranch_execz .LBB61_43
; %bb.42:
	v_lshlrev_b32_e32 v15, 3, v36
	s_delay_alu instid0(VALU_DEP_1) | instskip(NEXT) | instid1(VALU_DEP_1)
	v_add_co_u32 v15, s0, s0, v15
	v_add_co_ci_u32_e64 v16, null, s4, 0, s0
	flat_load_b64 v[15:16], v[15:16]
.LBB61_43:
	s_or_b32 exec_lo, exec_lo, s5
	v_lshrrev_b32_e32 v39, 2, v39
	v_lshrrev_b32_e32 v38, 2, v38
	;; [unrolled: 1-line block ×4, first 2 shown]
	v_and_b32_e32 v34, 0x78, v34
	v_lshrrev_b32_e32 v35, 2, v35
	v_lshrrev_b32_e32 v33, 2, v33
	;; [unrolled: 1-line block ×3, first 2 shown]
	v_and_b32_e32 v39, 0xf8, v39
	v_and_b32_e32 v38, 0x1f8, v38
	;; [unrolled: 1-line block ×4, first 2 shown]
	v_add_nc_u32_e32 v34, v34, v55
	v_and_b32_e32 v35, 0x3f8, v35
	v_and_b32_e32 v33, 0x3f8, v33
	;; [unrolled: 1-line block ×3, first 2 shown]
	v_add_nc_u32_e32 v39, v39, v55
	v_add_nc_u32_e32 v38, v38, v55
	;; [unrolled: 1-line block ×7, first 2 shown]
	s_waitcnt vmcnt(0) lgkmcnt(0)
	ds_store_b64 v34, v[1:2]
	ds_store_b64 v39, v[3:4] offset:4096
	ds_store_b64 v38, v[5:6] offset:8192
	ds_store_b64 v40, v[7:8] offset:12288
	ds_store_b64 v37, v[9:10] offset:16384
	ds_store_b64 v35, v[11:12] offset:20480
	ds_store_b64 v33, v[13:14] offset:24576
	ds_store_b64 v36, v[15:16] offset:28672
	s_waitcnt lgkmcnt(0)
	s_barrier
.LBB61_44:
	buffer_gl0_inv
	ds_load_2addr_b64 v[13:16], v41 offset1:1
	ds_load_2addr_b64 v[9:12], v41 offset0:2 offset1:3
	ds_load_2addr_b64 v[5:8], v41 offset0:4 offset1:5
	;; [unrolled: 1-line block ×3, first 2 shown]
	s_cmp_lg_u32 s24, 0
	s_waitcnt lgkmcnt(0)
	s_cselect_b32 s18, -1, 0
	s_cmp_lg_u64 s[6:7], 0
	s_barrier
	s_cselect_b32 s0, -1, 0
	buffer_gl0_inv
	s_or_b32 s0, s0, s18
	s_delay_alu instid0(SALU_CYCLE_1)
	s_and_b32 vcc_lo, exec_lo, s0
	s_mov_b32 s0, 0
	s_cbranch_vccz .LBB61_49
; %bb.45:
	v_add_co_u32 v33, s0, -8, s27
	s_delay_alu instid0(VALU_DEP_1)
	v_add_co_ci_u32_e64 v34, null, -1, s26, s0
	s_mov_b32 s0, -1
	s_and_b32 vcc_lo, exec_lo, s23
	flat_load_b64 v[35:36], v[33:34]
	ds_store_b64 v55, v[19:20]
	s_cbranch_vccz .LBB61_50
; %bb.46:
	s_waitcnt vmcnt(0) lgkmcnt(1)
	v_dual_mov_b32 v33, v35 :: v_dual_mov_b32 v34, v36
	s_waitcnt lgkmcnt(0)
	s_barrier
	buffer_gl0_inv
	s_and_saveexec_b32 s0, s3
	s_cbranch_execz .LBB61_48
; %bb.47:
	v_add_nc_u32_e32 v33, -8, v55
	ds_load_b64 v[33:34], v33
.LBB61_48:
	s_or_b32 exec_lo, exec_lo, s0
	v_cvt_i32_f64_e32 v37, v[17:18]
	v_cvt_i32_f64_e32 v38, v[19:20]
	;; [unrolled: 1-line block ×8, first 2 shown]
	s_waitcnt lgkmcnt(0)
	v_cvt_i32_f64_e32 v33, v[33:34]
	v_mul_hi_i32 v34, 0x66666667, v37
	v_mul_hi_i32 v37, 0x66666667, v38
	;; [unrolled: 1-line block ×8, first 2 shown]
	v_lshrrev_b32_e32 v44, 31, v34
	v_ashrrev_i32_e32 v34, 2, v34
	v_lshrrev_b32_e32 v45, 31, v37
	v_ashrrev_i32_e32 v37, 2, v37
	;; [unrolled: 2-line block ×3, first 2 shown]
	v_add_nc_u32_e32 v34, v34, v44
	v_lshrrev_b32_e32 v47, 31, v39
	v_add_nc_u32_e32 v37, v37, v45
	v_ashrrev_i32_e32 v39, 2, v39
	v_add_nc_u32_e32 v38, v38, v46
	v_lshrrev_b32_e32 v48, 31, v40
	v_ashrrev_i32_e32 v40, 2, v40
	v_cmp_ne_u32_e32 vcc_lo, v34, v37
	v_add_nc_u32_e32 v39, v39, v47
	v_lshrrev_b32_e32 v49, 31, v41
	v_ashrrev_i32_e32 v41, 2, v41
	v_add_nc_u32_e32 v40, v40, v48
	v_cndmask_b32_e64 v37, 0, 1, vcc_lo
	v_cmp_ne_u32_e32 vcc_lo, v38, v34
	v_lshrrev_b32_e32 v50, 31, v42
	v_ashrrev_i32_e32 v42, 2, v42
	v_add_nc_u32_e32 v41, v41, v49
	v_lshrrev_b32_e32 v51, 31, v43
	v_cndmask_b32_e64 v34, 0, 1, vcc_lo
	v_cmp_ne_u32_e32 vcc_lo, v39, v38
	v_ashrrev_i32_e32 v43, 2, v43
	v_add_nc_u32_e32 v42, v42, v50
	v_mul_hi_i32 v33, 0x66666667, v33
	v_lshlrev_b16 v37, 8, v37
	v_cndmask_b32_e64 v38, 0, 1, vcc_lo
	v_cmp_ne_u32_e32 vcc_lo, v40, v39
	v_add_nc_u32_e32 v43, v43, v51
	s_delay_alu instid0(VALU_DEP_4) | instskip(NEXT) | instid1(VALU_DEP_4)
	v_or_b32_e32 v34, v34, v37
	v_lshlrev_b16 v38, 8, v38
	v_cndmask_b32_e64 v39, 0, 1, vcc_lo
	v_cmp_ne_u32_e32 vcc_lo, v41, v40
	v_lshrrev_b32_e32 v52, 31, v33
	v_ashrrev_i32_e32 v33, 2, v33
	v_lshlrev_b32_e32 v34, 16, v34
	v_or_b32_e32 v38, v39, v38
	v_cndmask_b32_e64 v40, 0, 1, vcc_lo
	v_cmp_ne_u32_e32 vcc_lo, v42, v41
	v_add_nc_u32_e32 v33, v33, v52
	s_delay_alu instid0(VALU_DEP_4) | instskip(NEXT) | instid1(VALU_DEP_4)
	v_and_b32_e32 v38, 0xffff, v38
	v_lshlrev_b16 v40, 8, v40
	v_cndmask_b32_e64 v41, 0, 1, vcc_lo
	v_cmp_ne_u32_e32 vcc_lo, v43, v42
	v_cmp_ne_u32_e64 s4, v33, v43
	v_or_b32_e32 v34, v38, v34
	s_delay_alu instid0(VALU_DEP_4) | instskip(SKIP_1) | instid1(VALU_DEP_2)
	v_or_b32_e32 v40, v41, v40
	v_cndmask_b32_e64 v42, 0, 1, vcc_lo
	v_lshlrev_b32_e32 v39, 16, v40
	s_delay_alu instid0(VALU_DEP_2) | instskip(NEXT) | instid1(VALU_DEP_1)
	v_lshlrev_b16 v42, 8, v42
	v_and_b32_e32 v37, 0xffff, v42
	s_delay_alu instid0(VALU_DEP_1)
	v_or_b32_e32 v33, v37, v39
	s_branch .LBB61_70
.LBB61_49:
                                        ; implicit-def: $sgpr4
                                        ; implicit-def: $vgpr34
	s_branch .LBB61_71
.LBB61_50:
                                        ; implicit-def: $sgpr4
                                        ; implicit-def: $vgpr34
	s_and_b32 vcc_lo, exec_lo, s0
	s_cbranch_vccz .LBB61_70
; %bb.51:
	v_or_b32_e32 v33, 7, v55
	s_mov_b32 s0, 0
	s_mov_b32 s4, 0
	s_mov_b32 s5, exec_lo
	s_delay_alu instid0(VALU_DEP_1)
	v_cmpx_gt_u32_e64 s25, v33
	s_cbranch_execz .LBB61_53
; %bb.52:
	v_cvt_i32_f64_e32 v33, v[17:18]
	v_cvt_i32_f64_e32 v34, v[19:20]
	s_delay_alu instid0(VALU_DEP_2) | instskip(NEXT) | instid1(VALU_DEP_2)
	v_mul_hi_i32 v33, 0x66666667, v33
	v_mul_hi_i32 v34, 0x66666667, v34
	s_delay_alu instid0(VALU_DEP_2) | instskip(SKIP_1) | instid1(VALU_DEP_3)
	v_lshrrev_b32_e32 v37, 31, v33
	v_ashrrev_i32_e32 v33, 2, v33
	v_lshrrev_b32_e32 v38, 31, v34
	v_ashrrev_i32_e32 v34, 2, v34
	s_delay_alu instid0(VALU_DEP_3) | instskip(NEXT) | instid1(VALU_DEP_2)
	v_add_nc_u32_e32 v33, v33, v37
	v_add_nc_u32_e32 v34, v34, v38
	s_delay_alu instid0(VALU_DEP_1)
	v_cmp_ne_u32_e32 vcc_lo, v33, v34
	s_and_b32 s4, vcc_lo, exec_lo
.LBB61_53:
	s_or_b32 exec_lo, exec_lo, s5
	v_or_b32_e32 v33, 6, v55
	s_mov_b32 s5, exec_lo
	s_delay_alu instid0(VALU_DEP_1)
	v_cmpx_gt_u32_e64 s25, v33
	s_cbranch_execz .LBB61_55
; %bb.54:
	v_cvt_i32_f64_e32 v33, v[23:24]
	v_cvt_i32_f64_e32 v34, v[17:18]
	s_delay_alu instid0(VALU_DEP_2) | instskip(NEXT) | instid1(VALU_DEP_2)
	v_mul_hi_i32 v33, 0x66666667, v33
	v_mul_hi_i32 v34, 0x66666667, v34
	s_delay_alu instid0(VALU_DEP_2) | instskip(SKIP_1) | instid1(VALU_DEP_3)
	v_lshrrev_b32_e32 v37, 31, v33
	v_ashrrev_i32_e32 v33, 2, v33
	v_lshrrev_b32_e32 v38, 31, v34
	v_ashrrev_i32_e32 v34, 2, v34
	s_delay_alu instid0(VALU_DEP_3) | instskip(NEXT) | instid1(VALU_DEP_2)
	v_add_nc_u32_e32 v33, v33, v37
	v_add_nc_u32_e32 v34, v34, v38
	s_delay_alu instid0(VALU_DEP_1)
	v_cmp_ne_u32_e32 vcc_lo, v33, v34
	s_and_b32 s0, vcc_lo, exec_lo
.LBB61_55:
	s_or_b32 exec_lo, exec_lo, s5
	v_or_b32_e32 v33, 5, v55
	s_mov_b32 s6, 0
	s_mov_b32 s5, 0
	s_mov_b32 s7, exec_lo
	s_delay_alu instid0(VALU_DEP_1)
	v_cmpx_gt_u32_e64 s25, v33
	s_cbranch_execz .LBB61_57
; %bb.56:
	v_cvt_i32_f64_e32 v33, v[21:22]
	v_cvt_i32_f64_e32 v34, v[23:24]
	s_delay_alu instid0(VALU_DEP_2) | instskip(NEXT) | instid1(VALU_DEP_2)
	v_mul_hi_i32 v33, 0x66666667, v33
	v_mul_hi_i32 v34, 0x66666667, v34
	s_delay_alu instid0(VALU_DEP_2) | instskip(SKIP_1) | instid1(VALU_DEP_3)
	v_lshrrev_b32_e32 v37, 31, v33
	v_ashrrev_i32_e32 v33, 2, v33
	v_lshrrev_b32_e32 v38, 31, v34
	v_ashrrev_i32_e32 v34, 2, v34
	s_delay_alu instid0(VALU_DEP_3) | instskip(NEXT) | instid1(VALU_DEP_2)
	v_add_nc_u32_e32 v33, v33, v37
	v_add_nc_u32_e32 v34, v34, v38
	s_delay_alu instid0(VALU_DEP_1)
	v_cmp_ne_u32_e32 vcc_lo, v33, v34
	s_and_b32 s5, vcc_lo, exec_lo
.LBB61_57:
	s_or_b32 exec_lo, exec_lo, s7
	v_or_b32_e32 v33, 4, v55
	s_mov_b32 s7, exec_lo
	s_delay_alu instid0(VALU_DEP_1)
	v_cmpx_gt_u32_e64 s25, v33
	s_cbranch_execz .LBB61_59
; %bb.58:
	v_cvt_i32_f64_e32 v33, v[27:28]
	v_cvt_i32_f64_e32 v34, v[21:22]
	s_delay_alu instid0(VALU_DEP_2) | instskip(NEXT) | instid1(VALU_DEP_2)
	v_mul_hi_i32 v33, 0x66666667, v33
	v_mul_hi_i32 v34, 0x66666667, v34
	s_delay_alu instid0(VALU_DEP_2) | instskip(SKIP_1) | instid1(VALU_DEP_3)
	v_lshrrev_b32_e32 v37, 31, v33
	v_ashrrev_i32_e32 v33, 2, v33
	v_lshrrev_b32_e32 v38, 31, v34
	v_ashrrev_i32_e32 v34, 2, v34
	s_delay_alu instid0(VALU_DEP_3) | instskip(NEXT) | instid1(VALU_DEP_2)
	v_add_nc_u32_e32 v33, v33, v37
	v_add_nc_u32_e32 v34, v34, v38
	s_delay_alu instid0(VALU_DEP_1)
	v_cmp_ne_u32_e32 vcc_lo, v33, v34
	s_and_b32 s6, vcc_lo, exec_lo
.LBB61_59:
	s_or_b32 exec_lo, exec_lo, s7
	;; [unrolled: 50-line block ×3, first 2 shown]
	v_or_b32_e32 v33, 1, v55
	s_mov_b32 s20, 0
	s_mov_b32 s21, exec_lo
	s_delay_alu instid0(VALU_DEP_1)
	v_cmpx_gt_u32_e64 s25, v33
	s_cbranch_execz .LBB61_65
; %bb.64:
	v_cvt_i32_f64_e32 v33, v[29:30]
	v_cvt_i32_f64_e32 v34, v[31:32]
	s_delay_alu instid0(VALU_DEP_2) | instskip(NEXT) | instid1(VALU_DEP_2)
	v_mul_hi_i32 v33, 0x66666667, v33
	v_mul_hi_i32 v34, 0x66666667, v34
	s_delay_alu instid0(VALU_DEP_2) | instskip(SKIP_1) | instid1(VALU_DEP_3)
	v_lshrrev_b32_e32 v37, 31, v33
	v_ashrrev_i32_e32 v33, 2, v33
	v_lshrrev_b32_e32 v38, 31, v34
	v_ashrrev_i32_e32 v34, 2, v34
	s_delay_alu instid0(VALU_DEP_3) | instskip(NEXT) | instid1(VALU_DEP_2)
	v_add_nc_u32_e32 v33, v33, v37
	v_add_nc_u32_e32 v34, v34, v38
	s_delay_alu instid0(VALU_DEP_1)
	v_cmp_ne_u32_e32 vcc_lo, v33, v34
	s_and_b32 s20, vcc_lo, exec_lo
.LBB61_65:
	s_or_b32 exec_lo, exec_lo, s21
	s_waitcnt vmcnt(0) lgkmcnt(0)
	s_barrier
	buffer_gl0_inv
	s_and_saveexec_b32 s21, s3
	s_cbranch_execz .LBB61_67
; %bb.66:
	v_add_nc_u32_e32 v33, -8, v55
	ds_load_b64 v[35:36], v33
.LBB61_67:
	s_or_b32 exec_lo, exec_lo, s21
	v_cndmask_b32_e64 v34, 0, 1, s7
	v_cndmask_b32_e64 v38, 0, 1, s5
	;; [unrolled: 1-line block ×7, first 2 shown]
	v_lshlrev_b16 v34, 8, v34
	v_lshlrev_b16 v38, 8, v38
	;; [unrolled: 1-line block ×3, first 2 shown]
	s_mov_b32 s4, 0
	v_lshlrev_b16 v41, 8, v41
	v_or_b32_e32 v34, v33, v34
	v_or_b32_e32 v37, v37, v38
	;; [unrolled: 1-line block ×3, first 2 shown]
	s_mov_b32 s0, exec_lo
	v_and_b32_e32 v33, 0xffff, v41
	v_lshlrev_b32_e32 v34, 16, v34
	v_and_b32_e32 v37, 0xffff, v37
	v_lshlrev_b32_e32 v38, 16, v38
	v_cmpx_gt_u32_e64 s25, v55
	s_cbranch_execz .LBB61_69
; %bb.68:
	s_waitcnt lgkmcnt(0)
	v_cvt_i32_f64_e32 v35, v[35:36]
	v_cvt_i32_f64_e32 v36, v[29:30]
	s_delay_alu instid0(VALU_DEP_2) | instskip(NEXT) | instid1(VALU_DEP_2)
	v_mul_hi_i32 v35, 0x66666667, v35
	v_mul_hi_i32 v36, 0x66666667, v36
	s_delay_alu instid0(VALU_DEP_2) | instskip(SKIP_1) | instid1(VALU_DEP_3)
	v_lshrrev_b32_e32 v39, 31, v35
	v_ashrrev_i32_e32 v35, 2, v35
	v_lshrrev_b32_e32 v40, 31, v36
	v_ashrrev_i32_e32 v36, 2, v36
	s_delay_alu instid0(VALU_DEP_3) | instskip(NEXT) | instid1(VALU_DEP_2)
	v_add_nc_u32_e32 v35, v35, v39
	v_add_nc_u32_e32 v36, v36, v40
	s_delay_alu instid0(VALU_DEP_1)
	v_cmp_ne_u32_e32 vcc_lo, v35, v36
	s_and_b32 s4, vcc_lo, exec_lo
.LBB61_69:
	s_or_b32 exec_lo, exec_lo, s0
	v_or_b32_e32 v33, v33, v34
	v_or_b32_e32 v34, v37, v38
.LBB61_70:
	s_mov_b32 s0, -1
	s_cbranch_execnz .LBB61_95
.LBB61_71:
	v_cvt_i32_f64_e32 v33, v[17:18]
	v_cvt_i32_f64_e32 v34, v[23:24]
	s_waitcnt vmcnt(0) lgkmcnt(0)
	v_cvt_i32_f64_e32 v35, v[21:22]
	v_cvt_i32_f64_e32 v36, v[27:28]
	;; [unrolled: 1-line block ×4, first 2 shown]
	s_and_b32 vcc_lo, exec_lo, s23
	ds_store_b64 v55, v[19:20]
	v_mul_hi_i32 v40, 0x66666667, v33
	v_mul_hi_i32 v39, 0x66666667, v34
	;; [unrolled: 1-line block ×6, first 2 shown]
	s_cbranch_vccz .LBB61_75
; %bb.72:
	v_cvt_i32_f64_e32 v33, v[19:20]
	v_cvt_i32_f64_e32 v34, v[29:30]
	v_lshrrev_b32_e32 v41, 31, v40
	v_ashrrev_i32_e32 v42, 2, v40
	v_lshrrev_b32_e32 v43, 31, v39
	v_ashrrev_i32_e32 v44, 2, v39
	;; [unrolled: 2-line block ×3, first 2 shown]
	v_add_nc_u32_e32 v42, v42, v41
	v_lshrrev_b32_e32 v47, 31, v37
	v_add_nc_u32_e32 v41, v44, v43
	v_ashrrev_i32_e32 v48, 2, v37
	v_add_nc_u32_e32 v43, v46, v45
	v_lshrrev_b32_e32 v49, 31, v36
	v_ashrrev_i32_e32 v50, 2, v36
	v_cmp_ne_u32_e32 vcc_lo, v41, v42
	v_add_nc_u32_e32 v44, v48, v47
	v_lshrrev_b32_e32 v51, 31, v35
	v_ashrrev_i32_e32 v52, 2, v35
	v_add_nc_u32_e32 v45, v50, v49
	v_cndmask_b32_e64 v47, 0, 1, vcc_lo
	v_cmp_ne_u32_e32 vcc_lo, v43, v41
	s_waitcnt lgkmcnt(0)
	v_add_nc_u32_e32 v46, v52, v51
	s_barrier
	buffer_gl0_inv
	v_cndmask_b32_e64 v50, 0, 1, vcc_lo
	v_cmp_ne_u32_e32 vcc_lo, v44, v43
                                        ; implicit-def: $sgpr4
	v_cndmask_b32_e64 v43, 0, 1, vcc_lo
	v_cmp_ne_u32_e32 vcc_lo, v45, v44
	v_mul_hi_i32 v33, 0x66666667, v33
	v_mul_hi_i32 v34, 0x66666667, v34
	s_delay_alu instid0(VALU_DEP_2) | instskip(SKIP_1) | instid1(VALU_DEP_3)
	v_lshrrev_b32_e32 v48, 31, v33
	v_ashrrev_i32_e32 v33, 2, v33
	v_lshrrev_b32_e32 v49, 31, v34
	v_ashrrev_i32_e32 v34, 2, v34
	s_delay_alu instid0(VALU_DEP_3) | instskip(NEXT) | instid1(VALU_DEP_2)
	v_add_nc_u32_e32 v33, v33, v48
	v_add_nc_u32_e32 v41, v34, v49
	v_cndmask_b32_e64 v34, 0, 1, vcc_lo
	s_delay_alu instid0(VALU_DEP_3) | instskip(NEXT) | instid1(VALU_DEP_2)
	v_cmp_ne_u32_e32 vcc_lo, v42, v33
	v_lshlrev_b16 v34, 8, v34
	v_cndmask_b32_e64 v33, 0, 1, vcc_lo
	v_cmp_ne_u32_e32 vcc_lo, v41, v46
	s_delay_alu instid0(VALU_DEP_2) | instskip(SKIP_3) | instid1(VALU_DEP_4)
	v_lshlrev_b16 v33, 8, v33
	v_cndmask_b32_e64 v42, 0, 1, vcc_lo
	v_cmp_ne_u32_e32 vcc_lo, v46, v45
	v_lshlrev_b16 v45, 8, v50
	v_or_b32_e32 v33, v47, v33
	s_delay_alu instid0(VALU_DEP_4) | instskip(SKIP_1) | instid1(VALU_DEP_4)
	v_lshlrev_b16 v42, 8, v42
	v_cndmask_b32_e64 v44, 0, 1, vcc_lo
	v_or_b32_e32 v43, v43, v45
	s_delay_alu instid0(VALU_DEP_4) | instskip(NEXT) | instid1(VALU_DEP_4)
	v_lshlrev_b32_e32 v33, 16, v33
	v_or_b32_e32 v42, 1, v42
	s_delay_alu instid0(VALU_DEP_4) | instskip(NEXT) | instid1(VALU_DEP_4)
	v_or_b32_e32 v34, v44, v34
	v_and_b32_e32 v43, 0xffff, v43
	s_delay_alu instid0(VALU_DEP_3) | instskip(NEXT) | instid1(VALU_DEP_3)
	v_and_b32_e32 v42, 0xffff, v42
	v_lshlrev_b32_e32 v44, 16, v34
	s_delay_alu instid0(VALU_DEP_3) | instskip(NEXT) | instid1(VALU_DEP_2)
	v_or_b32_e32 v34, v43, v33
	v_or_b32_e32 v33, v42, v44
	s_and_saveexec_b32 s5, s3
	s_delay_alu instid0(SALU_CYCLE_1)
	s_xor_b32 s5, exec_lo, s5
	s_cbranch_execz .LBB61_74
; %bb.73:
	v_add_nc_u32_e32 v42, -8, v55
	s_or_b32 s0, s0, exec_lo
	ds_load_b64 v[42:43], v42
	s_waitcnt lgkmcnt(0)
	v_cvt_i32_f64_e32 v42, v[42:43]
	s_delay_alu instid0(VALU_DEP_1) | instskip(NEXT) | instid1(VALU_DEP_1)
	v_mul_hi_i32 v42, 0x66666667, v42
	v_lshrrev_b32_e32 v43, 31, v42
	v_ashrrev_i32_e32 v42, 2, v42
	s_delay_alu instid0(VALU_DEP_1) | instskip(NEXT) | instid1(VALU_DEP_1)
	v_add_nc_u32_e32 v42, v42, v43
	v_cmp_ne_u32_e32 vcc_lo, v42, v41
	s_and_b32 s4, vcc_lo, exec_lo
.LBB61_74:
	s_or_b32 exec_lo, exec_lo, s5
	s_branch .LBB61_95
.LBB61_75:
                                        ; implicit-def: $sgpr4
                                        ; implicit-def: $vgpr34
	s_cbranch_execz .LBB61_95
; %bb.76:
	v_or_b32_e32 v33, 7, v55
	s_mov_b32 s4, 0
	s_mov_b32 s5, 0
	s_mov_b32 s6, exec_lo
	s_delay_alu instid0(VALU_DEP_1)
	v_cmpx_gt_u32_e64 s25, v33
; %bb.77:
	v_cvt_i32_f64_e32 v33, v[19:20]
	v_lshrrev_b32_e32 v34, 31, v40
	v_ashrrev_i32_e32 v41, 2, v40
	s_delay_alu instid0(VALU_DEP_1) | instskip(NEXT) | instid1(VALU_DEP_4)
	v_add_nc_u32_e32 v34, v41, v34
	v_mul_hi_i32 v33, 0x66666667, v33
	s_delay_alu instid0(VALU_DEP_1) | instskip(SKIP_1) | instid1(VALU_DEP_1)
	v_lshrrev_b32_e32 v42, 31, v33
	v_ashrrev_i32_e32 v33, 2, v33
	v_add_nc_u32_e32 v33, v33, v42
	s_delay_alu instid0(VALU_DEP_1)
	v_cmp_ne_u32_e32 vcc_lo, v34, v33
	s_and_b32 s5, vcc_lo, exec_lo
; %bb.78:
	s_or_b32 exec_lo, exec_lo, s6
	v_or_b32_e32 v33, 6, v55
	s_mov_b32 s6, exec_lo
	s_delay_alu instid0(VALU_DEP_1)
	v_cmpx_gt_u32_e64 s25, v33
; %bb.79:
	v_lshrrev_b32_e32 v33, 31, v39
	v_ashrrev_i32_e32 v34, 2, v39
	v_lshrrev_b32_e32 v41, 31, v40
	v_ashrrev_i32_e32 v40, 2, v40
	s_delay_alu instid0(VALU_DEP_3) | instskip(NEXT) | instid1(VALU_DEP_2)
	v_add_nc_u32_e32 v33, v34, v33
	v_add_nc_u32_e32 v34, v40, v41
	s_delay_alu instid0(VALU_DEP_1)
	v_cmp_ne_u32_e32 vcc_lo, v33, v34
	s_and_b32 s4, vcc_lo, exec_lo
; %bb.80:
	s_or_b32 exec_lo, exec_lo, s6
	v_or_b32_e32 v33, 5, v55
	s_mov_b32 s6, 0
	s_mov_b32 s7, 0
	s_mov_b32 s19, exec_lo
	s_delay_alu instid0(VALU_DEP_1)
	v_cmpx_gt_u32_e64 s25, v33
; %bb.81:
	v_lshrrev_b32_e32 v33, 31, v38
	v_ashrrev_i32_e32 v34, 2, v38
	v_lshrrev_b32_e32 v40, 31, v39
	v_ashrrev_i32_e32 v39, 2, v39
	s_delay_alu instid0(VALU_DEP_3) | instskip(NEXT) | instid1(VALU_DEP_2)
	v_add_nc_u32_e32 v33, v34, v33
	v_add_nc_u32_e32 v34, v39, v40
	s_delay_alu instid0(VALU_DEP_1)
	v_cmp_ne_u32_e32 vcc_lo, v33, v34
	s_and_b32 s7, vcc_lo, exec_lo
; %bb.82:
	s_or_b32 exec_lo, exec_lo, s19
	v_or_b32_e32 v33, 4, v55
	s_mov_b32 s19, exec_lo
	s_delay_alu instid0(VALU_DEP_1)
	v_cmpx_gt_u32_e64 s25, v33
; %bb.83:
	v_lshrrev_b32_e32 v33, 31, v37
	v_ashrrev_i32_e32 v34, 2, v37
	v_lshrrev_b32_e32 v39, 31, v38
	v_ashrrev_i32_e32 v38, 2, v38
	s_delay_alu instid0(VALU_DEP_3) | instskip(NEXT) | instid1(VALU_DEP_2)
	v_add_nc_u32_e32 v33, v34, v33
	v_add_nc_u32_e32 v34, v38, v39
	s_delay_alu instid0(VALU_DEP_1)
	v_cmp_ne_u32_e32 vcc_lo, v33, v34
	s_and_b32 s6, vcc_lo, exec_lo
; %bb.84:
	s_or_b32 exec_lo, exec_lo, s19
	v_or_b32_e32 v33, 3, v55
	s_mov_b32 s20, 0
	s_mov_b32 s19, 0
	s_mov_b32 s21, exec_lo
	s_delay_alu instid0(VALU_DEP_1)
	v_cmpx_gt_u32_e64 s25, v33
; %bb.85:
	v_lshrrev_b32_e32 v33, 31, v36
	v_ashrrev_i32_e32 v34, 2, v36
	v_lshrrev_b32_e32 v38, 31, v37
	v_ashrrev_i32_e32 v37, 2, v37
	s_delay_alu instid0(VALU_DEP_3) | instskip(NEXT) | instid1(VALU_DEP_2)
	v_add_nc_u32_e32 v33, v34, v33
	v_add_nc_u32_e32 v34, v37, v38
	s_delay_alu instid0(VALU_DEP_1)
	v_cmp_ne_u32_e32 vcc_lo, v33, v34
	s_and_b32 s19, vcc_lo, exec_lo
; %bb.86:
	s_or_b32 exec_lo, exec_lo, s21
	v_or_b32_e32 v33, 2, v55
	s_mov_b32 s21, exec_lo
	s_delay_alu instid0(VALU_DEP_1)
	v_cmpx_gt_u32_e64 s25, v33
; %bb.87:
	v_lshrrev_b32_e32 v33, 31, v35
	v_ashrrev_i32_e32 v34, 2, v35
	v_lshrrev_b32_e32 v37, 31, v36
	v_ashrrev_i32_e32 v36, 2, v36
	s_delay_alu instid0(VALU_DEP_3) | instskip(NEXT) | instid1(VALU_DEP_2)
	v_add_nc_u32_e32 v33, v34, v33
	v_add_nc_u32_e32 v34, v36, v37
	s_delay_alu instid0(VALU_DEP_1)
	v_cmp_ne_u32_e32 vcc_lo, v33, v34
	s_and_b32 s20, vcc_lo, exec_lo
; %bb.88:
	s_or_b32 exec_lo, exec_lo, s21
	v_or_b32_e32 v33, 1, v55
	s_mov_b32 s26, 0
	s_mov_b32 s21, exec_lo
	s_delay_alu instid0(VALU_DEP_1)
	v_cmpx_gt_u32_e64 s25, v33
; %bb.89:
	v_cvt_i32_f64_e32 v33, v[29:30]
	v_lshrrev_b32_e32 v34, 31, v35
	v_ashrrev_i32_e32 v35, 2, v35
	s_delay_alu instid0(VALU_DEP_1) | instskip(NEXT) | instid1(VALU_DEP_4)
	v_add_nc_u32_e32 v34, v35, v34
	v_mul_hi_i32 v33, 0x66666667, v33
	s_delay_alu instid0(VALU_DEP_1) | instskip(SKIP_1) | instid1(VALU_DEP_1)
	v_lshrrev_b32_e32 v36, 31, v33
	v_ashrrev_i32_e32 v33, 2, v33
	v_add_nc_u32_e32 v33, v33, v36
	s_delay_alu instid0(VALU_DEP_1)
	v_cmp_ne_u32_e32 vcc_lo, v33, v34
	s_and_b32 s26, vcc_lo, exec_lo
; %bb.90:
	s_or_b32 exec_lo, exec_lo, s21
	v_cndmask_b32_e64 v34, 0, 1, s19
	v_cndmask_b32_e64 v35, 0, 1, s7
	;; [unrolled: 1-line block ×7, first 2 shown]
	v_lshlrev_b16 v35, 8, v35
	v_lshlrev_b16 v36, 8, v36
	;; [unrolled: 1-line block ×4, first 2 shown]
	s_waitcnt lgkmcnt(0)
	v_or_b32_e32 v35, v38, v35
	v_or_b32_e32 v36, v39, v36
	;; [unrolled: 1-line block ×4, first 2 shown]
	s_barrier
	v_and_b32_e32 v34, 0xffff, v35
	v_lshlrev_b32_e32 v35, 16, v36
	v_and_b32_e32 v36, 0xffff, v37
	v_lshlrev_b32_e32 v33, 16, v33
	buffer_gl0_inv
                                        ; implicit-def: $sgpr4
	v_or_b32_e32 v34, v34, v35
	v_or_b32_e32 v33, v36, v33
	s_and_saveexec_b32 s5, s3
	s_cbranch_execz .LBB61_94
; %bb.91:
	s_mov_b32 s4, 0
	s_mov_b32 s3, exec_lo
	v_cmpx_gt_u32_e64 s25, v55
	s_cbranch_execz .LBB61_93
; %bb.92:
	v_add_nc_u32_e32 v35, -8, v55
	v_cvt_i32_f64_e32 v37, v[29:30]
	ds_load_b64 v[35:36], v35
	s_waitcnt lgkmcnt(0)
	v_cvt_i32_f64_e32 v35, v[35:36]
	v_mul_hi_i32 v36, 0x66666667, v37
	s_delay_alu instid0(VALU_DEP_1) | instskip(SKIP_1) | instid1(VALU_DEP_1)
	v_lshrrev_b32_e32 v37, 31, v36
	v_ashrrev_i32_e32 v36, 2, v36
	v_add_nc_u32_e32 v36, v36, v37
	v_mul_hi_i32 v35, 0x66666667, v35
	s_delay_alu instid0(VALU_DEP_1) | instskip(SKIP_1) | instid1(VALU_DEP_1)
	v_lshrrev_b32_e32 v38, 31, v35
	v_ashrrev_i32_e32 v35, 2, v35
	v_add_nc_u32_e32 v35, v35, v38
	s_delay_alu instid0(VALU_DEP_1)
	v_cmp_ne_u32_e32 vcc_lo, v35, v36
	s_and_b32 s4, vcc_lo, exec_lo
.LBB61_93:
	s_or_b32 exec_lo, exec_lo, s3
	s_delay_alu instid0(SALU_CYCLE_1)
	s_and_b32 s4, s4, exec_lo
	s_or_b32 s0, s0, exec_lo
.LBB61_94:
	s_or_b32 exec_lo, exec_lo, s5
.LBB61_95:
	s_and_saveexec_b32 s3, s0
	s_cbranch_execz .LBB61_97
; %bb.96:
	s_waitcnt vmcnt(0) lgkmcnt(0)
	v_and_b32_e32 v35, 0xffffff00, v33
	v_cndmask_b32_e64 v36, 0, 1, s4
	s_delay_alu instid0(VALU_DEP_1) | instskip(NEXT) | instid1(VALU_DEP_1)
	v_or_b32_e32 v35, v36, v35
	v_and_b32_e32 v35, 0xffff, v35
	s_delay_alu instid0(VALU_DEP_1)
	v_and_or_b32 v33, 0xffff0000, v33, v35
.LBB61_97:
	s_or_b32 exec_lo, exec_lo, s3
	s_delay_alu instid0(SALU_CYCLE_1)
	s_and_not1_b32 vcc_lo, exec_lo, s1
	s_cbranch_vccnz .LBB61_99
; %bb.98:
	v_cmp_gt_u32_e32 vcc_lo, s25, v55
	s_waitcnt vmcnt(0) lgkmcnt(0)
	v_or_b32_e32 v36, 1, v55
	v_and_b32_e32 v37, 0xffffff00, v34
	v_or_b32_e32 v38, 2, v55
	v_cndmask_b32_e32 v35, 0, v33, vcc_lo
	s_delay_alu instid0(VALU_DEP_4) | instskip(SKIP_1) | instid1(VALU_DEP_4)
	v_cmp_gt_u32_e32 vcc_lo, s25, v36
	v_or_b32_e32 v36, 4, v55
	v_cmp_gt_u32_e64 s0, s25, v38
	v_or_b32_e32 v38, 3, v55
	v_and_b32_e32 v35, 0xff, v35
	s_delay_alu instid0(VALU_DEP_2) | instskip(NEXT) | instid1(VALU_DEP_2)
	v_cmp_gt_u32_e64 s1, s25, v38
	v_cndmask_b32_e32 v35, v35, v33, vcc_lo
	v_cmp_gt_u32_e32 vcc_lo, s25, v36
	v_cndmask_b32_e32 v36, v37, v34, vcc_lo
	v_or_b32_e32 v37, 5, v55
	s_delay_alu instid0(VALU_DEP_2) | instskip(SKIP_1) | instid1(VALU_DEP_1)
	v_and_b32_e32 v36, 0xffff00ff, v36
	v_and_b32_e32 v35, 0xffff, v35
	v_cndmask_b32_e64 v35, v35, v33, s0
	s_delay_alu instid0(VALU_DEP_4) | instskip(SKIP_1) | instid1(VALU_DEP_3)
	v_cmp_gt_u32_e64 s0, s25, v37
	v_or_b32_e32 v37, 6, v55
	v_and_b32_e32 v35, 0xffffff, v35
	s_delay_alu instid0(VALU_DEP_3) | instskip(NEXT) | instid1(VALU_DEP_2)
	v_cndmask_b32_e64 v36, v36, v34, s0
	v_cndmask_b32_e64 v35, v35, v33, s1
	s_delay_alu instid0(VALU_DEP_1) | instskip(SKIP_2) | instid1(VALU_DEP_3)
	v_dual_cndmask_b32 v35, v35, v33 :: v_dual_and_b32 v36, 0xff00ffff, v36
	v_cmp_gt_u32_e32 vcc_lo, s25, v37
	v_or_b32_e32 v37, 7, v55
	v_cndmask_b32_e64 v35, v35, v33, s0
	s_delay_alu instid0(VALU_DEP_1) | instskip(NEXT) | instid1(VALU_DEP_1)
	v_dual_cndmask_b32 v36, v36, v34 :: v_dual_cndmask_b32 v35, v35, v33
	v_and_b32_e32 v36, 0xffffff, v36
	s_delay_alu instid0(VALU_DEP_4) | instskip(NEXT) | instid1(VALU_DEP_2)
	v_cmp_gt_u32_e32 vcc_lo, s25, v37
	v_dual_cndmask_b32 v34, v36, v34 :: v_dual_cndmask_b32 v33, v35, v33
.LBB61_99:
	s_delay_alu instid0(VALU_DEP_1) | instskip(SKIP_1) | instid1(VALU_DEP_2)
	v_and_b32_e32 v44, 0xff, v33
	s_waitcnt vmcnt(0) lgkmcnt(0)
	v_alignbit_b32 v35, v34, v33, 24
	v_bfe_u32 v46, v33, 8, 8
	v_bfe_u32 v48, v33, 16, 8
	v_and_b32_e32 v52, 0xff, v34
	v_bfe_u32 v54, v34, 8, 8
	v_and_b32_e32 v50, 0xff, v35
	v_add_nc_u32_e32 v35, v46, v44
	v_mbcnt_lo_u32_b32 v58, -1, 0
	v_bfe_u32 v57, v34, 16, 8
	v_lshrrev_b32_e32 v56, 24, v34
	v_lshrrev_b32_e32 v59, 5, v0
	v_add3_u32 v35, v35, v48, v50
	v_and_b32_e32 v36, 15, v58
	v_and_b32_e32 v37, 16, v58
	s_and_b32 vcc_lo, exec_lo, s18
	s_mov_b32 s7, -1
	v_add3_u32 v35, v35, v52, v54
	v_cmp_eq_u32_e64 s3, 0, v36
	v_cmp_lt_u32_e64 s0, 1, v36
	v_cmp_lt_u32_e64 s4, 3, v36
	;; [unrolled: 1-line block ×3, first 2 shown]
	v_add3_u32 v60, v35, v57, v56
	v_or_b32_e32 v35, 31, v0
	v_cmp_eq_u32_e64 s6, 0, v37
	s_barrier
	buffer_gl0_inv
	v_cmp_eq_u32_e64 s5, v35, v0
	s_cbranch_vccz .LBB61_130
; %bb.100:
	v_mov_b32_dpp v35, v60 row_shr:1 row_mask:0xf bank_mask:0xf
	s_delay_alu instid0(VALU_DEP_1) | instskip(NEXT) | instid1(VALU_DEP_1)
	v_cndmask_b32_e64 v35, v35, 0, s3
	v_add_nc_u32_e32 v35, v35, v60
	s_delay_alu instid0(VALU_DEP_1) | instskip(NEXT) | instid1(VALU_DEP_1)
	v_mov_b32_dpp v36, v35 row_shr:2 row_mask:0xf bank_mask:0xf
	v_cndmask_b32_e64 v36, 0, v36, s0
	s_delay_alu instid0(VALU_DEP_1) | instskip(NEXT) | instid1(VALU_DEP_1)
	v_add_nc_u32_e32 v35, v35, v36
	v_mov_b32_dpp v36, v35 row_shr:4 row_mask:0xf bank_mask:0xf
	s_delay_alu instid0(VALU_DEP_1) | instskip(NEXT) | instid1(VALU_DEP_1)
	v_cndmask_b32_e64 v36, 0, v36, s4
	v_add_nc_u32_e32 v35, v35, v36
	s_delay_alu instid0(VALU_DEP_1) | instskip(NEXT) | instid1(VALU_DEP_1)
	v_mov_b32_dpp v36, v35 row_shr:8 row_mask:0xf bank_mask:0xf
	v_cndmask_b32_e64 v36, 0, v36, s1
	s_delay_alu instid0(VALU_DEP_1) | instskip(SKIP_3) | instid1(VALU_DEP_1)
	v_add_nc_u32_e32 v35, v35, v36
	ds_swizzle_b32 v36, v35 offset:swizzle(BROADCAST,32,15)
	s_waitcnt lgkmcnt(0)
	v_cndmask_b32_e64 v36, v36, 0, s6
	v_add_nc_u32_e32 v35, v35, v36
	s_and_saveexec_b32 s7, s5
	s_cbranch_execz .LBB61_102
; %bb.101:
	v_lshlrev_b32_e32 v36, 2, v59
	ds_store_b32 v36, v35
.LBB61_102:
	s_or_b32 exec_lo, exec_lo, s7
	s_delay_alu instid0(SALU_CYCLE_1)
	s_mov_b32 s7, exec_lo
	s_waitcnt lgkmcnt(0)
	s_barrier
	buffer_gl0_inv
	v_cmpx_gt_u32_e32 16, v0
	s_cbranch_execz .LBB61_104
; %bb.103:
	v_lshlrev_b32_e32 v36, 2, v0
	ds_load_b32 v37, v36
	s_waitcnt lgkmcnt(0)
	v_mov_b32_dpp v38, v37 row_shr:1 row_mask:0xf bank_mask:0xf
	s_delay_alu instid0(VALU_DEP_1) | instskip(NEXT) | instid1(VALU_DEP_1)
	v_cndmask_b32_e64 v38, v38, 0, s3
	v_add_nc_u32_e32 v37, v38, v37
	s_delay_alu instid0(VALU_DEP_1) | instskip(NEXT) | instid1(VALU_DEP_1)
	v_mov_b32_dpp v38, v37 row_shr:2 row_mask:0xf bank_mask:0xf
	v_cndmask_b32_e64 v38, 0, v38, s0
	s_delay_alu instid0(VALU_DEP_1) | instskip(NEXT) | instid1(VALU_DEP_1)
	v_add_nc_u32_e32 v37, v37, v38
	v_mov_b32_dpp v38, v37 row_shr:4 row_mask:0xf bank_mask:0xf
	s_delay_alu instid0(VALU_DEP_1) | instskip(NEXT) | instid1(VALU_DEP_1)
	v_cndmask_b32_e64 v38, 0, v38, s4
	v_add_nc_u32_e32 v37, v37, v38
	s_delay_alu instid0(VALU_DEP_1) | instskip(NEXT) | instid1(VALU_DEP_1)
	v_mov_b32_dpp v38, v37 row_shr:8 row_mask:0xf bank_mask:0xf
	v_cndmask_b32_e64 v38, 0, v38, s1
	s_delay_alu instid0(VALU_DEP_1)
	v_add_nc_u32_e32 v37, v37, v38
	ds_store_b32 v36, v37
.LBB61_104:
	s_or_b32 exec_lo, exec_lo, s7
	v_cmp_gt_u32_e32 vcc_lo, 32, v0
	s_mov_b32 s18, exec_lo
	s_waitcnt lgkmcnt(0)
	s_barrier
	buffer_gl0_inv
                                        ; implicit-def: $vgpr43
	v_cmpx_lt_u32_e32 31, v0
	s_cbranch_execz .LBB61_106
; %bb.105:
	v_lshl_add_u32 v36, v59, 2, -4
	ds_load_b32 v43, v36
	s_waitcnt lgkmcnt(0)
	v_add_nc_u32_e32 v35, v43, v35
.LBB61_106:
	s_or_b32 exec_lo, exec_lo, s18
	v_add_nc_u32_e32 v36, -1, v58
	s_delay_alu instid0(VALU_DEP_1) | instskip(NEXT) | instid1(VALU_DEP_1)
	v_cmp_gt_i32_e64 s7, 0, v36
	v_cndmask_b32_e64 v36, v36, v58, s7
	v_cmp_eq_u32_e64 s7, 0, v58
	s_delay_alu instid0(VALU_DEP_2)
	v_lshlrev_b32_e32 v36, 2, v36
	ds_bpermute_b32 v45, v36, v35
	s_and_saveexec_b32 s18, vcc_lo
	s_cbranch_execz .LBB61_129
; %bb.107:
	v_mov_b32_e32 v39, 0
	ds_load_b32 v35, v39 offset:60
	s_and_saveexec_b32 s19, s7
	s_cbranch_execz .LBB61_109
; %bb.108:
	s_add_i32 s20, s24, 32
	s_mov_b32 s21, 0
	v_mov_b32_e32 v36, 1
	s_lshl_b64 s[20:21], s[20:21], 3
	s_delay_alu instid0(SALU_CYCLE_1)
	s_add_u32 s20, s16, s20
	s_addc_u32 s21, s17, s21
	s_waitcnt lgkmcnt(0)
	global_store_b64 v39, v[35:36], s[20:21]
.LBB61_109:
	s_or_b32 exec_lo, exec_lo, s19
	v_xad_u32 v37, v58, -1, s24
	s_mov_b32 s20, 0
	s_mov_b32 s19, exec_lo
	s_delay_alu instid0(VALU_DEP_1) | instskip(NEXT) | instid1(VALU_DEP_1)
	v_add_nc_u32_e32 v38, 32, v37
	v_lshlrev_b64 v[38:39], 3, v[38:39]
	s_delay_alu instid0(VALU_DEP_1) | instskip(NEXT) | instid1(VALU_DEP_2)
	v_add_co_u32 v41, vcc_lo, s16, v38
	v_add_co_ci_u32_e32 v42, vcc_lo, s17, v39, vcc_lo
	global_load_b64 v[39:40], v[41:42], off glc
	s_waitcnt vmcnt(0)
	v_and_b32_e32 v36, 0xff, v40
	s_delay_alu instid0(VALU_DEP_1)
	v_cmpx_eq_u16_e32 0, v36
	s_cbranch_execz .LBB61_115
; %bb.110:
	s_mov_b32 s21, 1
	.p2align	6
.LBB61_111:                             ; =>This Loop Header: Depth=1
                                        ;     Child Loop BB61_112 Depth 2
	s_delay_alu instid0(SALU_CYCLE_1)
	s_max_u32 s25, s21, 1
.LBB61_112:                             ;   Parent Loop BB61_111 Depth=1
                                        ; =>  This Inner Loop Header: Depth=2
	s_delay_alu instid0(SALU_CYCLE_1)
	s_add_i32 s25, s25, -1
	s_sleep 1
	s_cmp_eq_u32 s25, 0
	s_cbranch_scc0 .LBB61_112
; %bb.113:                              ;   in Loop: Header=BB61_111 Depth=1
	global_load_b64 v[39:40], v[41:42], off glc
	s_cmp_lt_u32 s21, 32
	s_cselect_b32 s25, -1, 0
	s_delay_alu instid0(SALU_CYCLE_1) | instskip(SKIP_3) | instid1(VALU_DEP_1)
	s_cmp_lg_u32 s25, 0
	s_addc_u32 s21, s21, 0
	s_waitcnt vmcnt(0)
	v_and_b32_e32 v36, 0xff, v40
	v_cmp_ne_u16_e32 vcc_lo, 0, v36
	s_or_b32 s20, vcc_lo, s20
	s_delay_alu instid0(SALU_CYCLE_1)
	s_and_not1_b32 exec_lo, exec_lo, s20
	s_cbranch_execnz .LBB61_111
; %bb.114:
	s_or_b32 exec_lo, exec_lo, s20
.LBB61_115:
	s_delay_alu instid0(SALU_CYCLE_1)
	s_or_b32 exec_lo, exec_lo, s19
	v_cmp_ne_u32_e32 vcc_lo, 31, v58
	v_lshlrev_b32_e64 v49, v58, -1
	v_add_nc_u32_e32 v53, 2, v58
	v_add_nc_u32_e32 v66, 16, v58
	v_add_co_ci_u32_e32 v36, vcc_lo, 0, v58, vcc_lo
	s_delay_alu instid0(VALU_DEP_1)
	v_lshlrev_b32_e32 v47, 2, v36
	v_and_b32_e32 v36, 0xff, v40
	ds_bpermute_b32 v38, v47, v39
	v_cmp_eq_u16_e32 vcc_lo, 2, v36
	v_and_or_b32 v36, vcc_lo, v49, 0x80000000
	v_cmp_gt_u32_e32 vcc_lo, 30, v58
	s_delay_alu instid0(VALU_DEP_2) | instskip(SKIP_1) | instid1(VALU_DEP_2)
	v_ctz_i32_b32_e32 v36, v36
	v_cndmask_b32_e64 v41, 0, 1, vcc_lo
	v_cmp_lt_u32_e32 vcc_lo, v58, v36
	s_waitcnt lgkmcnt(0)
	s_delay_alu instid0(VALU_DEP_2) | instskip(NEXT) | instid1(VALU_DEP_1)
	v_dual_cndmask_b32 v38, 0, v38 :: v_dual_lshlrev_b32 v41, 1, v41
	v_add_lshl_u32 v51, v41, v58, 2
	v_cmp_gt_u32_e32 vcc_lo, 28, v58
	s_delay_alu instid0(VALU_DEP_3) | instskip(SKIP_4) | instid1(VALU_DEP_1)
	v_add_nc_u32_e32 v38, v38, v39
	v_cndmask_b32_e64 v41, 0, 1, vcc_lo
	v_cmp_le_u32_e32 vcc_lo, v53, v36
	ds_bpermute_b32 v39, v51, v38
	v_lshlrev_b32_e32 v41, 2, v41
	v_add_lshl_u32 v61, v41, v58, 2
	s_waitcnt lgkmcnt(0)
	v_cndmask_b32_e32 v39, 0, v39, vcc_lo
	v_cmp_gt_u32_e32 vcc_lo, 24, v58
	s_delay_alu instid0(VALU_DEP_2) | instskip(SKIP_4) | instid1(VALU_DEP_2)
	v_add_nc_u32_e32 v38, v38, v39
	v_cndmask_b32_e64 v41, 0, 1, vcc_lo
	ds_bpermute_b32 v39, v61, v38
	v_add_nc_u32_e32 v62, 4, v58
	v_lshlrev_b32_e32 v41, 3, v41
	v_cmp_le_u32_e32 vcc_lo, v62, v36
	s_delay_alu instid0(VALU_DEP_2) | instskip(SKIP_3) | instid1(VALU_DEP_2)
	v_add_lshl_u32 v63, v41, v58, 2
	s_waitcnt lgkmcnt(0)
	v_cndmask_b32_e32 v39, 0, v39, vcc_lo
	v_cmp_gt_u32_e32 vcc_lo, 16, v58
	v_add_nc_u32_e32 v38, v38, v39
	v_cndmask_b32_e64 v41, 0, 1, vcc_lo
	ds_bpermute_b32 v39, v63, v38
	v_add_nc_u32_e32 v64, 8, v58
	v_lshlrev_b32_e32 v41, 4, v41
	s_delay_alu instid0(VALU_DEP_2) | instskip(NEXT) | instid1(VALU_DEP_2)
	v_cmp_le_u32_e32 vcc_lo, v64, v36
	v_add_lshl_u32 v65, v41, v58, 2
	s_waitcnt lgkmcnt(0)
	v_cndmask_b32_e32 v39, 0, v39, vcc_lo
	v_cmp_le_u32_e32 vcc_lo, v66, v36
	s_delay_alu instid0(VALU_DEP_2) | instskip(SKIP_3) | instid1(VALU_DEP_1)
	v_add_nc_u32_e32 v38, v38, v39
	ds_bpermute_b32 v39, v65, v38
	s_waitcnt lgkmcnt(0)
	v_cndmask_b32_e32 v36, 0, v39, vcc_lo
	v_dual_mov_b32 v38, 0 :: v_dual_add_nc_u32 v39, v38, v36
	s_branch .LBB61_117
.LBB61_116:                             ;   in Loop: Header=BB61_117 Depth=1
	s_or_b32 exec_lo, exec_lo, s19
	ds_bpermute_b32 v42, v47, v39
	v_and_b32_e32 v41, 0xff, v40
	v_subrev_nc_u32_e32 v37, 32, v37
	s_delay_alu instid0(VALU_DEP_2) | instskip(SKIP_1) | instid1(VALU_DEP_1)
	v_cmp_eq_u16_e32 vcc_lo, 2, v41
	v_and_or_b32 v41, vcc_lo, v49, 0x80000000
	v_ctz_i32_b32_e32 v41, v41
	s_delay_alu instid0(VALU_DEP_1) | instskip(SKIP_3) | instid1(VALU_DEP_2)
	v_cmp_lt_u32_e32 vcc_lo, v58, v41
	s_waitcnt lgkmcnt(0)
	v_cndmask_b32_e32 v42, 0, v42, vcc_lo
	v_cmp_le_u32_e32 vcc_lo, v53, v41
	v_add_nc_u32_e32 v39, v42, v39
	ds_bpermute_b32 v42, v51, v39
	s_waitcnt lgkmcnt(0)
	v_cndmask_b32_e32 v42, 0, v42, vcc_lo
	v_cmp_le_u32_e32 vcc_lo, v62, v41
	s_delay_alu instid0(VALU_DEP_2) | instskip(SKIP_4) | instid1(VALU_DEP_2)
	v_add_nc_u32_e32 v39, v39, v42
	ds_bpermute_b32 v42, v61, v39
	s_waitcnt lgkmcnt(0)
	v_cndmask_b32_e32 v42, 0, v42, vcc_lo
	v_cmp_le_u32_e32 vcc_lo, v64, v41
	v_add_nc_u32_e32 v39, v39, v42
	ds_bpermute_b32 v42, v63, v39
	s_waitcnt lgkmcnt(0)
	v_cndmask_b32_e32 v42, 0, v42, vcc_lo
	v_cmp_le_u32_e32 vcc_lo, v66, v41
	s_delay_alu instid0(VALU_DEP_2) | instskip(SKIP_3) | instid1(VALU_DEP_1)
	v_add_nc_u32_e32 v39, v39, v42
	ds_bpermute_b32 v42, v65, v39
	s_waitcnt lgkmcnt(0)
	v_cndmask_b32_e32 v41, 0, v42, vcc_lo
	v_add3_u32 v39, v41, v36, v39
.LBB61_117:                             ; =>This Loop Header: Depth=1
                                        ;     Child Loop BB61_120 Depth 2
                                        ;       Child Loop BB61_121 Depth 3
	v_and_b32_e32 v36, 0xff, v40
	s_delay_alu instid0(VALU_DEP_1) | instskip(SKIP_2) | instid1(VALU_DEP_1)
	v_cmp_ne_u16_e32 vcc_lo, 2, v36
	v_cndmask_b32_e64 v36, 0, 1, vcc_lo
	;;#ASMSTART
	;;#ASMEND
	v_cmp_ne_u32_e32 vcc_lo, 0, v36
	v_mov_b32_e32 v36, v39
	s_cmp_lg_u32 vcc_lo, exec_lo
	s_cbranch_scc1 .LBB61_124
; %bb.118:                              ;   in Loop: Header=BB61_117 Depth=1
	v_lshlrev_b64 v[39:40], 3, v[37:38]
	s_mov_b32 s19, exec_lo
	s_delay_alu instid0(VALU_DEP_1) | instskip(NEXT) | instid1(VALU_DEP_2)
	v_add_co_u32 v41, vcc_lo, s16, v39
	v_add_co_ci_u32_e32 v42, vcc_lo, s17, v40, vcc_lo
	global_load_b64 v[39:40], v[41:42], off glc
	s_waitcnt vmcnt(0)
	v_and_b32_e32 v67, 0xff, v40
	s_delay_alu instid0(VALU_DEP_1)
	v_cmpx_eq_u16_e32 0, v67
	s_cbranch_execz .LBB61_116
; %bb.119:                              ;   in Loop: Header=BB61_117 Depth=1
	s_mov_b32 s21, 1
	s_mov_b32 s20, 0
	.p2align	6
.LBB61_120:                             ;   Parent Loop BB61_117 Depth=1
                                        ; =>  This Loop Header: Depth=2
                                        ;       Child Loop BB61_121 Depth 3
	s_max_u32 s25, s21, 1
.LBB61_121:                             ;   Parent Loop BB61_117 Depth=1
                                        ;     Parent Loop BB61_120 Depth=2
                                        ; =>    This Inner Loop Header: Depth=3
	s_delay_alu instid0(SALU_CYCLE_1)
	s_add_i32 s25, s25, -1
	s_sleep 1
	s_cmp_eq_u32 s25, 0
	s_cbranch_scc0 .LBB61_121
; %bb.122:                              ;   in Loop: Header=BB61_120 Depth=2
	global_load_b64 v[39:40], v[41:42], off glc
	s_cmp_lt_u32 s21, 32
	s_cselect_b32 s25, -1, 0
	s_delay_alu instid0(SALU_CYCLE_1) | instskip(SKIP_3) | instid1(VALU_DEP_1)
	s_cmp_lg_u32 s25, 0
	s_addc_u32 s21, s21, 0
	s_waitcnt vmcnt(0)
	v_and_b32_e32 v67, 0xff, v40
	v_cmp_ne_u16_e32 vcc_lo, 0, v67
	s_or_b32 s20, vcc_lo, s20
	s_delay_alu instid0(SALU_CYCLE_1)
	s_and_not1_b32 exec_lo, exec_lo, s20
	s_cbranch_execnz .LBB61_120
; %bb.123:                              ;   in Loop: Header=BB61_117 Depth=1
	s_or_b32 exec_lo, exec_lo, s20
	s_branch .LBB61_116
.LBB61_124:                             ;   in Loop: Header=BB61_117 Depth=1
                                        ; implicit-def: $vgpr39
                                        ; implicit-def: $vgpr40
	s_cbranch_execz .LBB61_117
; %bb.125:
	s_and_saveexec_b32 s19, s7
	s_cbranch_execz .LBB61_127
; %bb.126:
	s_add_i32 s20, s24, 32
	s_mov_b32 s21, 0
	v_dual_mov_b32 v38, 2 :: v_dual_add_nc_u32 v37, v36, v35
	s_lshl_b64 s[20:21], s[20:21], 3
	v_mov_b32_e32 v39, 0
	s_add_u32 s20, s16, s20
	s_addc_u32 s21, s17, s21
	global_store_b64 v39, v[37:38], s[20:21]
	ds_store_b64 v39, v[35:36] offset:33792
.LBB61_127:
	s_or_b32 exec_lo, exec_lo, s19
	s_delay_alu instid0(SALU_CYCLE_1)
	s_and_b32 exec_lo, exec_lo, s2
	s_cbranch_execz .LBB61_129
; %bb.128:
	v_mov_b32_e32 v35, 0
	ds_store_b32 v35, v36 offset:60
.LBB61_129:
	s_or_b32 exec_lo, exec_lo, s18
	v_mov_b32_e32 v35, 0
	s_waitcnt lgkmcnt(0)
	s_waitcnt_vscnt null, 0x0
	s_barrier
	buffer_gl0_inv
	v_cndmask_b32_e64 v37, v45, v43, s7
	ds_load_b32 v36, v35 offset:60
	s_waitcnt lgkmcnt(0)
	s_barrier
	buffer_gl0_inv
	v_cndmask_b32_e64 v37, v37, 0, s2
	s_delay_alu instid0(VALU_DEP_1) | instskip(SKIP_2) | instid1(VALU_DEP_1)
	v_add_nc_u32_e32 v53, v36, v37
	ds_load_b64 v[35:36], v35 offset:33792
	v_add_nc_u32_e32 v51, v53, v44
	v_add_nc_u32_e32 v49, v51, v46
	s_delay_alu instid0(VALU_DEP_1) | instskip(NEXT) | instid1(VALU_DEP_1)
	v_add_nc_u32_e32 v47, v49, v48
	v_add_nc_u32_e32 v45, v47, v50
	s_waitcnt lgkmcnt(0)
	v_readfirstlane_b32 s18, v36
	s_delay_alu instid0(VALU_DEP_2) | instskip(NEXT) | instid1(VALU_DEP_1)
	v_add_nc_u32_e32 v43, v45, v52
	v_add_nc_u32_e32 v41, v43, v54
	s_delay_alu instid0(VALU_DEP_1)
	v_add_nc_u32_e32 v39, v41, v57
	v_lshrrev_b64 v[37:38], 24, v[33:34]
	s_branch .LBB61_140
.LBB61_130:
                                        ; implicit-def: $vgpr39
                                        ; implicit-def: $vgpr41
                                        ; implicit-def: $vgpr43
                                        ; implicit-def: $vgpr45
                                        ; implicit-def: $vgpr47
                                        ; implicit-def: $vgpr49
                                        ; implicit-def: $vgpr51
                                        ; implicit-def: $vgpr53
                                        ; implicit-def: $sgpr18
                                        ; implicit-def: $vgpr35
	v_lshrrev_b64 v[37:38], 24, v[33:34]
	s_and_b32 vcc_lo, exec_lo, s7
	s_cbranch_vccz .LBB61_140
; %bb.131:
	v_mov_b32_dpp v35, v60 row_shr:1 row_mask:0xf bank_mask:0xf
	s_delay_alu instid0(VALU_DEP_1) | instskip(NEXT) | instid1(VALU_DEP_1)
	v_cndmask_b32_e64 v35, v35, 0, s3
	v_add_nc_u32_e32 v35, v35, v60
	s_delay_alu instid0(VALU_DEP_1) | instskip(NEXT) | instid1(VALU_DEP_1)
	v_mov_b32_dpp v36, v35 row_shr:2 row_mask:0xf bank_mask:0xf
	v_cndmask_b32_e64 v36, 0, v36, s0
	s_delay_alu instid0(VALU_DEP_1) | instskip(NEXT) | instid1(VALU_DEP_1)
	v_add_nc_u32_e32 v35, v35, v36
	v_mov_b32_dpp v36, v35 row_shr:4 row_mask:0xf bank_mask:0xf
	s_delay_alu instid0(VALU_DEP_1) | instskip(NEXT) | instid1(VALU_DEP_1)
	v_cndmask_b32_e64 v36, 0, v36, s4
	v_add_nc_u32_e32 v35, v35, v36
	s_delay_alu instid0(VALU_DEP_1) | instskip(NEXT) | instid1(VALU_DEP_1)
	v_mov_b32_dpp v36, v35 row_shr:8 row_mask:0xf bank_mask:0xf
	v_cndmask_b32_e64 v36, 0, v36, s1
	s_delay_alu instid0(VALU_DEP_1) | instskip(SKIP_3) | instid1(VALU_DEP_1)
	v_add_nc_u32_e32 v35, v35, v36
	ds_swizzle_b32 v36, v35 offset:swizzle(BROADCAST,32,15)
	s_waitcnt lgkmcnt(0)
	v_cndmask_b32_e64 v36, v36, 0, s6
	v_add_nc_u32_e32 v35, v35, v36
	s_and_saveexec_b32 s6, s5
	s_cbranch_execz .LBB61_133
; %bb.132:
	v_lshlrev_b32_e32 v36, 2, v59
	ds_store_b32 v36, v35
.LBB61_133:
	s_or_b32 exec_lo, exec_lo, s6
	s_delay_alu instid0(SALU_CYCLE_1)
	s_mov_b32 s5, exec_lo
	s_waitcnt lgkmcnt(0)
	s_barrier
	buffer_gl0_inv
	v_cmpx_gt_u32_e32 16, v0
	s_cbranch_execz .LBB61_135
; %bb.134:
	v_lshlrev_b32_e32 v36, 2, v0
	ds_load_b32 v38, v36
	s_waitcnt lgkmcnt(0)
	v_mov_b32_dpp v39, v38 row_shr:1 row_mask:0xf bank_mask:0xf
	s_delay_alu instid0(VALU_DEP_1) | instskip(NEXT) | instid1(VALU_DEP_1)
	v_cndmask_b32_e64 v39, v39, 0, s3
	v_add_nc_u32_e32 v38, v39, v38
	s_delay_alu instid0(VALU_DEP_1) | instskip(NEXT) | instid1(VALU_DEP_1)
	v_mov_b32_dpp v39, v38 row_shr:2 row_mask:0xf bank_mask:0xf
	v_cndmask_b32_e64 v39, 0, v39, s0
	s_delay_alu instid0(VALU_DEP_1) | instskip(NEXT) | instid1(VALU_DEP_1)
	v_add_nc_u32_e32 v38, v38, v39
	v_mov_b32_dpp v39, v38 row_shr:4 row_mask:0xf bank_mask:0xf
	s_delay_alu instid0(VALU_DEP_1) | instskip(NEXT) | instid1(VALU_DEP_1)
	v_cndmask_b32_e64 v39, 0, v39, s4
	v_add_nc_u32_e32 v38, v38, v39
	s_delay_alu instid0(VALU_DEP_1) | instskip(NEXT) | instid1(VALU_DEP_1)
	v_mov_b32_dpp v39, v38 row_shr:8 row_mask:0xf bank_mask:0xf
	v_cndmask_b32_e64 v39, 0, v39, s1
	s_delay_alu instid0(VALU_DEP_1)
	v_add_nc_u32_e32 v38, v38, v39
	ds_store_b32 v36, v38
.LBB61_135:
	s_or_b32 exec_lo, exec_lo, s5
	v_mov_b32_e32 v36, 0
	v_mov_b32_e32 v38, 0
	s_mov_b32 s0, exec_lo
	s_waitcnt lgkmcnt(0)
	s_barrier
	buffer_gl0_inv
	v_cmpx_lt_u32_e32 31, v0
	s_cbranch_execz .LBB61_137
; %bb.136:
	v_lshl_add_u32 v38, v59, 2, -4
	ds_load_b32 v38, v38
.LBB61_137:
	s_or_b32 exec_lo, exec_lo, s0
	v_add_nc_u32_e32 v39, -1, v58
	s_waitcnt lgkmcnt(0)
	v_add_nc_u32_e32 v35, v38, v35
	s_mov_b32 s18, 0
	s_delay_alu instid0(VALU_DEP_2) | instskip(SKIP_1) | instid1(VALU_DEP_1)
	v_cmp_gt_i32_e32 vcc_lo, 0, v39
	v_cndmask_b32_e32 v39, v39, v58, vcc_lo
	v_lshlrev_b32_e32 v39, 2, v39
	ds_bpermute_b32 v39, v39, v35
	ds_load_b32 v35, v36 offset:60
	s_and_saveexec_b32 s0, s2
	s_cbranch_execz .LBB61_139
; %bb.138:
	v_mov_b32_e32 v40, 0
	v_mov_b32_e32 v36, 2
	s_waitcnt lgkmcnt(0)
	global_store_b64 v40, v[35:36], s[16:17] offset:256
.LBB61_139:
	s_or_b32 exec_lo, exec_lo, s0
	v_cmp_eq_u32_e32 vcc_lo, 0, v58
	s_waitcnt lgkmcnt(0)
	s_waitcnt_vscnt null, 0x0
	s_barrier
	buffer_gl0_inv
	v_cndmask_b32_e32 v36, v39, v38, vcc_lo
	s_delay_alu instid0(VALU_DEP_1) | instskip(NEXT) | instid1(VALU_DEP_1)
	v_cndmask_b32_e64 v53, v36, 0, s2
	v_add_nc_u32_e32 v51, v53, v44
	s_delay_alu instid0(VALU_DEP_1) | instskip(NEXT) | instid1(VALU_DEP_1)
	v_add_nc_u32_e32 v49, v51, v46
	v_add_nc_u32_e32 v47, v49, v48
	s_delay_alu instid0(VALU_DEP_1) | instskip(NEXT) | instid1(VALU_DEP_1)
	v_add_nc_u32_e32 v45, v47, v50
	;; [unrolled: 3-line block ×3, first 2 shown]
	v_add_nc_u32_e32 v39, v41, v57
.LBB61_140:
	v_add_nc_u32_e32 v59, s18, v35
	v_cmp_gt_u32_e64 s0, 0x201, v35
	v_lshrrev_b32_e32 v58, 8, v33
	v_lshrrev_b32_e32 v57, 16, v33
	;; [unrolled: 1-line block ×4, first 2 shown]
	v_cmp_lt_u32_e64 s1, v53, v59
	s_and_b32 vcc_lo, exec_lo, s0
	s_mov_b32 s3, -1
	s_cbranch_vccz .LBB61_166
; %bb.141:
	s_lshl_b64 s[4:5], s[10:11], 3
	s_delay_alu instid0(SALU_CYCLE_1) | instskip(SKIP_2) | instid1(SALU_CYCLE_1)
	s_add_u32 s3, s12, s4
	s_addc_u32 s4, s13, s5
	s_or_b32 s5, s23, s1
	s_and_saveexec_b32 s1, s5
	s_cbranch_execz .LBB61_144
; %bb.142:
	v_and_b32_e32 v40, 1, v33
	s_delay_alu instid0(VALU_DEP_1)
	v_cmp_eq_u32_e32 vcc_lo, 1, v40
	s_and_b32 exec_lo, exec_lo, vcc_lo
	s_cbranch_execz .LBB61_144
; %bb.143:
	v_mov_b32_e32 v54, 0
	s_delay_alu instid0(VALU_DEP_1) | instskip(NEXT) | instid1(VALU_DEP_1)
	v_lshlrev_b64 v[60:61], 3, v[53:54]
	v_add_co_u32 v60, vcc_lo, s3, v60
	s_delay_alu instid0(VALU_DEP_2)
	v_add_co_ci_u32_e32 v61, vcc_lo, s4, v61, vcc_lo
	global_store_b64 v[60:61], v[29:30], off
.LBB61_144:
	s_or_b32 exec_lo, exec_lo, s1
	v_cmp_lt_u32_e32 vcc_lo, v51, v59
	s_or_b32 s5, s23, vcc_lo
	s_delay_alu instid0(SALU_CYCLE_1)
	s_and_saveexec_b32 s1, s5
	s_cbranch_execz .LBB61_147
; %bb.145:
	v_and_b32_e32 v40, 1, v58
	s_delay_alu instid0(VALU_DEP_1)
	v_cmp_eq_u32_e32 vcc_lo, 1, v40
	s_and_b32 exec_lo, exec_lo, vcc_lo
	s_cbranch_execz .LBB61_147
; %bb.146:
	v_mov_b32_e32 v52, 0
	s_delay_alu instid0(VALU_DEP_1) | instskip(NEXT) | instid1(VALU_DEP_1)
	v_lshlrev_b64 v[60:61], 3, v[51:52]
	v_add_co_u32 v60, vcc_lo, s3, v60
	s_delay_alu instid0(VALU_DEP_2)
	v_add_co_ci_u32_e32 v61, vcc_lo, s4, v61, vcc_lo
	global_store_b64 v[60:61], v[31:32], off
.LBB61_147:
	s_or_b32 exec_lo, exec_lo, s1
	v_cmp_lt_u32_e32 vcc_lo, v49, v59
	s_or_b32 s5, s23, vcc_lo
	s_delay_alu instid0(SALU_CYCLE_1)
	;; [unrolled: 21-line block ×7, first 2 shown]
	s_and_saveexec_b32 s1, s5
	s_cbranch_execz .LBB61_165
; %bb.163:
	v_and_b32_e32 v40, 1, v56
	s_delay_alu instid0(VALU_DEP_1)
	v_cmp_eq_u32_e32 vcc_lo, 1, v40
	s_and_b32 exec_lo, exec_lo, vcc_lo
	s_cbranch_execz .LBB61_165
; %bb.164:
	v_mov_b32_e32 v40, 0
	s_delay_alu instid0(VALU_DEP_1) | instskip(NEXT) | instid1(VALU_DEP_1)
	v_lshlrev_b64 v[60:61], 3, v[39:40]
	v_add_co_u32 v60, vcc_lo, s3, v60
	s_delay_alu instid0(VALU_DEP_2)
	v_add_co_ci_u32_e32 v61, vcc_lo, s4, v61, vcc_lo
	global_store_b64 v[60:61], v[19:20], off
.LBB61_165:
	s_or_b32 exec_lo, exec_lo, s1
	s_mov_b32 s3, 0
.LBB61_166:
	v_and_b32_e32 v33, 1, v33
	s_and_b32 vcc_lo, exec_lo, s3
	s_delay_alu instid0(VALU_DEP_1)
	v_cmp_eq_u32_e64 s1, 1, v33
	s_cbranch_vccz .LBB61_187
; %bb.167:
	s_delay_alu instid0(VALU_DEP_1)
	s_and_saveexec_b32 s3, s1
	s_cbranch_execz .LBB61_169
; %bb.168:
	v_subrev_nc_u32_e32 v40, s18, v53
	s_delay_alu instid0(VALU_DEP_1)
	v_lshlrev_b32_e32 v40, 3, v40
	ds_store_b64 v40, v[29:30]
.LBB61_169:
	s_or_b32 exec_lo, exec_lo, s3
	v_and_b32_e32 v29, 1, v58
	s_mov_b32 s1, exec_lo
	s_delay_alu instid0(VALU_DEP_1)
	v_cmpx_eq_u32_e32 1, v29
	s_cbranch_execz .LBB61_171
; %bb.170:
	v_subrev_nc_u32_e32 v29, s18, v51
	s_delay_alu instid0(VALU_DEP_1)
	v_lshlrev_b32_e32 v29, 3, v29
	ds_store_b64 v29, v[31:32]
.LBB61_171:
	s_or_b32 exec_lo, exec_lo, s1
	v_and_b32_e32 v29, 1, v57
	s_mov_b32 s1, exec_lo
	s_delay_alu instid0(VALU_DEP_1)
	v_cmpx_eq_u32_e32 1, v29
	;; [unrolled: 12-line block ×7, first 2 shown]
	s_cbranch_execz .LBB61_183
; %bb.182:
	v_subrev_nc_u32_e32 v17, s18, v39
	s_delay_alu instid0(VALU_DEP_1)
	v_lshlrev_b32_e32 v17, 3, v17
	ds_store_b64 v17, v[19:20]
.LBB61_183:
	s_or_b32 exec_lo, exec_lo, s1
	s_delay_alu instid0(SALU_CYCLE_1)
	s_mov_b32 s3, exec_lo
	s_waitcnt lgkmcnt(0)
	s_waitcnt_vscnt null, 0x0
	s_barrier
	buffer_gl0_inv
	v_cmpx_lt_u32_e64 v0, v35
	s_cbranch_execz .LBB61_186
; %bb.184:
	s_mov_b32 s19, 0
	s_lshl_b64 s[4:5], s[10:11], 3
	s_lshl_b64 s[6:7], s[18:19], 3
	v_dual_mov_b32 v19, v55 :: v_dual_mov_b32 v20, v0
	s_add_u32 s1, s4, s6
	s_addc_u32 s4, s5, s7
	s_add_u32 s1, s12, s1
	s_addc_u32 s4, s13, s4
	v_add_co_u32 v17, s1, s1, v55
	s_delay_alu instid0(VALU_DEP_1)
	v_add_co_ci_u32_e64 v18, null, s4, 0, s1
	.p2align	6
.LBB61_185:                             ; =>This Inner Loop Header: Depth=1
	ds_load_b64 v[21:22], v19
	v_add_nc_u32_e32 v20, 0x200, v20
	v_add_nc_u32_e32 v19, 0x1000, v19
	s_delay_alu instid0(VALU_DEP_2) | instskip(SKIP_4) | instid1(VALU_DEP_1)
	v_cmp_ge_u32_e32 vcc_lo, v20, v35
	s_or_b32 s19, vcc_lo, s19
	s_waitcnt lgkmcnt(0)
	global_store_b64 v[17:18], v[21:22], off
	v_add_co_u32 v17, s1, 0x1000, v17
	v_add_co_ci_u32_e64 v18, s1, 0, v18, s1
	s_and_not1_b32 exec_lo, exec_lo, s19
	s_cbranch_execnz .LBB61_185
.LBB61_186:
	s_or_b32 exec_lo, exec_lo, s3
.LBB61_187:
	s_delay_alu instid0(SALU_CYCLE_1)
	s_and_b32 vcc_lo, exec_lo, s0
	s_mov_b32 s0, -1
	s_waitcnt_vscnt null, 0x0
	s_barrier
	buffer_gl0_inv
	s_cbranch_vccz .LBB61_215
; %bb.188:
	v_cmp_lt_u32_e32 vcc_lo, v53, v59
	s_lshl_b64 s[0:1], s[10:11], 3
	s_delay_alu instid0(SALU_CYCLE_1) | instskip(SKIP_2) | instid1(SALU_CYCLE_1)
	s_add_u32 s0, s14, s0
	s_addc_u32 s1, s15, s1
	s_or_b32 s4, s23, vcc_lo
	s_and_saveexec_b32 s3, s4
	s_cbranch_execz .LBB61_191
; %bb.189:
	v_cmp_eq_u32_e32 vcc_lo, 1, v33
	s_and_b32 exec_lo, exec_lo, vcc_lo
	s_cbranch_execz .LBB61_191
; %bb.190:
	v_mov_b32_e32 v54, 0
	s_delay_alu instid0(VALU_DEP_1) | instskip(NEXT) | instid1(VALU_DEP_1)
	v_lshlrev_b64 v[17:18], 3, v[53:54]
	v_add_co_u32 v17, vcc_lo, s0, v17
	s_delay_alu instid0(VALU_DEP_2)
	v_add_co_ci_u32_e32 v18, vcc_lo, s1, v18, vcc_lo
	global_store_b64 v[17:18], v[13:14], off
.LBB61_191:
	s_or_b32 exec_lo, exec_lo, s3
	v_cmp_lt_u32_e32 vcc_lo, v51, v59
	s_or_b32 s4, s23, vcc_lo
	s_delay_alu instid0(SALU_CYCLE_1)
	s_and_saveexec_b32 s3, s4
	s_cbranch_execz .LBB61_194
; %bb.192:
	v_and_b32_e32 v17, 1, v58
	s_delay_alu instid0(VALU_DEP_1)
	v_cmp_eq_u32_e32 vcc_lo, 1, v17
	s_and_b32 exec_lo, exec_lo, vcc_lo
	s_cbranch_execz .LBB61_194
; %bb.193:
	v_mov_b32_e32 v52, 0
	s_delay_alu instid0(VALU_DEP_1) | instskip(NEXT) | instid1(VALU_DEP_1)
	v_lshlrev_b64 v[17:18], 3, v[51:52]
	v_add_co_u32 v17, vcc_lo, s0, v17
	s_delay_alu instid0(VALU_DEP_2)
	v_add_co_ci_u32_e32 v18, vcc_lo, s1, v18, vcc_lo
	global_store_b64 v[17:18], v[15:16], off
.LBB61_194:
	s_or_b32 exec_lo, exec_lo, s3
	v_cmp_lt_u32_e32 vcc_lo, v49, v59
	s_or_b32 s4, s23, vcc_lo
	s_delay_alu instid0(SALU_CYCLE_1)
	s_and_saveexec_b32 s3, s4
	s_cbranch_execz .LBB61_197
; %bb.195:
	v_and_b32_e32 v17, 1, v57
	s_delay_alu instid0(VALU_DEP_1)
	v_cmp_eq_u32_e32 vcc_lo, 1, v17
	s_and_b32 exec_lo, exec_lo, vcc_lo
	s_cbranch_execz .LBB61_197
; %bb.196:
	v_mov_b32_e32 v50, 0
	s_delay_alu instid0(VALU_DEP_1) | instskip(NEXT) | instid1(VALU_DEP_1)
	v_lshlrev_b64 v[17:18], 3, v[49:50]
	v_add_co_u32 v17, vcc_lo, s0, v17
	s_delay_alu instid0(VALU_DEP_2)
	v_add_co_ci_u32_e32 v18, vcc_lo, s1, v18, vcc_lo
	global_store_b64 v[17:18], v[9:10], off
.LBB61_197:
	;; [unrolled: 21-line block ×7, first 2 shown]
	s_or_b32 exec_lo, exec_lo, s3
.LBB61_213:
	s_and_b32 s0, s2, s22
	s_delay_alu instid0(SALU_CYCLE_1)
	s_and_saveexec_b32 s1, s0
	s_cbranch_execz .LBB61_236
.LBB61_214:
	v_add_co_u32 v0, s0, s10, v35
	s_delay_alu instid0(VALU_DEP_1) | instskip(SKIP_1) | instid1(VALU_DEP_3)
	v_add_co_ci_u32_e64 v1, null, s11, 0, s0
	v_mov_b32_e32 v2, 0
	v_add_co_u32 v0, vcc_lo, v0, s18
	s_delay_alu instid0(VALU_DEP_3)
	v_add_co_ci_u32_e32 v1, vcc_lo, 0, v1, vcc_lo
	global_store_b64 v2, v[0:1], s[8:9]
	s_nop 0
	s_sendmsg sendmsg(MSG_DEALLOC_VGPRS)
	s_endpgm
.LBB61_215:
	s_and_b32 vcc_lo, exec_lo, s0
	s_cbranch_vccz .LBB61_213
; %bb.216:
	s_mov_b32 s0, exec_lo
	v_cmpx_eq_u32_e32 1, v33
	s_cbranch_execz .LBB61_218
; %bb.217:
	v_subrev_nc_u32_e32 v17, s18, v53
	s_delay_alu instid0(VALU_DEP_1)
	v_lshlrev_b32_e32 v17, 3, v17
	ds_store_b64 v17, v[13:14]
.LBB61_218:
	s_or_b32 exec_lo, exec_lo, s0
	v_and_b32_e32 v13, 1, v58
	s_mov_b32 s0, exec_lo
	s_delay_alu instid0(VALU_DEP_1)
	v_cmpx_eq_u32_e32 1, v13
	s_cbranch_execz .LBB61_220
; %bb.219:
	v_subrev_nc_u32_e32 v13, s18, v51
	s_delay_alu instid0(VALU_DEP_1)
	v_lshlrev_b32_e32 v13, 3, v13
	ds_store_b64 v13, v[15:16]
.LBB61_220:
	s_or_b32 exec_lo, exec_lo, s0
	v_and_b32_e32 v13, 1, v57
	s_mov_b32 s0, exec_lo
	s_delay_alu instid0(VALU_DEP_1)
	;; [unrolled: 12-line block ×7, first 2 shown]
	v_cmpx_eq_u32_e32 1, v1
	s_cbranch_execz .LBB61_232
; %bb.231:
	v_subrev_nc_u32_e32 v1, s18, v39
	s_delay_alu instid0(VALU_DEP_1)
	v_lshlrev_b32_e32 v1, 3, v1
	ds_store_b64 v1, v[3:4]
.LBB61_232:
	s_or_b32 exec_lo, exec_lo, s0
	s_delay_alu instid0(SALU_CYCLE_1)
	s_mov_b32 s1, exec_lo
	s_waitcnt lgkmcnt(0)
	s_waitcnt_vscnt null, 0x0
	s_barrier
	buffer_gl0_inv
	v_cmpx_lt_u32_e64 v0, v35
	s_cbranch_execz .LBB61_235
; %bb.233:
	s_mov_b32 s19, 0
	s_lshl_b64 s[4:5], s[10:11], 3
	s_lshl_b64 s[6:7], s[18:19], 3
	s_delay_alu instid0(SALU_CYCLE_1) | instskip(SKIP_4) | instid1(VALU_DEP_1)
	s_add_u32 s0, s4, s6
	s_addc_u32 s3, s5, s7
	s_add_u32 s0, s14, s0
	s_addc_u32 s3, s15, s3
	v_add_co_u32 v1, s0, s0, v55
	v_add_co_ci_u32_e64 v2, null, s3, 0, s0
	.p2align	6
.LBB61_234:                             ; =>This Inner Loop Header: Depth=1
	ds_load_b64 v[3:4], v55
	v_add_nc_u32_e32 v0, 0x200, v0
	v_add_nc_u32_e32 v55, 0x1000, v55
	s_delay_alu instid0(VALU_DEP_2) | instskip(SKIP_4) | instid1(VALU_DEP_1)
	v_cmp_ge_u32_e32 vcc_lo, v0, v35
	s_or_b32 s19, vcc_lo, s19
	s_waitcnt lgkmcnt(0)
	global_store_b64 v[1:2], v[3:4], off
	v_add_co_u32 v1, s0, 0x1000, v1
	v_add_co_ci_u32_e64 v2, s0, 0, v2, s0
	s_and_not1_b32 exec_lo, exec_lo, s19
	s_cbranch_execnz .LBB61_234
.LBB61_235:
	s_or_b32 exec_lo, exec_lo, s1
	s_and_b32 s0, s2, s22
	s_delay_alu instid0(SALU_CYCLE_1)
	s_and_saveexec_b32 s1, s0
	s_cbranch_execnz .LBB61_214
.LBB61_236:
	s_nop 0
	s_sendmsg sendmsg(MSG_DEALLOC_VGPRS)
	s_endpgm
	.section	.rodata,"a",@progbits
	.p2align	6, 0x0
	.amdhsa_kernel _ZN7rocprim17ROCPRIM_400000_NS6detail17trampoline_kernelINS0_14default_configENS1_25partition_config_selectorILNS1_17partition_subalgoE9EddbEEZZNS1_14partition_implILS5_9ELb0ES3_jN6thrust23THRUST_200600_302600_NS6detail15normal_iteratorINS9_10device_ptrIdEEEESE_PNS0_10empty_typeENS0_5tupleIJSE_SF_EEENSH_IJSE_SG_EEENS0_18inequality_wrapperI22is_equal_div_10_uniqueIdEEEPmJSF_EEE10hipError_tPvRmT3_T4_T5_T6_T7_T9_mT8_P12ihipStream_tbDpT10_ENKUlT_T0_E_clISt17integral_constantIbLb1EES18_EEDaS13_S14_EUlS13_E_NS1_11comp_targetILNS1_3genE9ELNS1_11target_archE1100ELNS1_3gpuE3ELNS1_3repE0EEENS1_30default_config_static_selectorELNS0_4arch9wavefront6targetE0EEEvT1_
		.amdhsa_group_segment_fixed_size 33800
		.amdhsa_private_segment_fixed_size 0
		.amdhsa_kernarg_size 128
		.amdhsa_user_sgpr_count 15
		.amdhsa_user_sgpr_dispatch_ptr 0
		.amdhsa_user_sgpr_queue_ptr 0
		.amdhsa_user_sgpr_kernarg_segment_ptr 1
		.amdhsa_user_sgpr_dispatch_id 0
		.amdhsa_user_sgpr_private_segment_size 0
		.amdhsa_wavefront_size32 1
		.amdhsa_uses_dynamic_stack 0
		.amdhsa_enable_private_segment 0
		.amdhsa_system_sgpr_workgroup_id_x 1
		.amdhsa_system_sgpr_workgroup_id_y 0
		.amdhsa_system_sgpr_workgroup_id_z 0
		.amdhsa_system_sgpr_workgroup_info 0
		.amdhsa_system_vgpr_workitem_id 0
		.amdhsa_next_free_vgpr 68
		.amdhsa_next_free_sgpr 29
		.amdhsa_reserve_vcc 1
		.amdhsa_float_round_mode_32 0
		.amdhsa_float_round_mode_16_64 0
		.amdhsa_float_denorm_mode_32 3
		.amdhsa_float_denorm_mode_16_64 3
		.amdhsa_dx10_clamp 1
		.amdhsa_ieee_mode 1
		.amdhsa_fp16_overflow 0
		.amdhsa_workgroup_processor_mode 1
		.amdhsa_memory_ordered 1
		.amdhsa_forward_progress 0
		.amdhsa_shared_vgpr_count 0
		.amdhsa_exception_fp_ieee_invalid_op 0
		.amdhsa_exception_fp_denorm_src 0
		.amdhsa_exception_fp_ieee_div_zero 0
		.amdhsa_exception_fp_ieee_overflow 0
		.amdhsa_exception_fp_ieee_underflow 0
		.amdhsa_exception_fp_ieee_inexact 0
		.amdhsa_exception_int_div_zero 0
	.end_amdhsa_kernel
	.section	.text._ZN7rocprim17ROCPRIM_400000_NS6detail17trampoline_kernelINS0_14default_configENS1_25partition_config_selectorILNS1_17partition_subalgoE9EddbEEZZNS1_14partition_implILS5_9ELb0ES3_jN6thrust23THRUST_200600_302600_NS6detail15normal_iteratorINS9_10device_ptrIdEEEESE_PNS0_10empty_typeENS0_5tupleIJSE_SF_EEENSH_IJSE_SG_EEENS0_18inequality_wrapperI22is_equal_div_10_uniqueIdEEEPmJSF_EEE10hipError_tPvRmT3_T4_T5_T6_T7_T9_mT8_P12ihipStream_tbDpT10_ENKUlT_T0_E_clISt17integral_constantIbLb1EES18_EEDaS13_S14_EUlS13_E_NS1_11comp_targetILNS1_3genE9ELNS1_11target_archE1100ELNS1_3gpuE3ELNS1_3repE0EEENS1_30default_config_static_selectorELNS0_4arch9wavefront6targetE0EEEvT1_,"axG",@progbits,_ZN7rocprim17ROCPRIM_400000_NS6detail17trampoline_kernelINS0_14default_configENS1_25partition_config_selectorILNS1_17partition_subalgoE9EddbEEZZNS1_14partition_implILS5_9ELb0ES3_jN6thrust23THRUST_200600_302600_NS6detail15normal_iteratorINS9_10device_ptrIdEEEESE_PNS0_10empty_typeENS0_5tupleIJSE_SF_EEENSH_IJSE_SG_EEENS0_18inequality_wrapperI22is_equal_div_10_uniqueIdEEEPmJSF_EEE10hipError_tPvRmT3_T4_T5_T6_T7_T9_mT8_P12ihipStream_tbDpT10_ENKUlT_T0_E_clISt17integral_constantIbLb1EES18_EEDaS13_S14_EUlS13_E_NS1_11comp_targetILNS1_3genE9ELNS1_11target_archE1100ELNS1_3gpuE3ELNS1_3repE0EEENS1_30default_config_static_selectorELNS0_4arch9wavefront6targetE0EEEvT1_,comdat
.Lfunc_end61:
	.size	_ZN7rocprim17ROCPRIM_400000_NS6detail17trampoline_kernelINS0_14default_configENS1_25partition_config_selectorILNS1_17partition_subalgoE9EddbEEZZNS1_14partition_implILS5_9ELb0ES3_jN6thrust23THRUST_200600_302600_NS6detail15normal_iteratorINS9_10device_ptrIdEEEESE_PNS0_10empty_typeENS0_5tupleIJSE_SF_EEENSH_IJSE_SG_EEENS0_18inequality_wrapperI22is_equal_div_10_uniqueIdEEEPmJSF_EEE10hipError_tPvRmT3_T4_T5_T6_T7_T9_mT8_P12ihipStream_tbDpT10_ENKUlT_T0_E_clISt17integral_constantIbLb1EES18_EEDaS13_S14_EUlS13_E_NS1_11comp_targetILNS1_3genE9ELNS1_11target_archE1100ELNS1_3gpuE3ELNS1_3repE0EEENS1_30default_config_static_selectorELNS0_4arch9wavefront6targetE0EEEvT1_, .Lfunc_end61-_ZN7rocprim17ROCPRIM_400000_NS6detail17trampoline_kernelINS0_14default_configENS1_25partition_config_selectorILNS1_17partition_subalgoE9EddbEEZZNS1_14partition_implILS5_9ELb0ES3_jN6thrust23THRUST_200600_302600_NS6detail15normal_iteratorINS9_10device_ptrIdEEEESE_PNS0_10empty_typeENS0_5tupleIJSE_SF_EEENSH_IJSE_SG_EEENS0_18inequality_wrapperI22is_equal_div_10_uniqueIdEEEPmJSF_EEE10hipError_tPvRmT3_T4_T5_T6_T7_T9_mT8_P12ihipStream_tbDpT10_ENKUlT_T0_E_clISt17integral_constantIbLb1EES18_EEDaS13_S14_EUlS13_E_NS1_11comp_targetILNS1_3genE9ELNS1_11target_archE1100ELNS1_3gpuE3ELNS1_3repE0EEENS1_30default_config_static_selectorELNS0_4arch9wavefront6targetE0EEEvT1_
                                        ; -- End function
	.section	.AMDGPU.csdata,"",@progbits
; Kernel info:
; codeLenInByte = 11216
; NumSgprs: 31
; NumVgprs: 68
; ScratchSize: 0
; MemoryBound: 0
; FloatMode: 240
; IeeeMode: 1
; LDSByteSize: 33800 bytes/workgroup (compile time only)
; SGPRBlocks: 3
; VGPRBlocks: 8
; NumSGPRsForWavesPerEU: 31
; NumVGPRsForWavesPerEU: 68
; Occupancy: 12
; WaveLimiterHint : 1
; COMPUTE_PGM_RSRC2:SCRATCH_EN: 0
; COMPUTE_PGM_RSRC2:USER_SGPR: 15
; COMPUTE_PGM_RSRC2:TRAP_HANDLER: 0
; COMPUTE_PGM_RSRC2:TGID_X_EN: 1
; COMPUTE_PGM_RSRC2:TGID_Y_EN: 0
; COMPUTE_PGM_RSRC2:TGID_Z_EN: 0
; COMPUTE_PGM_RSRC2:TIDIG_COMP_CNT: 0
	.section	.text._ZN7rocprim17ROCPRIM_400000_NS6detail17trampoline_kernelINS0_14default_configENS1_25partition_config_selectorILNS1_17partition_subalgoE9EddbEEZZNS1_14partition_implILS5_9ELb0ES3_jN6thrust23THRUST_200600_302600_NS6detail15normal_iteratorINS9_10device_ptrIdEEEESE_PNS0_10empty_typeENS0_5tupleIJSE_SF_EEENSH_IJSE_SG_EEENS0_18inequality_wrapperI22is_equal_div_10_uniqueIdEEEPmJSF_EEE10hipError_tPvRmT3_T4_T5_T6_T7_T9_mT8_P12ihipStream_tbDpT10_ENKUlT_T0_E_clISt17integral_constantIbLb1EES18_EEDaS13_S14_EUlS13_E_NS1_11comp_targetILNS1_3genE8ELNS1_11target_archE1030ELNS1_3gpuE2ELNS1_3repE0EEENS1_30default_config_static_selectorELNS0_4arch9wavefront6targetE0EEEvT1_,"axG",@progbits,_ZN7rocprim17ROCPRIM_400000_NS6detail17trampoline_kernelINS0_14default_configENS1_25partition_config_selectorILNS1_17partition_subalgoE9EddbEEZZNS1_14partition_implILS5_9ELb0ES3_jN6thrust23THRUST_200600_302600_NS6detail15normal_iteratorINS9_10device_ptrIdEEEESE_PNS0_10empty_typeENS0_5tupleIJSE_SF_EEENSH_IJSE_SG_EEENS0_18inequality_wrapperI22is_equal_div_10_uniqueIdEEEPmJSF_EEE10hipError_tPvRmT3_T4_T5_T6_T7_T9_mT8_P12ihipStream_tbDpT10_ENKUlT_T0_E_clISt17integral_constantIbLb1EES18_EEDaS13_S14_EUlS13_E_NS1_11comp_targetILNS1_3genE8ELNS1_11target_archE1030ELNS1_3gpuE2ELNS1_3repE0EEENS1_30default_config_static_selectorELNS0_4arch9wavefront6targetE0EEEvT1_,comdat
	.protected	_ZN7rocprim17ROCPRIM_400000_NS6detail17trampoline_kernelINS0_14default_configENS1_25partition_config_selectorILNS1_17partition_subalgoE9EddbEEZZNS1_14partition_implILS5_9ELb0ES3_jN6thrust23THRUST_200600_302600_NS6detail15normal_iteratorINS9_10device_ptrIdEEEESE_PNS0_10empty_typeENS0_5tupleIJSE_SF_EEENSH_IJSE_SG_EEENS0_18inequality_wrapperI22is_equal_div_10_uniqueIdEEEPmJSF_EEE10hipError_tPvRmT3_T4_T5_T6_T7_T9_mT8_P12ihipStream_tbDpT10_ENKUlT_T0_E_clISt17integral_constantIbLb1EES18_EEDaS13_S14_EUlS13_E_NS1_11comp_targetILNS1_3genE8ELNS1_11target_archE1030ELNS1_3gpuE2ELNS1_3repE0EEENS1_30default_config_static_selectorELNS0_4arch9wavefront6targetE0EEEvT1_ ; -- Begin function _ZN7rocprim17ROCPRIM_400000_NS6detail17trampoline_kernelINS0_14default_configENS1_25partition_config_selectorILNS1_17partition_subalgoE9EddbEEZZNS1_14partition_implILS5_9ELb0ES3_jN6thrust23THRUST_200600_302600_NS6detail15normal_iteratorINS9_10device_ptrIdEEEESE_PNS0_10empty_typeENS0_5tupleIJSE_SF_EEENSH_IJSE_SG_EEENS0_18inequality_wrapperI22is_equal_div_10_uniqueIdEEEPmJSF_EEE10hipError_tPvRmT3_T4_T5_T6_T7_T9_mT8_P12ihipStream_tbDpT10_ENKUlT_T0_E_clISt17integral_constantIbLb1EES18_EEDaS13_S14_EUlS13_E_NS1_11comp_targetILNS1_3genE8ELNS1_11target_archE1030ELNS1_3gpuE2ELNS1_3repE0EEENS1_30default_config_static_selectorELNS0_4arch9wavefront6targetE0EEEvT1_
	.globl	_ZN7rocprim17ROCPRIM_400000_NS6detail17trampoline_kernelINS0_14default_configENS1_25partition_config_selectorILNS1_17partition_subalgoE9EddbEEZZNS1_14partition_implILS5_9ELb0ES3_jN6thrust23THRUST_200600_302600_NS6detail15normal_iteratorINS9_10device_ptrIdEEEESE_PNS0_10empty_typeENS0_5tupleIJSE_SF_EEENSH_IJSE_SG_EEENS0_18inequality_wrapperI22is_equal_div_10_uniqueIdEEEPmJSF_EEE10hipError_tPvRmT3_T4_T5_T6_T7_T9_mT8_P12ihipStream_tbDpT10_ENKUlT_T0_E_clISt17integral_constantIbLb1EES18_EEDaS13_S14_EUlS13_E_NS1_11comp_targetILNS1_3genE8ELNS1_11target_archE1030ELNS1_3gpuE2ELNS1_3repE0EEENS1_30default_config_static_selectorELNS0_4arch9wavefront6targetE0EEEvT1_
	.p2align	8
	.type	_ZN7rocprim17ROCPRIM_400000_NS6detail17trampoline_kernelINS0_14default_configENS1_25partition_config_selectorILNS1_17partition_subalgoE9EddbEEZZNS1_14partition_implILS5_9ELb0ES3_jN6thrust23THRUST_200600_302600_NS6detail15normal_iteratorINS9_10device_ptrIdEEEESE_PNS0_10empty_typeENS0_5tupleIJSE_SF_EEENSH_IJSE_SG_EEENS0_18inequality_wrapperI22is_equal_div_10_uniqueIdEEEPmJSF_EEE10hipError_tPvRmT3_T4_T5_T6_T7_T9_mT8_P12ihipStream_tbDpT10_ENKUlT_T0_E_clISt17integral_constantIbLb1EES18_EEDaS13_S14_EUlS13_E_NS1_11comp_targetILNS1_3genE8ELNS1_11target_archE1030ELNS1_3gpuE2ELNS1_3repE0EEENS1_30default_config_static_selectorELNS0_4arch9wavefront6targetE0EEEvT1_,@function
_ZN7rocprim17ROCPRIM_400000_NS6detail17trampoline_kernelINS0_14default_configENS1_25partition_config_selectorILNS1_17partition_subalgoE9EddbEEZZNS1_14partition_implILS5_9ELb0ES3_jN6thrust23THRUST_200600_302600_NS6detail15normal_iteratorINS9_10device_ptrIdEEEESE_PNS0_10empty_typeENS0_5tupleIJSE_SF_EEENSH_IJSE_SG_EEENS0_18inequality_wrapperI22is_equal_div_10_uniqueIdEEEPmJSF_EEE10hipError_tPvRmT3_T4_T5_T6_T7_T9_mT8_P12ihipStream_tbDpT10_ENKUlT_T0_E_clISt17integral_constantIbLb1EES18_EEDaS13_S14_EUlS13_E_NS1_11comp_targetILNS1_3genE8ELNS1_11target_archE1030ELNS1_3gpuE2ELNS1_3repE0EEENS1_30default_config_static_selectorELNS0_4arch9wavefront6targetE0EEEvT1_: ; @_ZN7rocprim17ROCPRIM_400000_NS6detail17trampoline_kernelINS0_14default_configENS1_25partition_config_selectorILNS1_17partition_subalgoE9EddbEEZZNS1_14partition_implILS5_9ELb0ES3_jN6thrust23THRUST_200600_302600_NS6detail15normal_iteratorINS9_10device_ptrIdEEEESE_PNS0_10empty_typeENS0_5tupleIJSE_SF_EEENSH_IJSE_SG_EEENS0_18inequality_wrapperI22is_equal_div_10_uniqueIdEEEPmJSF_EEE10hipError_tPvRmT3_T4_T5_T6_T7_T9_mT8_P12ihipStream_tbDpT10_ENKUlT_T0_E_clISt17integral_constantIbLb1EES18_EEDaS13_S14_EUlS13_E_NS1_11comp_targetILNS1_3genE8ELNS1_11target_archE1030ELNS1_3gpuE2ELNS1_3repE0EEENS1_30default_config_static_selectorELNS0_4arch9wavefront6targetE0EEEvT1_
; %bb.0:
	.section	.rodata,"a",@progbits
	.p2align	6, 0x0
	.amdhsa_kernel _ZN7rocprim17ROCPRIM_400000_NS6detail17trampoline_kernelINS0_14default_configENS1_25partition_config_selectorILNS1_17partition_subalgoE9EddbEEZZNS1_14partition_implILS5_9ELb0ES3_jN6thrust23THRUST_200600_302600_NS6detail15normal_iteratorINS9_10device_ptrIdEEEESE_PNS0_10empty_typeENS0_5tupleIJSE_SF_EEENSH_IJSE_SG_EEENS0_18inequality_wrapperI22is_equal_div_10_uniqueIdEEEPmJSF_EEE10hipError_tPvRmT3_T4_T5_T6_T7_T9_mT8_P12ihipStream_tbDpT10_ENKUlT_T0_E_clISt17integral_constantIbLb1EES18_EEDaS13_S14_EUlS13_E_NS1_11comp_targetILNS1_3genE8ELNS1_11target_archE1030ELNS1_3gpuE2ELNS1_3repE0EEENS1_30default_config_static_selectorELNS0_4arch9wavefront6targetE0EEEvT1_
		.amdhsa_group_segment_fixed_size 0
		.amdhsa_private_segment_fixed_size 0
		.amdhsa_kernarg_size 128
		.amdhsa_user_sgpr_count 15
		.amdhsa_user_sgpr_dispatch_ptr 0
		.amdhsa_user_sgpr_queue_ptr 0
		.amdhsa_user_sgpr_kernarg_segment_ptr 1
		.amdhsa_user_sgpr_dispatch_id 0
		.amdhsa_user_sgpr_private_segment_size 0
		.amdhsa_wavefront_size32 1
		.amdhsa_uses_dynamic_stack 0
		.amdhsa_enable_private_segment 0
		.amdhsa_system_sgpr_workgroup_id_x 1
		.amdhsa_system_sgpr_workgroup_id_y 0
		.amdhsa_system_sgpr_workgroup_id_z 0
		.amdhsa_system_sgpr_workgroup_info 0
		.amdhsa_system_vgpr_workitem_id 0
		.amdhsa_next_free_vgpr 1
		.amdhsa_next_free_sgpr 1
		.amdhsa_reserve_vcc 0
		.amdhsa_float_round_mode_32 0
		.amdhsa_float_round_mode_16_64 0
		.amdhsa_float_denorm_mode_32 3
		.amdhsa_float_denorm_mode_16_64 3
		.amdhsa_dx10_clamp 1
		.amdhsa_ieee_mode 1
		.amdhsa_fp16_overflow 0
		.amdhsa_workgroup_processor_mode 1
		.amdhsa_memory_ordered 1
		.amdhsa_forward_progress 0
		.amdhsa_shared_vgpr_count 0
		.amdhsa_exception_fp_ieee_invalid_op 0
		.amdhsa_exception_fp_denorm_src 0
		.amdhsa_exception_fp_ieee_div_zero 0
		.amdhsa_exception_fp_ieee_overflow 0
		.amdhsa_exception_fp_ieee_underflow 0
		.amdhsa_exception_fp_ieee_inexact 0
		.amdhsa_exception_int_div_zero 0
	.end_amdhsa_kernel
	.section	.text._ZN7rocprim17ROCPRIM_400000_NS6detail17trampoline_kernelINS0_14default_configENS1_25partition_config_selectorILNS1_17partition_subalgoE9EddbEEZZNS1_14partition_implILS5_9ELb0ES3_jN6thrust23THRUST_200600_302600_NS6detail15normal_iteratorINS9_10device_ptrIdEEEESE_PNS0_10empty_typeENS0_5tupleIJSE_SF_EEENSH_IJSE_SG_EEENS0_18inequality_wrapperI22is_equal_div_10_uniqueIdEEEPmJSF_EEE10hipError_tPvRmT3_T4_T5_T6_T7_T9_mT8_P12ihipStream_tbDpT10_ENKUlT_T0_E_clISt17integral_constantIbLb1EES18_EEDaS13_S14_EUlS13_E_NS1_11comp_targetILNS1_3genE8ELNS1_11target_archE1030ELNS1_3gpuE2ELNS1_3repE0EEENS1_30default_config_static_selectorELNS0_4arch9wavefront6targetE0EEEvT1_,"axG",@progbits,_ZN7rocprim17ROCPRIM_400000_NS6detail17trampoline_kernelINS0_14default_configENS1_25partition_config_selectorILNS1_17partition_subalgoE9EddbEEZZNS1_14partition_implILS5_9ELb0ES3_jN6thrust23THRUST_200600_302600_NS6detail15normal_iteratorINS9_10device_ptrIdEEEESE_PNS0_10empty_typeENS0_5tupleIJSE_SF_EEENSH_IJSE_SG_EEENS0_18inequality_wrapperI22is_equal_div_10_uniqueIdEEEPmJSF_EEE10hipError_tPvRmT3_T4_T5_T6_T7_T9_mT8_P12ihipStream_tbDpT10_ENKUlT_T0_E_clISt17integral_constantIbLb1EES18_EEDaS13_S14_EUlS13_E_NS1_11comp_targetILNS1_3genE8ELNS1_11target_archE1030ELNS1_3gpuE2ELNS1_3repE0EEENS1_30default_config_static_selectorELNS0_4arch9wavefront6targetE0EEEvT1_,comdat
.Lfunc_end62:
	.size	_ZN7rocprim17ROCPRIM_400000_NS6detail17trampoline_kernelINS0_14default_configENS1_25partition_config_selectorILNS1_17partition_subalgoE9EddbEEZZNS1_14partition_implILS5_9ELb0ES3_jN6thrust23THRUST_200600_302600_NS6detail15normal_iteratorINS9_10device_ptrIdEEEESE_PNS0_10empty_typeENS0_5tupleIJSE_SF_EEENSH_IJSE_SG_EEENS0_18inequality_wrapperI22is_equal_div_10_uniqueIdEEEPmJSF_EEE10hipError_tPvRmT3_T4_T5_T6_T7_T9_mT8_P12ihipStream_tbDpT10_ENKUlT_T0_E_clISt17integral_constantIbLb1EES18_EEDaS13_S14_EUlS13_E_NS1_11comp_targetILNS1_3genE8ELNS1_11target_archE1030ELNS1_3gpuE2ELNS1_3repE0EEENS1_30default_config_static_selectorELNS0_4arch9wavefront6targetE0EEEvT1_, .Lfunc_end62-_ZN7rocprim17ROCPRIM_400000_NS6detail17trampoline_kernelINS0_14default_configENS1_25partition_config_selectorILNS1_17partition_subalgoE9EddbEEZZNS1_14partition_implILS5_9ELb0ES3_jN6thrust23THRUST_200600_302600_NS6detail15normal_iteratorINS9_10device_ptrIdEEEESE_PNS0_10empty_typeENS0_5tupleIJSE_SF_EEENSH_IJSE_SG_EEENS0_18inequality_wrapperI22is_equal_div_10_uniqueIdEEEPmJSF_EEE10hipError_tPvRmT3_T4_T5_T6_T7_T9_mT8_P12ihipStream_tbDpT10_ENKUlT_T0_E_clISt17integral_constantIbLb1EES18_EEDaS13_S14_EUlS13_E_NS1_11comp_targetILNS1_3genE8ELNS1_11target_archE1030ELNS1_3gpuE2ELNS1_3repE0EEENS1_30default_config_static_selectorELNS0_4arch9wavefront6targetE0EEEvT1_
                                        ; -- End function
	.section	.AMDGPU.csdata,"",@progbits
; Kernel info:
; codeLenInByte = 0
; NumSgprs: 0
; NumVgprs: 0
; ScratchSize: 0
; MemoryBound: 0
; FloatMode: 240
; IeeeMode: 1
; LDSByteSize: 0 bytes/workgroup (compile time only)
; SGPRBlocks: 0
; VGPRBlocks: 0
; NumSGPRsForWavesPerEU: 1
; NumVGPRsForWavesPerEU: 1
; Occupancy: 16
; WaveLimiterHint : 0
; COMPUTE_PGM_RSRC2:SCRATCH_EN: 0
; COMPUTE_PGM_RSRC2:USER_SGPR: 15
; COMPUTE_PGM_RSRC2:TRAP_HANDLER: 0
; COMPUTE_PGM_RSRC2:TGID_X_EN: 1
; COMPUTE_PGM_RSRC2:TGID_Y_EN: 0
; COMPUTE_PGM_RSRC2:TGID_Z_EN: 0
; COMPUTE_PGM_RSRC2:TIDIG_COMP_CNT: 0
	.section	.text._ZN7rocprim17ROCPRIM_400000_NS6detail17trampoline_kernelINS0_14default_configENS1_25partition_config_selectorILNS1_17partition_subalgoE9EddbEEZZNS1_14partition_implILS5_9ELb0ES3_jN6thrust23THRUST_200600_302600_NS6detail15normal_iteratorINS9_10device_ptrIdEEEESE_PNS0_10empty_typeENS0_5tupleIJSE_SF_EEENSH_IJSE_SG_EEENS0_18inequality_wrapperI22is_equal_div_10_uniqueIdEEEPmJSF_EEE10hipError_tPvRmT3_T4_T5_T6_T7_T9_mT8_P12ihipStream_tbDpT10_ENKUlT_T0_E_clISt17integral_constantIbLb1EES17_IbLb0EEEEDaS13_S14_EUlS13_E_NS1_11comp_targetILNS1_3genE0ELNS1_11target_archE4294967295ELNS1_3gpuE0ELNS1_3repE0EEENS1_30default_config_static_selectorELNS0_4arch9wavefront6targetE0EEEvT1_,"axG",@progbits,_ZN7rocprim17ROCPRIM_400000_NS6detail17trampoline_kernelINS0_14default_configENS1_25partition_config_selectorILNS1_17partition_subalgoE9EddbEEZZNS1_14partition_implILS5_9ELb0ES3_jN6thrust23THRUST_200600_302600_NS6detail15normal_iteratorINS9_10device_ptrIdEEEESE_PNS0_10empty_typeENS0_5tupleIJSE_SF_EEENSH_IJSE_SG_EEENS0_18inequality_wrapperI22is_equal_div_10_uniqueIdEEEPmJSF_EEE10hipError_tPvRmT3_T4_T5_T6_T7_T9_mT8_P12ihipStream_tbDpT10_ENKUlT_T0_E_clISt17integral_constantIbLb1EES17_IbLb0EEEEDaS13_S14_EUlS13_E_NS1_11comp_targetILNS1_3genE0ELNS1_11target_archE4294967295ELNS1_3gpuE0ELNS1_3repE0EEENS1_30default_config_static_selectorELNS0_4arch9wavefront6targetE0EEEvT1_,comdat
	.protected	_ZN7rocprim17ROCPRIM_400000_NS6detail17trampoline_kernelINS0_14default_configENS1_25partition_config_selectorILNS1_17partition_subalgoE9EddbEEZZNS1_14partition_implILS5_9ELb0ES3_jN6thrust23THRUST_200600_302600_NS6detail15normal_iteratorINS9_10device_ptrIdEEEESE_PNS0_10empty_typeENS0_5tupleIJSE_SF_EEENSH_IJSE_SG_EEENS0_18inequality_wrapperI22is_equal_div_10_uniqueIdEEEPmJSF_EEE10hipError_tPvRmT3_T4_T5_T6_T7_T9_mT8_P12ihipStream_tbDpT10_ENKUlT_T0_E_clISt17integral_constantIbLb1EES17_IbLb0EEEEDaS13_S14_EUlS13_E_NS1_11comp_targetILNS1_3genE0ELNS1_11target_archE4294967295ELNS1_3gpuE0ELNS1_3repE0EEENS1_30default_config_static_selectorELNS0_4arch9wavefront6targetE0EEEvT1_ ; -- Begin function _ZN7rocprim17ROCPRIM_400000_NS6detail17trampoline_kernelINS0_14default_configENS1_25partition_config_selectorILNS1_17partition_subalgoE9EddbEEZZNS1_14partition_implILS5_9ELb0ES3_jN6thrust23THRUST_200600_302600_NS6detail15normal_iteratorINS9_10device_ptrIdEEEESE_PNS0_10empty_typeENS0_5tupleIJSE_SF_EEENSH_IJSE_SG_EEENS0_18inequality_wrapperI22is_equal_div_10_uniqueIdEEEPmJSF_EEE10hipError_tPvRmT3_T4_T5_T6_T7_T9_mT8_P12ihipStream_tbDpT10_ENKUlT_T0_E_clISt17integral_constantIbLb1EES17_IbLb0EEEEDaS13_S14_EUlS13_E_NS1_11comp_targetILNS1_3genE0ELNS1_11target_archE4294967295ELNS1_3gpuE0ELNS1_3repE0EEENS1_30default_config_static_selectorELNS0_4arch9wavefront6targetE0EEEvT1_
	.globl	_ZN7rocprim17ROCPRIM_400000_NS6detail17trampoline_kernelINS0_14default_configENS1_25partition_config_selectorILNS1_17partition_subalgoE9EddbEEZZNS1_14partition_implILS5_9ELb0ES3_jN6thrust23THRUST_200600_302600_NS6detail15normal_iteratorINS9_10device_ptrIdEEEESE_PNS0_10empty_typeENS0_5tupleIJSE_SF_EEENSH_IJSE_SG_EEENS0_18inequality_wrapperI22is_equal_div_10_uniqueIdEEEPmJSF_EEE10hipError_tPvRmT3_T4_T5_T6_T7_T9_mT8_P12ihipStream_tbDpT10_ENKUlT_T0_E_clISt17integral_constantIbLb1EES17_IbLb0EEEEDaS13_S14_EUlS13_E_NS1_11comp_targetILNS1_3genE0ELNS1_11target_archE4294967295ELNS1_3gpuE0ELNS1_3repE0EEENS1_30default_config_static_selectorELNS0_4arch9wavefront6targetE0EEEvT1_
	.p2align	8
	.type	_ZN7rocprim17ROCPRIM_400000_NS6detail17trampoline_kernelINS0_14default_configENS1_25partition_config_selectorILNS1_17partition_subalgoE9EddbEEZZNS1_14partition_implILS5_9ELb0ES3_jN6thrust23THRUST_200600_302600_NS6detail15normal_iteratorINS9_10device_ptrIdEEEESE_PNS0_10empty_typeENS0_5tupleIJSE_SF_EEENSH_IJSE_SG_EEENS0_18inequality_wrapperI22is_equal_div_10_uniqueIdEEEPmJSF_EEE10hipError_tPvRmT3_T4_T5_T6_T7_T9_mT8_P12ihipStream_tbDpT10_ENKUlT_T0_E_clISt17integral_constantIbLb1EES17_IbLb0EEEEDaS13_S14_EUlS13_E_NS1_11comp_targetILNS1_3genE0ELNS1_11target_archE4294967295ELNS1_3gpuE0ELNS1_3repE0EEENS1_30default_config_static_selectorELNS0_4arch9wavefront6targetE0EEEvT1_,@function
_ZN7rocprim17ROCPRIM_400000_NS6detail17trampoline_kernelINS0_14default_configENS1_25partition_config_selectorILNS1_17partition_subalgoE9EddbEEZZNS1_14partition_implILS5_9ELb0ES3_jN6thrust23THRUST_200600_302600_NS6detail15normal_iteratorINS9_10device_ptrIdEEEESE_PNS0_10empty_typeENS0_5tupleIJSE_SF_EEENSH_IJSE_SG_EEENS0_18inequality_wrapperI22is_equal_div_10_uniqueIdEEEPmJSF_EEE10hipError_tPvRmT3_T4_T5_T6_T7_T9_mT8_P12ihipStream_tbDpT10_ENKUlT_T0_E_clISt17integral_constantIbLb1EES17_IbLb0EEEEDaS13_S14_EUlS13_E_NS1_11comp_targetILNS1_3genE0ELNS1_11target_archE4294967295ELNS1_3gpuE0ELNS1_3repE0EEENS1_30default_config_static_selectorELNS0_4arch9wavefront6targetE0EEEvT1_: ; @_ZN7rocprim17ROCPRIM_400000_NS6detail17trampoline_kernelINS0_14default_configENS1_25partition_config_selectorILNS1_17partition_subalgoE9EddbEEZZNS1_14partition_implILS5_9ELb0ES3_jN6thrust23THRUST_200600_302600_NS6detail15normal_iteratorINS9_10device_ptrIdEEEESE_PNS0_10empty_typeENS0_5tupleIJSE_SF_EEENSH_IJSE_SG_EEENS0_18inequality_wrapperI22is_equal_div_10_uniqueIdEEEPmJSF_EEE10hipError_tPvRmT3_T4_T5_T6_T7_T9_mT8_P12ihipStream_tbDpT10_ENKUlT_T0_E_clISt17integral_constantIbLb1EES17_IbLb0EEEEDaS13_S14_EUlS13_E_NS1_11comp_targetILNS1_3genE0ELNS1_11target_archE4294967295ELNS1_3gpuE0ELNS1_3repE0EEENS1_30default_config_static_selectorELNS0_4arch9wavefront6targetE0EEEvT1_
; %bb.0:
	.section	.rodata,"a",@progbits
	.p2align	6, 0x0
	.amdhsa_kernel _ZN7rocprim17ROCPRIM_400000_NS6detail17trampoline_kernelINS0_14default_configENS1_25partition_config_selectorILNS1_17partition_subalgoE9EddbEEZZNS1_14partition_implILS5_9ELb0ES3_jN6thrust23THRUST_200600_302600_NS6detail15normal_iteratorINS9_10device_ptrIdEEEESE_PNS0_10empty_typeENS0_5tupleIJSE_SF_EEENSH_IJSE_SG_EEENS0_18inequality_wrapperI22is_equal_div_10_uniqueIdEEEPmJSF_EEE10hipError_tPvRmT3_T4_T5_T6_T7_T9_mT8_P12ihipStream_tbDpT10_ENKUlT_T0_E_clISt17integral_constantIbLb1EES17_IbLb0EEEEDaS13_S14_EUlS13_E_NS1_11comp_targetILNS1_3genE0ELNS1_11target_archE4294967295ELNS1_3gpuE0ELNS1_3repE0EEENS1_30default_config_static_selectorELNS0_4arch9wavefront6targetE0EEEvT1_
		.amdhsa_group_segment_fixed_size 0
		.amdhsa_private_segment_fixed_size 0
		.amdhsa_kernarg_size 112
		.amdhsa_user_sgpr_count 15
		.amdhsa_user_sgpr_dispatch_ptr 0
		.amdhsa_user_sgpr_queue_ptr 0
		.amdhsa_user_sgpr_kernarg_segment_ptr 1
		.amdhsa_user_sgpr_dispatch_id 0
		.amdhsa_user_sgpr_private_segment_size 0
		.amdhsa_wavefront_size32 1
		.amdhsa_uses_dynamic_stack 0
		.amdhsa_enable_private_segment 0
		.amdhsa_system_sgpr_workgroup_id_x 1
		.amdhsa_system_sgpr_workgroup_id_y 0
		.amdhsa_system_sgpr_workgroup_id_z 0
		.amdhsa_system_sgpr_workgroup_info 0
		.amdhsa_system_vgpr_workitem_id 0
		.amdhsa_next_free_vgpr 1
		.amdhsa_next_free_sgpr 1
		.amdhsa_reserve_vcc 0
		.amdhsa_float_round_mode_32 0
		.amdhsa_float_round_mode_16_64 0
		.amdhsa_float_denorm_mode_32 3
		.amdhsa_float_denorm_mode_16_64 3
		.amdhsa_dx10_clamp 1
		.amdhsa_ieee_mode 1
		.amdhsa_fp16_overflow 0
		.amdhsa_workgroup_processor_mode 1
		.amdhsa_memory_ordered 1
		.amdhsa_forward_progress 0
		.amdhsa_shared_vgpr_count 0
		.amdhsa_exception_fp_ieee_invalid_op 0
		.amdhsa_exception_fp_denorm_src 0
		.amdhsa_exception_fp_ieee_div_zero 0
		.amdhsa_exception_fp_ieee_overflow 0
		.amdhsa_exception_fp_ieee_underflow 0
		.amdhsa_exception_fp_ieee_inexact 0
		.amdhsa_exception_int_div_zero 0
	.end_amdhsa_kernel
	.section	.text._ZN7rocprim17ROCPRIM_400000_NS6detail17trampoline_kernelINS0_14default_configENS1_25partition_config_selectorILNS1_17partition_subalgoE9EddbEEZZNS1_14partition_implILS5_9ELb0ES3_jN6thrust23THRUST_200600_302600_NS6detail15normal_iteratorINS9_10device_ptrIdEEEESE_PNS0_10empty_typeENS0_5tupleIJSE_SF_EEENSH_IJSE_SG_EEENS0_18inequality_wrapperI22is_equal_div_10_uniqueIdEEEPmJSF_EEE10hipError_tPvRmT3_T4_T5_T6_T7_T9_mT8_P12ihipStream_tbDpT10_ENKUlT_T0_E_clISt17integral_constantIbLb1EES17_IbLb0EEEEDaS13_S14_EUlS13_E_NS1_11comp_targetILNS1_3genE0ELNS1_11target_archE4294967295ELNS1_3gpuE0ELNS1_3repE0EEENS1_30default_config_static_selectorELNS0_4arch9wavefront6targetE0EEEvT1_,"axG",@progbits,_ZN7rocprim17ROCPRIM_400000_NS6detail17trampoline_kernelINS0_14default_configENS1_25partition_config_selectorILNS1_17partition_subalgoE9EddbEEZZNS1_14partition_implILS5_9ELb0ES3_jN6thrust23THRUST_200600_302600_NS6detail15normal_iteratorINS9_10device_ptrIdEEEESE_PNS0_10empty_typeENS0_5tupleIJSE_SF_EEENSH_IJSE_SG_EEENS0_18inequality_wrapperI22is_equal_div_10_uniqueIdEEEPmJSF_EEE10hipError_tPvRmT3_T4_T5_T6_T7_T9_mT8_P12ihipStream_tbDpT10_ENKUlT_T0_E_clISt17integral_constantIbLb1EES17_IbLb0EEEEDaS13_S14_EUlS13_E_NS1_11comp_targetILNS1_3genE0ELNS1_11target_archE4294967295ELNS1_3gpuE0ELNS1_3repE0EEENS1_30default_config_static_selectorELNS0_4arch9wavefront6targetE0EEEvT1_,comdat
.Lfunc_end63:
	.size	_ZN7rocprim17ROCPRIM_400000_NS6detail17trampoline_kernelINS0_14default_configENS1_25partition_config_selectorILNS1_17partition_subalgoE9EddbEEZZNS1_14partition_implILS5_9ELb0ES3_jN6thrust23THRUST_200600_302600_NS6detail15normal_iteratorINS9_10device_ptrIdEEEESE_PNS0_10empty_typeENS0_5tupleIJSE_SF_EEENSH_IJSE_SG_EEENS0_18inequality_wrapperI22is_equal_div_10_uniqueIdEEEPmJSF_EEE10hipError_tPvRmT3_T4_T5_T6_T7_T9_mT8_P12ihipStream_tbDpT10_ENKUlT_T0_E_clISt17integral_constantIbLb1EES17_IbLb0EEEEDaS13_S14_EUlS13_E_NS1_11comp_targetILNS1_3genE0ELNS1_11target_archE4294967295ELNS1_3gpuE0ELNS1_3repE0EEENS1_30default_config_static_selectorELNS0_4arch9wavefront6targetE0EEEvT1_, .Lfunc_end63-_ZN7rocprim17ROCPRIM_400000_NS6detail17trampoline_kernelINS0_14default_configENS1_25partition_config_selectorILNS1_17partition_subalgoE9EddbEEZZNS1_14partition_implILS5_9ELb0ES3_jN6thrust23THRUST_200600_302600_NS6detail15normal_iteratorINS9_10device_ptrIdEEEESE_PNS0_10empty_typeENS0_5tupleIJSE_SF_EEENSH_IJSE_SG_EEENS0_18inequality_wrapperI22is_equal_div_10_uniqueIdEEEPmJSF_EEE10hipError_tPvRmT3_T4_T5_T6_T7_T9_mT8_P12ihipStream_tbDpT10_ENKUlT_T0_E_clISt17integral_constantIbLb1EES17_IbLb0EEEEDaS13_S14_EUlS13_E_NS1_11comp_targetILNS1_3genE0ELNS1_11target_archE4294967295ELNS1_3gpuE0ELNS1_3repE0EEENS1_30default_config_static_selectorELNS0_4arch9wavefront6targetE0EEEvT1_
                                        ; -- End function
	.section	.AMDGPU.csdata,"",@progbits
; Kernel info:
; codeLenInByte = 0
; NumSgprs: 0
; NumVgprs: 0
; ScratchSize: 0
; MemoryBound: 0
; FloatMode: 240
; IeeeMode: 1
; LDSByteSize: 0 bytes/workgroup (compile time only)
; SGPRBlocks: 0
; VGPRBlocks: 0
; NumSGPRsForWavesPerEU: 1
; NumVGPRsForWavesPerEU: 1
; Occupancy: 16
; WaveLimiterHint : 0
; COMPUTE_PGM_RSRC2:SCRATCH_EN: 0
; COMPUTE_PGM_RSRC2:USER_SGPR: 15
; COMPUTE_PGM_RSRC2:TRAP_HANDLER: 0
; COMPUTE_PGM_RSRC2:TGID_X_EN: 1
; COMPUTE_PGM_RSRC2:TGID_Y_EN: 0
; COMPUTE_PGM_RSRC2:TGID_Z_EN: 0
; COMPUTE_PGM_RSRC2:TIDIG_COMP_CNT: 0
	.section	.text._ZN7rocprim17ROCPRIM_400000_NS6detail17trampoline_kernelINS0_14default_configENS1_25partition_config_selectorILNS1_17partition_subalgoE9EddbEEZZNS1_14partition_implILS5_9ELb0ES3_jN6thrust23THRUST_200600_302600_NS6detail15normal_iteratorINS9_10device_ptrIdEEEESE_PNS0_10empty_typeENS0_5tupleIJSE_SF_EEENSH_IJSE_SG_EEENS0_18inequality_wrapperI22is_equal_div_10_uniqueIdEEEPmJSF_EEE10hipError_tPvRmT3_T4_T5_T6_T7_T9_mT8_P12ihipStream_tbDpT10_ENKUlT_T0_E_clISt17integral_constantIbLb1EES17_IbLb0EEEEDaS13_S14_EUlS13_E_NS1_11comp_targetILNS1_3genE5ELNS1_11target_archE942ELNS1_3gpuE9ELNS1_3repE0EEENS1_30default_config_static_selectorELNS0_4arch9wavefront6targetE0EEEvT1_,"axG",@progbits,_ZN7rocprim17ROCPRIM_400000_NS6detail17trampoline_kernelINS0_14default_configENS1_25partition_config_selectorILNS1_17partition_subalgoE9EddbEEZZNS1_14partition_implILS5_9ELb0ES3_jN6thrust23THRUST_200600_302600_NS6detail15normal_iteratorINS9_10device_ptrIdEEEESE_PNS0_10empty_typeENS0_5tupleIJSE_SF_EEENSH_IJSE_SG_EEENS0_18inequality_wrapperI22is_equal_div_10_uniqueIdEEEPmJSF_EEE10hipError_tPvRmT3_T4_T5_T6_T7_T9_mT8_P12ihipStream_tbDpT10_ENKUlT_T0_E_clISt17integral_constantIbLb1EES17_IbLb0EEEEDaS13_S14_EUlS13_E_NS1_11comp_targetILNS1_3genE5ELNS1_11target_archE942ELNS1_3gpuE9ELNS1_3repE0EEENS1_30default_config_static_selectorELNS0_4arch9wavefront6targetE0EEEvT1_,comdat
	.protected	_ZN7rocprim17ROCPRIM_400000_NS6detail17trampoline_kernelINS0_14default_configENS1_25partition_config_selectorILNS1_17partition_subalgoE9EddbEEZZNS1_14partition_implILS5_9ELb0ES3_jN6thrust23THRUST_200600_302600_NS6detail15normal_iteratorINS9_10device_ptrIdEEEESE_PNS0_10empty_typeENS0_5tupleIJSE_SF_EEENSH_IJSE_SG_EEENS0_18inequality_wrapperI22is_equal_div_10_uniqueIdEEEPmJSF_EEE10hipError_tPvRmT3_T4_T5_T6_T7_T9_mT8_P12ihipStream_tbDpT10_ENKUlT_T0_E_clISt17integral_constantIbLb1EES17_IbLb0EEEEDaS13_S14_EUlS13_E_NS1_11comp_targetILNS1_3genE5ELNS1_11target_archE942ELNS1_3gpuE9ELNS1_3repE0EEENS1_30default_config_static_selectorELNS0_4arch9wavefront6targetE0EEEvT1_ ; -- Begin function _ZN7rocprim17ROCPRIM_400000_NS6detail17trampoline_kernelINS0_14default_configENS1_25partition_config_selectorILNS1_17partition_subalgoE9EddbEEZZNS1_14partition_implILS5_9ELb0ES3_jN6thrust23THRUST_200600_302600_NS6detail15normal_iteratorINS9_10device_ptrIdEEEESE_PNS0_10empty_typeENS0_5tupleIJSE_SF_EEENSH_IJSE_SG_EEENS0_18inequality_wrapperI22is_equal_div_10_uniqueIdEEEPmJSF_EEE10hipError_tPvRmT3_T4_T5_T6_T7_T9_mT8_P12ihipStream_tbDpT10_ENKUlT_T0_E_clISt17integral_constantIbLb1EES17_IbLb0EEEEDaS13_S14_EUlS13_E_NS1_11comp_targetILNS1_3genE5ELNS1_11target_archE942ELNS1_3gpuE9ELNS1_3repE0EEENS1_30default_config_static_selectorELNS0_4arch9wavefront6targetE0EEEvT1_
	.globl	_ZN7rocprim17ROCPRIM_400000_NS6detail17trampoline_kernelINS0_14default_configENS1_25partition_config_selectorILNS1_17partition_subalgoE9EddbEEZZNS1_14partition_implILS5_9ELb0ES3_jN6thrust23THRUST_200600_302600_NS6detail15normal_iteratorINS9_10device_ptrIdEEEESE_PNS0_10empty_typeENS0_5tupleIJSE_SF_EEENSH_IJSE_SG_EEENS0_18inequality_wrapperI22is_equal_div_10_uniqueIdEEEPmJSF_EEE10hipError_tPvRmT3_T4_T5_T6_T7_T9_mT8_P12ihipStream_tbDpT10_ENKUlT_T0_E_clISt17integral_constantIbLb1EES17_IbLb0EEEEDaS13_S14_EUlS13_E_NS1_11comp_targetILNS1_3genE5ELNS1_11target_archE942ELNS1_3gpuE9ELNS1_3repE0EEENS1_30default_config_static_selectorELNS0_4arch9wavefront6targetE0EEEvT1_
	.p2align	8
	.type	_ZN7rocprim17ROCPRIM_400000_NS6detail17trampoline_kernelINS0_14default_configENS1_25partition_config_selectorILNS1_17partition_subalgoE9EddbEEZZNS1_14partition_implILS5_9ELb0ES3_jN6thrust23THRUST_200600_302600_NS6detail15normal_iteratorINS9_10device_ptrIdEEEESE_PNS0_10empty_typeENS0_5tupleIJSE_SF_EEENSH_IJSE_SG_EEENS0_18inequality_wrapperI22is_equal_div_10_uniqueIdEEEPmJSF_EEE10hipError_tPvRmT3_T4_T5_T6_T7_T9_mT8_P12ihipStream_tbDpT10_ENKUlT_T0_E_clISt17integral_constantIbLb1EES17_IbLb0EEEEDaS13_S14_EUlS13_E_NS1_11comp_targetILNS1_3genE5ELNS1_11target_archE942ELNS1_3gpuE9ELNS1_3repE0EEENS1_30default_config_static_selectorELNS0_4arch9wavefront6targetE0EEEvT1_,@function
_ZN7rocprim17ROCPRIM_400000_NS6detail17trampoline_kernelINS0_14default_configENS1_25partition_config_selectorILNS1_17partition_subalgoE9EddbEEZZNS1_14partition_implILS5_9ELb0ES3_jN6thrust23THRUST_200600_302600_NS6detail15normal_iteratorINS9_10device_ptrIdEEEESE_PNS0_10empty_typeENS0_5tupleIJSE_SF_EEENSH_IJSE_SG_EEENS0_18inequality_wrapperI22is_equal_div_10_uniqueIdEEEPmJSF_EEE10hipError_tPvRmT3_T4_T5_T6_T7_T9_mT8_P12ihipStream_tbDpT10_ENKUlT_T0_E_clISt17integral_constantIbLb1EES17_IbLb0EEEEDaS13_S14_EUlS13_E_NS1_11comp_targetILNS1_3genE5ELNS1_11target_archE942ELNS1_3gpuE9ELNS1_3repE0EEENS1_30default_config_static_selectorELNS0_4arch9wavefront6targetE0EEEvT1_: ; @_ZN7rocprim17ROCPRIM_400000_NS6detail17trampoline_kernelINS0_14default_configENS1_25partition_config_selectorILNS1_17partition_subalgoE9EddbEEZZNS1_14partition_implILS5_9ELb0ES3_jN6thrust23THRUST_200600_302600_NS6detail15normal_iteratorINS9_10device_ptrIdEEEESE_PNS0_10empty_typeENS0_5tupleIJSE_SF_EEENSH_IJSE_SG_EEENS0_18inequality_wrapperI22is_equal_div_10_uniqueIdEEEPmJSF_EEE10hipError_tPvRmT3_T4_T5_T6_T7_T9_mT8_P12ihipStream_tbDpT10_ENKUlT_T0_E_clISt17integral_constantIbLb1EES17_IbLb0EEEEDaS13_S14_EUlS13_E_NS1_11comp_targetILNS1_3genE5ELNS1_11target_archE942ELNS1_3gpuE9ELNS1_3repE0EEENS1_30default_config_static_selectorELNS0_4arch9wavefront6targetE0EEEvT1_
; %bb.0:
	.section	.rodata,"a",@progbits
	.p2align	6, 0x0
	.amdhsa_kernel _ZN7rocprim17ROCPRIM_400000_NS6detail17trampoline_kernelINS0_14default_configENS1_25partition_config_selectorILNS1_17partition_subalgoE9EddbEEZZNS1_14partition_implILS5_9ELb0ES3_jN6thrust23THRUST_200600_302600_NS6detail15normal_iteratorINS9_10device_ptrIdEEEESE_PNS0_10empty_typeENS0_5tupleIJSE_SF_EEENSH_IJSE_SG_EEENS0_18inequality_wrapperI22is_equal_div_10_uniqueIdEEEPmJSF_EEE10hipError_tPvRmT3_T4_T5_T6_T7_T9_mT8_P12ihipStream_tbDpT10_ENKUlT_T0_E_clISt17integral_constantIbLb1EES17_IbLb0EEEEDaS13_S14_EUlS13_E_NS1_11comp_targetILNS1_3genE5ELNS1_11target_archE942ELNS1_3gpuE9ELNS1_3repE0EEENS1_30default_config_static_selectorELNS0_4arch9wavefront6targetE0EEEvT1_
		.amdhsa_group_segment_fixed_size 0
		.amdhsa_private_segment_fixed_size 0
		.amdhsa_kernarg_size 112
		.amdhsa_user_sgpr_count 15
		.amdhsa_user_sgpr_dispatch_ptr 0
		.amdhsa_user_sgpr_queue_ptr 0
		.amdhsa_user_sgpr_kernarg_segment_ptr 1
		.amdhsa_user_sgpr_dispatch_id 0
		.amdhsa_user_sgpr_private_segment_size 0
		.amdhsa_wavefront_size32 1
		.amdhsa_uses_dynamic_stack 0
		.amdhsa_enable_private_segment 0
		.amdhsa_system_sgpr_workgroup_id_x 1
		.amdhsa_system_sgpr_workgroup_id_y 0
		.amdhsa_system_sgpr_workgroup_id_z 0
		.amdhsa_system_sgpr_workgroup_info 0
		.amdhsa_system_vgpr_workitem_id 0
		.amdhsa_next_free_vgpr 1
		.amdhsa_next_free_sgpr 1
		.amdhsa_reserve_vcc 0
		.amdhsa_float_round_mode_32 0
		.amdhsa_float_round_mode_16_64 0
		.amdhsa_float_denorm_mode_32 3
		.amdhsa_float_denorm_mode_16_64 3
		.amdhsa_dx10_clamp 1
		.amdhsa_ieee_mode 1
		.amdhsa_fp16_overflow 0
		.amdhsa_workgroup_processor_mode 1
		.amdhsa_memory_ordered 1
		.amdhsa_forward_progress 0
		.amdhsa_shared_vgpr_count 0
		.amdhsa_exception_fp_ieee_invalid_op 0
		.amdhsa_exception_fp_denorm_src 0
		.amdhsa_exception_fp_ieee_div_zero 0
		.amdhsa_exception_fp_ieee_overflow 0
		.amdhsa_exception_fp_ieee_underflow 0
		.amdhsa_exception_fp_ieee_inexact 0
		.amdhsa_exception_int_div_zero 0
	.end_amdhsa_kernel
	.section	.text._ZN7rocprim17ROCPRIM_400000_NS6detail17trampoline_kernelINS0_14default_configENS1_25partition_config_selectorILNS1_17partition_subalgoE9EddbEEZZNS1_14partition_implILS5_9ELb0ES3_jN6thrust23THRUST_200600_302600_NS6detail15normal_iteratorINS9_10device_ptrIdEEEESE_PNS0_10empty_typeENS0_5tupleIJSE_SF_EEENSH_IJSE_SG_EEENS0_18inequality_wrapperI22is_equal_div_10_uniqueIdEEEPmJSF_EEE10hipError_tPvRmT3_T4_T5_T6_T7_T9_mT8_P12ihipStream_tbDpT10_ENKUlT_T0_E_clISt17integral_constantIbLb1EES17_IbLb0EEEEDaS13_S14_EUlS13_E_NS1_11comp_targetILNS1_3genE5ELNS1_11target_archE942ELNS1_3gpuE9ELNS1_3repE0EEENS1_30default_config_static_selectorELNS0_4arch9wavefront6targetE0EEEvT1_,"axG",@progbits,_ZN7rocprim17ROCPRIM_400000_NS6detail17trampoline_kernelINS0_14default_configENS1_25partition_config_selectorILNS1_17partition_subalgoE9EddbEEZZNS1_14partition_implILS5_9ELb0ES3_jN6thrust23THRUST_200600_302600_NS6detail15normal_iteratorINS9_10device_ptrIdEEEESE_PNS0_10empty_typeENS0_5tupleIJSE_SF_EEENSH_IJSE_SG_EEENS0_18inequality_wrapperI22is_equal_div_10_uniqueIdEEEPmJSF_EEE10hipError_tPvRmT3_T4_T5_T6_T7_T9_mT8_P12ihipStream_tbDpT10_ENKUlT_T0_E_clISt17integral_constantIbLb1EES17_IbLb0EEEEDaS13_S14_EUlS13_E_NS1_11comp_targetILNS1_3genE5ELNS1_11target_archE942ELNS1_3gpuE9ELNS1_3repE0EEENS1_30default_config_static_selectorELNS0_4arch9wavefront6targetE0EEEvT1_,comdat
.Lfunc_end64:
	.size	_ZN7rocprim17ROCPRIM_400000_NS6detail17trampoline_kernelINS0_14default_configENS1_25partition_config_selectorILNS1_17partition_subalgoE9EddbEEZZNS1_14partition_implILS5_9ELb0ES3_jN6thrust23THRUST_200600_302600_NS6detail15normal_iteratorINS9_10device_ptrIdEEEESE_PNS0_10empty_typeENS0_5tupleIJSE_SF_EEENSH_IJSE_SG_EEENS0_18inequality_wrapperI22is_equal_div_10_uniqueIdEEEPmJSF_EEE10hipError_tPvRmT3_T4_T5_T6_T7_T9_mT8_P12ihipStream_tbDpT10_ENKUlT_T0_E_clISt17integral_constantIbLb1EES17_IbLb0EEEEDaS13_S14_EUlS13_E_NS1_11comp_targetILNS1_3genE5ELNS1_11target_archE942ELNS1_3gpuE9ELNS1_3repE0EEENS1_30default_config_static_selectorELNS0_4arch9wavefront6targetE0EEEvT1_, .Lfunc_end64-_ZN7rocprim17ROCPRIM_400000_NS6detail17trampoline_kernelINS0_14default_configENS1_25partition_config_selectorILNS1_17partition_subalgoE9EddbEEZZNS1_14partition_implILS5_9ELb0ES3_jN6thrust23THRUST_200600_302600_NS6detail15normal_iteratorINS9_10device_ptrIdEEEESE_PNS0_10empty_typeENS0_5tupleIJSE_SF_EEENSH_IJSE_SG_EEENS0_18inequality_wrapperI22is_equal_div_10_uniqueIdEEEPmJSF_EEE10hipError_tPvRmT3_T4_T5_T6_T7_T9_mT8_P12ihipStream_tbDpT10_ENKUlT_T0_E_clISt17integral_constantIbLb1EES17_IbLb0EEEEDaS13_S14_EUlS13_E_NS1_11comp_targetILNS1_3genE5ELNS1_11target_archE942ELNS1_3gpuE9ELNS1_3repE0EEENS1_30default_config_static_selectorELNS0_4arch9wavefront6targetE0EEEvT1_
                                        ; -- End function
	.section	.AMDGPU.csdata,"",@progbits
; Kernel info:
; codeLenInByte = 0
; NumSgprs: 0
; NumVgprs: 0
; ScratchSize: 0
; MemoryBound: 0
; FloatMode: 240
; IeeeMode: 1
; LDSByteSize: 0 bytes/workgroup (compile time only)
; SGPRBlocks: 0
; VGPRBlocks: 0
; NumSGPRsForWavesPerEU: 1
; NumVGPRsForWavesPerEU: 1
; Occupancy: 16
; WaveLimiterHint : 0
; COMPUTE_PGM_RSRC2:SCRATCH_EN: 0
; COMPUTE_PGM_RSRC2:USER_SGPR: 15
; COMPUTE_PGM_RSRC2:TRAP_HANDLER: 0
; COMPUTE_PGM_RSRC2:TGID_X_EN: 1
; COMPUTE_PGM_RSRC2:TGID_Y_EN: 0
; COMPUTE_PGM_RSRC2:TGID_Z_EN: 0
; COMPUTE_PGM_RSRC2:TIDIG_COMP_CNT: 0
	.section	.text._ZN7rocprim17ROCPRIM_400000_NS6detail17trampoline_kernelINS0_14default_configENS1_25partition_config_selectorILNS1_17partition_subalgoE9EddbEEZZNS1_14partition_implILS5_9ELb0ES3_jN6thrust23THRUST_200600_302600_NS6detail15normal_iteratorINS9_10device_ptrIdEEEESE_PNS0_10empty_typeENS0_5tupleIJSE_SF_EEENSH_IJSE_SG_EEENS0_18inequality_wrapperI22is_equal_div_10_uniqueIdEEEPmJSF_EEE10hipError_tPvRmT3_T4_T5_T6_T7_T9_mT8_P12ihipStream_tbDpT10_ENKUlT_T0_E_clISt17integral_constantIbLb1EES17_IbLb0EEEEDaS13_S14_EUlS13_E_NS1_11comp_targetILNS1_3genE4ELNS1_11target_archE910ELNS1_3gpuE8ELNS1_3repE0EEENS1_30default_config_static_selectorELNS0_4arch9wavefront6targetE0EEEvT1_,"axG",@progbits,_ZN7rocprim17ROCPRIM_400000_NS6detail17trampoline_kernelINS0_14default_configENS1_25partition_config_selectorILNS1_17partition_subalgoE9EddbEEZZNS1_14partition_implILS5_9ELb0ES3_jN6thrust23THRUST_200600_302600_NS6detail15normal_iteratorINS9_10device_ptrIdEEEESE_PNS0_10empty_typeENS0_5tupleIJSE_SF_EEENSH_IJSE_SG_EEENS0_18inequality_wrapperI22is_equal_div_10_uniqueIdEEEPmJSF_EEE10hipError_tPvRmT3_T4_T5_T6_T7_T9_mT8_P12ihipStream_tbDpT10_ENKUlT_T0_E_clISt17integral_constantIbLb1EES17_IbLb0EEEEDaS13_S14_EUlS13_E_NS1_11comp_targetILNS1_3genE4ELNS1_11target_archE910ELNS1_3gpuE8ELNS1_3repE0EEENS1_30default_config_static_selectorELNS0_4arch9wavefront6targetE0EEEvT1_,comdat
	.protected	_ZN7rocprim17ROCPRIM_400000_NS6detail17trampoline_kernelINS0_14default_configENS1_25partition_config_selectorILNS1_17partition_subalgoE9EddbEEZZNS1_14partition_implILS5_9ELb0ES3_jN6thrust23THRUST_200600_302600_NS6detail15normal_iteratorINS9_10device_ptrIdEEEESE_PNS0_10empty_typeENS0_5tupleIJSE_SF_EEENSH_IJSE_SG_EEENS0_18inequality_wrapperI22is_equal_div_10_uniqueIdEEEPmJSF_EEE10hipError_tPvRmT3_T4_T5_T6_T7_T9_mT8_P12ihipStream_tbDpT10_ENKUlT_T0_E_clISt17integral_constantIbLb1EES17_IbLb0EEEEDaS13_S14_EUlS13_E_NS1_11comp_targetILNS1_3genE4ELNS1_11target_archE910ELNS1_3gpuE8ELNS1_3repE0EEENS1_30default_config_static_selectorELNS0_4arch9wavefront6targetE0EEEvT1_ ; -- Begin function _ZN7rocprim17ROCPRIM_400000_NS6detail17trampoline_kernelINS0_14default_configENS1_25partition_config_selectorILNS1_17partition_subalgoE9EddbEEZZNS1_14partition_implILS5_9ELb0ES3_jN6thrust23THRUST_200600_302600_NS6detail15normal_iteratorINS9_10device_ptrIdEEEESE_PNS0_10empty_typeENS0_5tupleIJSE_SF_EEENSH_IJSE_SG_EEENS0_18inequality_wrapperI22is_equal_div_10_uniqueIdEEEPmJSF_EEE10hipError_tPvRmT3_T4_T5_T6_T7_T9_mT8_P12ihipStream_tbDpT10_ENKUlT_T0_E_clISt17integral_constantIbLb1EES17_IbLb0EEEEDaS13_S14_EUlS13_E_NS1_11comp_targetILNS1_3genE4ELNS1_11target_archE910ELNS1_3gpuE8ELNS1_3repE0EEENS1_30default_config_static_selectorELNS0_4arch9wavefront6targetE0EEEvT1_
	.globl	_ZN7rocprim17ROCPRIM_400000_NS6detail17trampoline_kernelINS0_14default_configENS1_25partition_config_selectorILNS1_17partition_subalgoE9EddbEEZZNS1_14partition_implILS5_9ELb0ES3_jN6thrust23THRUST_200600_302600_NS6detail15normal_iteratorINS9_10device_ptrIdEEEESE_PNS0_10empty_typeENS0_5tupleIJSE_SF_EEENSH_IJSE_SG_EEENS0_18inequality_wrapperI22is_equal_div_10_uniqueIdEEEPmJSF_EEE10hipError_tPvRmT3_T4_T5_T6_T7_T9_mT8_P12ihipStream_tbDpT10_ENKUlT_T0_E_clISt17integral_constantIbLb1EES17_IbLb0EEEEDaS13_S14_EUlS13_E_NS1_11comp_targetILNS1_3genE4ELNS1_11target_archE910ELNS1_3gpuE8ELNS1_3repE0EEENS1_30default_config_static_selectorELNS0_4arch9wavefront6targetE0EEEvT1_
	.p2align	8
	.type	_ZN7rocprim17ROCPRIM_400000_NS6detail17trampoline_kernelINS0_14default_configENS1_25partition_config_selectorILNS1_17partition_subalgoE9EddbEEZZNS1_14partition_implILS5_9ELb0ES3_jN6thrust23THRUST_200600_302600_NS6detail15normal_iteratorINS9_10device_ptrIdEEEESE_PNS0_10empty_typeENS0_5tupleIJSE_SF_EEENSH_IJSE_SG_EEENS0_18inequality_wrapperI22is_equal_div_10_uniqueIdEEEPmJSF_EEE10hipError_tPvRmT3_T4_T5_T6_T7_T9_mT8_P12ihipStream_tbDpT10_ENKUlT_T0_E_clISt17integral_constantIbLb1EES17_IbLb0EEEEDaS13_S14_EUlS13_E_NS1_11comp_targetILNS1_3genE4ELNS1_11target_archE910ELNS1_3gpuE8ELNS1_3repE0EEENS1_30default_config_static_selectorELNS0_4arch9wavefront6targetE0EEEvT1_,@function
_ZN7rocprim17ROCPRIM_400000_NS6detail17trampoline_kernelINS0_14default_configENS1_25partition_config_selectorILNS1_17partition_subalgoE9EddbEEZZNS1_14partition_implILS5_9ELb0ES3_jN6thrust23THRUST_200600_302600_NS6detail15normal_iteratorINS9_10device_ptrIdEEEESE_PNS0_10empty_typeENS0_5tupleIJSE_SF_EEENSH_IJSE_SG_EEENS0_18inequality_wrapperI22is_equal_div_10_uniqueIdEEEPmJSF_EEE10hipError_tPvRmT3_T4_T5_T6_T7_T9_mT8_P12ihipStream_tbDpT10_ENKUlT_T0_E_clISt17integral_constantIbLb1EES17_IbLb0EEEEDaS13_S14_EUlS13_E_NS1_11comp_targetILNS1_3genE4ELNS1_11target_archE910ELNS1_3gpuE8ELNS1_3repE0EEENS1_30default_config_static_selectorELNS0_4arch9wavefront6targetE0EEEvT1_: ; @_ZN7rocprim17ROCPRIM_400000_NS6detail17trampoline_kernelINS0_14default_configENS1_25partition_config_selectorILNS1_17partition_subalgoE9EddbEEZZNS1_14partition_implILS5_9ELb0ES3_jN6thrust23THRUST_200600_302600_NS6detail15normal_iteratorINS9_10device_ptrIdEEEESE_PNS0_10empty_typeENS0_5tupleIJSE_SF_EEENSH_IJSE_SG_EEENS0_18inequality_wrapperI22is_equal_div_10_uniqueIdEEEPmJSF_EEE10hipError_tPvRmT3_T4_T5_T6_T7_T9_mT8_P12ihipStream_tbDpT10_ENKUlT_T0_E_clISt17integral_constantIbLb1EES17_IbLb0EEEEDaS13_S14_EUlS13_E_NS1_11comp_targetILNS1_3genE4ELNS1_11target_archE910ELNS1_3gpuE8ELNS1_3repE0EEENS1_30default_config_static_selectorELNS0_4arch9wavefront6targetE0EEEvT1_
; %bb.0:
	.section	.rodata,"a",@progbits
	.p2align	6, 0x0
	.amdhsa_kernel _ZN7rocprim17ROCPRIM_400000_NS6detail17trampoline_kernelINS0_14default_configENS1_25partition_config_selectorILNS1_17partition_subalgoE9EddbEEZZNS1_14partition_implILS5_9ELb0ES3_jN6thrust23THRUST_200600_302600_NS6detail15normal_iteratorINS9_10device_ptrIdEEEESE_PNS0_10empty_typeENS0_5tupleIJSE_SF_EEENSH_IJSE_SG_EEENS0_18inequality_wrapperI22is_equal_div_10_uniqueIdEEEPmJSF_EEE10hipError_tPvRmT3_T4_T5_T6_T7_T9_mT8_P12ihipStream_tbDpT10_ENKUlT_T0_E_clISt17integral_constantIbLb1EES17_IbLb0EEEEDaS13_S14_EUlS13_E_NS1_11comp_targetILNS1_3genE4ELNS1_11target_archE910ELNS1_3gpuE8ELNS1_3repE0EEENS1_30default_config_static_selectorELNS0_4arch9wavefront6targetE0EEEvT1_
		.amdhsa_group_segment_fixed_size 0
		.amdhsa_private_segment_fixed_size 0
		.amdhsa_kernarg_size 112
		.amdhsa_user_sgpr_count 15
		.amdhsa_user_sgpr_dispatch_ptr 0
		.amdhsa_user_sgpr_queue_ptr 0
		.amdhsa_user_sgpr_kernarg_segment_ptr 1
		.amdhsa_user_sgpr_dispatch_id 0
		.amdhsa_user_sgpr_private_segment_size 0
		.amdhsa_wavefront_size32 1
		.amdhsa_uses_dynamic_stack 0
		.amdhsa_enable_private_segment 0
		.amdhsa_system_sgpr_workgroup_id_x 1
		.amdhsa_system_sgpr_workgroup_id_y 0
		.amdhsa_system_sgpr_workgroup_id_z 0
		.amdhsa_system_sgpr_workgroup_info 0
		.amdhsa_system_vgpr_workitem_id 0
		.amdhsa_next_free_vgpr 1
		.amdhsa_next_free_sgpr 1
		.amdhsa_reserve_vcc 0
		.amdhsa_float_round_mode_32 0
		.amdhsa_float_round_mode_16_64 0
		.amdhsa_float_denorm_mode_32 3
		.amdhsa_float_denorm_mode_16_64 3
		.amdhsa_dx10_clamp 1
		.amdhsa_ieee_mode 1
		.amdhsa_fp16_overflow 0
		.amdhsa_workgroup_processor_mode 1
		.amdhsa_memory_ordered 1
		.amdhsa_forward_progress 0
		.amdhsa_shared_vgpr_count 0
		.amdhsa_exception_fp_ieee_invalid_op 0
		.amdhsa_exception_fp_denorm_src 0
		.amdhsa_exception_fp_ieee_div_zero 0
		.amdhsa_exception_fp_ieee_overflow 0
		.amdhsa_exception_fp_ieee_underflow 0
		.amdhsa_exception_fp_ieee_inexact 0
		.amdhsa_exception_int_div_zero 0
	.end_amdhsa_kernel
	.section	.text._ZN7rocprim17ROCPRIM_400000_NS6detail17trampoline_kernelINS0_14default_configENS1_25partition_config_selectorILNS1_17partition_subalgoE9EddbEEZZNS1_14partition_implILS5_9ELb0ES3_jN6thrust23THRUST_200600_302600_NS6detail15normal_iteratorINS9_10device_ptrIdEEEESE_PNS0_10empty_typeENS0_5tupleIJSE_SF_EEENSH_IJSE_SG_EEENS0_18inequality_wrapperI22is_equal_div_10_uniqueIdEEEPmJSF_EEE10hipError_tPvRmT3_T4_T5_T6_T7_T9_mT8_P12ihipStream_tbDpT10_ENKUlT_T0_E_clISt17integral_constantIbLb1EES17_IbLb0EEEEDaS13_S14_EUlS13_E_NS1_11comp_targetILNS1_3genE4ELNS1_11target_archE910ELNS1_3gpuE8ELNS1_3repE0EEENS1_30default_config_static_selectorELNS0_4arch9wavefront6targetE0EEEvT1_,"axG",@progbits,_ZN7rocprim17ROCPRIM_400000_NS6detail17trampoline_kernelINS0_14default_configENS1_25partition_config_selectorILNS1_17partition_subalgoE9EddbEEZZNS1_14partition_implILS5_9ELb0ES3_jN6thrust23THRUST_200600_302600_NS6detail15normal_iteratorINS9_10device_ptrIdEEEESE_PNS0_10empty_typeENS0_5tupleIJSE_SF_EEENSH_IJSE_SG_EEENS0_18inequality_wrapperI22is_equal_div_10_uniqueIdEEEPmJSF_EEE10hipError_tPvRmT3_T4_T5_T6_T7_T9_mT8_P12ihipStream_tbDpT10_ENKUlT_T0_E_clISt17integral_constantIbLb1EES17_IbLb0EEEEDaS13_S14_EUlS13_E_NS1_11comp_targetILNS1_3genE4ELNS1_11target_archE910ELNS1_3gpuE8ELNS1_3repE0EEENS1_30default_config_static_selectorELNS0_4arch9wavefront6targetE0EEEvT1_,comdat
.Lfunc_end65:
	.size	_ZN7rocprim17ROCPRIM_400000_NS6detail17trampoline_kernelINS0_14default_configENS1_25partition_config_selectorILNS1_17partition_subalgoE9EddbEEZZNS1_14partition_implILS5_9ELb0ES3_jN6thrust23THRUST_200600_302600_NS6detail15normal_iteratorINS9_10device_ptrIdEEEESE_PNS0_10empty_typeENS0_5tupleIJSE_SF_EEENSH_IJSE_SG_EEENS0_18inequality_wrapperI22is_equal_div_10_uniqueIdEEEPmJSF_EEE10hipError_tPvRmT3_T4_T5_T6_T7_T9_mT8_P12ihipStream_tbDpT10_ENKUlT_T0_E_clISt17integral_constantIbLb1EES17_IbLb0EEEEDaS13_S14_EUlS13_E_NS1_11comp_targetILNS1_3genE4ELNS1_11target_archE910ELNS1_3gpuE8ELNS1_3repE0EEENS1_30default_config_static_selectorELNS0_4arch9wavefront6targetE0EEEvT1_, .Lfunc_end65-_ZN7rocprim17ROCPRIM_400000_NS6detail17trampoline_kernelINS0_14default_configENS1_25partition_config_selectorILNS1_17partition_subalgoE9EddbEEZZNS1_14partition_implILS5_9ELb0ES3_jN6thrust23THRUST_200600_302600_NS6detail15normal_iteratorINS9_10device_ptrIdEEEESE_PNS0_10empty_typeENS0_5tupleIJSE_SF_EEENSH_IJSE_SG_EEENS0_18inequality_wrapperI22is_equal_div_10_uniqueIdEEEPmJSF_EEE10hipError_tPvRmT3_T4_T5_T6_T7_T9_mT8_P12ihipStream_tbDpT10_ENKUlT_T0_E_clISt17integral_constantIbLb1EES17_IbLb0EEEEDaS13_S14_EUlS13_E_NS1_11comp_targetILNS1_3genE4ELNS1_11target_archE910ELNS1_3gpuE8ELNS1_3repE0EEENS1_30default_config_static_selectorELNS0_4arch9wavefront6targetE0EEEvT1_
                                        ; -- End function
	.section	.AMDGPU.csdata,"",@progbits
; Kernel info:
; codeLenInByte = 0
; NumSgprs: 0
; NumVgprs: 0
; ScratchSize: 0
; MemoryBound: 0
; FloatMode: 240
; IeeeMode: 1
; LDSByteSize: 0 bytes/workgroup (compile time only)
; SGPRBlocks: 0
; VGPRBlocks: 0
; NumSGPRsForWavesPerEU: 1
; NumVGPRsForWavesPerEU: 1
; Occupancy: 16
; WaveLimiterHint : 0
; COMPUTE_PGM_RSRC2:SCRATCH_EN: 0
; COMPUTE_PGM_RSRC2:USER_SGPR: 15
; COMPUTE_PGM_RSRC2:TRAP_HANDLER: 0
; COMPUTE_PGM_RSRC2:TGID_X_EN: 1
; COMPUTE_PGM_RSRC2:TGID_Y_EN: 0
; COMPUTE_PGM_RSRC2:TGID_Z_EN: 0
; COMPUTE_PGM_RSRC2:TIDIG_COMP_CNT: 0
	.section	.text._ZN7rocprim17ROCPRIM_400000_NS6detail17trampoline_kernelINS0_14default_configENS1_25partition_config_selectorILNS1_17partition_subalgoE9EddbEEZZNS1_14partition_implILS5_9ELb0ES3_jN6thrust23THRUST_200600_302600_NS6detail15normal_iteratorINS9_10device_ptrIdEEEESE_PNS0_10empty_typeENS0_5tupleIJSE_SF_EEENSH_IJSE_SG_EEENS0_18inequality_wrapperI22is_equal_div_10_uniqueIdEEEPmJSF_EEE10hipError_tPvRmT3_T4_T5_T6_T7_T9_mT8_P12ihipStream_tbDpT10_ENKUlT_T0_E_clISt17integral_constantIbLb1EES17_IbLb0EEEEDaS13_S14_EUlS13_E_NS1_11comp_targetILNS1_3genE3ELNS1_11target_archE908ELNS1_3gpuE7ELNS1_3repE0EEENS1_30default_config_static_selectorELNS0_4arch9wavefront6targetE0EEEvT1_,"axG",@progbits,_ZN7rocprim17ROCPRIM_400000_NS6detail17trampoline_kernelINS0_14default_configENS1_25partition_config_selectorILNS1_17partition_subalgoE9EddbEEZZNS1_14partition_implILS5_9ELb0ES3_jN6thrust23THRUST_200600_302600_NS6detail15normal_iteratorINS9_10device_ptrIdEEEESE_PNS0_10empty_typeENS0_5tupleIJSE_SF_EEENSH_IJSE_SG_EEENS0_18inequality_wrapperI22is_equal_div_10_uniqueIdEEEPmJSF_EEE10hipError_tPvRmT3_T4_T5_T6_T7_T9_mT8_P12ihipStream_tbDpT10_ENKUlT_T0_E_clISt17integral_constantIbLb1EES17_IbLb0EEEEDaS13_S14_EUlS13_E_NS1_11comp_targetILNS1_3genE3ELNS1_11target_archE908ELNS1_3gpuE7ELNS1_3repE0EEENS1_30default_config_static_selectorELNS0_4arch9wavefront6targetE0EEEvT1_,comdat
	.protected	_ZN7rocprim17ROCPRIM_400000_NS6detail17trampoline_kernelINS0_14default_configENS1_25partition_config_selectorILNS1_17partition_subalgoE9EddbEEZZNS1_14partition_implILS5_9ELb0ES3_jN6thrust23THRUST_200600_302600_NS6detail15normal_iteratorINS9_10device_ptrIdEEEESE_PNS0_10empty_typeENS0_5tupleIJSE_SF_EEENSH_IJSE_SG_EEENS0_18inequality_wrapperI22is_equal_div_10_uniqueIdEEEPmJSF_EEE10hipError_tPvRmT3_T4_T5_T6_T7_T9_mT8_P12ihipStream_tbDpT10_ENKUlT_T0_E_clISt17integral_constantIbLb1EES17_IbLb0EEEEDaS13_S14_EUlS13_E_NS1_11comp_targetILNS1_3genE3ELNS1_11target_archE908ELNS1_3gpuE7ELNS1_3repE0EEENS1_30default_config_static_selectorELNS0_4arch9wavefront6targetE0EEEvT1_ ; -- Begin function _ZN7rocprim17ROCPRIM_400000_NS6detail17trampoline_kernelINS0_14default_configENS1_25partition_config_selectorILNS1_17partition_subalgoE9EddbEEZZNS1_14partition_implILS5_9ELb0ES3_jN6thrust23THRUST_200600_302600_NS6detail15normal_iteratorINS9_10device_ptrIdEEEESE_PNS0_10empty_typeENS0_5tupleIJSE_SF_EEENSH_IJSE_SG_EEENS0_18inequality_wrapperI22is_equal_div_10_uniqueIdEEEPmJSF_EEE10hipError_tPvRmT3_T4_T5_T6_T7_T9_mT8_P12ihipStream_tbDpT10_ENKUlT_T0_E_clISt17integral_constantIbLb1EES17_IbLb0EEEEDaS13_S14_EUlS13_E_NS1_11comp_targetILNS1_3genE3ELNS1_11target_archE908ELNS1_3gpuE7ELNS1_3repE0EEENS1_30default_config_static_selectorELNS0_4arch9wavefront6targetE0EEEvT1_
	.globl	_ZN7rocprim17ROCPRIM_400000_NS6detail17trampoline_kernelINS0_14default_configENS1_25partition_config_selectorILNS1_17partition_subalgoE9EddbEEZZNS1_14partition_implILS5_9ELb0ES3_jN6thrust23THRUST_200600_302600_NS6detail15normal_iteratorINS9_10device_ptrIdEEEESE_PNS0_10empty_typeENS0_5tupleIJSE_SF_EEENSH_IJSE_SG_EEENS0_18inequality_wrapperI22is_equal_div_10_uniqueIdEEEPmJSF_EEE10hipError_tPvRmT3_T4_T5_T6_T7_T9_mT8_P12ihipStream_tbDpT10_ENKUlT_T0_E_clISt17integral_constantIbLb1EES17_IbLb0EEEEDaS13_S14_EUlS13_E_NS1_11comp_targetILNS1_3genE3ELNS1_11target_archE908ELNS1_3gpuE7ELNS1_3repE0EEENS1_30default_config_static_selectorELNS0_4arch9wavefront6targetE0EEEvT1_
	.p2align	8
	.type	_ZN7rocprim17ROCPRIM_400000_NS6detail17trampoline_kernelINS0_14default_configENS1_25partition_config_selectorILNS1_17partition_subalgoE9EddbEEZZNS1_14partition_implILS5_9ELb0ES3_jN6thrust23THRUST_200600_302600_NS6detail15normal_iteratorINS9_10device_ptrIdEEEESE_PNS0_10empty_typeENS0_5tupleIJSE_SF_EEENSH_IJSE_SG_EEENS0_18inequality_wrapperI22is_equal_div_10_uniqueIdEEEPmJSF_EEE10hipError_tPvRmT3_T4_T5_T6_T7_T9_mT8_P12ihipStream_tbDpT10_ENKUlT_T0_E_clISt17integral_constantIbLb1EES17_IbLb0EEEEDaS13_S14_EUlS13_E_NS1_11comp_targetILNS1_3genE3ELNS1_11target_archE908ELNS1_3gpuE7ELNS1_3repE0EEENS1_30default_config_static_selectorELNS0_4arch9wavefront6targetE0EEEvT1_,@function
_ZN7rocprim17ROCPRIM_400000_NS6detail17trampoline_kernelINS0_14default_configENS1_25partition_config_selectorILNS1_17partition_subalgoE9EddbEEZZNS1_14partition_implILS5_9ELb0ES3_jN6thrust23THRUST_200600_302600_NS6detail15normal_iteratorINS9_10device_ptrIdEEEESE_PNS0_10empty_typeENS0_5tupleIJSE_SF_EEENSH_IJSE_SG_EEENS0_18inequality_wrapperI22is_equal_div_10_uniqueIdEEEPmJSF_EEE10hipError_tPvRmT3_T4_T5_T6_T7_T9_mT8_P12ihipStream_tbDpT10_ENKUlT_T0_E_clISt17integral_constantIbLb1EES17_IbLb0EEEEDaS13_S14_EUlS13_E_NS1_11comp_targetILNS1_3genE3ELNS1_11target_archE908ELNS1_3gpuE7ELNS1_3repE0EEENS1_30default_config_static_selectorELNS0_4arch9wavefront6targetE0EEEvT1_: ; @_ZN7rocprim17ROCPRIM_400000_NS6detail17trampoline_kernelINS0_14default_configENS1_25partition_config_selectorILNS1_17partition_subalgoE9EddbEEZZNS1_14partition_implILS5_9ELb0ES3_jN6thrust23THRUST_200600_302600_NS6detail15normal_iteratorINS9_10device_ptrIdEEEESE_PNS0_10empty_typeENS0_5tupleIJSE_SF_EEENSH_IJSE_SG_EEENS0_18inequality_wrapperI22is_equal_div_10_uniqueIdEEEPmJSF_EEE10hipError_tPvRmT3_T4_T5_T6_T7_T9_mT8_P12ihipStream_tbDpT10_ENKUlT_T0_E_clISt17integral_constantIbLb1EES17_IbLb0EEEEDaS13_S14_EUlS13_E_NS1_11comp_targetILNS1_3genE3ELNS1_11target_archE908ELNS1_3gpuE7ELNS1_3repE0EEENS1_30default_config_static_selectorELNS0_4arch9wavefront6targetE0EEEvT1_
; %bb.0:
	.section	.rodata,"a",@progbits
	.p2align	6, 0x0
	.amdhsa_kernel _ZN7rocprim17ROCPRIM_400000_NS6detail17trampoline_kernelINS0_14default_configENS1_25partition_config_selectorILNS1_17partition_subalgoE9EddbEEZZNS1_14partition_implILS5_9ELb0ES3_jN6thrust23THRUST_200600_302600_NS6detail15normal_iteratorINS9_10device_ptrIdEEEESE_PNS0_10empty_typeENS0_5tupleIJSE_SF_EEENSH_IJSE_SG_EEENS0_18inequality_wrapperI22is_equal_div_10_uniqueIdEEEPmJSF_EEE10hipError_tPvRmT3_T4_T5_T6_T7_T9_mT8_P12ihipStream_tbDpT10_ENKUlT_T0_E_clISt17integral_constantIbLb1EES17_IbLb0EEEEDaS13_S14_EUlS13_E_NS1_11comp_targetILNS1_3genE3ELNS1_11target_archE908ELNS1_3gpuE7ELNS1_3repE0EEENS1_30default_config_static_selectorELNS0_4arch9wavefront6targetE0EEEvT1_
		.amdhsa_group_segment_fixed_size 0
		.amdhsa_private_segment_fixed_size 0
		.amdhsa_kernarg_size 112
		.amdhsa_user_sgpr_count 15
		.amdhsa_user_sgpr_dispatch_ptr 0
		.amdhsa_user_sgpr_queue_ptr 0
		.amdhsa_user_sgpr_kernarg_segment_ptr 1
		.amdhsa_user_sgpr_dispatch_id 0
		.amdhsa_user_sgpr_private_segment_size 0
		.amdhsa_wavefront_size32 1
		.amdhsa_uses_dynamic_stack 0
		.amdhsa_enable_private_segment 0
		.amdhsa_system_sgpr_workgroup_id_x 1
		.amdhsa_system_sgpr_workgroup_id_y 0
		.amdhsa_system_sgpr_workgroup_id_z 0
		.amdhsa_system_sgpr_workgroup_info 0
		.amdhsa_system_vgpr_workitem_id 0
		.amdhsa_next_free_vgpr 1
		.amdhsa_next_free_sgpr 1
		.amdhsa_reserve_vcc 0
		.amdhsa_float_round_mode_32 0
		.amdhsa_float_round_mode_16_64 0
		.amdhsa_float_denorm_mode_32 3
		.amdhsa_float_denorm_mode_16_64 3
		.amdhsa_dx10_clamp 1
		.amdhsa_ieee_mode 1
		.amdhsa_fp16_overflow 0
		.amdhsa_workgroup_processor_mode 1
		.amdhsa_memory_ordered 1
		.amdhsa_forward_progress 0
		.amdhsa_shared_vgpr_count 0
		.amdhsa_exception_fp_ieee_invalid_op 0
		.amdhsa_exception_fp_denorm_src 0
		.amdhsa_exception_fp_ieee_div_zero 0
		.amdhsa_exception_fp_ieee_overflow 0
		.amdhsa_exception_fp_ieee_underflow 0
		.amdhsa_exception_fp_ieee_inexact 0
		.amdhsa_exception_int_div_zero 0
	.end_amdhsa_kernel
	.section	.text._ZN7rocprim17ROCPRIM_400000_NS6detail17trampoline_kernelINS0_14default_configENS1_25partition_config_selectorILNS1_17partition_subalgoE9EddbEEZZNS1_14partition_implILS5_9ELb0ES3_jN6thrust23THRUST_200600_302600_NS6detail15normal_iteratorINS9_10device_ptrIdEEEESE_PNS0_10empty_typeENS0_5tupleIJSE_SF_EEENSH_IJSE_SG_EEENS0_18inequality_wrapperI22is_equal_div_10_uniqueIdEEEPmJSF_EEE10hipError_tPvRmT3_T4_T5_T6_T7_T9_mT8_P12ihipStream_tbDpT10_ENKUlT_T0_E_clISt17integral_constantIbLb1EES17_IbLb0EEEEDaS13_S14_EUlS13_E_NS1_11comp_targetILNS1_3genE3ELNS1_11target_archE908ELNS1_3gpuE7ELNS1_3repE0EEENS1_30default_config_static_selectorELNS0_4arch9wavefront6targetE0EEEvT1_,"axG",@progbits,_ZN7rocprim17ROCPRIM_400000_NS6detail17trampoline_kernelINS0_14default_configENS1_25partition_config_selectorILNS1_17partition_subalgoE9EddbEEZZNS1_14partition_implILS5_9ELb0ES3_jN6thrust23THRUST_200600_302600_NS6detail15normal_iteratorINS9_10device_ptrIdEEEESE_PNS0_10empty_typeENS0_5tupleIJSE_SF_EEENSH_IJSE_SG_EEENS0_18inequality_wrapperI22is_equal_div_10_uniqueIdEEEPmJSF_EEE10hipError_tPvRmT3_T4_T5_T6_T7_T9_mT8_P12ihipStream_tbDpT10_ENKUlT_T0_E_clISt17integral_constantIbLb1EES17_IbLb0EEEEDaS13_S14_EUlS13_E_NS1_11comp_targetILNS1_3genE3ELNS1_11target_archE908ELNS1_3gpuE7ELNS1_3repE0EEENS1_30default_config_static_selectorELNS0_4arch9wavefront6targetE0EEEvT1_,comdat
.Lfunc_end66:
	.size	_ZN7rocprim17ROCPRIM_400000_NS6detail17trampoline_kernelINS0_14default_configENS1_25partition_config_selectorILNS1_17partition_subalgoE9EddbEEZZNS1_14partition_implILS5_9ELb0ES3_jN6thrust23THRUST_200600_302600_NS6detail15normal_iteratorINS9_10device_ptrIdEEEESE_PNS0_10empty_typeENS0_5tupleIJSE_SF_EEENSH_IJSE_SG_EEENS0_18inequality_wrapperI22is_equal_div_10_uniqueIdEEEPmJSF_EEE10hipError_tPvRmT3_T4_T5_T6_T7_T9_mT8_P12ihipStream_tbDpT10_ENKUlT_T0_E_clISt17integral_constantIbLb1EES17_IbLb0EEEEDaS13_S14_EUlS13_E_NS1_11comp_targetILNS1_3genE3ELNS1_11target_archE908ELNS1_3gpuE7ELNS1_3repE0EEENS1_30default_config_static_selectorELNS0_4arch9wavefront6targetE0EEEvT1_, .Lfunc_end66-_ZN7rocprim17ROCPRIM_400000_NS6detail17trampoline_kernelINS0_14default_configENS1_25partition_config_selectorILNS1_17partition_subalgoE9EddbEEZZNS1_14partition_implILS5_9ELb0ES3_jN6thrust23THRUST_200600_302600_NS6detail15normal_iteratorINS9_10device_ptrIdEEEESE_PNS0_10empty_typeENS0_5tupleIJSE_SF_EEENSH_IJSE_SG_EEENS0_18inequality_wrapperI22is_equal_div_10_uniqueIdEEEPmJSF_EEE10hipError_tPvRmT3_T4_T5_T6_T7_T9_mT8_P12ihipStream_tbDpT10_ENKUlT_T0_E_clISt17integral_constantIbLb1EES17_IbLb0EEEEDaS13_S14_EUlS13_E_NS1_11comp_targetILNS1_3genE3ELNS1_11target_archE908ELNS1_3gpuE7ELNS1_3repE0EEENS1_30default_config_static_selectorELNS0_4arch9wavefront6targetE0EEEvT1_
                                        ; -- End function
	.section	.AMDGPU.csdata,"",@progbits
; Kernel info:
; codeLenInByte = 0
; NumSgprs: 0
; NumVgprs: 0
; ScratchSize: 0
; MemoryBound: 0
; FloatMode: 240
; IeeeMode: 1
; LDSByteSize: 0 bytes/workgroup (compile time only)
; SGPRBlocks: 0
; VGPRBlocks: 0
; NumSGPRsForWavesPerEU: 1
; NumVGPRsForWavesPerEU: 1
; Occupancy: 16
; WaveLimiterHint : 0
; COMPUTE_PGM_RSRC2:SCRATCH_EN: 0
; COMPUTE_PGM_RSRC2:USER_SGPR: 15
; COMPUTE_PGM_RSRC2:TRAP_HANDLER: 0
; COMPUTE_PGM_RSRC2:TGID_X_EN: 1
; COMPUTE_PGM_RSRC2:TGID_Y_EN: 0
; COMPUTE_PGM_RSRC2:TGID_Z_EN: 0
; COMPUTE_PGM_RSRC2:TIDIG_COMP_CNT: 0
	.section	.text._ZN7rocprim17ROCPRIM_400000_NS6detail17trampoline_kernelINS0_14default_configENS1_25partition_config_selectorILNS1_17partition_subalgoE9EddbEEZZNS1_14partition_implILS5_9ELb0ES3_jN6thrust23THRUST_200600_302600_NS6detail15normal_iteratorINS9_10device_ptrIdEEEESE_PNS0_10empty_typeENS0_5tupleIJSE_SF_EEENSH_IJSE_SG_EEENS0_18inequality_wrapperI22is_equal_div_10_uniqueIdEEEPmJSF_EEE10hipError_tPvRmT3_T4_T5_T6_T7_T9_mT8_P12ihipStream_tbDpT10_ENKUlT_T0_E_clISt17integral_constantIbLb1EES17_IbLb0EEEEDaS13_S14_EUlS13_E_NS1_11comp_targetILNS1_3genE2ELNS1_11target_archE906ELNS1_3gpuE6ELNS1_3repE0EEENS1_30default_config_static_selectorELNS0_4arch9wavefront6targetE0EEEvT1_,"axG",@progbits,_ZN7rocprim17ROCPRIM_400000_NS6detail17trampoline_kernelINS0_14default_configENS1_25partition_config_selectorILNS1_17partition_subalgoE9EddbEEZZNS1_14partition_implILS5_9ELb0ES3_jN6thrust23THRUST_200600_302600_NS6detail15normal_iteratorINS9_10device_ptrIdEEEESE_PNS0_10empty_typeENS0_5tupleIJSE_SF_EEENSH_IJSE_SG_EEENS0_18inequality_wrapperI22is_equal_div_10_uniqueIdEEEPmJSF_EEE10hipError_tPvRmT3_T4_T5_T6_T7_T9_mT8_P12ihipStream_tbDpT10_ENKUlT_T0_E_clISt17integral_constantIbLb1EES17_IbLb0EEEEDaS13_S14_EUlS13_E_NS1_11comp_targetILNS1_3genE2ELNS1_11target_archE906ELNS1_3gpuE6ELNS1_3repE0EEENS1_30default_config_static_selectorELNS0_4arch9wavefront6targetE0EEEvT1_,comdat
	.protected	_ZN7rocprim17ROCPRIM_400000_NS6detail17trampoline_kernelINS0_14default_configENS1_25partition_config_selectorILNS1_17partition_subalgoE9EddbEEZZNS1_14partition_implILS5_9ELb0ES3_jN6thrust23THRUST_200600_302600_NS6detail15normal_iteratorINS9_10device_ptrIdEEEESE_PNS0_10empty_typeENS0_5tupleIJSE_SF_EEENSH_IJSE_SG_EEENS0_18inequality_wrapperI22is_equal_div_10_uniqueIdEEEPmJSF_EEE10hipError_tPvRmT3_T4_T5_T6_T7_T9_mT8_P12ihipStream_tbDpT10_ENKUlT_T0_E_clISt17integral_constantIbLb1EES17_IbLb0EEEEDaS13_S14_EUlS13_E_NS1_11comp_targetILNS1_3genE2ELNS1_11target_archE906ELNS1_3gpuE6ELNS1_3repE0EEENS1_30default_config_static_selectorELNS0_4arch9wavefront6targetE0EEEvT1_ ; -- Begin function _ZN7rocprim17ROCPRIM_400000_NS6detail17trampoline_kernelINS0_14default_configENS1_25partition_config_selectorILNS1_17partition_subalgoE9EddbEEZZNS1_14partition_implILS5_9ELb0ES3_jN6thrust23THRUST_200600_302600_NS6detail15normal_iteratorINS9_10device_ptrIdEEEESE_PNS0_10empty_typeENS0_5tupleIJSE_SF_EEENSH_IJSE_SG_EEENS0_18inequality_wrapperI22is_equal_div_10_uniqueIdEEEPmJSF_EEE10hipError_tPvRmT3_T4_T5_T6_T7_T9_mT8_P12ihipStream_tbDpT10_ENKUlT_T0_E_clISt17integral_constantIbLb1EES17_IbLb0EEEEDaS13_S14_EUlS13_E_NS1_11comp_targetILNS1_3genE2ELNS1_11target_archE906ELNS1_3gpuE6ELNS1_3repE0EEENS1_30default_config_static_selectorELNS0_4arch9wavefront6targetE0EEEvT1_
	.globl	_ZN7rocprim17ROCPRIM_400000_NS6detail17trampoline_kernelINS0_14default_configENS1_25partition_config_selectorILNS1_17partition_subalgoE9EddbEEZZNS1_14partition_implILS5_9ELb0ES3_jN6thrust23THRUST_200600_302600_NS6detail15normal_iteratorINS9_10device_ptrIdEEEESE_PNS0_10empty_typeENS0_5tupleIJSE_SF_EEENSH_IJSE_SG_EEENS0_18inequality_wrapperI22is_equal_div_10_uniqueIdEEEPmJSF_EEE10hipError_tPvRmT3_T4_T5_T6_T7_T9_mT8_P12ihipStream_tbDpT10_ENKUlT_T0_E_clISt17integral_constantIbLb1EES17_IbLb0EEEEDaS13_S14_EUlS13_E_NS1_11comp_targetILNS1_3genE2ELNS1_11target_archE906ELNS1_3gpuE6ELNS1_3repE0EEENS1_30default_config_static_selectorELNS0_4arch9wavefront6targetE0EEEvT1_
	.p2align	8
	.type	_ZN7rocprim17ROCPRIM_400000_NS6detail17trampoline_kernelINS0_14default_configENS1_25partition_config_selectorILNS1_17partition_subalgoE9EddbEEZZNS1_14partition_implILS5_9ELb0ES3_jN6thrust23THRUST_200600_302600_NS6detail15normal_iteratorINS9_10device_ptrIdEEEESE_PNS0_10empty_typeENS0_5tupleIJSE_SF_EEENSH_IJSE_SG_EEENS0_18inequality_wrapperI22is_equal_div_10_uniqueIdEEEPmJSF_EEE10hipError_tPvRmT3_T4_T5_T6_T7_T9_mT8_P12ihipStream_tbDpT10_ENKUlT_T0_E_clISt17integral_constantIbLb1EES17_IbLb0EEEEDaS13_S14_EUlS13_E_NS1_11comp_targetILNS1_3genE2ELNS1_11target_archE906ELNS1_3gpuE6ELNS1_3repE0EEENS1_30default_config_static_selectorELNS0_4arch9wavefront6targetE0EEEvT1_,@function
_ZN7rocprim17ROCPRIM_400000_NS6detail17trampoline_kernelINS0_14default_configENS1_25partition_config_selectorILNS1_17partition_subalgoE9EddbEEZZNS1_14partition_implILS5_9ELb0ES3_jN6thrust23THRUST_200600_302600_NS6detail15normal_iteratorINS9_10device_ptrIdEEEESE_PNS0_10empty_typeENS0_5tupleIJSE_SF_EEENSH_IJSE_SG_EEENS0_18inequality_wrapperI22is_equal_div_10_uniqueIdEEEPmJSF_EEE10hipError_tPvRmT3_T4_T5_T6_T7_T9_mT8_P12ihipStream_tbDpT10_ENKUlT_T0_E_clISt17integral_constantIbLb1EES17_IbLb0EEEEDaS13_S14_EUlS13_E_NS1_11comp_targetILNS1_3genE2ELNS1_11target_archE906ELNS1_3gpuE6ELNS1_3repE0EEENS1_30default_config_static_selectorELNS0_4arch9wavefront6targetE0EEEvT1_: ; @_ZN7rocprim17ROCPRIM_400000_NS6detail17trampoline_kernelINS0_14default_configENS1_25partition_config_selectorILNS1_17partition_subalgoE9EddbEEZZNS1_14partition_implILS5_9ELb0ES3_jN6thrust23THRUST_200600_302600_NS6detail15normal_iteratorINS9_10device_ptrIdEEEESE_PNS0_10empty_typeENS0_5tupleIJSE_SF_EEENSH_IJSE_SG_EEENS0_18inequality_wrapperI22is_equal_div_10_uniqueIdEEEPmJSF_EEE10hipError_tPvRmT3_T4_T5_T6_T7_T9_mT8_P12ihipStream_tbDpT10_ENKUlT_T0_E_clISt17integral_constantIbLb1EES17_IbLb0EEEEDaS13_S14_EUlS13_E_NS1_11comp_targetILNS1_3genE2ELNS1_11target_archE906ELNS1_3gpuE6ELNS1_3repE0EEENS1_30default_config_static_selectorELNS0_4arch9wavefront6targetE0EEEvT1_
; %bb.0:
	.section	.rodata,"a",@progbits
	.p2align	6, 0x0
	.amdhsa_kernel _ZN7rocprim17ROCPRIM_400000_NS6detail17trampoline_kernelINS0_14default_configENS1_25partition_config_selectorILNS1_17partition_subalgoE9EddbEEZZNS1_14partition_implILS5_9ELb0ES3_jN6thrust23THRUST_200600_302600_NS6detail15normal_iteratorINS9_10device_ptrIdEEEESE_PNS0_10empty_typeENS0_5tupleIJSE_SF_EEENSH_IJSE_SG_EEENS0_18inequality_wrapperI22is_equal_div_10_uniqueIdEEEPmJSF_EEE10hipError_tPvRmT3_T4_T5_T6_T7_T9_mT8_P12ihipStream_tbDpT10_ENKUlT_T0_E_clISt17integral_constantIbLb1EES17_IbLb0EEEEDaS13_S14_EUlS13_E_NS1_11comp_targetILNS1_3genE2ELNS1_11target_archE906ELNS1_3gpuE6ELNS1_3repE0EEENS1_30default_config_static_selectorELNS0_4arch9wavefront6targetE0EEEvT1_
		.amdhsa_group_segment_fixed_size 0
		.amdhsa_private_segment_fixed_size 0
		.amdhsa_kernarg_size 112
		.amdhsa_user_sgpr_count 15
		.amdhsa_user_sgpr_dispatch_ptr 0
		.amdhsa_user_sgpr_queue_ptr 0
		.amdhsa_user_sgpr_kernarg_segment_ptr 1
		.amdhsa_user_sgpr_dispatch_id 0
		.amdhsa_user_sgpr_private_segment_size 0
		.amdhsa_wavefront_size32 1
		.amdhsa_uses_dynamic_stack 0
		.amdhsa_enable_private_segment 0
		.amdhsa_system_sgpr_workgroup_id_x 1
		.amdhsa_system_sgpr_workgroup_id_y 0
		.amdhsa_system_sgpr_workgroup_id_z 0
		.amdhsa_system_sgpr_workgroup_info 0
		.amdhsa_system_vgpr_workitem_id 0
		.amdhsa_next_free_vgpr 1
		.amdhsa_next_free_sgpr 1
		.amdhsa_reserve_vcc 0
		.amdhsa_float_round_mode_32 0
		.amdhsa_float_round_mode_16_64 0
		.amdhsa_float_denorm_mode_32 3
		.amdhsa_float_denorm_mode_16_64 3
		.amdhsa_dx10_clamp 1
		.amdhsa_ieee_mode 1
		.amdhsa_fp16_overflow 0
		.amdhsa_workgroup_processor_mode 1
		.amdhsa_memory_ordered 1
		.amdhsa_forward_progress 0
		.amdhsa_shared_vgpr_count 0
		.amdhsa_exception_fp_ieee_invalid_op 0
		.amdhsa_exception_fp_denorm_src 0
		.amdhsa_exception_fp_ieee_div_zero 0
		.amdhsa_exception_fp_ieee_overflow 0
		.amdhsa_exception_fp_ieee_underflow 0
		.amdhsa_exception_fp_ieee_inexact 0
		.amdhsa_exception_int_div_zero 0
	.end_amdhsa_kernel
	.section	.text._ZN7rocprim17ROCPRIM_400000_NS6detail17trampoline_kernelINS0_14default_configENS1_25partition_config_selectorILNS1_17partition_subalgoE9EddbEEZZNS1_14partition_implILS5_9ELb0ES3_jN6thrust23THRUST_200600_302600_NS6detail15normal_iteratorINS9_10device_ptrIdEEEESE_PNS0_10empty_typeENS0_5tupleIJSE_SF_EEENSH_IJSE_SG_EEENS0_18inequality_wrapperI22is_equal_div_10_uniqueIdEEEPmJSF_EEE10hipError_tPvRmT3_T4_T5_T6_T7_T9_mT8_P12ihipStream_tbDpT10_ENKUlT_T0_E_clISt17integral_constantIbLb1EES17_IbLb0EEEEDaS13_S14_EUlS13_E_NS1_11comp_targetILNS1_3genE2ELNS1_11target_archE906ELNS1_3gpuE6ELNS1_3repE0EEENS1_30default_config_static_selectorELNS0_4arch9wavefront6targetE0EEEvT1_,"axG",@progbits,_ZN7rocprim17ROCPRIM_400000_NS6detail17trampoline_kernelINS0_14default_configENS1_25partition_config_selectorILNS1_17partition_subalgoE9EddbEEZZNS1_14partition_implILS5_9ELb0ES3_jN6thrust23THRUST_200600_302600_NS6detail15normal_iteratorINS9_10device_ptrIdEEEESE_PNS0_10empty_typeENS0_5tupleIJSE_SF_EEENSH_IJSE_SG_EEENS0_18inequality_wrapperI22is_equal_div_10_uniqueIdEEEPmJSF_EEE10hipError_tPvRmT3_T4_T5_T6_T7_T9_mT8_P12ihipStream_tbDpT10_ENKUlT_T0_E_clISt17integral_constantIbLb1EES17_IbLb0EEEEDaS13_S14_EUlS13_E_NS1_11comp_targetILNS1_3genE2ELNS1_11target_archE906ELNS1_3gpuE6ELNS1_3repE0EEENS1_30default_config_static_selectorELNS0_4arch9wavefront6targetE0EEEvT1_,comdat
.Lfunc_end67:
	.size	_ZN7rocprim17ROCPRIM_400000_NS6detail17trampoline_kernelINS0_14default_configENS1_25partition_config_selectorILNS1_17partition_subalgoE9EddbEEZZNS1_14partition_implILS5_9ELb0ES3_jN6thrust23THRUST_200600_302600_NS6detail15normal_iteratorINS9_10device_ptrIdEEEESE_PNS0_10empty_typeENS0_5tupleIJSE_SF_EEENSH_IJSE_SG_EEENS0_18inequality_wrapperI22is_equal_div_10_uniqueIdEEEPmJSF_EEE10hipError_tPvRmT3_T4_T5_T6_T7_T9_mT8_P12ihipStream_tbDpT10_ENKUlT_T0_E_clISt17integral_constantIbLb1EES17_IbLb0EEEEDaS13_S14_EUlS13_E_NS1_11comp_targetILNS1_3genE2ELNS1_11target_archE906ELNS1_3gpuE6ELNS1_3repE0EEENS1_30default_config_static_selectorELNS0_4arch9wavefront6targetE0EEEvT1_, .Lfunc_end67-_ZN7rocprim17ROCPRIM_400000_NS6detail17trampoline_kernelINS0_14default_configENS1_25partition_config_selectorILNS1_17partition_subalgoE9EddbEEZZNS1_14partition_implILS5_9ELb0ES3_jN6thrust23THRUST_200600_302600_NS6detail15normal_iteratorINS9_10device_ptrIdEEEESE_PNS0_10empty_typeENS0_5tupleIJSE_SF_EEENSH_IJSE_SG_EEENS0_18inequality_wrapperI22is_equal_div_10_uniqueIdEEEPmJSF_EEE10hipError_tPvRmT3_T4_T5_T6_T7_T9_mT8_P12ihipStream_tbDpT10_ENKUlT_T0_E_clISt17integral_constantIbLb1EES17_IbLb0EEEEDaS13_S14_EUlS13_E_NS1_11comp_targetILNS1_3genE2ELNS1_11target_archE906ELNS1_3gpuE6ELNS1_3repE0EEENS1_30default_config_static_selectorELNS0_4arch9wavefront6targetE0EEEvT1_
                                        ; -- End function
	.section	.AMDGPU.csdata,"",@progbits
; Kernel info:
; codeLenInByte = 0
; NumSgprs: 0
; NumVgprs: 0
; ScratchSize: 0
; MemoryBound: 0
; FloatMode: 240
; IeeeMode: 1
; LDSByteSize: 0 bytes/workgroup (compile time only)
; SGPRBlocks: 0
; VGPRBlocks: 0
; NumSGPRsForWavesPerEU: 1
; NumVGPRsForWavesPerEU: 1
; Occupancy: 16
; WaveLimiterHint : 0
; COMPUTE_PGM_RSRC2:SCRATCH_EN: 0
; COMPUTE_PGM_RSRC2:USER_SGPR: 15
; COMPUTE_PGM_RSRC2:TRAP_HANDLER: 0
; COMPUTE_PGM_RSRC2:TGID_X_EN: 1
; COMPUTE_PGM_RSRC2:TGID_Y_EN: 0
; COMPUTE_PGM_RSRC2:TGID_Z_EN: 0
; COMPUTE_PGM_RSRC2:TIDIG_COMP_CNT: 0
	.section	.text._ZN7rocprim17ROCPRIM_400000_NS6detail17trampoline_kernelINS0_14default_configENS1_25partition_config_selectorILNS1_17partition_subalgoE9EddbEEZZNS1_14partition_implILS5_9ELb0ES3_jN6thrust23THRUST_200600_302600_NS6detail15normal_iteratorINS9_10device_ptrIdEEEESE_PNS0_10empty_typeENS0_5tupleIJSE_SF_EEENSH_IJSE_SG_EEENS0_18inequality_wrapperI22is_equal_div_10_uniqueIdEEEPmJSF_EEE10hipError_tPvRmT3_T4_T5_T6_T7_T9_mT8_P12ihipStream_tbDpT10_ENKUlT_T0_E_clISt17integral_constantIbLb1EES17_IbLb0EEEEDaS13_S14_EUlS13_E_NS1_11comp_targetILNS1_3genE10ELNS1_11target_archE1200ELNS1_3gpuE4ELNS1_3repE0EEENS1_30default_config_static_selectorELNS0_4arch9wavefront6targetE0EEEvT1_,"axG",@progbits,_ZN7rocprim17ROCPRIM_400000_NS6detail17trampoline_kernelINS0_14default_configENS1_25partition_config_selectorILNS1_17partition_subalgoE9EddbEEZZNS1_14partition_implILS5_9ELb0ES3_jN6thrust23THRUST_200600_302600_NS6detail15normal_iteratorINS9_10device_ptrIdEEEESE_PNS0_10empty_typeENS0_5tupleIJSE_SF_EEENSH_IJSE_SG_EEENS0_18inequality_wrapperI22is_equal_div_10_uniqueIdEEEPmJSF_EEE10hipError_tPvRmT3_T4_T5_T6_T7_T9_mT8_P12ihipStream_tbDpT10_ENKUlT_T0_E_clISt17integral_constantIbLb1EES17_IbLb0EEEEDaS13_S14_EUlS13_E_NS1_11comp_targetILNS1_3genE10ELNS1_11target_archE1200ELNS1_3gpuE4ELNS1_3repE0EEENS1_30default_config_static_selectorELNS0_4arch9wavefront6targetE0EEEvT1_,comdat
	.protected	_ZN7rocprim17ROCPRIM_400000_NS6detail17trampoline_kernelINS0_14default_configENS1_25partition_config_selectorILNS1_17partition_subalgoE9EddbEEZZNS1_14partition_implILS5_9ELb0ES3_jN6thrust23THRUST_200600_302600_NS6detail15normal_iteratorINS9_10device_ptrIdEEEESE_PNS0_10empty_typeENS0_5tupleIJSE_SF_EEENSH_IJSE_SG_EEENS0_18inequality_wrapperI22is_equal_div_10_uniqueIdEEEPmJSF_EEE10hipError_tPvRmT3_T4_T5_T6_T7_T9_mT8_P12ihipStream_tbDpT10_ENKUlT_T0_E_clISt17integral_constantIbLb1EES17_IbLb0EEEEDaS13_S14_EUlS13_E_NS1_11comp_targetILNS1_3genE10ELNS1_11target_archE1200ELNS1_3gpuE4ELNS1_3repE0EEENS1_30default_config_static_selectorELNS0_4arch9wavefront6targetE0EEEvT1_ ; -- Begin function _ZN7rocprim17ROCPRIM_400000_NS6detail17trampoline_kernelINS0_14default_configENS1_25partition_config_selectorILNS1_17partition_subalgoE9EddbEEZZNS1_14partition_implILS5_9ELb0ES3_jN6thrust23THRUST_200600_302600_NS6detail15normal_iteratorINS9_10device_ptrIdEEEESE_PNS0_10empty_typeENS0_5tupleIJSE_SF_EEENSH_IJSE_SG_EEENS0_18inequality_wrapperI22is_equal_div_10_uniqueIdEEEPmJSF_EEE10hipError_tPvRmT3_T4_T5_T6_T7_T9_mT8_P12ihipStream_tbDpT10_ENKUlT_T0_E_clISt17integral_constantIbLb1EES17_IbLb0EEEEDaS13_S14_EUlS13_E_NS1_11comp_targetILNS1_3genE10ELNS1_11target_archE1200ELNS1_3gpuE4ELNS1_3repE0EEENS1_30default_config_static_selectorELNS0_4arch9wavefront6targetE0EEEvT1_
	.globl	_ZN7rocprim17ROCPRIM_400000_NS6detail17trampoline_kernelINS0_14default_configENS1_25partition_config_selectorILNS1_17partition_subalgoE9EddbEEZZNS1_14partition_implILS5_9ELb0ES3_jN6thrust23THRUST_200600_302600_NS6detail15normal_iteratorINS9_10device_ptrIdEEEESE_PNS0_10empty_typeENS0_5tupleIJSE_SF_EEENSH_IJSE_SG_EEENS0_18inequality_wrapperI22is_equal_div_10_uniqueIdEEEPmJSF_EEE10hipError_tPvRmT3_T4_T5_T6_T7_T9_mT8_P12ihipStream_tbDpT10_ENKUlT_T0_E_clISt17integral_constantIbLb1EES17_IbLb0EEEEDaS13_S14_EUlS13_E_NS1_11comp_targetILNS1_3genE10ELNS1_11target_archE1200ELNS1_3gpuE4ELNS1_3repE0EEENS1_30default_config_static_selectorELNS0_4arch9wavefront6targetE0EEEvT1_
	.p2align	8
	.type	_ZN7rocprim17ROCPRIM_400000_NS6detail17trampoline_kernelINS0_14default_configENS1_25partition_config_selectorILNS1_17partition_subalgoE9EddbEEZZNS1_14partition_implILS5_9ELb0ES3_jN6thrust23THRUST_200600_302600_NS6detail15normal_iteratorINS9_10device_ptrIdEEEESE_PNS0_10empty_typeENS0_5tupleIJSE_SF_EEENSH_IJSE_SG_EEENS0_18inequality_wrapperI22is_equal_div_10_uniqueIdEEEPmJSF_EEE10hipError_tPvRmT3_T4_T5_T6_T7_T9_mT8_P12ihipStream_tbDpT10_ENKUlT_T0_E_clISt17integral_constantIbLb1EES17_IbLb0EEEEDaS13_S14_EUlS13_E_NS1_11comp_targetILNS1_3genE10ELNS1_11target_archE1200ELNS1_3gpuE4ELNS1_3repE0EEENS1_30default_config_static_selectorELNS0_4arch9wavefront6targetE0EEEvT1_,@function
_ZN7rocprim17ROCPRIM_400000_NS6detail17trampoline_kernelINS0_14default_configENS1_25partition_config_selectorILNS1_17partition_subalgoE9EddbEEZZNS1_14partition_implILS5_9ELb0ES3_jN6thrust23THRUST_200600_302600_NS6detail15normal_iteratorINS9_10device_ptrIdEEEESE_PNS0_10empty_typeENS0_5tupleIJSE_SF_EEENSH_IJSE_SG_EEENS0_18inequality_wrapperI22is_equal_div_10_uniqueIdEEEPmJSF_EEE10hipError_tPvRmT3_T4_T5_T6_T7_T9_mT8_P12ihipStream_tbDpT10_ENKUlT_T0_E_clISt17integral_constantIbLb1EES17_IbLb0EEEEDaS13_S14_EUlS13_E_NS1_11comp_targetILNS1_3genE10ELNS1_11target_archE1200ELNS1_3gpuE4ELNS1_3repE0EEENS1_30default_config_static_selectorELNS0_4arch9wavefront6targetE0EEEvT1_: ; @_ZN7rocprim17ROCPRIM_400000_NS6detail17trampoline_kernelINS0_14default_configENS1_25partition_config_selectorILNS1_17partition_subalgoE9EddbEEZZNS1_14partition_implILS5_9ELb0ES3_jN6thrust23THRUST_200600_302600_NS6detail15normal_iteratorINS9_10device_ptrIdEEEESE_PNS0_10empty_typeENS0_5tupleIJSE_SF_EEENSH_IJSE_SG_EEENS0_18inequality_wrapperI22is_equal_div_10_uniqueIdEEEPmJSF_EEE10hipError_tPvRmT3_T4_T5_T6_T7_T9_mT8_P12ihipStream_tbDpT10_ENKUlT_T0_E_clISt17integral_constantIbLb1EES17_IbLb0EEEEDaS13_S14_EUlS13_E_NS1_11comp_targetILNS1_3genE10ELNS1_11target_archE1200ELNS1_3gpuE4ELNS1_3repE0EEENS1_30default_config_static_selectorELNS0_4arch9wavefront6targetE0EEEvT1_
; %bb.0:
	.section	.rodata,"a",@progbits
	.p2align	6, 0x0
	.amdhsa_kernel _ZN7rocprim17ROCPRIM_400000_NS6detail17trampoline_kernelINS0_14default_configENS1_25partition_config_selectorILNS1_17partition_subalgoE9EddbEEZZNS1_14partition_implILS5_9ELb0ES3_jN6thrust23THRUST_200600_302600_NS6detail15normal_iteratorINS9_10device_ptrIdEEEESE_PNS0_10empty_typeENS0_5tupleIJSE_SF_EEENSH_IJSE_SG_EEENS0_18inequality_wrapperI22is_equal_div_10_uniqueIdEEEPmJSF_EEE10hipError_tPvRmT3_T4_T5_T6_T7_T9_mT8_P12ihipStream_tbDpT10_ENKUlT_T0_E_clISt17integral_constantIbLb1EES17_IbLb0EEEEDaS13_S14_EUlS13_E_NS1_11comp_targetILNS1_3genE10ELNS1_11target_archE1200ELNS1_3gpuE4ELNS1_3repE0EEENS1_30default_config_static_selectorELNS0_4arch9wavefront6targetE0EEEvT1_
		.amdhsa_group_segment_fixed_size 0
		.amdhsa_private_segment_fixed_size 0
		.amdhsa_kernarg_size 112
		.amdhsa_user_sgpr_count 15
		.amdhsa_user_sgpr_dispatch_ptr 0
		.amdhsa_user_sgpr_queue_ptr 0
		.amdhsa_user_sgpr_kernarg_segment_ptr 1
		.amdhsa_user_sgpr_dispatch_id 0
		.amdhsa_user_sgpr_private_segment_size 0
		.amdhsa_wavefront_size32 1
		.amdhsa_uses_dynamic_stack 0
		.amdhsa_enable_private_segment 0
		.amdhsa_system_sgpr_workgroup_id_x 1
		.amdhsa_system_sgpr_workgroup_id_y 0
		.amdhsa_system_sgpr_workgroup_id_z 0
		.amdhsa_system_sgpr_workgroup_info 0
		.amdhsa_system_vgpr_workitem_id 0
		.amdhsa_next_free_vgpr 1
		.amdhsa_next_free_sgpr 1
		.amdhsa_reserve_vcc 0
		.amdhsa_float_round_mode_32 0
		.amdhsa_float_round_mode_16_64 0
		.amdhsa_float_denorm_mode_32 3
		.amdhsa_float_denorm_mode_16_64 3
		.amdhsa_dx10_clamp 1
		.amdhsa_ieee_mode 1
		.amdhsa_fp16_overflow 0
		.amdhsa_workgroup_processor_mode 1
		.amdhsa_memory_ordered 1
		.amdhsa_forward_progress 0
		.amdhsa_shared_vgpr_count 0
		.amdhsa_exception_fp_ieee_invalid_op 0
		.amdhsa_exception_fp_denorm_src 0
		.amdhsa_exception_fp_ieee_div_zero 0
		.amdhsa_exception_fp_ieee_overflow 0
		.amdhsa_exception_fp_ieee_underflow 0
		.amdhsa_exception_fp_ieee_inexact 0
		.amdhsa_exception_int_div_zero 0
	.end_amdhsa_kernel
	.section	.text._ZN7rocprim17ROCPRIM_400000_NS6detail17trampoline_kernelINS0_14default_configENS1_25partition_config_selectorILNS1_17partition_subalgoE9EddbEEZZNS1_14partition_implILS5_9ELb0ES3_jN6thrust23THRUST_200600_302600_NS6detail15normal_iteratorINS9_10device_ptrIdEEEESE_PNS0_10empty_typeENS0_5tupleIJSE_SF_EEENSH_IJSE_SG_EEENS0_18inequality_wrapperI22is_equal_div_10_uniqueIdEEEPmJSF_EEE10hipError_tPvRmT3_T4_T5_T6_T7_T9_mT8_P12ihipStream_tbDpT10_ENKUlT_T0_E_clISt17integral_constantIbLb1EES17_IbLb0EEEEDaS13_S14_EUlS13_E_NS1_11comp_targetILNS1_3genE10ELNS1_11target_archE1200ELNS1_3gpuE4ELNS1_3repE0EEENS1_30default_config_static_selectorELNS0_4arch9wavefront6targetE0EEEvT1_,"axG",@progbits,_ZN7rocprim17ROCPRIM_400000_NS6detail17trampoline_kernelINS0_14default_configENS1_25partition_config_selectorILNS1_17partition_subalgoE9EddbEEZZNS1_14partition_implILS5_9ELb0ES3_jN6thrust23THRUST_200600_302600_NS6detail15normal_iteratorINS9_10device_ptrIdEEEESE_PNS0_10empty_typeENS0_5tupleIJSE_SF_EEENSH_IJSE_SG_EEENS0_18inequality_wrapperI22is_equal_div_10_uniqueIdEEEPmJSF_EEE10hipError_tPvRmT3_T4_T5_T6_T7_T9_mT8_P12ihipStream_tbDpT10_ENKUlT_T0_E_clISt17integral_constantIbLb1EES17_IbLb0EEEEDaS13_S14_EUlS13_E_NS1_11comp_targetILNS1_3genE10ELNS1_11target_archE1200ELNS1_3gpuE4ELNS1_3repE0EEENS1_30default_config_static_selectorELNS0_4arch9wavefront6targetE0EEEvT1_,comdat
.Lfunc_end68:
	.size	_ZN7rocprim17ROCPRIM_400000_NS6detail17trampoline_kernelINS0_14default_configENS1_25partition_config_selectorILNS1_17partition_subalgoE9EddbEEZZNS1_14partition_implILS5_9ELb0ES3_jN6thrust23THRUST_200600_302600_NS6detail15normal_iteratorINS9_10device_ptrIdEEEESE_PNS0_10empty_typeENS0_5tupleIJSE_SF_EEENSH_IJSE_SG_EEENS0_18inequality_wrapperI22is_equal_div_10_uniqueIdEEEPmJSF_EEE10hipError_tPvRmT3_T4_T5_T6_T7_T9_mT8_P12ihipStream_tbDpT10_ENKUlT_T0_E_clISt17integral_constantIbLb1EES17_IbLb0EEEEDaS13_S14_EUlS13_E_NS1_11comp_targetILNS1_3genE10ELNS1_11target_archE1200ELNS1_3gpuE4ELNS1_3repE0EEENS1_30default_config_static_selectorELNS0_4arch9wavefront6targetE0EEEvT1_, .Lfunc_end68-_ZN7rocprim17ROCPRIM_400000_NS6detail17trampoline_kernelINS0_14default_configENS1_25partition_config_selectorILNS1_17partition_subalgoE9EddbEEZZNS1_14partition_implILS5_9ELb0ES3_jN6thrust23THRUST_200600_302600_NS6detail15normal_iteratorINS9_10device_ptrIdEEEESE_PNS0_10empty_typeENS0_5tupleIJSE_SF_EEENSH_IJSE_SG_EEENS0_18inequality_wrapperI22is_equal_div_10_uniqueIdEEEPmJSF_EEE10hipError_tPvRmT3_T4_T5_T6_T7_T9_mT8_P12ihipStream_tbDpT10_ENKUlT_T0_E_clISt17integral_constantIbLb1EES17_IbLb0EEEEDaS13_S14_EUlS13_E_NS1_11comp_targetILNS1_3genE10ELNS1_11target_archE1200ELNS1_3gpuE4ELNS1_3repE0EEENS1_30default_config_static_selectorELNS0_4arch9wavefront6targetE0EEEvT1_
                                        ; -- End function
	.section	.AMDGPU.csdata,"",@progbits
; Kernel info:
; codeLenInByte = 0
; NumSgprs: 0
; NumVgprs: 0
; ScratchSize: 0
; MemoryBound: 0
; FloatMode: 240
; IeeeMode: 1
; LDSByteSize: 0 bytes/workgroup (compile time only)
; SGPRBlocks: 0
; VGPRBlocks: 0
; NumSGPRsForWavesPerEU: 1
; NumVGPRsForWavesPerEU: 1
; Occupancy: 15
; WaveLimiterHint : 0
; COMPUTE_PGM_RSRC2:SCRATCH_EN: 0
; COMPUTE_PGM_RSRC2:USER_SGPR: 15
; COMPUTE_PGM_RSRC2:TRAP_HANDLER: 0
; COMPUTE_PGM_RSRC2:TGID_X_EN: 1
; COMPUTE_PGM_RSRC2:TGID_Y_EN: 0
; COMPUTE_PGM_RSRC2:TGID_Z_EN: 0
; COMPUTE_PGM_RSRC2:TIDIG_COMP_CNT: 0
	.section	.text._ZN7rocprim17ROCPRIM_400000_NS6detail17trampoline_kernelINS0_14default_configENS1_25partition_config_selectorILNS1_17partition_subalgoE9EddbEEZZNS1_14partition_implILS5_9ELb0ES3_jN6thrust23THRUST_200600_302600_NS6detail15normal_iteratorINS9_10device_ptrIdEEEESE_PNS0_10empty_typeENS0_5tupleIJSE_SF_EEENSH_IJSE_SG_EEENS0_18inequality_wrapperI22is_equal_div_10_uniqueIdEEEPmJSF_EEE10hipError_tPvRmT3_T4_T5_T6_T7_T9_mT8_P12ihipStream_tbDpT10_ENKUlT_T0_E_clISt17integral_constantIbLb1EES17_IbLb0EEEEDaS13_S14_EUlS13_E_NS1_11comp_targetILNS1_3genE9ELNS1_11target_archE1100ELNS1_3gpuE3ELNS1_3repE0EEENS1_30default_config_static_selectorELNS0_4arch9wavefront6targetE0EEEvT1_,"axG",@progbits,_ZN7rocprim17ROCPRIM_400000_NS6detail17trampoline_kernelINS0_14default_configENS1_25partition_config_selectorILNS1_17partition_subalgoE9EddbEEZZNS1_14partition_implILS5_9ELb0ES3_jN6thrust23THRUST_200600_302600_NS6detail15normal_iteratorINS9_10device_ptrIdEEEESE_PNS0_10empty_typeENS0_5tupleIJSE_SF_EEENSH_IJSE_SG_EEENS0_18inequality_wrapperI22is_equal_div_10_uniqueIdEEEPmJSF_EEE10hipError_tPvRmT3_T4_T5_T6_T7_T9_mT8_P12ihipStream_tbDpT10_ENKUlT_T0_E_clISt17integral_constantIbLb1EES17_IbLb0EEEEDaS13_S14_EUlS13_E_NS1_11comp_targetILNS1_3genE9ELNS1_11target_archE1100ELNS1_3gpuE3ELNS1_3repE0EEENS1_30default_config_static_selectorELNS0_4arch9wavefront6targetE0EEEvT1_,comdat
	.protected	_ZN7rocprim17ROCPRIM_400000_NS6detail17trampoline_kernelINS0_14default_configENS1_25partition_config_selectorILNS1_17partition_subalgoE9EddbEEZZNS1_14partition_implILS5_9ELb0ES3_jN6thrust23THRUST_200600_302600_NS6detail15normal_iteratorINS9_10device_ptrIdEEEESE_PNS0_10empty_typeENS0_5tupleIJSE_SF_EEENSH_IJSE_SG_EEENS0_18inequality_wrapperI22is_equal_div_10_uniqueIdEEEPmJSF_EEE10hipError_tPvRmT3_T4_T5_T6_T7_T9_mT8_P12ihipStream_tbDpT10_ENKUlT_T0_E_clISt17integral_constantIbLb1EES17_IbLb0EEEEDaS13_S14_EUlS13_E_NS1_11comp_targetILNS1_3genE9ELNS1_11target_archE1100ELNS1_3gpuE3ELNS1_3repE0EEENS1_30default_config_static_selectorELNS0_4arch9wavefront6targetE0EEEvT1_ ; -- Begin function _ZN7rocprim17ROCPRIM_400000_NS6detail17trampoline_kernelINS0_14default_configENS1_25partition_config_selectorILNS1_17partition_subalgoE9EddbEEZZNS1_14partition_implILS5_9ELb0ES3_jN6thrust23THRUST_200600_302600_NS6detail15normal_iteratorINS9_10device_ptrIdEEEESE_PNS0_10empty_typeENS0_5tupleIJSE_SF_EEENSH_IJSE_SG_EEENS0_18inequality_wrapperI22is_equal_div_10_uniqueIdEEEPmJSF_EEE10hipError_tPvRmT3_T4_T5_T6_T7_T9_mT8_P12ihipStream_tbDpT10_ENKUlT_T0_E_clISt17integral_constantIbLb1EES17_IbLb0EEEEDaS13_S14_EUlS13_E_NS1_11comp_targetILNS1_3genE9ELNS1_11target_archE1100ELNS1_3gpuE3ELNS1_3repE0EEENS1_30default_config_static_selectorELNS0_4arch9wavefront6targetE0EEEvT1_
	.globl	_ZN7rocprim17ROCPRIM_400000_NS6detail17trampoline_kernelINS0_14default_configENS1_25partition_config_selectorILNS1_17partition_subalgoE9EddbEEZZNS1_14partition_implILS5_9ELb0ES3_jN6thrust23THRUST_200600_302600_NS6detail15normal_iteratorINS9_10device_ptrIdEEEESE_PNS0_10empty_typeENS0_5tupleIJSE_SF_EEENSH_IJSE_SG_EEENS0_18inequality_wrapperI22is_equal_div_10_uniqueIdEEEPmJSF_EEE10hipError_tPvRmT3_T4_T5_T6_T7_T9_mT8_P12ihipStream_tbDpT10_ENKUlT_T0_E_clISt17integral_constantIbLb1EES17_IbLb0EEEEDaS13_S14_EUlS13_E_NS1_11comp_targetILNS1_3genE9ELNS1_11target_archE1100ELNS1_3gpuE3ELNS1_3repE0EEENS1_30default_config_static_selectorELNS0_4arch9wavefront6targetE0EEEvT1_
	.p2align	8
	.type	_ZN7rocprim17ROCPRIM_400000_NS6detail17trampoline_kernelINS0_14default_configENS1_25partition_config_selectorILNS1_17partition_subalgoE9EddbEEZZNS1_14partition_implILS5_9ELb0ES3_jN6thrust23THRUST_200600_302600_NS6detail15normal_iteratorINS9_10device_ptrIdEEEESE_PNS0_10empty_typeENS0_5tupleIJSE_SF_EEENSH_IJSE_SG_EEENS0_18inequality_wrapperI22is_equal_div_10_uniqueIdEEEPmJSF_EEE10hipError_tPvRmT3_T4_T5_T6_T7_T9_mT8_P12ihipStream_tbDpT10_ENKUlT_T0_E_clISt17integral_constantIbLb1EES17_IbLb0EEEEDaS13_S14_EUlS13_E_NS1_11comp_targetILNS1_3genE9ELNS1_11target_archE1100ELNS1_3gpuE3ELNS1_3repE0EEENS1_30default_config_static_selectorELNS0_4arch9wavefront6targetE0EEEvT1_,@function
_ZN7rocprim17ROCPRIM_400000_NS6detail17trampoline_kernelINS0_14default_configENS1_25partition_config_selectorILNS1_17partition_subalgoE9EddbEEZZNS1_14partition_implILS5_9ELb0ES3_jN6thrust23THRUST_200600_302600_NS6detail15normal_iteratorINS9_10device_ptrIdEEEESE_PNS0_10empty_typeENS0_5tupleIJSE_SF_EEENSH_IJSE_SG_EEENS0_18inequality_wrapperI22is_equal_div_10_uniqueIdEEEPmJSF_EEE10hipError_tPvRmT3_T4_T5_T6_T7_T9_mT8_P12ihipStream_tbDpT10_ENKUlT_T0_E_clISt17integral_constantIbLb1EES17_IbLb0EEEEDaS13_S14_EUlS13_E_NS1_11comp_targetILNS1_3genE9ELNS1_11target_archE1100ELNS1_3gpuE3ELNS1_3repE0EEENS1_30default_config_static_selectorELNS0_4arch9wavefront6targetE0EEEvT1_: ; @_ZN7rocprim17ROCPRIM_400000_NS6detail17trampoline_kernelINS0_14default_configENS1_25partition_config_selectorILNS1_17partition_subalgoE9EddbEEZZNS1_14partition_implILS5_9ELb0ES3_jN6thrust23THRUST_200600_302600_NS6detail15normal_iteratorINS9_10device_ptrIdEEEESE_PNS0_10empty_typeENS0_5tupleIJSE_SF_EEENSH_IJSE_SG_EEENS0_18inequality_wrapperI22is_equal_div_10_uniqueIdEEEPmJSF_EEE10hipError_tPvRmT3_T4_T5_T6_T7_T9_mT8_P12ihipStream_tbDpT10_ENKUlT_T0_E_clISt17integral_constantIbLb1EES17_IbLb0EEEEDaS13_S14_EUlS13_E_NS1_11comp_targetILNS1_3genE9ELNS1_11target_archE1100ELNS1_3gpuE3ELNS1_3repE0EEENS1_30default_config_static_selectorELNS0_4arch9wavefront6targetE0EEEvT1_
; %bb.0:
	s_clause 0x4
	s_load_b128 s[4:7], s[0:1], 0x8
	s_load_b32 s14, s[0:1], 0x68
	s_load_b128 s[16:19], s[0:1], 0x40
	s_load_b64 s[2:3], s[0:1], 0x50
	s_load_b64 s[8:9], s[0:1], 0x18
	s_mov_b32 s21, 0
	v_lshlrev_b32_e32 v55, 3, v0
	v_lshrrev_b32_e32 v33, 2, v0
	v_or_b32_e32 v38, 0x200, v0
	v_or_b32_e32 v36, 0x400, v0
	v_or_b32_e32 v40, 0x600, v0
	v_or_b32_e32 v39, 0x800, v0
	v_or_b32_e32 v37, 0xa00, v0
	v_or_b32_e32 v34, 0xc00, v0
	v_or_b32_e32 v35, 0xe00, v0
	s_waitcnt lgkmcnt(0)
	s_lshl_b64 s[12:13], s[6:7], 3
	s_delay_alu instid0(SALU_CYCLE_1)
	s_add_u32 s22, s4, s12
	s_addc_u32 s23, s5, s13
	s_add_i32 s24, s14, -1
	s_load_b64 s[10:11], s[18:19], 0x0
	s_lshl_b32 s4, s24, 12
	s_lshl_b32 s5, s14, 12
	s_add_i32 s4, s6, s4
	s_lshl_b32 s20, s15, 12
	s_sub_i32 s19, s2, s4
	s_add_u32 s4, s6, s5
	s_addc_u32 s5, s7, 0
	s_cmp_eq_u32 s15, s24
	v_cmp_ge_u64_e64 s2, s[4:5], s[2:3]
	s_cselect_b32 s14, -1, 0
	s_lshl_b64 s[4:5], s[20:21], 3
	s_delay_alu instid0(VALU_DEP_1) | instskip(NEXT) | instid1(SALU_CYCLE_1)
	s_and_b32 s3, s14, s2
	s_xor_b32 s18, s3, -1
	s_add_u32 s21, s22, s4
	s_addc_u32 s20, s23, s5
	s_and_b32 vcc_lo, exec_lo, s18
	s_mov_b32 s22, -1
	s_cbranch_vccz .LBB69_2
; %bb.1:
	v_add_co_u32 v1, s2, s21, v55
	s_delay_alu instid0(VALU_DEP_1) | instskip(SKIP_1) | instid1(VALU_DEP_3)
	v_add_co_ci_u32_e64 v2, null, s20, 0, s2
	v_lshrrev_b32_e32 v18, 2, v38
	v_add_co_u32 v3, vcc_lo, 0x1000, v1
	s_delay_alu instid0(VALU_DEP_3)
	v_add_co_ci_u32_e32 v4, vcc_lo, 0, v2, vcc_lo
	v_add_co_u32 v5, vcc_lo, 0x2000, v1
	v_add_co_ci_u32_e32 v6, vcc_lo, 0, v2, vcc_lo
	v_add_co_u32 v7, vcc_lo, 0x3000, v1
	;; [unrolled: 2-line block ×6, first 2 shown]
	v_add_co_ci_u32_e32 v16, vcc_lo, 0, v2, vcc_lo
	s_clause 0x7
	flat_load_b64 v[1:2], v[1:2]
	flat_load_b64 v[3:4], v[3:4]
	;; [unrolled: 1-line block ×8, first 2 shown]
	v_lshrrev_b32_e32 v19, 2, v36
	v_lshrrev_b32_e32 v20, 2, v40
	;; [unrolled: 1-line block ×3, first 2 shown]
	v_and_b32_e32 v17, 0x78, v33
	v_lshrrev_b32_e32 v22, 2, v37
	v_lshrrev_b32_e32 v23, 2, v34
	;; [unrolled: 1-line block ×3, first 2 shown]
	v_and_b32_e32 v18, 0xf8, v18
	v_and_b32_e32 v19, 0x178, v19
	;; [unrolled: 1-line block ×4, first 2 shown]
	v_add_nc_u32_e32 v17, v17, v55
	v_and_b32_e32 v22, 0x2f8, v22
	v_and_b32_e32 v23, 0x378, v23
	;; [unrolled: 1-line block ×3, first 2 shown]
	v_add_nc_u32_e32 v18, v18, v55
	v_add_nc_u32_e32 v19, v19, v55
	;; [unrolled: 1-line block ×4, first 2 shown]
	s_mov_b32 s22, 0
	v_add_nc_u32_e32 v22, v22, v55
	v_add_nc_u32_e32 v23, v23, v55
	v_add_nc_u32_e32 v24, v24, v55
	s_waitcnt vmcnt(7) lgkmcnt(0)
	ds_store_b64 v17, v[1:2]
	s_waitcnt vmcnt(6)
	ds_store_b64 v18, v[3:4] offset:4096
	s_waitcnt vmcnt(5)
	ds_store_b64 v19, v[5:6] offset:8192
	;; [unrolled: 2-line block ×7, first 2 shown]
	s_waitcnt lgkmcnt(0)
	s_barrier
.LBB69_2:
	v_cmp_gt_u32_e64 s2, s19, v0
	s_and_not1_b32 vcc_lo, exec_lo, s22
	s_cbranch_vccnz .LBB69_20
; %bb.3:
                                        ; implicit-def: $vgpr1_vgpr2_vgpr3_vgpr4_vgpr5_vgpr6_vgpr7_vgpr8_vgpr9_vgpr10_vgpr11_vgpr12_vgpr13_vgpr14_vgpr15_vgpr16
	s_delay_alu instid0(VALU_DEP_1)
	s_and_saveexec_b32 s22, s2
	s_cbranch_execz .LBB69_11
; %bb.4:
	v_add_co_u32 v1, s2, s21, v55
	s_delay_alu instid0(VALU_DEP_1) | instskip(SKIP_2) | instid1(SALU_CYCLE_1)
	v_add_co_ci_u32_e64 v2, null, s20, 0, s2
	flat_load_b64 v[1:2], v[1:2]
	s_or_b32 exec_lo, exec_lo, s22
	s_mov_b32 s2, exec_lo
	v_cmpx_gt_u32_e64 s19, v38
	s_cbranch_execnz .LBB69_12
.LBB69_5:
	s_or_b32 exec_lo, exec_lo, s2
	s_delay_alu instid0(SALU_CYCLE_1)
	s_mov_b32 s2, exec_lo
	v_cmpx_gt_u32_e64 s19, v36
	s_cbranch_execz .LBB69_13
.LBB69_6:
	v_lshlrev_b32_e32 v5, 3, v36
	s_delay_alu instid0(VALU_DEP_1) | instskip(NEXT) | instid1(VALU_DEP_1)
	v_add_co_u32 v5, s22, s21, v5
	v_add_co_ci_u32_e64 v6, null, s20, 0, s22
	flat_load_b64 v[5:6], v[5:6]
	s_or_b32 exec_lo, exec_lo, s2
	s_delay_alu instid0(SALU_CYCLE_1)
	s_mov_b32 s2, exec_lo
	v_cmpx_gt_u32_e64 s19, v40
	s_cbranch_execnz .LBB69_14
.LBB69_7:
	s_or_b32 exec_lo, exec_lo, s2
	s_delay_alu instid0(SALU_CYCLE_1)
	s_mov_b32 s2, exec_lo
	v_cmpx_gt_u32_e64 s19, v39
	s_cbranch_execz .LBB69_15
.LBB69_8:
	v_lshlrev_b32_e32 v9, 3, v39
	s_delay_alu instid0(VALU_DEP_1) | instskip(NEXT) | instid1(VALU_DEP_1)
	v_add_co_u32 v9, s22, s21, v9
	v_add_co_ci_u32_e64 v10, null, s20, 0, s22
	flat_load_b64 v[9:10], v[9:10]
	s_or_b32 exec_lo, exec_lo, s2
	s_delay_alu instid0(SALU_CYCLE_1)
	s_mov_b32 s2, exec_lo
	v_cmpx_gt_u32_e64 s19, v37
	s_cbranch_execnz .LBB69_16
.LBB69_9:
	s_or_b32 exec_lo, exec_lo, s2
	s_delay_alu instid0(SALU_CYCLE_1)
	s_mov_b32 s2, exec_lo
	v_cmpx_gt_u32_e64 s19, v34
	s_cbranch_execz .LBB69_17
.LBB69_10:
	v_lshlrev_b32_e32 v13, 3, v34
	s_delay_alu instid0(VALU_DEP_1) | instskip(NEXT) | instid1(VALU_DEP_1)
	v_add_co_u32 v13, s22, s21, v13
	v_add_co_ci_u32_e64 v14, null, s20, 0, s22
	flat_load_b64 v[13:14], v[13:14]
	s_or_b32 exec_lo, exec_lo, s2
	s_delay_alu instid0(SALU_CYCLE_1)
	s_mov_b32 s2, exec_lo
	v_cmpx_gt_u32_e64 s19, v35
	s_cbranch_execnz .LBB69_18
	s_branch .LBB69_19
.LBB69_11:
	s_or_b32 exec_lo, exec_lo, s22
	s_delay_alu instid0(SALU_CYCLE_1)
	s_mov_b32 s2, exec_lo
	v_cmpx_gt_u32_e64 s19, v38
	s_cbranch_execz .LBB69_5
.LBB69_12:
	v_lshlrev_b32_e32 v3, 3, v38
	s_delay_alu instid0(VALU_DEP_1) | instskip(NEXT) | instid1(VALU_DEP_1)
	v_add_co_u32 v3, s22, s21, v3
	v_add_co_ci_u32_e64 v4, null, s20, 0, s22
	flat_load_b64 v[3:4], v[3:4]
	s_or_b32 exec_lo, exec_lo, s2
	s_delay_alu instid0(SALU_CYCLE_1)
	s_mov_b32 s2, exec_lo
	v_cmpx_gt_u32_e64 s19, v36
	s_cbranch_execnz .LBB69_6
.LBB69_13:
	s_or_b32 exec_lo, exec_lo, s2
	s_delay_alu instid0(SALU_CYCLE_1)
	s_mov_b32 s2, exec_lo
	v_cmpx_gt_u32_e64 s19, v40
	s_cbranch_execz .LBB69_7
.LBB69_14:
	v_lshlrev_b32_e32 v7, 3, v40
	s_delay_alu instid0(VALU_DEP_1) | instskip(NEXT) | instid1(VALU_DEP_1)
	v_add_co_u32 v7, s22, s21, v7
	v_add_co_ci_u32_e64 v8, null, s20, 0, s22
	flat_load_b64 v[7:8], v[7:8]
	s_or_b32 exec_lo, exec_lo, s2
	s_delay_alu instid0(SALU_CYCLE_1)
	s_mov_b32 s2, exec_lo
	v_cmpx_gt_u32_e64 s19, v39
	s_cbranch_execnz .LBB69_8
.LBB69_15:
	s_or_b32 exec_lo, exec_lo, s2
	s_delay_alu instid0(SALU_CYCLE_1)
	s_mov_b32 s2, exec_lo
	v_cmpx_gt_u32_e64 s19, v37
	s_cbranch_execz .LBB69_9
.LBB69_16:
	v_lshlrev_b32_e32 v11, 3, v37
	s_delay_alu instid0(VALU_DEP_1) | instskip(NEXT) | instid1(VALU_DEP_1)
	v_add_co_u32 v11, s22, s21, v11
	v_add_co_ci_u32_e64 v12, null, s20, 0, s22
	flat_load_b64 v[11:12], v[11:12]
	s_or_b32 exec_lo, exec_lo, s2
	s_delay_alu instid0(SALU_CYCLE_1)
	s_mov_b32 s2, exec_lo
	v_cmpx_gt_u32_e64 s19, v34
	s_cbranch_execnz .LBB69_10
.LBB69_17:
	s_or_b32 exec_lo, exec_lo, s2
	s_delay_alu instid0(SALU_CYCLE_1)
	s_mov_b32 s2, exec_lo
	v_cmpx_gt_u32_e64 s19, v35
	s_cbranch_execz .LBB69_19
.LBB69_18:
	v_lshlrev_b32_e32 v15, 3, v35
	s_delay_alu instid0(VALU_DEP_1) | instskip(NEXT) | instid1(VALU_DEP_1)
	v_add_co_u32 v15, s22, s21, v15
	v_add_co_ci_u32_e64 v16, null, s20, 0, s22
	flat_load_b64 v[15:16], v[15:16]
.LBB69_19:
	s_or_b32 exec_lo, exec_lo, s2
	v_lshrrev_b32_e32 v17, 2, v38
	v_lshrrev_b32_e32 v18, 2, v36
	;; [unrolled: 1-line block ×4, first 2 shown]
	v_and_b32_e32 v19, 0x78, v33
	v_lshrrev_b32_e32 v22, 2, v37
	v_lshrrev_b32_e32 v23, 2, v34
	;; [unrolled: 1-line block ×3, first 2 shown]
	v_and_b32_e32 v17, 0xf8, v17
	v_and_b32_e32 v18, 0x1f8, v18
	;; [unrolled: 1-line block ×4, first 2 shown]
	v_add_nc_u32_e32 v19, v19, v55
	v_and_b32_e32 v22, 0x3f8, v22
	v_and_b32_e32 v23, 0x3f8, v23
	;; [unrolled: 1-line block ×3, first 2 shown]
	v_add_nc_u32_e32 v17, v17, v55
	v_add_nc_u32_e32 v18, v18, v55
	;; [unrolled: 1-line block ×7, first 2 shown]
	s_waitcnt vmcnt(0) lgkmcnt(0)
	ds_store_b64 v19, v[1:2]
	ds_store_b64 v17, v[3:4] offset:4096
	ds_store_b64 v18, v[5:6] offset:8192
	;; [unrolled: 1-line block ×7, first 2 shown]
	s_waitcnt lgkmcnt(0)
	s_barrier
.LBB69_20:
	v_add_lshl_u32 v41, v33, v55, 3
	s_waitcnt lgkmcnt(0)
	buffer_gl0_inv
	s_add_u32 s2, s8, s12
	s_addc_u32 s8, s9, s13
	s_add_u32 s2, s2, s4
	ds_load_2addr_b64 v[29:32], v41 offset1:1
	ds_load_2addr_b64 v[25:28], v41 offset0:2 offset1:3
	ds_load_2addr_b64 v[21:24], v41 offset0:4 offset1:5
	;; [unrolled: 1-line block ×3, first 2 shown]
	s_addc_u32 s4, s8, s5
	s_and_b32 vcc_lo, exec_lo, s18
	s_mov_b32 s5, -1
	s_waitcnt lgkmcnt(0)
	s_barrier
	buffer_gl0_inv
	s_cbranch_vccz .LBB69_22
; %bb.21:
	v_add_co_u32 v1, s5, s2, v55
	s_delay_alu instid0(VALU_DEP_1) | instskip(SKIP_1) | instid1(VALU_DEP_3)
	v_add_co_ci_u32_e64 v2, null, s4, 0, s5
	v_lshrrev_b32_e32 v43, 2, v38
	v_add_co_u32 v3, vcc_lo, 0x1000, v1
	s_delay_alu instid0(VALU_DEP_3)
	v_add_co_ci_u32_e32 v4, vcc_lo, 0, v2, vcc_lo
	v_add_co_u32 v5, vcc_lo, 0x2000, v1
	v_add_co_ci_u32_e32 v6, vcc_lo, 0, v2, vcc_lo
	v_add_co_u32 v7, vcc_lo, 0x3000, v1
	;; [unrolled: 2-line block ×6, first 2 shown]
	v_add_co_ci_u32_e32 v16, vcc_lo, 0, v2, vcc_lo
	s_clause 0x7
	flat_load_b64 v[1:2], v[1:2]
	flat_load_b64 v[3:4], v[3:4]
	;; [unrolled: 1-line block ×8, first 2 shown]
	v_lshrrev_b32_e32 v44, 2, v36
	v_lshrrev_b32_e32 v45, 2, v40
	;; [unrolled: 1-line block ×3, first 2 shown]
	v_and_b32_e32 v42, 0x78, v33
	v_lshrrev_b32_e32 v47, 2, v37
	v_lshrrev_b32_e32 v48, 2, v34
	;; [unrolled: 1-line block ×3, first 2 shown]
	v_and_b32_e32 v43, 0xf8, v43
	v_and_b32_e32 v44, 0x178, v44
	;; [unrolled: 1-line block ×4, first 2 shown]
	v_add_nc_u32_e32 v42, v42, v55
	v_and_b32_e32 v47, 0x2f8, v47
	v_and_b32_e32 v48, 0x378, v48
	;; [unrolled: 1-line block ×3, first 2 shown]
	v_add_nc_u32_e32 v43, v43, v55
	v_add_nc_u32_e32 v44, v44, v55
	;; [unrolled: 1-line block ×4, first 2 shown]
	s_mov_b32 s5, 0
	v_add_nc_u32_e32 v47, v47, v55
	v_add_nc_u32_e32 v48, v48, v55
	;; [unrolled: 1-line block ×3, first 2 shown]
	s_waitcnt vmcnt(7) lgkmcnt(7)
	ds_store_b64 v42, v[1:2]
	s_waitcnt vmcnt(6) lgkmcnt(7)
	ds_store_b64 v43, v[3:4] offset:4096
	s_waitcnt vmcnt(5) lgkmcnt(7)
	ds_store_b64 v44, v[5:6] offset:8192
	s_waitcnt vmcnt(4) lgkmcnt(7)
	ds_store_b64 v45, v[7:8] offset:12288
	s_waitcnt vmcnt(3) lgkmcnt(7)
	ds_store_b64 v46, v[9:10] offset:16384
	s_waitcnt vmcnt(2) lgkmcnt(7)
	ds_store_b64 v47, v[11:12] offset:20480
	s_waitcnt vmcnt(1) lgkmcnt(7)
	ds_store_b64 v48, v[13:14] offset:24576
	s_waitcnt vmcnt(0) lgkmcnt(7)
	ds_store_b64 v49, v[15:16] offset:28672
	s_waitcnt lgkmcnt(0)
	s_barrier
.LBB69_22:
	s_and_not1_b32 vcc_lo, exec_lo, s5
	s_cbranch_vccnz .LBB69_40
; %bb.23:
	s_mov_b32 s5, exec_lo
                                        ; implicit-def: $vgpr1_vgpr2
	v_cmpx_gt_u32_e64 s19, v0
	s_cbranch_execz .LBB69_25
; %bb.24:
	v_add_co_u32 v1, s8, s2, v55
	s_delay_alu instid0(VALU_DEP_1)
	v_add_co_ci_u32_e64 v2, null, s4, 0, s8
	flat_load_b64 v[1:2], v[1:2]
.LBB69_25:
	s_or_b32 exec_lo, exec_lo, s5
	s_delay_alu instid0(SALU_CYCLE_1)
	s_mov_b32 s5, exec_lo
                                        ; implicit-def: $vgpr3_vgpr4
	v_cmpx_gt_u32_e64 s19, v38
	s_cbranch_execz .LBB69_27
; %bb.26:
	v_lshlrev_b32_e32 v3, 3, v38
	s_delay_alu instid0(VALU_DEP_1) | instskip(NEXT) | instid1(VALU_DEP_1)
	v_add_co_u32 v3, s8, s2, v3
	v_add_co_ci_u32_e64 v4, null, s4, 0, s8
	flat_load_b64 v[3:4], v[3:4]
.LBB69_27:
	s_or_b32 exec_lo, exec_lo, s5
	s_delay_alu instid0(SALU_CYCLE_1)
	s_mov_b32 s5, exec_lo
                                        ; implicit-def: $vgpr5_vgpr6
	v_cmpx_gt_u32_e64 s19, v36
	s_cbranch_execz .LBB69_29
; %bb.28:
	v_lshlrev_b32_e32 v5, 3, v36
	s_delay_alu instid0(VALU_DEP_1) | instskip(NEXT) | instid1(VALU_DEP_1)
	v_add_co_u32 v5, s8, s2, v5
	v_add_co_ci_u32_e64 v6, null, s4, 0, s8
	flat_load_b64 v[5:6], v[5:6]
.LBB69_29:
	s_or_b32 exec_lo, exec_lo, s5
	s_delay_alu instid0(SALU_CYCLE_1)
	s_mov_b32 s5, exec_lo
                                        ; implicit-def: $vgpr7_vgpr8
	v_cmpx_gt_u32_e64 s19, v40
	s_cbranch_execz .LBB69_31
; %bb.30:
	v_lshlrev_b32_e32 v7, 3, v40
	s_delay_alu instid0(VALU_DEP_1) | instskip(NEXT) | instid1(VALU_DEP_1)
	v_add_co_u32 v7, s8, s2, v7
	v_add_co_ci_u32_e64 v8, null, s4, 0, s8
	flat_load_b64 v[7:8], v[7:8]
.LBB69_31:
	s_or_b32 exec_lo, exec_lo, s5
	s_delay_alu instid0(SALU_CYCLE_1)
	s_mov_b32 s5, exec_lo
                                        ; implicit-def: $vgpr9_vgpr10
	v_cmpx_gt_u32_e64 s19, v39
	s_cbranch_execz .LBB69_33
; %bb.32:
	v_lshlrev_b32_e32 v9, 3, v39
	s_delay_alu instid0(VALU_DEP_1) | instskip(NEXT) | instid1(VALU_DEP_1)
	v_add_co_u32 v9, s8, s2, v9
	v_add_co_ci_u32_e64 v10, null, s4, 0, s8
	flat_load_b64 v[9:10], v[9:10]
.LBB69_33:
	s_or_b32 exec_lo, exec_lo, s5
	s_delay_alu instid0(SALU_CYCLE_1)
	s_mov_b32 s5, exec_lo
                                        ; implicit-def: $vgpr11_vgpr12
	v_cmpx_gt_u32_e64 s19, v37
	s_cbranch_execz .LBB69_35
; %bb.34:
	v_lshlrev_b32_e32 v11, 3, v37
	s_delay_alu instid0(VALU_DEP_1) | instskip(NEXT) | instid1(VALU_DEP_1)
	v_add_co_u32 v11, s8, s2, v11
	v_add_co_ci_u32_e64 v12, null, s4, 0, s8
	flat_load_b64 v[11:12], v[11:12]
.LBB69_35:
	s_or_b32 exec_lo, exec_lo, s5
	s_delay_alu instid0(SALU_CYCLE_1)
	s_mov_b32 s5, exec_lo
                                        ; implicit-def: $vgpr13_vgpr14
	v_cmpx_gt_u32_e64 s19, v34
	s_cbranch_execz .LBB69_37
; %bb.36:
	v_lshlrev_b32_e32 v13, 3, v34
	s_delay_alu instid0(VALU_DEP_1) | instskip(NEXT) | instid1(VALU_DEP_1)
	v_add_co_u32 v13, s8, s2, v13
	v_add_co_ci_u32_e64 v14, null, s4, 0, s8
	flat_load_b64 v[13:14], v[13:14]
.LBB69_37:
	s_or_b32 exec_lo, exec_lo, s5
	s_delay_alu instid0(SALU_CYCLE_1)
	s_mov_b32 s5, exec_lo
                                        ; implicit-def: $vgpr15_vgpr16
	v_cmpx_gt_u32_e64 s19, v35
	s_cbranch_execz .LBB69_39
; %bb.38:
	v_lshlrev_b32_e32 v15, 3, v35
	s_delay_alu instid0(VALU_DEP_1) | instskip(NEXT) | instid1(VALU_DEP_1)
	v_add_co_u32 v15, s2, s2, v15
	v_add_co_ci_u32_e64 v16, null, s4, 0, s2
	flat_load_b64 v[15:16], v[15:16]
.LBB69_39:
	s_or_b32 exec_lo, exec_lo, s5
	v_lshrrev_b32_e32 v38, 2, v38
	v_lshrrev_b32_e32 v36, 2, v36
	;; [unrolled: 1-line block ×4, first 2 shown]
	v_and_b32_e32 v33, 0x78, v33
	v_lshrrev_b32_e32 v37, 2, v37
	v_lshrrev_b32_e32 v34, 2, v34
	;; [unrolled: 1-line block ×3, first 2 shown]
	v_and_b32_e32 v38, 0xf8, v38
	v_and_b32_e32 v36, 0x1f8, v36
	;; [unrolled: 1-line block ×4, first 2 shown]
	v_add_nc_u32_e32 v33, v33, v55
	v_and_b32_e32 v37, 0x3f8, v37
	v_and_b32_e32 v34, 0x3f8, v34
	;; [unrolled: 1-line block ×3, first 2 shown]
	v_add_nc_u32_e32 v38, v38, v55
	v_add_nc_u32_e32 v36, v36, v55
	;; [unrolled: 1-line block ×7, first 2 shown]
	s_waitcnt vmcnt(0) lgkmcnt(0)
	ds_store_b64 v33, v[1:2]
	ds_store_b64 v38, v[3:4] offset:4096
	ds_store_b64 v36, v[5:6] offset:8192
	;; [unrolled: 1-line block ×7, first 2 shown]
	s_waitcnt lgkmcnt(0)
	s_barrier
.LBB69_40:
	buffer_gl0_inv
	ds_load_2addr_b64 v[13:16], v41 offset1:1
	ds_load_2addr_b64 v[9:12], v41 offset0:2 offset1:3
	ds_load_2addr_b64 v[5:8], v41 offset0:4 offset1:5
	ds_load_2addr_b64 v[1:4], v41 offset0:6 offset1:7
	s_cmp_lg_u32 s15, 0
	s_waitcnt lgkmcnt(0)
	s_cselect_b32 s8, -1, 0
	s_cmp_lg_u64 s[6:7], 0
	s_barrier
	s_cselect_b32 s2, -1, 0
	buffer_gl0_inv
	s_or_b32 s2, s8, s2
	s_delay_alu instid0(SALU_CYCLE_1)
	s_and_b32 vcc_lo, exec_lo, s2
	s_mov_b32 s2, 0
	s_cbranch_vccz .LBB69_45
; %bb.41:
	v_add_co_u32 v33, s2, -8, s21
	s_delay_alu instid0(VALU_DEP_1)
	v_add_co_ci_u32_e64 v34, null, -1, s20, s2
	s_mov_b32 s2, -1
	s_and_b32 vcc_lo, exec_lo, s18
	flat_load_b64 v[35:36], v[33:34]
	ds_store_b64 v55, v[19:20]
	s_cbranch_vccz .LBB69_46
; %bb.42:
	s_waitcnt vmcnt(0) lgkmcnt(1)
	v_dual_mov_b32 v33, v35 :: v_dual_mov_b32 v34, v36
	s_mov_b32 s2, 0
	s_mov_b32 s4, exec_lo
	s_waitcnt lgkmcnt(0)
	s_barrier
	buffer_gl0_inv
	v_cmpx_ne_u32_e32 0, v0
	s_cbranch_execz .LBB69_44
; %bb.43:
	v_add_nc_u32_e32 v33, -8, v55
	ds_load_b64 v[33:34], v33
.LBB69_44:
	s_or_b32 exec_lo, exec_lo, s4
	v_cvt_i32_f64_e32 v37, v[17:18]
	v_cvt_i32_f64_e32 v38, v[19:20]
	;; [unrolled: 1-line block ×8, first 2 shown]
	s_waitcnt lgkmcnt(0)
	v_cvt_i32_f64_e32 v33, v[33:34]
	v_mul_hi_i32 v34, 0x66666667, v37
	v_mul_hi_i32 v37, 0x66666667, v38
	;; [unrolled: 1-line block ×8, first 2 shown]
	v_lshrrev_b32_e32 v44, 31, v34
	v_ashrrev_i32_e32 v34, 2, v34
	v_lshrrev_b32_e32 v45, 31, v37
	v_ashrrev_i32_e32 v37, 2, v37
	;; [unrolled: 2-line block ×3, first 2 shown]
	v_add_nc_u32_e32 v34, v34, v44
	v_lshrrev_b32_e32 v47, 31, v39
	v_add_nc_u32_e32 v37, v37, v45
	v_ashrrev_i32_e32 v39, 2, v39
	v_add_nc_u32_e32 v38, v38, v46
	v_lshrrev_b32_e32 v48, 31, v40
	v_ashrrev_i32_e32 v40, 2, v40
	v_cmp_ne_u32_e32 vcc_lo, v34, v37
	v_add_nc_u32_e32 v39, v39, v47
	v_lshrrev_b32_e32 v49, 31, v41
	v_ashrrev_i32_e32 v41, 2, v41
	v_add_nc_u32_e32 v40, v40, v48
	v_cndmask_b32_e64 v37, 0, 1, vcc_lo
	v_cmp_ne_u32_e32 vcc_lo, v38, v34
	v_lshrrev_b32_e32 v50, 31, v42
	v_ashrrev_i32_e32 v42, 2, v42
	v_add_nc_u32_e32 v41, v41, v49
	v_lshrrev_b32_e32 v51, 31, v43
	v_cndmask_b32_e64 v34, 0, 1, vcc_lo
	v_cmp_ne_u32_e32 vcc_lo, v39, v38
	v_ashrrev_i32_e32 v43, 2, v43
	v_add_nc_u32_e32 v42, v42, v50
	v_mul_hi_i32 v33, 0x66666667, v33
	v_lshlrev_b16 v37, 8, v37
	v_cndmask_b32_e64 v38, 0, 1, vcc_lo
	v_cmp_ne_u32_e32 vcc_lo, v40, v39
	v_add_nc_u32_e32 v43, v43, v51
	s_delay_alu instid0(VALU_DEP_4) | instskip(NEXT) | instid1(VALU_DEP_4)
	v_or_b32_e32 v34, v34, v37
	v_lshlrev_b16 v38, 8, v38
	v_cndmask_b32_e64 v39, 0, 1, vcc_lo
	v_cmp_ne_u32_e32 vcc_lo, v41, v40
	v_lshrrev_b32_e32 v52, 31, v33
	v_ashrrev_i32_e32 v33, 2, v33
	v_lshlrev_b32_e32 v34, 16, v34
	v_or_b32_e32 v38, v39, v38
	v_cndmask_b32_e64 v40, 0, 1, vcc_lo
	v_cmp_ne_u32_e32 vcc_lo, v42, v41
	v_add_nc_u32_e32 v33, v33, v52
	s_delay_alu instid0(VALU_DEP_4) | instskip(NEXT) | instid1(VALU_DEP_4)
	v_and_b32_e32 v38, 0xffff, v38
	v_lshlrev_b16 v40, 8, v40
	v_cndmask_b32_e64 v41, 0, 1, vcc_lo
	v_cmp_ne_u32_e32 vcc_lo, v43, v42
	v_cmp_ne_u32_e64 s4, v33, v43
	v_or_b32_e32 v34, v38, v34
	s_delay_alu instid0(VALU_DEP_4) | instskip(SKIP_1) | instid1(VALU_DEP_2)
	v_or_b32_e32 v40, v41, v40
	v_cndmask_b32_e64 v42, 0, 1, vcc_lo
	v_lshlrev_b32_e32 v39, 16, v40
	s_delay_alu instid0(VALU_DEP_2) | instskip(NEXT) | instid1(VALU_DEP_1)
	v_lshlrev_b16 v42, 8, v42
	v_and_b32_e32 v37, 0xffff, v42
	s_delay_alu instid0(VALU_DEP_1)
	v_or_b32_e32 v33, v37, v39
	s_and_b32 vcc_lo, exec_lo, s2
	s_cbranch_vccnz .LBB69_47
	s_branch .LBB69_66
.LBB69_45:
                                        ; implicit-def: $sgpr4
                                        ; implicit-def: $vgpr34
	s_branch .LBB69_67
.LBB69_46:
                                        ; implicit-def: $sgpr4
                                        ; implicit-def: $vgpr34
	s_and_b32 vcc_lo, exec_lo, s2
	s_cbranch_vccz .LBB69_66
.LBB69_47:
	v_or_b32_e32 v33, 7, v55
	s_mov_b32 s2, 0
	s_mov_b32 s4, 0
	s_mov_b32 s5, exec_lo
	s_delay_alu instid0(VALU_DEP_1)
	v_cmpx_gt_u32_e64 s19, v33
	s_cbranch_execz .LBB69_49
; %bb.48:
	v_cvt_i32_f64_e32 v33, v[17:18]
	v_cvt_i32_f64_e32 v34, v[19:20]
	s_delay_alu instid0(VALU_DEP_2) | instskip(NEXT) | instid1(VALU_DEP_2)
	v_mul_hi_i32 v33, 0x66666667, v33
	v_mul_hi_i32 v34, 0x66666667, v34
	s_delay_alu instid0(VALU_DEP_2) | instskip(SKIP_1) | instid1(VALU_DEP_3)
	v_lshrrev_b32_e32 v37, 31, v33
	v_ashrrev_i32_e32 v33, 2, v33
	v_lshrrev_b32_e32 v38, 31, v34
	v_ashrrev_i32_e32 v34, 2, v34
	s_delay_alu instid0(VALU_DEP_3) | instskip(NEXT) | instid1(VALU_DEP_2)
	v_add_nc_u32_e32 v33, v33, v37
	v_add_nc_u32_e32 v34, v34, v38
	s_delay_alu instid0(VALU_DEP_1)
	v_cmp_ne_u32_e32 vcc_lo, v33, v34
	s_and_b32 s4, vcc_lo, exec_lo
.LBB69_49:
	s_or_b32 exec_lo, exec_lo, s5
	v_or_b32_e32 v33, 6, v55
	s_mov_b32 s5, exec_lo
	s_delay_alu instid0(VALU_DEP_1)
	v_cmpx_gt_u32_e64 s19, v33
	s_cbranch_execz .LBB69_51
; %bb.50:
	v_cvt_i32_f64_e32 v33, v[23:24]
	v_cvt_i32_f64_e32 v34, v[17:18]
	s_delay_alu instid0(VALU_DEP_2) | instskip(NEXT) | instid1(VALU_DEP_2)
	v_mul_hi_i32 v33, 0x66666667, v33
	v_mul_hi_i32 v34, 0x66666667, v34
	s_delay_alu instid0(VALU_DEP_2) | instskip(SKIP_1) | instid1(VALU_DEP_3)
	v_lshrrev_b32_e32 v37, 31, v33
	v_ashrrev_i32_e32 v33, 2, v33
	v_lshrrev_b32_e32 v38, 31, v34
	v_ashrrev_i32_e32 v34, 2, v34
	s_delay_alu instid0(VALU_DEP_3) | instskip(NEXT) | instid1(VALU_DEP_2)
	v_add_nc_u32_e32 v33, v33, v37
	v_add_nc_u32_e32 v34, v34, v38
	s_delay_alu instid0(VALU_DEP_1)
	v_cmp_ne_u32_e32 vcc_lo, v33, v34
	s_and_b32 s2, vcc_lo, exec_lo
.LBB69_51:
	s_or_b32 exec_lo, exec_lo, s5
	v_or_b32_e32 v33, 5, v55
	s_mov_b32 s6, 0
	s_mov_b32 s5, 0
	s_mov_b32 s7, exec_lo
	s_delay_alu instid0(VALU_DEP_1)
	v_cmpx_gt_u32_e64 s19, v33
	s_cbranch_execz .LBB69_53
; %bb.52:
	v_cvt_i32_f64_e32 v33, v[21:22]
	v_cvt_i32_f64_e32 v34, v[23:24]
	s_delay_alu instid0(VALU_DEP_2) | instskip(NEXT) | instid1(VALU_DEP_2)
	v_mul_hi_i32 v33, 0x66666667, v33
	v_mul_hi_i32 v34, 0x66666667, v34
	s_delay_alu instid0(VALU_DEP_2) | instskip(SKIP_1) | instid1(VALU_DEP_3)
	v_lshrrev_b32_e32 v37, 31, v33
	v_ashrrev_i32_e32 v33, 2, v33
	v_lshrrev_b32_e32 v38, 31, v34
	v_ashrrev_i32_e32 v34, 2, v34
	s_delay_alu instid0(VALU_DEP_3) | instskip(NEXT) | instid1(VALU_DEP_2)
	v_add_nc_u32_e32 v33, v33, v37
	v_add_nc_u32_e32 v34, v34, v38
	s_delay_alu instid0(VALU_DEP_1)
	v_cmp_ne_u32_e32 vcc_lo, v33, v34
	s_and_b32 s5, vcc_lo, exec_lo
.LBB69_53:
	s_or_b32 exec_lo, exec_lo, s7
	v_or_b32_e32 v33, 4, v55
	s_mov_b32 s7, exec_lo
	s_delay_alu instid0(VALU_DEP_1)
	v_cmpx_gt_u32_e64 s19, v33
	s_cbranch_execz .LBB69_55
; %bb.54:
	v_cvt_i32_f64_e32 v33, v[27:28]
	v_cvt_i32_f64_e32 v34, v[21:22]
	s_delay_alu instid0(VALU_DEP_2) | instskip(NEXT) | instid1(VALU_DEP_2)
	v_mul_hi_i32 v33, 0x66666667, v33
	v_mul_hi_i32 v34, 0x66666667, v34
	s_delay_alu instid0(VALU_DEP_2) | instskip(SKIP_1) | instid1(VALU_DEP_3)
	v_lshrrev_b32_e32 v37, 31, v33
	v_ashrrev_i32_e32 v33, 2, v33
	v_lshrrev_b32_e32 v38, 31, v34
	v_ashrrev_i32_e32 v34, 2, v34
	s_delay_alu instid0(VALU_DEP_3) | instskip(NEXT) | instid1(VALU_DEP_2)
	v_add_nc_u32_e32 v33, v33, v37
	v_add_nc_u32_e32 v34, v34, v38
	s_delay_alu instid0(VALU_DEP_1)
	v_cmp_ne_u32_e32 vcc_lo, v33, v34
	s_and_b32 s6, vcc_lo, exec_lo
.LBB69_55:
	s_or_b32 exec_lo, exec_lo, s7
	;; [unrolled: 50-line block ×3, first 2 shown]
	v_or_b32_e32 v33, 1, v55
	s_mov_b32 s12, 0
	s_mov_b32 s13, exec_lo
	s_delay_alu instid0(VALU_DEP_1)
	v_cmpx_gt_u32_e64 s19, v33
	s_cbranch_execz .LBB69_61
; %bb.60:
	v_cvt_i32_f64_e32 v33, v[29:30]
	v_cvt_i32_f64_e32 v34, v[31:32]
	s_delay_alu instid0(VALU_DEP_2) | instskip(NEXT) | instid1(VALU_DEP_2)
	v_mul_hi_i32 v33, 0x66666667, v33
	v_mul_hi_i32 v34, 0x66666667, v34
	s_delay_alu instid0(VALU_DEP_2) | instskip(SKIP_1) | instid1(VALU_DEP_3)
	v_lshrrev_b32_e32 v37, 31, v33
	v_ashrrev_i32_e32 v33, 2, v33
	v_lshrrev_b32_e32 v38, 31, v34
	v_ashrrev_i32_e32 v34, 2, v34
	s_delay_alu instid0(VALU_DEP_3) | instskip(NEXT) | instid1(VALU_DEP_2)
	v_add_nc_u32_e32 v33, v33, v37
	v_add_nc_u32_e32 v34, v34, v38
	s_delay_alu instid0(VALU_DEP_1)
	v_cmp_ne_u32_e32 vcc_lo, v33, v34
	s_and_b32 s12, vcc_lo, exec_lo
.LBB69_61:
	s_or_b32 exec_lo, exec_lo, s13
	s_delay_alu instid0(SALU_CYCLE_1)
	s_mov_b32 s13, exec_lo
	s_waitcnt vmcnt(0) lgkmcnt(0)
	s_barrier
	buffer_gl0_inv
	v_cmpx_ne_u32_e32 0, v0
	s_cbranch_execz .LBB69_63
; %bb.62:
	v_add_nc_u32_e32 v33, -8, v55
	ds_load_b64 v[35:36], v33
.LBB69_63:
	s_or_b32 exec_lo, exec_lo, s13
	v_cndmask_b32_e64 v34, 0, 1, s7
	v_cndmask_b32_e64 v38, 0, 1, s5
	;; [unrolled: 1-line block ×7, first 2 shown]
	v_lshlrev_b16 v34, 8, v34
	v_lshlrev_b16 v38, 8, v38
	;; [unrolled: 1-line block ×3, first 2 shown]
	s_mov_b32 s4, 0
	v_lshlrev_b16 v41, 8, v41
	v_or_b32_e32 v34, v33, v34
	v_or_b32_e32 v37, v37, v38
	;; [unrolled: 1-line block ×3, first 2 shown]
	s_mov_b32 s2, exec_lo
	v_and_b32_e32 v33, 0xffff, v41
	v_lshlrev_b32_e32 v34, 16, v34
	v_and_b32_e32 v37, 0xffff, v37
	v_lshlrev_b32_e32 v38, 16, v38
	v_cmpx_gt_u32_e64 s19, v55
	s_cbranch_execz .LBB69_65
; %bb.64:
	s_waitcnt lgkmcnt(0)
	v_cvt_i32_f64_e32 v35, v[35:36]
	v_cvt_i32_f64_e32 v36, v[29:30]
	s_delay_alu instid0(VALU_DEP_2) | instskip(NEXT) | instid1(VALU_DEP_2)
	v_mul_hi_i32 v35, 0x66666667, v35
	v_mul_hi_i32 v36, 0x66666667, v36
	s_delay_alu instid0(VALU_DEP_2) | instskip(SKIP_1) | instid1(VALU_DEP_3)
	v_lshrrev_b32_e32 v39, 31, v35
	v_ashrrev_i32_e32 v35, 2, v35
	v_lshrrev_b32_e32 v40, 31, v36
	v_ashrrev_i32_e32 v36, 2, v36
	s_delay_alu instid0(VALU_DEP_3) | instskip(NEXT) | instid1(VALU_DEP_2)
	v_add_nc_u32_e32 v35, v35, v39
	v_add_nc_u32_e32 v36, v36, v40
	s_delay_alu instid0(VALU_DEP_1)
	v_cmp_ne_u32_e32 vcc_lo, v35, v36
	s_and_b32 s4, vcc_lo, exec_lo
.LBB69_65:
	s_or_b32 exec_lo, exec_lo, s2
	v_or_b32_e32 v33, v33, v34
	v_or_b32_e32 v34, v37, v38
.LBB69_66:
	s_mov_b32 s2, -1
	s_cbranch_execnz .LBB69_91
.LBB69_67:
	v_cvt_i32_f64_e32 v33, v[17:18]
	v_cvt_i32_f64_e32 v34, v[23:24]
	s_waitcnt vmcnt(0) lgkmcnt(0)
	v_cvt_i32_f64_e32 v35, v[21:22]
	v_cvt_i32_f64_e32 v36, v[27:28]
	;; [unrolled: 1-line block ×4, first 2 shown]
	s_and_b32 vcc_lo, exec_lo, s18
	ds_store_b64 v55, v[19:20]
	v_mul_hi_i32 v40, 0x66666667, v33
	v_mul_hi_i32 v39, 0x66666667, v34
	;; [unrolled: 1-line block ×6, first 2 shown]
	s_cbranch_vccz .LBB69_71
; %bb.68:
	v_cvt_i32_f64_e32 v33, v[19:20]
	v_cvt_i32_f64_e32 v34, v[29:30]
	v_lshrrev_b32_e32 v41, 31, v40
	v_ashrrev_i32_e32 v42, 2, v40
	v_lshrrev_b32_e32 v43, 31, v39
	v_ashrrev_i32_e32 v44, 2, v39
	;; [unrolled: 2-line block ×3, first 2 shown]
	v_add_nc_u32_e32 v42, v42, v41
	v_lshrrev_b32_e32 v47, 31, v37
	v_add_nc_u32_e32 v41, v44, v43
	v_ashrrev_i32_e32 v48, 2, v37
	v_add_nc_u32_e32 v43, v46, v45
	v_lshrrev_b32_e32 v49, 31, v36
	v_ashrrev_i32_e32 v50, 2, v36
	v_cmp_ne_u32_e32 vcc_lo, v41, v42
	v_add_nc_u32_e32 v44, v48, v47
	v_lshrrev_b32_e32 v51, 31, v35
	v_ashrrev_i32_e32 v52, 2, v35
	v_add_nc_u32_e32 v45, v50, v49
	v_cndmask_b32_e64 v47, 0, 1, vcc_lo
	v_cmp_ne_u32_e32 vcc_lo, v43, v41
	s_mov_b32 s5, 0
	v_add_nc_u32_e32 v46, v52, v51
	s_mov_b32 s6, exec_lo
	s_waitcnt lgkmcnt(0)
	v_cndmask_b32_e64 v50, 0, 1, vcc_lo
	v_cmp_ne_u32_e32 vcc_lo, v44, v43
	s_barrier
	buffer_gl0_inv
                                        ; implicit-def: $sgpr4
	v_cndmask_b32_e64 v43, 0, 1, vcc_lo
	v_cmp_ne_u32_e32 vcc_lo, v45, v44
	v_mul_hi_i32 v33, 0x66666667, v33
	v_mul_hi_i32 v34, 0x66666667, v34
	s_delay_alu instid0(VALU_DEP_2) | instskip(SKIP_1) | instid1(VALU_DEP_3)
	v_lshrrev_b32_e32 v48, 31, v33
	v_ashrrev_i32_e32 v33, 2, v33
	v_lshrrev_b32_e32 v49, 31, v34
	v_ashrrev_i32_e32 v34, 2, v34
	s_delay_alu instid0(VALU_DEP_3) | instskip(NEXT) | instid1(VALU_DEP_2)
	v_add_nc_u32_e32 v33, v33, v48
	v_add_nc_u32_e32 v41, v34, v49
	v_cndmask_b32_e64 v34, 0, 1, vcc_lo
	s_delay_alu instid0(VALU_DEP_3) | instskip(NEXT) | instid1(VALU_DEP_2)
	v_cmp_ne_u32_e32 vcc_lo, v42, v33
	v_lshlrev_b16 v34, 8, v34
	v_cndmask_b32_e64 v33, 0, 1, vcc_lo
	v_cmp_ne_u32_e32 vcc_lo, v41, v46
	s_delay_alu instid0(VALU_DEP_2) | instskip(SKIP_3) | instid1(VALU_DEP_4)
	v_lshlrev_b16 v33, 8, v33
	v_cndmask_b32_e64 v42, 0, 1, vcc_lo
	v_cmp_ne_u32_e32 vcc_lo, v46, v45
	v_lshlrev_b16 v45, 8, v50
	v_or_b32_e32 v33, v47, v33
	s_delay_alu instid0(VALU_DEP_4) | instskip(SKIP_1) | instid1(VALU_DEP_4)
	v_lshlrev_b16 v42, 8, v42
	v_cndmask_b32_e64 v44, 0, 1, vcc_lo
	v_or_b32_e32 v43, v43, v45
	s_delay_alu instid0(VALU_DEP_4) | instskip(NEXT) | instid1(VALU_DEP_4)
	v_lshlrev_b32_e32 v33, 16, v33
	v_or_b32_e32 v42, 1, v42
	s_delay_alu instid0(VALU_DEP_4) | instskip(NEXT) | instid1(VALU_DEP_4)
	v_or_b32_e32 v34, v44, v34
	v_and_b32_e32 v43, 0xffff, v43
	s_delay_alu instid0(VALU_DEP_3) | instskip(NEXT) | instid1(VALU_DEP_3)
	v_and_b32_e32 v42, 0xffff, v42
	v_lshlrev_b32_e32 v44, 16, v34
	s_delay_alu instid0(VALU_DEP_3) | instskip(NEXT) | instid1(VALU_DEP_2)
	v_or_b32_e32 v34, v43, v33
	v_or_b32_e32 v33, v42, v44
	v_cmpx_ne_u32_e32 0, v0
	s_xor_b32 s6, exec_lo, s6
	s_cbranch_execz .LBB69_70
; %bb.69:
	v_add_nc_u32_e32 v42, -8, v55
	s_or_b32 s2, s2, exec_lo
	ds_load_b64 v[42:43], v42
	s_waitcnt lgkmcnt(0)
	v_cvt_i32_f64_e32 v42, v[42:43]
	s_delay_alu instid0(VALU_DEP_1) | instskip(NEXT) | instid1(VALU_DEP_1)
	v_mul_hi_i32 v42, 0x66666667, v42
	v_lshrrev_b32_e32 v43, 31, v42
	v_ashrrev_i32_e32 v42, 2, v42
	s_delay_alu instid0(VALU_DEP_1) | instskip(NEXT) | instid1(VALU_DEP_1)
	v_add_nc_u32_e32 v42, v42, v43
	v_cmp_ne_u32_e32 vcc_lo, v42, v41
	s_and_b32 s4, vcc_lo, exec_lo
.LBB69_70:
	s_or_b32 exec_lo, exec_lo, s6
	s_delay_alu instid0(SALU_CYCLE_1)
	s_and_b32 vcc_lo, exec_lo, s5
	s_cbranch_vccnz .LBB69_72
	s_branch .LBB69_91
.LBB69_71:
                                        ; implicit-def: $sgpr4
                                        ; implicit-def: $vgpr34
	s_cbranch_execz .LBB69_91
.LBB69_72:
	v_or_b32_e32 v33, 7, v55
	s_mov_b32 s4, 0
	s_mov_b32 s5, 0
	s_mov_b32 s6, exec_lo
	s_delay_alu instid0(VALU_DEP_1)
	v_cmpx_gt_u32_e64 s19, v33
; %bb.73:
	v_cvt_i32_f64_e32 v33, v[19:20]
	v_lshrrev_b32_e32 v34, 31, v40
	v_ashrrev_i32_e32 v41, 2, v40
	s_delay_alu instid0(VALU_DEP_1) | instskip(NEXT) | instid1(VALU_DEP_4)
	v_add_nc_u32_e32 v34, v41, v34
	v_mul_hi_i32 v33, 0x66666667, v33
	s_delay_alu instid0(VALU_DEP_1) | instskip(SKIP_1) | instid1(VALU_DEP_1)
	v_lshrrev_b32_e32 v42, 31, v33
	v_ashrrev_i32_e32 v33, 2, v33
	v_add_nc_u32_e32 v33, v33, v42
	s_delay_alu instid0(VALU_DEP_1)
	v_cmp_ne_u32_e32 vcc_lo, v34, v33
	s_and_b32 s5, vcc_lo, exec_lo
; %bb.74:
	s_or_b32 exec_lo, exec_lo, s6
	v_or_b32_e32 v33, 6, v55
	s_mov_b32 s6, exec_lo
	s_delay_alu instid0(VALU_DEP_1)
	v_cmpx_gt_u32_e64 s19, v33
; %bb.75:
	v_lshrrev_b32_e32 v33, 31, v39
	v_ashrrev_i32_e32 v34, 2, v39
	v_lshrrev_b32_e32 v41, 31, v40
	v_ashrrev_i32_e32 v40, 2, v40
	s_delay_alu instid0(VALU_DEP_3) | instskip(NEXT) | instid1(VALU_DEP_2)
	v_add_nc_u32_e32 v33, v34, v33
	v_add_nc_u32_e32 v34, v40, v41
	s_delay_alu instid0(VALU_DEP_1)
	v_cmp_ne_u32_e32 vcc_lo, v33, v34
	s_and_b32 s4, vcc_lo, exec_lo
; %bb.76:
	s_or_b32 exec_lo, exec_lo, s6
	v_or_b32_e32 v33, 5, v55
	s_mov_b32 s6, 0
	s_mov_b32 s7, 0
	s_mov_b32 s9, exec_lo
	s_delay_alu instid0(VALU_DEP_1)
	v_cmpx_gt_u32_e64 s19, v33
; %bb.77:
	v_lshrrev_b32_e32 v33, 31, v38
	v_ashrrev_i32_e32 v34, 2, v38
	v_lshrrev_b32_e32 v40, 31, v39
	v_ashrrev_i32_e32 v39, 2, v39
	s_delay_alu instid0(VALU_DEP_3) | instskip(NEXT) | instid1(VALU_DEP_2)
	v_add_nc_u32_e32 v33, v34, v33
	v_add_nc_u32_e32 v34, v39, v40
	s_delay_alu instid0(VALU_DEP_1)
	v_cmp_ne_u32_e32 vcc_lo, v33, v34
	s_and_b32 s7, vcc_lo, exec_lo
; %bb.78:
	s_or_b32 exec_lo, exec_lo, s9
	v_or_b32_e32 v33, 4, v55
	s_mov_b32 s9, exec_lo
	s_delay_alu instid0(VALU_DEP_1)
	v_cmpx_gt_u32_e64 s19, v33
; %bb.79:
	v_lshrrev_b32_e32 v33, 31, v37
	v_ashrrev_i32_e32 v34, 2, v37
	v_lshrrev_b32_e32 v39, 31, v38
	v_ashrrev_i32_e32 v38, 2, v38
	s_delay_alu instid0(VALU_DEP_3) | instskip(NEXT) | instid1(VALU_DEP_2)
	v_add_nc_u32_e32 v33, v34, v33
	v_add_nc_u32_e32 v34, v38, v39
	s_delay_alu instid0(VALU_DEP_1)
	v_cmp_ne_u32_e32 vcc_lo, v33, v34
	s_and_b32 s6, vcc_lo, exec_lo
; %bb.80:
	s_or_b32 exec_lo, exec_lo, s9
	v_or_b32_e32 v33, 3, v55
	s_mov_b32 s12, 0
	s_mov_b32 s9, 0
	s_mov_b32 s13, exec_lo
	s_delay_alu instid0(VALU_DEP_1)
	v_cmpx_gt_u32_e64 s19, v33
; %bb.81:
	v_lshrrev_b32_e32 v33, 31, v36
	v_ashrrev_i32_e32 v34, 2, v36
	v_lshrrev_b32_e32 v38, 31, v37
	v_ashrrev_i32_e32 v37, 2, v37
	s_delay_alu instid0(VALU_DEP_3) | instskip(NEXT) | instid1(VALU_DEP_2)
	v_add_nc_u32_e32 v33, v34, v33
	v_add_nc_u32_e32 v34, v37, v38
	s_delay_alu instid0(VALU_DEP_1)
	v_cmp_ne_u32_e32 vcc_lo, v33, v34
	s_and_b32 s9, vcc_lo, exec_lo
; %bb.82:
	s_or_b32 exec_lo, exec_lo, s13
	v_or_b32_e32 v33, 2, v55
	s_mov_b32 s13, exec_lo
	s_delay_alu instid0(VALU_DEP_1)
	v_cmpx_gt_u32_e64 s19, v33
; %bb.83:
	v_lshrrev_b32_e32 v33, 31, v35
	v_ashrrev_i32_e32 v34, 2, v35
	v_lshrrev_b32_e32 v37, 31, v36
	v_ashrrev_i32_e32 v36, 2, v36
	s_delay_alu instid0(VALU_DEP_3) | instskip(NEXT) | instid1(VALU_DEP_2)
	v_add_nc_u32_e32 v33, v34, v33
	v_add_nc_u32_e32 v34, v36, v37
	s_delay_alu instid0(VALU_DEP_1)
	v_cmp_ne_u32_e32 vcc_lo, v33, v34
	s_and_b32 s12, vcc_lo, exec_lo
; %bb.84:
	s_or_b32 exec_lo, exec_lo, s13
	v_or_b32_e32 v33, 1, v55
	s_mov_b32 s20, 0
	s_mov_b32 s13, exec_lo
	s_delay_alu instid0(VALU_DEP_1)
	v_cmpx_gt_u32_e64 s19, v33
; %bb.85:
	v_cvt_i32_f64_e32 v33, v[29:30]
	v_lshrrev_b32_e32 v34, 31, v35
	v_ashrrev_i32_e32 v35, 2, v35
	s_delay_alu instid0(VALU_DEP_1) | instskip(NEXT) | instid1(VALU_DEP_4)
	v_add_nc_u32_e32 v34, v35, v34
	v_mul_hi_i32 v33, 0x66666667, v33
	s_delay_alu instid0(VALU_DEP_1) | instskip(SKIP_1) | instid1(VALU_DEP_1)
	v_lshrrev_b32_e32 v36, 31, v33
	v_ashrrev_i32_e32 v33, 2, v33
	v_add_nc_u32_e32 v33, v33, v36
	s_delay_alu instid0(VALU_DEP_1)
	v_cmp_ne_u32_e32 vcc_lo, v33, v34
	s_and_b32 s20, vcc_lo, exec_lo
; %bb.86:
	s_or_b32 exec_lo, exec_lo, s13
	v_cndmask_b32_e64 v34, 0, 1, s9
	v_cndmask_b32_e64 v35, 0, 1, s7
	;; [unrolled: 1-line block ×7, first 2 shown]
	v_lshlrev_b16 v35, 8, v35
	v_lshlrev_b16 v36, 8, v36
	;; [unrolled: 1-line block ×4, first 2 shown]
	s_mov_b32 s5, exec_lo
	v_or_b32_e32 v35, v38, v35
	v_or_b32_e32 v36, v39, v36
	;; [unrolled: 1-line block ×4, first 2 shown]
	s_waitcnt lgkmcnt(0)
	v_and_b32_e32 v34, 0xffff, v35
	v_lshlrev_b32_e32 v35, 16, v36
	v_and_b32_e32 v36, 0xffff, v37
	v_lshlrev_b32_e32 v33, 16, v33
	s_barrier
	buffer_gl0_inv
	v_or_b32_e32 v34, v34, v35
                                        ; implicit-def: $sgpr4
	v_or_b32_e32 v33, v36, v33
	v_cmpx_ne_u32_e32 0, v0
	s_cbranch_execz .LBB69_90
; %bb.87:
	s_mov_b32 s6, 0
	s_mov_b32 s4, exec_lo
	v_cmpx_gt_u32_e64 s19, v55
	s_cbranch_execz .LBB69_89
; %bb.88:
	v_add_nc_u32_e32 v35, -8, v55
	v_cvt_i32_f64_e32 v37, v[29:30]
	ds_load_b64 v[35:36], v35
	s_waitcnt lgkmcnt(0)
	v_cvt_i32_f64_e32 v35, v[35:36]
	v_mul_hi_i32 v36, 0x66666667, v37
	s_delay_alu instid0(VALU_DEP_1) | instskip(SKIP_1) | instid1(VALU_DEP_1)
	v_lshrrev_b32_e32 v37, 31, v36
	v_ashrrev_i32_e32 v36, 2, v36
	v_add_nc_u32_e32 v36, v36, v37
	v_mul_hi_i32 v35, 0x66666667, v35
	s_delay_alu instid0(VALU_DEP_1) | instskip(SKIP_1) | instid1(VALU_DEP_1)
	v_lshrrev_b32_e32 v38, 31, v35
	v_ashrrev_i32_e32 v35, 2, v35
	v_add_nc_u32_e32 v35, v35, v38
	s_delay_alu instid0(VALU_DEP_1)
	v_cmp_ne_u32_e32 vcc_lo, v35, v36
	s_and_b32 s6, vcc_lo, exec_lo
.LBB69_89:
	s_or_b32 exec_lo, exec_lo, s4
	s_delay_alu instid0(SALU_CYCLE_1)
	s_and_b32 s4, s6, exec_lo
	s_or_b32 s2, s2, exec_lo
.LBB69_90:
	s_or_b32 exec_lo, exec_lo, s5
.LBB69_91:
	s_and_saveexec_b32 s5, s2
	s_cbranch_execz .LBB69_93
; %bb.92:
	s_waitcnt vmcnt(0) lgkmcnt(0)
	v_and_b32_e32 v35, 0xffffff00, v33
	v_cndmask_b32_e64 v36, 0, 1, s4
	s_delay_alu instid0(VALU_DEP_1) | instskip(NEXT) | instid1(VALU_DEP_1)
	v_or_b32_e32 v35, v36, v35
	v_and_b32_e32 v35, 0xffff, v35
	s_delay_alu instid0(VALU_DEP_1)
	v_and_or_b32 v33, 0xffff0000, v33, v35
.LBB69_93:
	s_or_b32 exec_lo, exec_lo, s5
	s_load_b64 s[12:13], s[0:1], 0x60
	s_and_not1_b32 vcc_lo, exec_lo, s3
	s_cbranch_vccnz .LBB69_95
; %bb.94:
	v_cmp_gt_u32_e32 vcc_lo, s19, v55
	s_waitcnt vmcnt(0) lgkmcnt(0)
	v_or_b32_e32 v36, 1, v55
	v_and_b32_e32 v37, 0xffffff00, v34
	v_or_b32_e32 v38, 2, v55
	v_cndmask_b32_e32 v35, 0, v33, vcc_lo
	s_delay_alu instid0(VALU_DEP_4) | instskip(SKIP_1) | instid1(VALU_DEP_4)
	v_cmp_gt_u32_e32 vcc_lo, s19, v36
	v_or_b32_e32 v36, 4, v55
	v_cmp_gt_u32_e64 s2, s19, v38
	v_or_b32_e32 v38, 3, v55
	v_and_b32_e32 v35, 0xff, v35
	s_delay_alu instid0(VALU_DEP_2) | instskip(NEXT) | instid1(VALU_DEP_2)
	v_cmp_gt_u32_e64 s3, s19, v38
	v_cndmask_b32_e32 v35, v35, v33, vcc_lo
	v_cmp_gt_u32_e32 vcc_lo, s19, v36
	v_cndmask_b32_e32 v36, v37, v34, vcc_lo
	v_or_b32_e32 v37, 5, v55
	s_delay_alu instid0(VALU_DEP_2) | instskip(SKIP_1) | instid1(VALU_DEP_1)
	v_and_b32_e32 v36, 0xffff00ff, v36
	v_and_b32_e32 v35, 0xffff, v35
	v_cndmask_b32_e64 v35, v35, v33, s2
	s_delay_alu instid0(VALU_DEP_4) | instskip(SKIP_1) | instid1(VALU_DEP_3)
	v_cmp_gt_u32_e64 s2, s19, v37
	v_or_b32_e32 v37, 6, v55
	v_and_b32_e32 v35, 0xffffff, v35
	s_delay_alu instid0(VALU_DEP_3) | instskip(NEXT) | instid1(VALU_DEP_2)
	v_cndmask_b32_e64 v36, v36, v34, s2
	v_cndmask_b32_e64 v35, v35, v33, s3
	s_delay_alu instid0(VALU_DEP_1) | instskip(SKIP_2) | instid1(VALU_DEP_3)
	v_dual_cndmask_b32 v35, v35, v33 :: v_dual_and_b32 v36, 0xff00ffff, v36
	v_cmp_gt_u32_e32 vcc_lo, s19, v37
	v_or_b32_e32 v37, 7, v55
	v_cndmask_b32_e64 v35, v35, v33, s2
	s_delay_alu instid0(VALU_DEP_1) | instskip(NEXT) | instid1(VALU_DEP_1)
	v_dual_cndmask_b32 v36, v36, v34 :: v_dual_cndmask_b32 v35, v35, v33
	v_and_b32_e32 v36, 0xffffff, v36
	s_delay_alu instid0(VALU_DEP_4) | instskip(NEXT) | instid1(VALU_DEP_2)
	v_cmp_gt_u32_e32 vcc_lo, s19, v37
	v_dual_cndmask_b32 v34, v36, v34 :: v_dual_cndmask_b32 v33, v35, v33
.LBB69_95:
	s_delay_alu instid0(VALU_DEP_1) | instskip(SKIP_1) | instid1(VALU_DEP_2)
	v_and_b32_e32 v44, 0xff, v33
	s_waitcnt vmcnt(0) lgkmcnt(0)
	v_alignbit_b32 v35, v34, v33, 24
	v_bfe_u32 v46, v33, 8, 8
	v_bfe_u32 v48, v33, 16, 8
	v_and_b32_e32 v52, 0xff, v34
	v_bfe_u32 v54, v34, 8, 8
	v_and_b32_e32 v50, 0xff, v35
	v_add_nc_u32_e32 v35, v46, v44
	v_mbcnt_lo_u32_b32 v58, -1, 0
	v_bfe_u32 v57, v34, 16, 8
	v_lshrrev_b32_e32 v56, 24, v34
	v_lshrrev_b32_e32 v59, 5, v0
	v_add3_u32 v35, v35, v48, v50
	v_and_b32_e32 v36, 15, v58
	v_and_b32_e32 v37, 16, v58
	s_and_b32 vcc_lo, exec_lo, s8
	s_mov_b32 s9, -1
	v_add3_u32 v35, v35, v52, v54
	v_cmp_eq_u32_e64 s4, 0, v36
	v_cmp_lt_u32_e64 s2, 1, v36
	v_cmp_lt_u32_e64 s5, 3, v36
	v_cmp_lt_u32_e64 s3, 7, v36
	v_add3_u32 v60, v35, v57, v56
	v_or_b32_e32 v35, 31, v0
	v_cmp_eq_u32_e64 s7, 0, v37
	s_barrier
	buffer_gl0_inv
	v_cmp_eq_u32_e64 s6, v35, v0
	s_cbranch_vccz .LBB69_126
; %bb.96:
	v_mov_b32_dpp v35, v60 row_shr:1 row_mask:0xf bank_mask:0xf
	s_delay_alu instid0(VALU_DEP_1) | instskip(NEXT) | instid1(VALU_DEP_1)
	v_cndmask_b32_e64 v35, v35, 0, s4
	v_add_nc_u32_e32 v35, v35, v60
	s_delay_alu instid0(VALU_DEP_1) | instskip(NEXT) | instid1(VALU_DEP_1)
	v_mov_b32_dpp v36, v35 row_shr:2 row_mask:0xf bank_mask:0xf
	v_cndmask_b32_e64 v36, 0, v36, s2
	s_delay_alu instid0(VALU_DEP_1) | instskip(NEXT) | instid1(VALU_DEP_1)
	v_add_nc_u32_e32 v35, v35, v36
	v_mov_b32_dpp v36, v35 row_shr:4 row_mask:0xf bank_mask:0xf
	s_delay_alu instid0(VALU_DEP_1) | instskip(NEXT) | instid1(VALU_DEP_1)
	v_cndmask_b32_e64 v36, 0, v36, s5
	v_add_nc_u32_e32 v35, v35, v36
	s_delay_alu instid0(VALU_DEP_1) | instskip(NEXT) | instid1(VALU_DEP_1)
	v_mov_b32_dpp v36, v35 row_shr:8 row_mask:0xf bank_mask:0xf
	v_cndmask_b32_e64 v36, 0, v36, s3
	s_delay_alu instid0(VALU_DEP_1) | instskip(SKIP_3) | instid1(VALU_DEP_1)
	v_add_nc_u32_e32 v35, v35, v36
	ds_swizzle_b32 v36, v35 offset:swizzle(BROADCAST,32,15)
	s_waitcnt lgkmcnt(0)
	v_cndmask_b32_e64 v36, v36, 0, s7
	v_add_nc_u32_e32 v35, v35, v36
	s_and_saveexec_b32 s8, s6
	s_cbranch_execz .LBB69_98
; %bb.97:
	v_lshlrev_b32_e32 v36, 2, v59
	ds_store_b32 v36, v35
.LBB69_98:
	s_or_b32 exec_lo, exec_lo, s8
	s_delay_alu instid0(SALU_CYCLE_1)
	s_mov_b32 s8, exec_lo
	s_waitcnt lgkmcnt(0)
	s_barrier
	buffer_gl0_inv
	v_cmpx_gt_u32_e32 16, v0
	s_cbranch_execz .LBB69_100
; %bb.99:
	v_lshlrev_b32_e32 v36, 2, v0
	ds_load_b32 v37, v36
	s_waitcnt lgkmcnt(0)
	v_mov_b32_dpp v38, v37 row_shr:1 row_mask:0xf bank_mask:0xf
	s_delay_alu instid0(VALU_DEP_1) | instskip(NEXT) | instid1(VALU_DEP_1)
	v_cndmask_b32_e64 v38, v38, 0, s4
	v_add_nc_u32_e32 v37, v38, v37
	s_delay_alu instid0(VALU_DEP_1) | instskip(NEXT) | instid1(VALU_DEP_1)
	v_mov_b32_dpp v38, v37 row_shr:2 row_mask:0xf bank_mask:0xf
	v_cndmask_b32_e64 v38, 0, v38, s2
	s_delay_alu instid0(VALU_DEP_1) | instskip(NEXT) | instid1(VALU_DEP_1)
	v_add_nc_u32_e32 v37, v37, v38
	v_mov_b32_dpp v38, v37 row_shr:4 row_mask:0xf bank_mask:0xf
	s_delay_alu instid0(VALU_DEP_1) | instskip(NEXT) | instid1(VALU_DEP_1)
	v_cndmask_b32_e64 v38, 0, v38, s5
	v_add_nc_u32_e32 v37, v37, v38
	s_delay_alu instid0(VALU_DEP_1) | instskip(NEXT) | instid1(VALU_DEP_1)
	v_mov_b32_dpp v38, v37 row_shr:8 row_mask:0xf bank_mask:0xf
	v_cndmask_b32_e64 v38, 0, v38, s3
	s_delay_alu instid0(VALU_DEP_1)
	v_add_nc_u32_e32 v37, v37, v38
	ds_store_b32 v36, v37
.LBB69_100:
	s_or_b32 exec_lo, exec_lo, s8
	v_cmp_gt_u32_e32 vcc_lo, 32, v0
	s_mov_b32 s9, exec_lo
	s_waitcnt lgkmcnt(0)
	s_barrier
	buffer_gl0_inv
                                        ; implicit-def: $vgpr43
	v_cmpx_lt_u32_e32 31, v0
	s_cbranch_execz .LBB69_102
; %bb.101:
	v_lshl_add_u32 v36, v59, 2, -4
	ds_load_b32 v43, v36
	s_waitcnt lgkmcnt(0)
	v_add_nc_u32_e32 v35, v43, v35
.LBB69_102:
	s_or_b32 exec_lo, exec_lo, s9
	v_add_nc_u32_e32 v36, -1, v58
	s_delay_alu instid0(VALU_DEP_1) | instskip(NEXT) | instid1(VALU_DEP_1)
	v_cmp_gt_i32_e64 s8, 0, v36
	v_cndmask_b32_e64 v36, v36, v58, s8
	v_cmp_eq_u32_e64 s8, 0, v58
	s_delay_alu instid0(VALU_DEP_2)
	v_lshlrev_b32_e32 v36, 2, v36
	ds_bpermute_b32 v45, v36, v35
	s_and_saveexec_b32 s9, vcc_lo
	s_cbranch_execz .LBB69_125
; %bb.103:
	v_mov_b32_e32 v39, 0
	ds_load_b32 v35, v39 offset:60
	s_and_saveexec_b32 s19, s8
	s_cbranch_execz .LBB69_105
; %bb.104:
	s_add_i32 s20, s15, 32
	s_mov_b32 s21, 0
	v_mov_b32_e32 v36, 1
	s_lshl_b64 s[20:21], s[20:21], 3
	s_delay_alu instid0(SALU_CYCLE_1)
	s_add_u32 s20, s12, s20
	s_addc_u32 s21, s13, s21
	s_waitcnt lgkmcnt(0)
	global_store_b64 v39, v[35:36], s[20:21]
.LBB69_105:
	s_or_b32 exec_lo, exec_lo, s19
	v_xad_u32 v37, v58, -1, s15
	s_mov_b32 s20, 0
	s_mov_b32 s19, exec_lo
	s_delay_alu instid0(VALU_DEP_1) | instskip(NEXT) | instid1(VALU_DEP_1)
	v_add_nc_u32_e32 v38, 32, v37
	v_lshlrev_b64 v[38:39], 3, v[38:39]
	s_delay_alu instid0(VALU_DEP_1) | instskip(NEXT) | instid1(VALU_DEP_2)
	v_add_co_u32 v41, vcc_lo, s12, v38
	v_add_co_ci_u32_e32 v42, vcc_lo, s13, v39, vcc_lo
	global_load_b64 v[39:40], v[41:42], off glc
	s_waitcnt vmcnt(0)
	v_and_b32_e32 v36, 0xff, v40
	s_delay_alu instid0(VALU_DEP_1)
	v_cmpx_eq_u16_e32 0, v36
	s_cbranch_execz .LBB69_111
; %bb.106:
	s_mov_b32 s21, 1
	.p2align	6
.LBB69_107:                             ; =>This Loop Header: Depth=1
                                        ;     Child Loop BB69_108 Depth 2
	s_delay_alu instid0(SALU_CYCLE_1)
	s_max_u32 s22, s21, 1
.LBB69_108:                             ;   Parent Loop BB69_107 Depth=1
                                        ; =>  This Inner Loop Header: Depth=2
	s_delay_alu instid0(SALU_CYCLE_1)
	s_add_i32 s22, s22, -1
	s_sleep 1
	s_cmp_eq_u32 s22, 0
	s_cbranch_scc0 .LBB69_108
; %bb.109:                              ;   in Loop: Header=BB69_107 Depth=1
	global_load_b64 v[39:40], v[41:42], off glc
	s_cmp_lt_u32 s21, 32
	s_cselect_b32 s22, -1, 0
	s_delay_alu instid0(SALU_CYCLE_1) | instskip(SKIP_3) | instid1(VALU_DEP_1)
	s_cmp_lg_u32 s22, 0
	s_addc_u32 s21, s21, 0
	s_waitcnt vmcnt(0)
	v_and_b32_e32 v36, 0xff, v40
	v_cmp_ne_u16_e32 vcc_lo, 0, v36
	s_or_b32 s20, vcc_lo, s20
	s_delay_alu instid0(SALU_CYCLE_1)
	s_and_not1_b32 exec_lo, exec_lo, s20
	s_cbranch_execnz .LBB69_107
; %bb.110:
	s_or_b32 exec_lo, exec_lo, s20
.LBB69_111:
	s_delay_alu instid0(SALU_CYCLE_1)
	s_or_b32 exec_lo, exec_lo, s19
	v_cmp_ne_u32_e32 vcc_lo, 31, v58
	v_lshlrev_b32_e64 v49, v58, -1
	v_add_nc_u32_e32 v53, 2, v58
	v_add_nc_u32_e32 v66, 16, v58
	v_add_co_ci_u32_e32 v36, vcc_lo, 0, v58, vcc_lo
	s_delay_alu instid0(VALU_DEP_1)
	v_lshlrev_b32_e32 v47, 2, v36
	v_and_b32_e32 v36, 0xff, v40
	ds_bpermute_b32 v38, v47, v39
	v_cmp_eq_u16_e32 vcc_lo, 2, v36
	v_and_or_b32 v36, vcc_lo, v49, 0x80000000
	v_cmp_gt_u32_e32 vcc_lo, 30, v58
	s_delay_alu instid0(VALU_DEP_2) | instskip(SKIP_1) | instid1(VALU_DEP_2)
	v_ctz_i32_b32_e32 v36, v36
	v_cndmask_b32_e64 v41, 0, 1, vcc_lo
	v_cmp_lt_u32_e32 vcc_lo, v58, v36
	s_waitcnt lgkmcnt(0)
	s_delay_alu instid0(VALU_DEP_2) | instskip(NEXT) | instid1(VALU_DEP_1)
	v_dual_cndmask_b32 v38, 0, v38 :: v_dual_lshlrev_b32 v41, 1, v41
	v_add_lshl_u32 v51, v41, v58, 2
	v_cmp_gt_u32_e32 vcc_lo, 28, v58
	s_delay_alu instid0(VALU_DEP_3) | instskip(SKIP_4) | instid1(VALU_DEP_1)
	v_add_nc_u32_e32 v38, v38, v39
	v_cndmask_b32_e64 v41, 0, 1, vcc_lo
	v_cmp_le_u32_e32 vcc_lo, v53, v36
	ds_bpermute_b32 v39, v51, v38
	v_lshlrev_b32_e32 v41, 2, v41
	v_add_lshl_u32 v61, v41, v58, 2
	s_waitcnt lgkmcnt(0)
	v_cndmask_b32_e32 v39, 0, v39, vcc_lo
	v_cmp_gt_u32_e32 vcc_lo, 24, v58
	s_delay_alu instid0(VALU_DEP_2) | instskip(SKIP_4) | instid1(VALU_DEP_2)
	v_add_nc_u32_e32 v38, v38, v39
	v_cndmask_b32_e64 v41, 0, 1, vcc_lo
	ds_bpermute_b32 v39, v61, v38
	v_add_nc_u32_e32 v62, 4, v58
	v_lshlrev_b32_e32 v41, 3, v41
	v_cmp_le_u32_e32 vcc_lo, v62, v36
	s_delay_alu instid0(VALU_DEP_2) | instskip(SKIP_3) | instid1(VALU_DEP_2)
	v_add_lshl_u32 v63, v41, v58, 2
	s_waitcnt lgkmcnt(0)
	v_cndmask_b32_e32 v39, 0, v39, vcc_lo
	v_cmp_gt_u32_e32 vcc_lo, 16, v58
	v_add_nc_u32_e32 v38, v38, v39
	v_cndmask_b32_e64 v41, 0, 1, vcc_lo
	ds_bpermute_b32 v39, v63, v38
	v_add_nc_u32_e32 v64, 8, v58
	v_lshlrev_b32_e32 v41, 4, v41
	s_delay_alu instid0(VALU_DEP_2) | instskip(NEXT) | instid1(VALU_DEP_2)
	v_cmp_le_u32_e32 vcc_lo, v64, v36
	v_add_lshl_u32 v65, v41, v58, 2
	s_waitcnt lgkmcnt(0)
	v_cndmask_b32_e32 v39, 0, v39, vcc_lo
	v_cmp_le_u32_e32 vcc_lo, v66, v36
	s_delay_alu instid0(VALU_DEP_2) | instskip(SKIP_3) | instid1(VALU_DEP_1)
	v_add_nc_u32_e32 v38, v38, v39
	ds_bpermute_b32 v39, v65, v38
	s_waitcnt lgkmcnt(0)
	v_cndmask_b32_e32 v36, 0, v39, vcc_lo
	v_dual_mov_b32 v38, 0 :: v_dual_add_nc_u32 v39, v38, v36
	s_branch .LBB69_113
.LBB69_112:                             ;   in Loop: Header=BB69_113 Depth=1
	s_or_b32 exec_lo, exec_lo, s19
	ds_bpermute_b32 v42, v47, v39
	v_and_b32_e32 v41, 0xff, v40
	v_subrev_nc_u32_e32 v37, 32, v37
	s_delay_alu instid0(VALU_DEP_2) | instskip(SKIP_1) | instid1(VALU_DEP_1)
	v_cmp_eq_u16_e32 vcc_lo, 2, v41
	v_and_or_b32 v41, vcc_lo, v49, 0x80000000
	v_ctz_i32_b32_e32 v41, v41
	s_delay_alu instid0(VALU_DEP_1) | instskip(SKIP_3) | instid1(VALU_DEP_2)
	v_cmp_lt_u32_e32 vcc_lo, v58, v41
	s_waitcnt lgkmcnt(0)
	v_cndmask_b32_e32 v42, 0, v42, vcc_lo
	v_cmp_le_u32_e32 vcc_lo, v53, v41
	v_add_nc_u32_e32 v39, v42, v39
	ds_bpermute_b32 v42, v51, v39
	s_waitcnt lgkmcnt(0)
	v_cndmask_b32_e32 v42, 0, v42, vcc_lo
	v_cmp_le_u32_e32 vcc_lo, v62, v41
	s_delay_alu instid0(VALU_DEP_2) | instskip(SKIP_4) | instid1(VALU_DEP_2)
	v_add_nc_u32_e32 v39, v39, v42
	ds_bpermute_b32 v42, v61, v39
	s_waitcnt lgkmcnt(0)
	v_cndmask_b32_e32 v42, 0, v42, vcc_lo
	v_cmp_le_u32_e32 vcc_lo, v64, v41
	v_add_nc_u32_e32 v39, v39, v42
	ds_bpermute_b32 v42, v63, v39
	s_waitcnt lgkmcnt(0)
	v_cndmask_b32_e32 v42, 0, v42, vcc_lo
	v_cmp_le_u32_e32 vcc_lo, v66, v41
	s_delay_alu instid0(VALU_DEP_2) | instskip(SKIP_3) | instid1(VALU_DEP_1)
	v_add_nc_u32_e32 v39, v39, v42
	ds_bpermute_b32 v42, v65, v39
	s_waitcnt lgkmcnt(0)
	v_cndmask_b32_e32 v41, 0, v42, vcc_lo
	v_add3_u32 v39, v41, v36, v39
.LBB69_113:                             ; =>This Loop Header: Depth=1
                                        ;     Child Loop BB69_116 Depth 2
                                        ;       Child Loop BB69_117 Depth 3
	v_and_b32_e32 v36, 0xff, v40
	s_delay_alu instid0(VALU_DEP_1) | instskip(SKIP_2) | instid1(VALU_DEP_1)
	v_cmp_ne_u16_e32 vcc_lo, 2, v36
	v_cndmask_b32_e64 v36, 0, 1, vcc_lo
	;;#ASMSTART
	;;#ASMEND
	v_cmp_ne_u32_e32 vcc_lo, 0, v36
	v_mov_b32_e32 v36, v39
	s_cmp_lg_u32 vcc_lo, exec_lo
	s_cbranch_scc1 .LBB69_120
; %bb.114:                              ;   in Loop: Header=BB69_113 Depth=1
	v_lshlrev_b64 v[39:40], 3, v[37:38]
	s_mov_b32 s19, exec_lo
	s_delay_alu instid0(VALU_DEP_1) | instskip(NEXT) | instid1(VALU_DEP_2)
	v_add_co_u32 v41, vcc_lo, s12, v39
	v_add_co_ci_u32_e32 v42, vcc_lo, s13, v40, vcc_lo
	global_load_b64 v[39:40], v[41:42], off glc
	s_waitcnt vmcnt(0)
	v_and_b32_e32 v67, 0xff, v40
	s_delay_alu instid0(VALU_DEP_1)
	v_cmpx_eq_u16_e32 0, v67
	s_cbranch_execz .LBB69_112
; %bb.115:                              ;   in Loop: Header=BB69_113 Depth=1
	s_mov_b32 s21, 1
	s_mov_b32 s20, 0
	.p2align	6
.LBB69_116:                             ;   Parent Loop BB69_113 Depth=1
                                        ; =>  This Loop Header: Depth=2
                                        ;       Child Loop BB69_117 Depth 3
	s_max_u32 s22, s21, 1
.LBB69_117:                             ;   Parent Loop BB69_113 Depth=1
                                        ;     Parent Loop BB69_116 Depth=2
                                        ; =>    This Inner Loop Header: Depth=3
	s_delay_alu instid0(SALU_CYCLE_1)
	s_add_i32 s22, s22, -1
	s_sleep 1
	s_cmp_eq_u32 s22, 0
	s_cbranch_scc0 .LBB69_117
; %bb.118:                              ;   in Loop: Header=BB69_116 Depth=2
	global_load_b64 v[39:40], v[41:42], off glc
	s_cmp_lt_u32 s21, 32
	s_cselect_b32 s22, -1, 0
	s_delay_alu instid0(SALU_CYCLE_1) | instskip(SKIP_3) | instid1(VALU_DEP_1)
	s_cmp_lg_u32 s22, 0
	s_addc_u32 s21, s21, 0
	s_waitcnt vmcnt(0)
	v_and_b32_e32 v67, 0xff, v40
	v_cmp_ne_u16_e32 vcc_lo, 0, v67
	s_or_b32 s20, vcc_lo, s20
	s_delay_alu instid0(SALU_CYCLE_1)
	s_and_not1_b32 exec_lo, exec_lo, s20
	s_cbranch_execnz .LBB69_116
; %bb.119:                              ;   in Loop: Header=BB69_113 Depth=1
	s_or_b32 exec_lo, exec_lo, s20
	s_branch .LBB69_112
.LBB69_120:                             ;   in Loop: Header=BB69_113 Depth=1
                                        ; implicit-def: $vgpr39
                                        ; implicit-def: $vgpr40
	s_cbranch_execz .LBB69_113
; %bb.121:
	s_and_saveexec_b32 s19, s8
	s_cbranch_execz .LBB69_123
; %bb.122:
	s_add_i32 s20, s15, 32
	s_mov_b32 s21, 0
	v_dual_mov_b32 v38, 2 :: v_dual_add_nc_u32 v37, v36, v35
	s_lshl_b64 s[20:21], s[20:21], 3
	v_mov_b32_e32 v39, 0
	s_add_u32 s20, s12, s20
	s_addc_u32 s21, s13, s21
	global_store_b64 v39, v[37:38], s[20:21]
	ds_store_b64 v39, v[35:36] offset:33792
.LBB69_123:
	s_or_b32 exec_lo, exec_lo, s19
	v_cmp_eq_u32_e32 vcc_lo, 0, v0
	s_and_b32 exec_lo, exec_lo, vcc_lo
	s_cbranch_execz .LBB69_125
; %bb.124:
	v_mov_b32_e32 v35, 0
	ds_store_b32 v35, v36 offset:60
.LBB69_125:
	s_or_b32 exec_lo, exec_lo, s9
	v_mov_b32_e32 v35, 0
	s_waitcnt lgkmcnt(0)
	s_waitcnt_vscnt null, 0x0
	s_barrier
	buffer_gl0_inv
	v_cndmask_b32_e64 v37, v45, v43, s8
	ds_load_b32 v36, v35 offset:60
	v_cmp_ne_u32_e32 vcc_lo, 0, v0
	s_waitcnt lgkmcnt(0)
	s_barrier
	buffer_gl0_inv
	v_cndmask_b32_e32 v37, 0, v37, vcc_lo
	s_delay_alu instid0(VALU_DEP_1) | instskip(SKIP_2) | instid1(VALU_DEP_1)
	v_add_nc_u32_e32 v53, v36, v37
	ds_load_b64 v[35:36], v35 offset:33792
	v_add_nc_u32_e32 v51, v53, v44
	v_add_nc_u32_e32 v49, v51, v46
	s_delay_alu instid0(VALU_DEP_1) | instskip(NEXT) | instid1(VALU_DEP_1)
	v_add_nc_u32_e32 v47, v49, v48
	v_add_nc_u32_e32 v45, v47, v50
	s_waitcnt lgkmcnt(0)
	v_readfirstlane_b32 s8, v36
	s_delay_alu instid0(VALU_DEP_2) | instskip(NEXT) | instid1(VALU_DEP_1)
	v_add_nc_u32_e32 v43, v45, v52
	v_add_nc_u32_e32 v41, v43, v54
	s_delay_alu instid0(VALU_DEP_1)
	v_add_nc_u32_e32 v39, v41, v57
	v_lshrrev_b64 v[37:38], 24, v[33:34]
	s_branch .LBB69_136
.LBB69_126:
                                        ; implicit-def: $vgpr39
                                        ; implicit-def: $vgpr41
                                        ; implicit-def: $vgpr43
                                        ; implicit-def: $vgpr45
                                        ; implicit-def: $vgpr47
                                        ; implicit-def: $vgpr49
                                        ; implicit-def: $vgpr51
                                        ; implicit-def: $vgpr53
                                        ; implicit-def: $sgpr8
                                        ; implicit-def: $vgpr35
	v_lshrrev_b64 v[37:38], 24, v[33:34]
	s_and_b32 vcc_lo, exec_lo, s9
	s_cbranch_vccz .LBB69_136
; %bb.127:
	v_mov_b32_dpp v35, v60 row_shr:1 row_mask:0xf bank_mask:0xf
	s_delay_alu instid0(VALU_DEP_1) | instskip(NEXT) | instid1(VALU_DEP_1)
	v_cndmask_b32_e64 v35, v35, 0, s4
	v_add_nc_u32_e32 v35, v35, v60
	s_delay_alu instid0(VALU_DEP_1) | instskip(NEXT) | instid1(VALU_DEP_1)
	v_mov_b32_dpp v36, v35 row_shr:2 row_mask:0xf bank_mask:0xf
	v_cndmask_b32_e64 v36, 0, v36, s2
	s_delay_alu instid0(VALU_DEP_1) | instskip(NEXT) | instid1(VALU_DEP_1)
	v_add_nc_u32_e32 v35, v35, v36
	v_mov_b32_dpp v36, v35 row_shr:4 row_mask:0xf bank_mask:0xf
	s_delay_alu instid0(VALU_DEP_1) | instskip(NEXT) | instid1(VALU_DEP_1)
	v_cndmask_b32_e64 v36, 0, v36, s5
	v_add_nc_u32_e32 v35, v35, v36
	s_delay_alu instid0(VALU_DEP_1) | instskip(NEXT) | instid1(VALU_DEP_1)
	v_mov_b32_dpp v36, v35 row_shr:8 row_mask:0xf bank_mask:0xf
	v_cndmask_b32_e64 v36, 0, v36, s3
	s_delay_alu instid0(VALU_DEP_1) | instskip(SKIP_3) | instid1(VALU_DEP_1)
	v_add_nc_u32_e32 v35, v35, v36
	ds_swizzle_b32 v36, v35 offset:swizzle(BROADCAST,32,15)
	s_waitcnt lgkmcnt(0)
	v_cndmask_b32_e64 v36, v36, 0, s7
	v_add_nc_u32_e32 v35, v35, v36
	s_and_saveexec_b32 s7, s6
	s_cbranch_execz .LBB69_129
; %bb.128:
	v_lshlrev_b32_e32 v36, 2, v59
	ds_store_b32 v36, v35
.LBB69_129:
	s_or_b32 exec_lo, exec_lo, s7
	s_delay_alu instid0(SALU_CYCLE_1)
	s_mov_b32 s6, exec_lo
	s_waitcnt lgkmcnt(0)
	s_barrier
	buffer_gl0_inv
	v_cmpx_gt_u32_e32 16, v0
	s_cbranch_execz .LBB69_131
; %bb.130:
	v_lshlrev_b32_e32 v36, 2, v0
	ds_load_b32 v38, v36
	s_waitcnt lgkmcnt(0)
	v_mov_b32_dpp v39, v38 row_shr:1 row_mask:0xf bank_mask:0xf
	s_delay_alu instid0(VALU_DEP_1) | instskip(NEXT) | instid1(VALU_DEP_1)
	v_cndmask_b32_e64 v39, v39, 0, s4
	v_add_nc_u32_e32 v38, v39, v38
	s_delay_alu instid0(VALU_DEP_1) | instskip(NEXT) | instid1(VALU_DEP_1)
	v_mov_b32_dpp v39, v38 row_shr:2 row_mask:0xf bank_mask:0xf
	v_cndmask_b32_e64 v39, 0, v39, s2
	s_delay_alu instid0(VALU_DEP_1) | instskip(NEXT) | instid1(VALU_DEP_1)
	v_add_nc_u32_e32 v38, v38, v39
	v_mov_b32_dpp v39, v38 row_shr:4 row_mask:0xf bank_mask:0xf
	s_delay_alu instid0(VALU_DEP_1) | instskip(NEXT) | instid1(VALU_DEP_1)
	v_cndmask_b32_e64 v39, 0, v39, s5
	v_add_nc_u32_e32 v38, v38, v39
	s_delay_alu instid0(VALU_DEP_1) | instskip(NEXT) | instid1(VALU_DEP_1)
	v_mov_b32_dpp v39, v38 row_shr:8 row_mask:0xf bank_mask:0xf
	v_cndmask_b32_e64 v39, 0, v39, s3
	s_delay_alu instid0(VALU_DEP_1)
	v_add_nc_u32_e32 v38, v38, v39
	ds_store_b32 v36, v38
.LBB69_131:
	s_or_b32 exec_lo, exec_lo, s6
	v_mov_b32_e32 v36, 0
	v_mov_b32_e32 v38, 0
	s_mov_b32 s2, exec_lo
	s_waitcnt lgkmcnt(0)
	s_barrier
	buffer_gl0_inv
	v_cmpx_lt_u32_e32 31, v0
	s_cbranch_execz .LBB69_133
; %bb.132:
	v_lshl_add_u32 v38, v59, 2, -4
	ds_load_b32 v38, v38
.LBB69_133:
	s_or_b32 exec_lo, exec_lo, s2
	v_add_nc_u32_e32 v39, -1, v58
	s_waitcnt lgkmcnt(0)
	v_add_nc_u32_e32 v35, v38, v35
	s_mov_b32 s8, 0
	s_delay_alu instid0(VALU_DEP_2) | instskip(SKIP_2) | instid1(VALU_DEP_2)
	v_cmp_gt_i32_e32 vcc_lo, 0, v39
	v_cndmask_b32_e32 v39, v39, v58, vcc_lo
	v_cmp_eq_u32_e32 vcc_lo, 0, v0
	v_lshlrev_b32_e32 v39, 2, v39
	ds_bpermute_b32 v39, v39, v35
	ds_load_b32 v35, v36 offset:60
	s_and_saveexec_b32 s2, vcc_lo
	s_cbranch_execz .LBB69_135
; %bb.134:
	v_mov_b32_e32 v40, 0
	v_mov_b32_e32 v36, 2
	s_waitcnt lgkmcnt(0)
	global_store_b64 v40, v[35:36], s[12:13] offset:256
.LBB69_135:
	s_or_b32 exec_lo, exec_lo, s2
	v_cmp_eq_u32_e64 s2, 0, v58
	s_waitcnt lgkmcnt(0)
	s_waitcnt_vscnt null, 0x0
	s_barrier
	buffer_gl0_inv
	v_cndmask_b32_e64 v36, v39, v38, s2
	s_delay_alu instid0(VALU_DEP_1) | instskip(NEXT) | instid1(VALU_DEP_1)
	v_cndmask_b32_e64 v53, v36, 0, vcc_lo
	v_add_nc_u32_e32 v51, v53, v44
	s_delay_alu instid0(VALU_DEP_1) | instskip(NEXT) | instid1(VALU_DEP_1)
	v_add_nc_u32_e32 v49, v51, v46
	v_add_nc_u32_e32 v47, v49, v48
	s_delay_alu instid0(VALU_DEP_1) | instskip(NEXT) | instid1(VALU_DEP_1)
	v_add_nc_u32_e32 v45, v47, v50
	v_add_nc_u32_e32 v43, v45, v52
	s_delay_alu instid0(VALU_DEP_1) | instskip(NEXT) | instid1(VALU_DEP_1)
	v_add_nc_u32_e32 v41, v43, v54
	v_add_nc_u32_e32 v39, v41, v57
.LBB69_136:
	s_load_b128 s[4:7], s[0:1], 0x28
	v_add_nc_u32_e32 v59, s8, v35
	v_cmp_gt_u32_e64 s0, 0x201, v35
	v_lshrrev_b32_e32 v58, 8, v33
	v_lshrrev_b32_e32 v57, 16, v33
	;; [unrolled: 1-line block ×4, first 2 shown]
	v_cmp_lt_u32_e64 s1, v53, v59
	s_and_b32 vcc_lo, exec_lo, s0
	s_mov_b32 s2, -1
	s_cbranch_vccz .LBB69_162
; %bb.137:
	s_lshl_b64 s[2:3], s[10:11], 3
	s_waitcnt lgkmcnt(0)
	s_add_u32 s2, s4, s2
	s_addc_u32 s3, s5, s3
	s_or_b32 s9, s18, s1
	s_delay_alu instid0(SALU_CYCLE_1)
	s_and_saveexec_b32 s1, s9
	s_cbranch_execz .LBB69_140
; %bb.138:
	v_and_b32_e32 v40, 1, v33
	s_delay_alu instid0(VALU_DEP_1)
	v_cmp_eq_u32_e32 vcc_lo, 1, v40
	s_and_b32 exec_lo, exec_lo, vcc_lo
	s_cbranch_execz .LBB69_140
; %bb.139:
	v_mov_b32_e32 v54, 0
	s_delay_alu instid0(VALU_DEP_1) | instskip(NEXT) | instid1(VALU_DEP_1)
	v_lshlrev_b64 v[60:61], 3, v[53:54]
	v_add_co_u32 v60, vcc_lo, s2, v60
	s_delay_alu instid0(VALU_DEP_2)
	v_add_co_ci_u32_e32 v61, vcc_lo, s3, v61, vcc_lo
	global_store_b64 v[60:61], v[29:30], off
.LBB69_140:
	s_or_b32 exec_lo, exec_lo, s1
	v_cmp_lt_u32_e32 vcc_lo, v51, v59
	s_or_b32 s9, s18, vcc_lo
	s_delay_alu instid0(SALU_CYCLE_1)
	s_and_saveexec_b32 s1, s9
	s_cbranch_execz .LBB69_143
; %bb.141:
	v_and_b32_e32 v40, 1, v58
	s_delay_alu instid0(VALU_DEP_1)
	v_cmp_eq_u32_e32 vcc_lo, 1, v40
	s_and_b32 exec_lo, exec_lo, vcc_lo
	s_cbranch_execz .LBB69_143
; %bb.142:
	v_mov_b32_e32 v52, 0
	s_delay_alu instid0(VALU_DEP_1) | instskip(NEXT) | instid1(VALU_DEP_1)
	v_lshlrev_b64 v[60:61], 3, v[51:52]
	v_add_co_u32 v60, vcc_lo, s2, v60
	s_delay_alu instid0(VALU_DEP_2)
	v_add_co_ci_u32_e32 v61, vcc_lo, s3, v61, vcc_lo
	global_store_b64 v[60:61], v[31:32], off
.LBB69_143:
	s_or_b32 exec_lo, exec_lo, s1
	v_cmp_lt_u32_e32 vcc_lo, v49, v59
	s_or_b32 s9, s18, vcc_lo
	;; [unrolled: 21-line block ×7, first 2 shown]
	s_delay_alu instid0(SALU_CYCLE_1)
	s_and_saveexec_b32 s1, s9
	s_cbranch_execz .LBB69_161
; %bb.159:
	v_and_b32_e32 v40, 1, v56
	s_delay_alu instid0(VALU_DEP_1)
	v_cmp_eq_u32_e32 vcc_lo, 1, v40
	s_and_b32 exec_lo, exec_lo, vcc_lo
	s_cbranch_execz .LBB69_161
; %bb.160:
	v_mov_b32_e32 v40, 0
	s_delay_alu instid0(VALU_DEP_1) | instskip(NEXT) | instid1(VALU_DEP_1)
	v_lshlrev_b64 v[60:61], 3, v[39:40]
	v_add_co_u32 v60, vcc_lo, s2, v60
	s_delay_alu instid0(VALU_DEP_2)
	v_add_co_ci_u32_e32 v61, vcc_lo, s3, v61, vcc_lo
	global_store_b64 v[60:61], v[19:20], off
.LBB69_161:
	s_or_b32 exec_lo, exec_lo, s1
	s_mov_b32 s2, 0
.LBB69_162:
	v_and_b32_e32 v33, 1, v33
	s_and_b32 vcc_lo, exec_lo, s2
	s_delay_alu instid0(VALU_DEP_1)
	v_cmp_eq_u32_e64 s1, 1, v33
	s_cbranch_vccz .LBB69_183
; %bb.163:
	s_delay_alu instid0(VALU_DEP_1)
	s_and_saveexec_b32 s2, s1
	s_cbranch_execz .LBB69_165
; %bb.164:
	v_subrev_nc_u32_e32 v40, s8, v53
	s_delay_alu instid0(VALU_DEP_1)
	v_lshlrev_b32_e32 v40, 3, v40
	ds_store_b64 v40, v[29:30]
.LBB69_165:
	s_or_b32 exec_lo, exec_lo, s2
	v_and_b32_e32 v29, 1, v58
	s_mov_b32 s1, exec_lo
	s_delay_alu instid0(VALU_DEP_1)
	v_cmpx_eq_u32_e32 1, v29
	s_cbranch_execz .LBB69_167
; %bb.166:
	v_subrev_nc_u32_e32 v29, s8, v51
	s_delay_alu instid0(VALU_DEP_1)
	v_lshlrev_b32_e32 v29, 3, v29
	ds_store_b64 v29, v[31:32]
.LBB69_167:
	s_or_b32 exec_lo, exec_lo, s1
	v_and_b32_e32 v29, 1, v57
	s_mov_b32 s1, exec_lo
	s_delay_alu instid0(VALU_DEP_1)
	v_cmpx_eq_u32_e32 1, v29
	;; [unrolled: 12-line block ×7, first 2 shown]
	s_cbranch_execz .LBB69_179
; %bb.178:
	v_subrev_nc_u32_e32 v17, s8, v39
	s_delay_alu instid0(VALU_DEP_1)
	v_lshlrev_b32_e32 v17, 3, v17
	ds_store_b64 v17, v[19:20]
.LBB69_179:
	s_or_b32 exec_lo, exec_lo, s1
	s_delay_alu instid0(SALU_CYCLE_1)
	s_mov_b32 s2, exec_lo
	s_waitcnt lgkmcnt(0)
	s_waitcnt_vscnt null, 0x0
	s_barrier
	buffer_gl0_inv
	v_cmpx_lt_u32_e64 v0, v35
	s_cbranch_execz .LBB69_182
; %bb.180:
	s_mov_b32 s9, 0
	s_lshl_b64 s[12:13], s[10:11], 3
	s_lshl_b64 s[20:21], s[8:9], 3
	v_dual_mov_b32 v19, v55 :: v_dual_mov_b32 v20, v0
	s_add_u32 s1, s12, s20
	s_addc_u32 s3, s13, s21
	s_add_u32 s1, s4, s1
	s_addc_u32 s3, s5, s3
	v_add_co_u32 v17, s1, s1, v55
	s_delay_alu instid0(VALU_DEP_1)
	v_add_co_ci_u32_e64 v18, null, s3, 0, s1
	.p2align	6
.LBB69_181:                             ; =>This Inner Loop Header: Depth=1
	ds_load_b64 v[21:22], v19
	v_add_nc_u32_e32 v20, 0x200, v20
	v_add_nc_u32_e32 v19, 0x1000, v19
	s_delay_alu instid0(VALU_DEP_2) | instskip(SKIP_4) | instid1(VALU_DEP_1)
	v_cmp_ge_u32_e32 vcc_lo, v20, v35
	s_or_b32 s9, vcc_lo, s9
	s_waitcnt lgkmcnt(0)
	global_store_b64 v[17:18], v[21:22], off
	v_add_co_u32 v17, s1, 0x1000, v17
	v_add_co_ci_u32_e64 v18, s1, 0, v18, s1
	s_and_not1_b32 exec_lo, exec_lo, s9
	s_cbranch_execnz .LBB69_181
.LBB69_182:
	s_or_b32 exec_lo, exec_lo, s2
.LBB69_183:
	s_delay_alu instid0(SALU_CYCLE_1)
	s_and_b32 vcc_lo, exec_lo, s0
	s_mov_b32 s0, -1
	s_waitcnt lgkmcnt(0)
	s_waitcnt_vscnt null, 0x0
	s_barrier
	buffer_gl0_inv
	s_cbranch_vccz .LBB69_211
; %bb.184:
	v_cmp_lt_u32_e32 vcc_lo, v53, v59
	s_lshl_b64 s[0:1], s[10:11], 3
	s_delay_alu instid0(SALU_CYCLE_1) | instskip(SKIP_2) | instid1(SALU_CYCLE_1)
	s_add_u32 s0, s6, s0
	s_addc_u32 s1, s7, s1
	s_or_b32 s3, s18, vcc_lo
	s_and_saveexec_b32 s2, s3
	s_cbranch_execz .LBB69_187
; %bb.185:
	v_cmp_eq_u32_e32 vcc_lo, 1, v33
	s_and_b32 exec_lo, exec_lo, vcc_lo
	s_cbranch_execz .LBB69_187
; %bb.186:
	v_mov_b32_e32 v54, 0
	s_delay_alu instid0(VALU_DEP_1) | instskip(NEXT) | instid1(VALU_DEP_1)
	v_lshlrev_b64 v[17:18], 3, v[53:54]
	v_add_co_u32 v17, vcc_lo, s0, v17
	s_delay_alu instid0(VALU_DEP_2)
	v_add_co_ci_u32_e32 v18, vcc_lo, s1, v18, vcc_lo
	global_store_b64 v[17:18], v[13:14], off
.LBB69_187:
	s_or_b32 exec_lo, exec_lo, s2
	v_cmp_lt_u32_e32 vcc_lo, v51, v59
	s_or_b32 s3, s18, vcc_lo
	s_delay_alu instid0(SALU_CYCLE_1)
	s_and_saveexec_b32 s2, s3
	s_cbranch_execz .LBB69_190
; %bb.188:
	v_and_b32_e32 v17, 1, v58
	s_delay_alu instid0(VALU_DEP_1)
	v_cmp_eq_u32_e32 vcc_lo, 1, v17
	s_and_b32 exec_lo, exec_lo, vcc_lo
	s_cbranch_execz .LBB69_190
; %bb.189:
	v_mov_b32_e32 v52, 0
	s_delay_alu instid0(VALU_DEP_1) | instskip(NEXT) | instid1(VALU_DEP_1)
	v_lshlrev_b64 v[17:18], 3, v[51:52]
	v_add_co_u32 v17, vcc_lo, s0, v17
	s_delay_alu instid0(VALU_DEP_2)
	v_add_co_ci_u32_e32 v18, vcc_lo, s1, v18, vcc_lo
	global_store_b64 v[17:18], v[15:16], off
.LBB69_190:
	s_or_b32 exec_lo, exec_lo, s2
	v_cmp_lt_u32_e32 vcc_lo, v49, v59
	s_or_b32 s3, s18, vcc_lo
	s_delay_alu instid0(SALU_CYCLE_1)
	s_and_saveexec_b32 s2, s3
	s_cbranch_execz .LBB69_193
; %bb.191:
	v_and_b32_e32 v17, 1, v57
	s_delay_alu instid0(VALU_DEP_1)
	v_cmp_eq_u32_e32 vcc_lo, 1, v17
	s_and_b32 exec_lo, exec_lo, vcc_lo
	s_cbranch_execz .LBB69_193
; %bb.192:
	v_mov_b32_e32 v50, 0
	s_delay_alu instid0(VALU_DEP_1) | instskip(NEXT) | instid1(VALU_DEP_1)
	v_lshlrev_b64 v[17:18], 3, v[49:50]
	v_add_co_u32 v17, vcc_lo, s0, v17
	s_delay_alu instid0(VALU_DEP_2)
	v_add_co_ci_u32_e32 v18, vcc_lo, s1, v18, vcc_lo
	global_store_b64 v[17:18], v[9:10], off
.LBB69_193:
	;; [unrolled: 21-line block ×7, first 2 shown]
	s_or_b32 exec_lo, exec_lo, s2
.LBB69_209:
	v_cmp_eq_u32_e32 vcc_lo, 0, v0
	s_and_b32 s0, vcc_lo, s14
	s_delay_alu instid0(SALU_CYCLE_1)
	s_and_saveexec_b32 s1, s0
	s_cbranch_execz .LBB69_232
.LBB69_210:
	v_add_co_u32 v0, s0, s10, v35
	s_delay_alu instid0(VALU_DEP_1) | instskip(SKIP_1) | instid1(VALU_DEP_3)
	v_add_co_ci_u32_e64 v1, null, s11, 0, s0
	v_mov_b32_e32 v2, 0
	v_add_co_u32 v0, vcc_lo, v0, s8
	s_delay_alu instid0(VALU_DEP_3)
	v_add_co_ci_u32_e32 v1, vcc_lo, 0, v1, vcc_lo
	global_store_b64 v2, v[0:1], s[16:17]
	s_nop 0
	s_sendmsg sendmsg(MSG_DEALLOC_VGPRS)
	s_endpgm
.LBB69_211:
	s_and_b32 vcc_lo, exec_lo, s0
	s_cbranch_vccz .LBB69_209
; %bb.212:
	s_mov_b32 s0, exec_lo
	v_cmpx_eq_u32_e32 1, v33
	s_cbranch_execz .LBB69_214
; %bb.213:
	v_subrev_nc_u32_e32 v17, s8, v53
	s_delay_alu instid0(VALU_DEP_1)
	v_lshlrev_b32_e32 v17, 3, v17
	ds_store_b64 v17, v[13:14]
.LBB69_214:
	s_or_b32 exec_lo, exec_lo, s0
	v_and_b32_e32 v13, 1, v58
	s_mov_b32 s0, exec_lo
	s_delay_alu instid0(VALU_DEP_1)
	v_cmpx_eq_u32_e32 1, v13
	s_cbranch_execz .LBB69_216
; %bb.215:
	v_subrev_nc_u32_e32 v13, s8, v51
	s_delay_alu instid0(VALU_DEP_1)
	v_lshlrev_b32_e32 v13, 3, v13
	ds_store_b64 v13, v[15:16]
.LBB69_216:
	s_or_b32 exec_lo, exec_lo, s0
	v_and_b32_e32 v13, 1, v57
	s_mov_b32 s0, exec_lo
	s_delay_alu instid0(VALU_DEP_1)
	;; [unrolled: 12-line block ×7, first 2 shown]
	v_cmpx_eq_u32_e32 1, v1
	s_cbranch_execz .LBB69_228
; %bb.227:
	v_subrev_nc_u32_e32 v1, s8, v39
	s_delay_alu instid0(VALU_DEP_1)
	v_lshlrev_b32_e32 v1, 3, v1
	ds_store_b64 v1, v[3:4]
.LBB69_228:
	s_or_b32 exec_lo, exec_lo, s0
	s_delay_alu instid0(SALU_CYCLE_1)
	s_mov_b32 s1, exec_lo
	s_waitcnt lgkmcnt(0)
	s_waitcnt_vscnt null, 0x0
	s_barrier
	buffer_gl0_inv
	v_cmpx_lt_u32_e64 v0, v35
	s_cbranch_execz .LBB69_231
; %bb.229:
	s_mov_b32 s9, 0
	s_lshl_b64 s[2:3], s[10:11], 3
	s_lshl_b64 s[4:5], s[8:9], 3
	v_mov_b32_e32 v3, v0
	s_add_u32 s0, s2, s4
	s_addc_u32 s2, s3, s5
	s_add_u32 s0, s6, s0
	s_addc_u32 s2, s7, s2
	v_add_co_u32 v1, s0, s0, v55
	s_delay_alu instid0(VALU_DEP_1)
	v_add_co_ci_u32_e64 v2, null, s2, 0, s0
	.p2align	6
.LBB69_230:                             ; =>This Inner Loop Header: Depth=1
	ds_load_b64 v[4:5], v55
	v_add_nc_u32_e32 v3, 0x200, v3
	v_add_nc_u32_e32 v55, 0x1000, v55
	s_delay_alu instid0(VALU_DEP_2) | instskip(SKIP_4) | instid1(VALU_DEP_1)
	v_cmp_ge_u32_e32 vcc_lo, v3, v35
	s_or_b32 s9, vcc_lo, s9
	s_waitcnt lgkmcnt(0)
	global_store_b64 v[1:2], v[4:5], off
	v_add_co_u32 v1, s0, 0x1000, v1
	v_add_co_ci_u32_e64 v2, s0, 0, v2, s0
	s_and_not1_b32 exec_lo, exec_lo, s9
	s_cbranch_execnz .LBB69_230
.LBB69_231:
	s_or_b32 exec_lo, exec_lo, s1
	v_cmp_eq_u32_e32 vcc_lo, 0, v0
	s_and_b32 s0, vcc_lo, s14
	s_delay_alu instid0(SALU_CYCLE_1)
	s_and_saveexec_b32 s1, s0
	s_cbranch_execnz .LBB69_210
.LBB69_232:
	s_nop 0
	s_sendmsg sendmsg(MSG_DEALLOC_VGPRS)
	s_endpgm
	.section	.rodata,"a",@progbits
	.p2align	6, 0x0
	.amdhsa_kernel _ZN7rocprim17ROCPRIM_400000_NS6detail17trampoline_kernelINS0_14default_configENS1_25partition_config_selectorILNS1_17partition_subalgoE9EddbEEZZNS1_14partition_implILS5_9ELb0ES3_jN6thrust23THRUST_200600_302600_NS6detail15normal_iteratorINS9_10device_ptrIdEEEESE_PNS0_10empty_typeENS0_5tupleIJSE_SF_EEENSH_IJSE_SG_EEENS0_18inequality_wrapperI22is_equal_div_10_uniqueIdEEEPmJSF_EEE10hipError_tPvRmT3_T4_T5_T6_T7_T9_mT8_P12ihipStream_tbDpT10_ENKUlT_T0_E_clISt17integral_constantIbLb1EES17_IbLb0EEEEDaS13_S14_EUlS13_E_NS1_11comp_targetILNS1_3genE9ELNS1_11target_archE1100ELNS1_3gpuE3ELNS1_3repE0EEENS1_30default_config_static_selectorELNS0_4arch9wavefront6targetE0EEEvT1_
		.amdhsa_group_segment_fixed_size 33800
		.amdhsa_private_segment_fixed_size 0
		.amdhsa_kernarg_size 112
		.amdhsa_user_sgpr_count 15
		.amdhsa_user_sgpr_dispatch_ptr 0
		.amdhsa_user_sgpr_queue_ptr 0
		.amdhsa_user_sgpr_kernarg_segment_ptr 1
		.amdhsa_user_sgpr_dispatch_id 0
		.amdhsa_user_sgpr_private_segment_size 0
		.amdhsa_wavefront_size32 1
		.amdhsa_uses_dynamic_stack 0
		.amdhsa_enable_private_segment 0
		.amdhsa_system_sgpr_workgroup_id_x 1
		.amdhsa_system_sgpr_workgroup_id_y 0
		.amdhsa_system_sgpr_workgroup_id_z 0
		.amdhsa_system_sgpr_workgroup_info 0
		.amdhsa_system_vgpr_workitem_id 0
		.amdhsa_next_free_vgpr 68
		.amdhsa_next_free_sgpr 25
		.amdhsa_reserve_vcc 1
		.amdhsa_float_round_mode_32 0
		.amdhsa_float_round_mode_16_64 0
		.amdhsa_float_denorm_mode_32 3
		.amdhsa_float_denorm_mode_16_64 3
		.amdhsa_dx10_clamp 1
		.amdhsa_ieee_mode 1
		.amdhsa_fp16_overflow 0
		.amdhsa_workgroup_processor_mode 1
		.amdhsa_memory_ordered 1
		.amdhsa_forward_progress 0
		.amdhsa_shared_vgpr_count 0
		.amdhsa_exception_fp_ieee_invalid_op 0
		.amdhsa_exception_fp_denorm_src 0
		.amdhsa_exception_fp_ieee_div_zero 0
		.amdhsa_exception_fp_ieee_overflow 0
		.amdhsa_exception_fp_ieee_underflow 0
		.amdhsa_exception_fp_ieee_inexact 0
		.amdhsa_exception_int_div_zero 0
	.end_amdhsa_kernel
	.section	.text._ZN7rocprim17ROCPRIM_400000_NS6detail17trampoline_kernelINS0_14default_configENS1_25partition_config_selectorILNS1_17partition_subalgoE9EddbEEZZNS1_14partition_implILS5_9ELb0ES3_jN6thrust23THRUST_200600_302600_NS6detail15normal_iteratorINS9_10device_ptrIdEEEESE_PNS0_10empty_typeENS0_5tupleIJSE_SF_EEENSH_IJSE_SG_EEENS0_18inequality_wrapperI22is_equal_div_10_uniqueIdEEEPmJSF_EEE10hipError_tPvRmT3_T4_T5_T6_T7_T9_mT8_P12ihipStream_tbDpT10_ENKUlT_T0_E_clISt17integral_constantIbLb1EES17_IbLb0EEEEDaS13_S14_EUlS13_E_NS1_11comp_targetILNS1_3genE9ELNS1_11target_archE1100ELNS1_3gpuE3ELNS1_3repE0EEENS1_30default_config_static_selectorELNS0_4arch9wavefront6targetE0EEEvT1_,"axG",@progbits,_ZN7rocprim17ROCPRIM_400000_NS6detail17trampoline_kernelINS0_14default_configENS1_25partition_config_selectorILNS1_17partition_subalgoE9EddbEEZZNS1_14partition_implILS5_9ELb0ES3_jN6thrust23THRUST_200600_302600_NS6detail15normal_iteratorINS9_10device_ptrIdEEEESE_PNS0_10empty_typeENS0_5tupleIJSE_SF_EEENSH_IJSE_SG_EEENS0_18inequality_wrapperI22is_equal_div_10_uniqueIdEEEPmJSF_EEE10hipError_tPvRmT3_T4_T5_T6_T7_T9_mT8_P12ihipStream_tbDpT10_ENKUlT_T0_E_clISt17integral_constantIbLb1EES17_IbLb0EEEEDaS13_S14_EUlS13_E_NS1_11comp_targetILNS1_3genE9ELNS1_11target_archE1100ELNS1_3gpuE3ELNS1_3repE0EEENS1_30default_config_static_selectorELNS0_4arch9wavefront6targetE0EEEvT1_,comdat
.Lfunc_end69:
	.size	_ZN7rocprim17ROCPRIM_400000_NS6detail17trampoline_kernelINS0_14default_configENS1_25partition_config_selectorILNS1_17partition_subalgoE9EddbEEZZNS1_14partition_implILS5_9ELb0ES3_jN6thrust23THRUST_200600_302600_NS6detail15normal_iteratorINS9_10device_ptrIdEEEESE_PNS0_10empty_typeENS0_5tupleIJSE_SF_EEENSH_IJSE_SG_EEENS0_18inequality_wrapperI22is_equal_div_10_uniqueIdEEEPmJSF_EEE10hipError_tPvRmT3_T4_T5_T6_T7_T9_mT8_P12ihipStream_tbDpT10_ENKUlT_T0_E_clISt17integral_constantIbLb1EES17_IbLb0EEEEDaS13_S14_EUlS13_E_NS1_11comp_targetILNS1_3genE9ELNS1_11target_archE1100ELNS1_3gpuE3ELNS1_3repE0EEENS1_30default_config_static_selectorELNS0_4arch9wavefront6targetE0EEEvT1_, .Lfunc_end69-_ZN7rocprim17ROCPRIM_400000_NS6detail17trampoline_kernelINS0_14default_configENS1_25partition_config_selectorILNS1_17partition_subalgoE9EddbEEZZNS1_14partition_implILS5_9ELb0ES3_jN6thrust23THRUST_200600_302600_NS6detail15normal_iteratorINS9_10device_ptrIdEEEESE_PNS0_10empty_typeENS0_5tupleIJSE_SF_EEENSH_IJSE_SG_EEENS0_18inequality_wrapperI22is_equal_div_10_uniqueIdEEEPmJSF_EEE10hipError_tPvRmT3_T4_T5_T6_T7_T9_mT8_P12ihipStream_tbDpT10_ENKUlT_T0_E_clISt17integral_constantIbLb1EES17_IbLb0EEEEDaS13_S14_EUlS13_E_NS1_11comp_targetILNS1_3genE9ELNS1_11target_archE1100ELNS1_3gpuE3ELNS1_3repE0EEENS1_30default_config_static_selectorELNS0_4arch9wavefront6targetE0EEEvT1_
                                        ; -- End function
	.section	.AMDGPU.csdata,"",@progbits
; Kernel info:
; codeLenInByte = 11104
; NumSgprs: 27
; NumVgprs: 68
; ScratchSize: 0
; MemoryBound: 0
; FloatMode: 240
; IeeeMode: 1
; LDSByteSize: 33800 bytes/workgroup (compile time only)
; SGPRBlocks: 3
; VGPRBlocks: 8
; NumSGPRsForWavesPerEU: 27
; NumVGPRsForWavesPerEU: 68
; Occupancy: 12
; WaveLimiterHint : 1
; COMPUTE_PGM_RSRC2:SCRATCH_EN: 0
; COMPUTE_PGM_RSRC2:USER_SGPR: 15
; COMPUTE_PGM_RSRC2:TRAP_HANDLER: 0
; COMPUTE_PGM_RSRC2:TGID_X_EN: 1
; COMPUTE_PGM_RSRC2:TGID_Y_EN: 0
; COMPUTE_PGM_RSRC2:TGID_Z_EN: 0
; COMPUTE_PGM_RSRC2:TIDIG_COMP_CNT: 0
	.section	.text._ZN7rocprim17ROCPRIM_400000_NS6detail17trampoline_kernelINS0_14default_configENS1_25partition_config_selectorILNS1_17partition_subalgoE9EddbEEZZNS1_14partition_implILS5_9ELb0ES3_jN6thrust23THRUST_200600_302600_NS6detail15normal_iteratorINS9_10device_ptrIdEEEESE_PNS0_10empty_typeENS0_5tupleIJSE_SF_EEENSH_IJSE_SG_EEENS0_18inequality_wrapperI22is_equal_div_10_uniqueIdEEEPmJSF_EEE10hipError_tPvRmT3_T4_T5_T6_T7_T9_mT8_P12ihipStream_tbDpT10_ENKUlT_T0_E_clISt17integral_constantIbLb1EES17_IbLb0EEEEDaS13_S14_EUlS13_E_NS1_11comp_targetILNS1_3genE8ELNS1_11target_archE1030ELNS1_3gpuE2ELNS1_3repE0EEENS1_30default_config_static_selectorELNS0_4arch9wavefront6targetE0EEEvT1_,"axG",@progbits,_ZN7rocprim17ROCPRIM_400000_NS6detail17trampoline_kernelINS0_14default_configENS1_25partition_config_selectorILNS1_17partition_subalgoE9EddbEEZZNS1_14partition_implILS5_9ELb0ES3_jN6thrust23THRUST_200600_302600_NS6detail15normal_iteratorINS9_10device_ptrIdEEEESE_PNS0_10empty_typeENS0_5tupleIJSE_SF_EEENSH_IJSE_SG_EEENS0_18inequality_wrapperI22is_equal_div_10_uniqueIdEEEPmJSF_EEE10hipError_tPvRmT3_T4_T5_T6_T7_T9_mT8_P12ihipStream_tbDpT10_ENKUlT_T0_E_clISt17integral_constantIbLb1EES17_IbLb0EEEEDaS13_S14_EUlS13_E_NS1_11comp_targetILNS1_3genE8ELNS1_11target_archE1030ELNS1_3gpuE2ELNS1_3repE0EEENS1_30default_config_static_selectorELNS0_4arch9wavefront6targetE0EEEvT1_,comdat
	.protected	_ZN7rocprim17ROCPRIM_400000_NS6detail17trampoline_kernelINS0_14default_configENS1_25partition_config_selectorILNS1_17partition_subalgoE9EddbEEZZNS1_14partition_implILS5_9ELb0ES3_jN6thrust23THRUST_200600_302600_NS6detail15normal_iteratorINS9_10device_ptrIdEEEESE_PNS0_10empty_typeENS0_5tupleIJSE_SF_EEENSH_IJSE_SG_EEENS0_18inequality_wrapperI22is_equal_div_10_uniqueIdEEEPmJSF_EEE10hipError_tPvRmT3_T4_T5_T6_T7_T9_mT8_P12ihipStream_tbDpT10_ENKUlT_T0_E_clISt17integral_constantIbLb1EES17_IbLb0EEEEDaS13_S14_EUlS13_E_NS1_11comp_targetILNS1_3genE8ELNS1_11target_archE1030ELNS1_3gpuE2ELNS1_3repE0EEENS1_30default_config_static_selectorELNS0_4arch9wavefront6targetE0EEEvT1_ ; -- Begin function _ZN7rocprim17ROCPRIM_400000_NS6detail17trampoline_kernelINS0_14default_configENS1_25partition_config_selectorILNS1_17partition_subalgoE9EddbEEZZNS1_14partition_implILS5_9ELb0ES3_jN6thrust23THRUST_200600_302600_NS6detail15normal_iteratorINS9_10device_ptrIdEEEESE_PNS0_10empty_typeENS0_5tupleIJSE_SF_EEENSH_IJSE_SG_EEENS0_18inequality_wrapperI22is_equal_div_10_uniqueIdEEEPmJSF_EEE10hipError_tPvRmT3_T4_T5_T6_T7_T9_mT8_P12ihipStream_tbDpT10_ENKUlT_T0_E_clISt17integral_constantIbLb1EES17_IbLb0EEEEDaS13_S14_EUlS13_E_NS1_11comp_targetILNS1_3genE8ELNS1_11target_archE1030ELNS1_3gpuE2ELNS1_3repE0EEENS1_30default_config_static_selectorELNS0_4arch9wavefront6targetE0EEEvT1_
	.globl	_ZN7rocprim17ROCPRIM_400000_NS6detail17trampoline_kernelINS0_14default_configENS1_25partition_config_selectorILNS1_17partition_subalgoE9EddbEEZZNS1_14partition_implILS5_9ELb0ES3_jN6thrust23THRUST_200600_302600_NS6detail15normal_iteratorINS9_10device_ptrIdEEEESE_PNS0_10empty_typeENS0_5tupleIJSE_SF_EEENSH_IJSE_SG_EEENS0_18inequality_wrapperI22is_equal_div_10_uniqueIdEEEPmJSF_EEE10hipError_tPvRmT3_T4_T5_T6_T7_T9_mT8_P12ihipStream_tbDpT10_ENKUlT_T0_E_clISt17integral_constantIbLb1EES17_IbLb0EEEEDaS13_S14_EUlS13_E_NS1_11comp_targetILNS1_3genE8ELNS1_11target_archE1030ELNS1_3gpuE2ELNS1_3repE0EEENS1_30default_config_static_selectorELNS0_4arch9wavefront6targetE0EEEvT1_
	.p2align	8
	.type	_ZN7rocprim17ROCPRIM_400000_NS6detail17trampoline_kernelINS0_14default_configENS1_25partition_config_selectorILNS1_17partition_subalgoE9EddbEEZZNS1_14partition_implILS5_9ELb0ES3_jN6thrust23THRUST_200600_302600_NS6detail15normal_iteratorINS9_10device_ptrIdEEEESE_PNS0_10empty_typeENS0_5tupleIJSE_SF_EEENSH_IJSE_SG_EEENS0_18inequality_wrapperI22is_equal_div_10_uniqueIdEEEPmJSF_EEE10hipError_tPvRmT3_T4_T5_T6_T7_T9_mT8_P12ihipStream_tbDpT10_ENKUlT_T0_E_clISt17integral_constantIbLb1EES17_IbLb0EEEEDaS13_S14_EUlS13_E_NS1_11comp_targetILNS1_3genE8ELNS1_11target_archE1030ELNS1_3gpuE2ELNS1_3repE0EEENS1_30default_config_static_selectorELNS0_4arch9wavefront6targetE0EEEvT1_,@function
_ZN7rocprim17ROCPRIM_400000_NS6detail17trampoline_kernelINS0_14default_configENS1_25partition_config_selectorILNS1_17partition_subalgoE9EddbEEZZNS1_14partition_implILS5_9ELb0ES3_jN6thrust23THRUST_200600_302600_NS6detail15normal_iteratorINS9_10device_ptrIdEEEESE_PNS0_10empty_typeENS0_5tupleIJSE_SF_EEENSH_IJSE_SG_EEENS0_18inequality_wrapperI22is_equal_div_10_uniqueIdEEEPmJSF_EEE10hipError_tPvRmT3_T4_T5_T6_T7_T9_mT8_P12ihipStream_tbDpT10_ENKUlT_T0_E_clISt17integral_constantIbLb1EES17_IbLb0EEEEDaS13_S14_EUlS13_E_NS1_11comp_targetILNS1_3genE8ELNS1_11target_archE1030ELNS1_3gpuE2ELNS1_3repE0EEENS1_30default_config_static_selectorELNS0_4arch9wavefront6targetE0EEEvT1_: ; @_ZN7rocprim17ROCPRIM_400000_NS6detail17trampoline_kernelINS0_14default_configENS1_25partition_config_selectorILNS1_17partition_subalgoE9EddbEEZZNS1_14partition_implILS5_9ELb0ES3_jN6thrust23THRUST_200600_302600_NS6detail15normal_iteratorINS9_10device_ptrIdEEEESE_PNS0_10empty_typeENS0_5tupleIJSE_SF_EEENSH_IJSE_SG_EEENS0_18inequality_wrapperI22is_equal_div_10_uniqueIdEEEPmJSF_EEE10hipError_tPvRmT3_T4_T5_T6_T7_T9_mT8_P12ihipStream_tbDpT10_ENKUlT_T0_E_clISt17integral_constantIbLb1EES17_IbLb0EEEEDaS13_S14_EUlS13_E_NS1_11comp_targetILNS1_3genE8ELNS1_11target_archE1030ELNS1_3gpuE2ELNS1_3repE0EEENS1_30default_config_static_selectorELNS0_4arch9wavefront6targetE0EEEvT1_
; %bb.0:
	.section	.rodata,"a",@progbits
	.p2align	6, 0x0
	.amdhsa_kernel _ZN7rocprim17ROCPRIM_400000_NS6detail17trampoline_kernelINS0_14default_configENS1_25partition_config_selectorILNS1_17partition_subalgoE9EddbEEZZNS1_14partition_implILS5_9ELb0ES3_jN6thrust23THRUST_200600_302600_NS6detail15normal_iteratorINS9_10device_ptrIdEEEESE_PNS0_10empty_typeENS0_5tupleIJSE_SF_EEENSH_IJSE_SG_EEENS0_18inequality_wrapperI22is_equal_div_10_uniqueIdEEEPmJSF_EEE10hipError_tPvRmT3_T4_T5_T6_T7_T9_mT8_P12ihipStream_tbDpT10_ENKUlT_T0_E_clISt17integral_constantIbLb1EES17_IbLb0EEEEDaS13_S14_EUlS13_E_NS1_11comp_targetILNS1_3genE8ELNS1_11target_archE1030ELNS1_3gpuE2ELNS1_3repE0EEENS1_30default_config_static_selectorELNS0_4arch9wavefront6targetE0EEEvT1_
		.amdhsa_group_segment_fixed_size 0
		.amdhsa_private_segment_fixed_size 0
		.amdhsa_kernarg_size 112
		.amdhsa_user_sgpr_count 15
		.amdhsa_user_sgpr_dispatch_ptr 0
		.amdhsa_user_sgpr_queue_ptr 0
		.amdhsa_user_sgpr_kernarg_segment_ptr 1
		.amdhsa_user_sgpr_dispatch_id 0
		.amdhsa_user_sgpr_private_segment_size 0
		.amdhsa_wavefront_size32 1
		.amdhsa_uses_dynamic_stack 0
		.amdhsa_enable_private_segment 0
		.amdhsa_system_sgpr_workgroup_id_x 1
		.amdhsa_system_sgpr_workgroup_id_y 0
		.amdhsa_system_sgpr_workgroup_id_z 0
		.amdhsa_system_sgpr_workgroup_info 0
		.amdhsa_system_vgpr_workitem_id 0
		.amdhsa_next_free_vgpr 1
		.amdhsa_next_free_sgpr 1
		.amdhsa_reserve_vcc 0
		.amdhsa_float_round_mode_32 0
		.amdhsa_float_round_mode_16_64 0
		.amdhsa_float_denorm_mode_32 3
		.amdhsa_float_denorm_mode_16_64 3
		.amdhsa_dx10_clamp 1
		.amdhsa_ieee_mode 1
		.amdhsa_fp16_overflow 0
		.amdhsa_workgroup_processor_mode 1
		.amdhsa_memory_ordered 1
		.amdhsa_forward_progress 0
		.amdhsa_shared_vgpr_count 0
		.amdhsa_exception_fp_ieee_invalid_op 0
		.amdhsa_exception_fp_denorm_src 0
		.amdhsa_exception_fp_ieee_div_zero 0
		.amdhsa_exception_fp_ieee_overflow 0
		.amdhsa_exception_fp_ieee_underflow 0
		.amdhsa_exception_fp_ieee_inexact 0
		.amdhsa_exception_int_div_zero 0
	.end_amdhsa_kernel
	.section	.text._ZN7rocprim17ROCPRIM_400000_NS6detail17trampoline_kernelINS0_14default_configENS1_25partition_config_selectorILNS1_17partition_subalgoE9EddbEEZZNS1_14partition_implILS5_9ELb0ES3_jN6thrust23THRUST_200600_302600_NS6detail15normal_iteratorINS9_10device_ptrIdEEEESE_PNS0_10empty_typeENS0_5tupleIJSE_SF_EEENSH_IJSE_SG_EEENS0_18inequality_wrapperI22is_equal_div_10_uniqueIdEEEPmJSF_EEE10hipError_tPvRmT3_T4_T5_T6_T7_T9_mT8_P12ihipStream_tbDpT10_ENKUlT_T0_E_clISt17integral_constantIbLb1EES17_IbLb0EEEEDaS13_S14_EUlS13_E_NS1_11comp_targetILNS1_3genE8ELNS1_11target_archE1030ELNS1_3gpuE2ELNS1_3repE0EEENS1_30default_config_static_selectorELNS0_4arch9wavefront6targetE0EEEvT1_,"axG",@progbits,_ZN7rocprim17ROCPRIM_400000_NS6detail17trampoline_kernelINS0_14default_configENS1_25partition_config_selectorILNS1_17partition_subalgoE9EddbEEZZNS1_14partition_implILS5_9ELb0ES3_jN6thrust23THRUST_200600_302600_NS6detail15normal_iteratorINS9_10device_ptrIdEEEESE_PNS0_10empty_typeENS0_5tupleIJSE_SF_EEENSH_IJSE_SG_EEENS0_18inequality_wrapperI22is_equal_div_10_uniqueIdEEEPmJSF_EEE10hipError_tPvRmT3_T4_T5_T6_T7_T9_mT8_P12ihipStream_tbDpT10_ENKUlT_T0_E_clISt17integral_constantIbLb1EES17_IbLb0EEEEDaS13_S14_EUlS13_E_NS1_11comp_targetILNS1_3genE8ELNS1_11target_archE1030ELNS1_3gpuE2ELNS1_3repE0EEENS1_30default_config_static_selectorELNS0_4arch9wavefront6targetE0EEEvT1_,comdat
.Lfunc_end70:
	.size	_ZN7rocprim17ROCPRIM_400000_NS6detail17trampoline_kernelINS0_14default_configENS1_25partition_config_selectorILNS1_17partition_subalgoE9EddbEEZZNS1_14partition_implILS5_9ELb0ES3_jN6thrust23THRUST_200600_302600_NS6detail15normal_iteratorINS9_10device_ptrIdEEEESE_PNS0_10empty_typeENS0_5tupleIJSE_SF_EEENSH_IJSE_SG_EEENS0_18inequality_wrapperI22is_equal_div_10_uniqueIdEEEPmJSF_EEE10hipError_tPvRmT3_T4_T5_T6_T7_T9_mT8_P12ihipStream_tbDpT10_ENKUlT_T0_E_clISt17integral_constantIbLb1EES17_IbLb0EEEEDaS13_S14_EUlS13_E_NS1_11comp_targetILNS1_3genE8ELNS1_11target_archE1030ELNS1_3gpuE2ELNS1_3repE0EEENS1_30default_config_static_selectorELNS0_4arch9wavefront6targetE0EEEvT1_, .Lfunc_end70-_ZN7rocprim17ROCPRIM_400000_NS6detail17trampoline_kernelINS0_14default_configENS1_25partition_config_selectorILNS1_17partition_subalgoE9EddbEEZZNS1_14partition_implILS5_9ELb0ES3_jN6thrust23THRUST_200600_302600_NS6detail15normal_iteratorINS9_10device_ptrIdEEEESE_PNS0_10empty_typeENS0_5tupleIJSE_SF_EEENSH_IJSE_SG_EEENS0_18inequality_wrapperI22is_equal_div_10_uniqueIdEEEPmJSF_EEE10hipError_tPvRmT3_T4_T5_T6_T7_T9_mT8_P12ihipStream_tbDpT10_ENKUlT_T0_E_clISt17integral_constantIbLb1EES17_IbLb0EEEEDaS13_S14_EUlS13_E_NS1_11comp_targetILNS1_3genE8ELNS1_11target_archE1030ELNS1_3gpuE2ELNS1_3repE0EEENS1_30default_config_static_selectorELNS0_4arch9wavefront6targetE0EEEvT1_
                                        ; -- End function
	.section	.AMDGPU.csdata,"",@progbits
; Kernel info:
; codeLenInByte = 0
; NumSgprs: 0
; NumVgprs: 0
; ScratchSize: 0
; MemoryBound: 0
; FloatMode: 240
; IeeeMode: 1
; LDSByteSize: 0 bytes/workgroup (compile time only)
; SGPRBlocks: 0
; VGPRBlocks: 0
; NumSGPRsForWavesPerEU: 1
; NumVGPRsForWavesPerEU: 1
; Occupancy: 16
; WaveLimiterHint : 0
; COMPUTE_PGM_RSRC2:SCRATCH_EN: 0
; COMPUTE_PGM_RSRC2:USER_SGPR: 15
; COMPUTE_PGM_RSRC2:TRAP_HANDLER: 0
; COMPUTE_PGM_RSRC2:TGID_X_EN: 1
; COMPUTE_PGM_RSRC2:TGID_Y_EN: 0
; COMPUTE_PGM_RSRC2:TGID_Z_EN: 0
; COMPUTE_PGM_RSRC2:TIDIG_COMP_CNT: 0
	.section	.text._ZN7rocprim17ROCPRIM_400000_NS6detail17trampoline_kernelINS0_14default_configENS1_25partition_config_selectorILNS1_17partition_subalgoE9EddbEEZZNS1_14partition_implILS5_9ELb0ES3_jN6thrust23THRUST_200600_302600_NS6detail15normal_iteratorINS9_10device_ptrIdEEEESE_PNS0_10empty_typeENS0_5tupleIJSE_SF_EEENSH_IJSE_SG_EEENS0_18inequality_wrapperI22is_equal_div_10_uniqueIdEEEPmJSF_EEE10hipError_tPvRmT3_T4_T5_T6_T7_T9_mT8_P12ihipStream_tbDpT10_ENKUlT_T0_E_clISt17integral_constantIbLb0EES17_IbLb1EEEEDaS13_S14_EUlS13_E_NS1_11comp_targetILNS1_3genE0ELNS1_11target_archE4294967295ELNS1_3gpuE0ELNS1_3repE0EEENS1_30default_config_static_selectorELNS0_4arch9wavefront6targetE0EEEvT1_,"axG",@progbits,_ZN7rocprim17ROCPRIM_400000_NS6detail17trampoline_kernelINS0_14default_configENS1_25partition_config_selectorILNS1_17partition_subalgoE9EddbEEZZNS1_14partition_implILS5_9ELb0ES3_jN6thrust23THRUST_200600_302600_NS6detail15normal_iteratorINS9_10device_ptrIdEEEESE_PNS0_10empty_typeENS0_5tupleIJSE_SF_EEENSH_IJSE_SG_EEENS0_18inequality_wrapperI22is_equal_div_10_uniqueIdEEEPmJSF_EEE10hipError_tPvRmT3_T4_T5_T6_T7_T9_mT8_P12ihipStream_tbDpT10_ENKUlT_T0_E_clISt17integral_constantIbLb0EES17_IbLb1EEEEDaS13_S14_EUlS13_E_NS1_11comp_targetILNS1_3genE0ELNS1_11target_archE4294967295ELNS1_3gpuE0ELNS1_3repE0EEENS1_30default_config_static_selectorELNS0_4arch9wavefront6targetE0EEEvT1_,comdat
	.protected	_ZN7rocprim17ROCPRIM_400000_NS6detail17trampoline_kernelINS0_14default_configENS1_25partition_config_selectorILNS1_17partition_subalgoE9EddbEEZZNS1_14partition_implILS5_9ELb0ES3_jN6thrust23THRUST_200600_302600_NS6detail15normal_iteratorINS9_10device_ptrIdEEEESE_PNS0_10empty_typeENS0_5tupleIJSE_SF_EEENSH_IJSE_SG_EEENS0_18inequality_wrapperI22is_equal_div_10_uniqueIdEEEPmJSF_EEE10hipError_tPvRmT3_T4_T5_T6_T7_T9_mT8_P12ihipStream_tbDpT10_ENKUlT_T0_E_clISt17integral_constantIbLb0EES17_IbLb1EEEEDaS13_S14_EUlS13_E_NS1_11comp_targetILNS1_3genE0ELNS1_11target_archE4294967295ELNS1_3gpuE0ELNS1_3repE0EEENS1_30default_config_static_selectorELNS0_4arch9wavefront6targetE0EEEvT1_ ; -- Begin function _ZN7rocprim17ROCPRIM_400000_NS6detail17trampoline_kernelINS0_14default_configENS1_25partition_config_selectorILNS1_17partition_subalgoE9EddbEEZZNS1_14partition_implILS5_9ELb0ES3_jN6thrust23THRUST_200600_302600_NS6detail15normal_iteratorINS9_10device_ptrIdEEEESE_PNS0_10empty_typeENS0_5tupleIJSE_SF_EEENSH_IJSE_SG_EEENS0_18inequality_wrapperI22is_equal_div_10_uniqueIdEEEPmJSF_EEE10hipError_tPvRmT3_T4_T5_T6_T7_T9_mT8_P12ihipStream_tbDpT10_ENKUlT_T0_E_clISt17integral_constantIbLb0EES17_IbLb1EEEEDaS13_S14_EUlS13_E_NS1_11comp_targetILNS1_3genE0ELNS1_11target_archE4294967295ELNS1_3gpuE0ELNS1_3repE0EEENS1_30default_config_static_selectorELNS0_4arch9wavefront6targetE0EEEvT1_
	.globl	_ZN7rocprim17ROCPRIM_400000_NS6detail17trampoline_kernelINS0_14default_configENS1_25partition_config_selectorILNS1_17partition_subalgoE9EddbEEZZNS1_14partition_implILS5_9ELb0ES3_jN6thrust23THRUST_200600_302600_NS6detail15normal_iteratorINS9_10device_ptrIdEEEESE_PNS0_10empty_typeENS0_5tupleIJSE_SF_EEENSH_IJSE_SG_EEENS0_18inequality_wrapperI22is_equal_div_10_uniqueIdEEEPmJSF_EEE10hipError_tPvRmT3_T4_T5_T6_T7_T9_mT8_P12ihipStream_tbDpT10_ENKUlT_T0_E_clISt17integral_constantIbLb0EES17_IbLb1EEEEDaS13_S14_EUlS13_E_NS1_11comp_targetILNS1_3genE0ELNS1_11target_archE4294967295ELNS1_3gpuE0ELNS1_3repE0EEENS1_30default_config_static_selectorELNS0_4arch9wavefront6targetE0EEEvT1_
	.p2align	8
	.type	_ZN7rocprim17ROCPRIM_400000_NS6detail17trampoline_kernelINS0_14default_configENS1_25partition_config_selectorILNS1_17partition_subalgoE9EddbEEZZNS1_14partition_implILS5_9ELb0ES3_jN6thrust23THRUST_200600_302600_NS6detail15normal_iteratorINS9_10device_ptrIdEEEESE_PNS0_10empty_typeENS0_5tupleIJSE_SF_EEENSH_IJSE_SG_EEENS0_18inequality_wrapperI22is_equal_div_10_uniqueIdEEEPmJSF_EEE10hipError_tPvRmT3_T4_T5_T6_T7_T9_mT8_P12ihipStream_tbDpT10_ENKUlT_T0_E_clISt17integral_constantIbLb0EES17_IbLb1EEEEDaS13_S14_EUlS13_E_NS1_11comp_targetILNS1_3genE0ELNS1_11target_archE4294967295ELNS1_3gpuE0ELNS1_3repE0EEENS1_30default_config_static_selectorELNS0_4arch9wavefront6targetE0EEEvT1_,@function
_ZN7rocprim17ROCPRIM_400000_NS6detail17trampoline_kernelINS0_14default_configENS1_25partition_config_selectorILNS1_17partition_subalgoE9EddbEEZZNS1_14partition_implILS5_9ELb0ES3_jN6thrust23THRUST_200600_302600_NS6detail15normal_iteratorINS9_10device_ptrIdEEEESE_PNS0_10empty_typeENS0_5tupleIJSE_SF_EEENSH_IJSE_SG_EEENS0_18inequality_wrapperI22is_equal_div_10_uniqueIdEEEPmJSF_EEE10hipError_tPvRmT3_T4_T5_T6_T7_T9_mT8_P12ihipStream_tbDpT10_ENKUlT_T0_E_clISt17integral_constantIbLb0EES17_IbLb1EEEEDaS13_S14_EUlS13_E_NS1_11comp_targetILNS1_3genE0ELNS1_11target_archE4294967295ELNS1_3gpuE0ELNS1_3repE0EEENS1_30default_config_static_selectorELNS0_4arch9wavefront6targetE0EEEvT1_: ; @_ZN7rocprim17ROCPRIM_400000_NS6detail17trampoline_kernelINS0_14default_configENS1_25partition_config_selectorILNS1_17partition_subalgoE9EddbEEZZNS1_14partition_implILS5_9ELb0ES3_jN6thrust23THRUST_200600_302600_NS6detail15normal_iteratorINS9_10device_ptrIdEEEESE_PNS0_10empty_typeENS0_5tupleIJSE_SF_EEENSH_IJSE_SG_EEENS0_18inequality_wrapperI22is_equal_div_10_uniqueIdEEEPmJSF_EEE10hipError_tPvRmT3_T4_T5_T6_T7_T9_mT8_P12ihipStream_tbDpT10_ENKUlT_T0_E_clISt17integral_constantIbLb0EES17_IbLb1EEEEDaS13_S14_EUlS13_E_NS1_11comp_targetILNS1_3genE0ELNS1_11target_archE4294967295ELNS1_3gpuE0ELNS1_3repE0EEENS1_30default_config_static_selectorELNS0_4arch9wavefront6targetE0EEEvT1_
; %bb.0:
	.section	.rodata,"a",@progbits
	.p2align	6, 0x0
	.amdhsa_kernel _ZN7rocprim17ROCPRIM_400000_NS6detail17trampoline_kernelINS0_14default_configENS1_25partition_config_selectorILNS1_17partition_subalgoE9EddbEEZZNS1_14partition_implILS5_9ELb0ES3_jN6thrust23THRUST_200600_302600_NS6detail15normal_iteratorINS9_10device_ptrIdEEEESE_PNS0_10empty_typeENS0_5tupleIJSE_SF_EEENSH_IJSE_SG_EEENS0_18inequality_wrapperI22is_equal_div_10_uniqueIdEEEPmJSF_EEE10hipError_tPvRmT3_T4_T5_T6_T7_T9_mT8_P12ihipStream_tbDpT10_ENKUlT_T0_E_clISt17integral_constantIbLb0EES17_IbLb1EEEEDaS13_S14_EUlS13_E_NS1_11comp_targetILNS1_3genE0ELNS1_11target_archE4294967295ELNS1_3gpuE0ELNS1_3repE0EEENS1_30default_config_static_selectorELNS0_4arch9wavefront6targetE0EEEvT1_
		.amdhsa_group_segment_fixed_size 0
		.amdhsa_private_segment_fixed_size 0
		.amdhsa_kernarg_size 128
		.amdhsa_user_sgpr_count 15
		.amdhsa_user_sgpr_dispatch_ptr 0
		.amdhsa_user_sgpr_queue_ptr 0
		.amdhsa_user_sgpr_kernarg_segment_ptr 1
		.amdhsa_user_sgpr_dispatch_id 0
		.amdhsa_user_sgpr_private_segment_size 0
		.amdhsa_wavefront_size32 1
		.amdhsa_uses_dynamic_stack 0
		.amdhsa_enable_private_segment 0
		.amdhsa_system_sgpr_workgroup_id_x 1
		.amdhsa_system_sgpr_workgroup_id_y 0
		.amdhsa_system_sgpr_workgroup_id_z 0
		.amdhsa_system_sgpr_workgroup_info 0
		.amdhsa_system_vgpr_workitem_id 0
		.amdhsa_next_free_vgpr 1
		.amdhsa_next_free_sgpr 1
		.amdhsa_reserve_vcc 0
		.amdhsa_float_round_mode_32 0
		.amdhsa_float_round_mode_16_64 0
		.amdhsa_float_denorm_mode_32 3
		.amdhsa_float_denorm_mode_16_64 3
		.amdhsa_dx10_clamp 1
		.amdhsa_ieee_mode 1
		.amdhsa_fp16_overflow 0
		.amdhsa_workgroup_processor_mode 1
		.amdhsa_memory_ordered 1
		.amdhsa_forward_progress 0
		.amdhsa_shared_vgpr_count 0
		.amdhsa_exception_fp_ieee_invalid_op 0
		.amdhsa_exception_fp_denorm_src 0
		.amdhsa_exception_fp_ieee_div_zero 0
		.amdhsa_exception_fp_ieee_overflow 0
		.amdhsa_exception_fp_ieee_underflow 0
		.amdhsa_exception_fp_ieee_inexact 0
		.amdhsa_exception_int_div_zero 0
	.end_amdhsa_kernel
	.section	.text._ZN7rocprim17ROCPRIM_400000_NS6detail17trampoline_kernelINS0_14default_configENS1_25partition_config_selectorILNS1_17partition_subalgoE9EddbEEZZNS1_14partition_implILS5_9ELb0ES3_jN6thrust23THRUST_200600_302600_NS6detail15normal_iteratorINS9_10device_ptrIdEEEESE_PNS0_10empty_typeENS0_5tupleIJSE_SF_EEENSH_IJSE_SG_EEENS0_18inequality_wrapperI22is_equal_div_10_uniqueIdEEEPmJSF_EEE10hipError_tPvRmT3_T4_T5_T6_T7_T9_mT8_P12ihipStream_tbDpT10_ENKUlT_T0_E_clISt17integral_constantIbLb0EES17_IbLb1EEEEDaS13_S14_EUlS13_E_NS1_11comp_targetILNS1_3genE0ELNS1_11target_archE4294967295ELNS1_3gpuE0ELNS1_3repE0EEENS1_30default_config_static_selectorELNS0_4arch9wavefront6targetE0EEEvT1_,"axG",@progbits,_ZN7rocprim17ROCPRIM_400000_NS6detail17trampoline_kernelINS0_14default_configENS1_25partition_config_selectorILNS1_17partition_subalgoE9EddbEEZZNS1_14partition_implILS5_9ELb0ES3_jN6thrust23THRUST_200600_302600_NS6detail15normal_iteratorINS9_10device_ptrIdEEEESE_PNS0_10empty_typeENS0_5tupleIJSE_SF_EEENSH_IJSE_SG_EEENS0_18inequality_wrapperI22is_equal_div_10_uniqueIdEEEPmJSF_EEE10hipError_tPvRmT3_T4_T5_T6_T7_T9_mT8_P12ihipStream_tbDpT10_ENKUlT_T0_E_clISt17integral_constantIbLb0EES17_IbLb1EEEEDaS13_S14_EUlS13_E_NS1_11comp_targetILNS1_3genE0ELNS1_11target_archE4294967295ELNS1_3gpuE0ELNS1_3repE0EEENS1_30default_config_static_selectorELNS0_4arch9wavefront6targetE0EEEvT1_,comdat
.Lfunc_end71:
	.size	_ZN7rocprim17ROCPRIM_400000_NS6detail17trampoline_kernelINS0_14default_configENS1_25partition_config_selectorILNS1_17partition_subalgoE9EddbEEZZNS1_14partition_implILS5_9ELb0ES3_jN6thrust23THRUST_200600_302600_NS6detail15normal_iteratorINS9_10device_ptrIdEEEESE_PNS0_10empty_typeENS0_5tupleIJSE_SF_EEENSH_IJSE_SG_EEENS0_18inequality_wrapperI22is_equal_div_10_uniqueIdEEEPmJSF_EEE10hipError_tPvRmT3_T4_T5_T6_T7_T9_mT8_P12ihipStream_tbDpT10_ENKUlT_T0_E_clISt17integral_constantIbLb0EES17_IbLb1EEEEDaS13_S14_EUlS13_E_NS1_11comp_targetILNS1_3genE0ELNS1_11target_archE4294967295ELNS1_3gpuE0ELNS1_3repE0EEENS1_30default_config_static_selectorELNS0_4arch9wavefront6targetE0EEEvT1_, .Lfunc_end71-_ZN7rocprim17ROCPRIM_400000_NS6detail17trampoline_kernelINS0_14default_configENS1_25partition_config_selectorILNS1_17partition_subalgoE9EddbEEZZNS1_14partition_implILS5_9ELb0ES3_jN6thrust23THRUST_200600_302600_NS6detail15normal_iteratorINS9_10device_ptrIdEEEESE_PNS0_10empty_typeENS0_5tupleIJSE_SF_EEENSH_IJSE_SG_EEENS0_18inequality_wrapperI22is_equal_div_10_uniqueIdEEEPmJSF_EEE10hipError_tPvRmT3_T4_T5_T6_T7_T9_mT8_P12ihipStream_tbDpT10_ENKUlT_T0_E_clISt17integral_constantIbLb0EES17_IbLb1EEEEDaS13_S14_EUlS13_E_NS1_11comp_targetILNS1_3genE0ELNS1_11target_archE4294967295ELNS1_3gpuE0ELNS1_3repE0EEENS1_30default_config_static_selectorELNS0_4arch9wavefront6targetE0EEEvT1_
                                        ; -- End function
	.section	.AMDGPU.csdata,"",@progbits
; Kernel info:
; codeLenInByte = 0
; NumSgprs: 0
; NumVgprs: 0
; ScratchSize: 0
; MemoryBound: 0
; FloatMode: 240
; IeeeMode: 1
; LDSByteSize: 0 bytes/workgroup (compile time only)
; SGPRBlocks: 0
; VGPRBlocks: 0
; NumSGPRsForWavesPerEU: 1
; NumVGPRsForWavesPerEU: 1
; Occupancy: 16
; WaveLimiterHint : 0
; COMPUTE_PGM_RSRC2:SCRATCH_EN: 0
; COMPUTE_PGM_RSRC2:USER_SGPR: 15
; COMPUTE_PGM_RSRC2:TRAP_HANDLER: 0
; COMPUTE_PGM_RSRC2:TGID_X_EN: 1
; COMPUTE_PGM_RSRC2:TGID_Y_EN: 0
; COMPUTE_PGM_RSRC2:TGID_Z_EN: 0
; COMPUTE_PGM_RSRC2:TIDIG_COMP_CNT: 0
	.section	.text._ZN7rocprim17ROCPRIM_400000_NS6detail17trampoline_kernelINS0_14default_configENS1_25partition_config_selectorILNS1_17partition_subalgoE9EddbEEZZNS1_14partition_implILS5_9ELb0ES3_jN6thrust23THRUST_200600_302600_NS6detail15normal_iteratorINS9_10device_ptrIdEEEESE_PNS0_10empty_typeENS0_5tupleIJSE_SF_EEENSH_IJSE_SG_EEENS0_18inequality_wrapperI22is_equal_div_10_uniqueIdEEEPmJSF_EEE10hipError_tPvRmT3_T4_T5_T6_T7_T9_mT8_P12ihipStream_tbDpT10_ENKUlT_T0_E_clISt17integral_constantIbLb0EES17_IbLb1EEEEDaS13_S14_EUlS13_E_NS1_11comp_targetILNS1_3genE5ELNS1_11target_archE942ELNS1_3gpuE9ELNS1_3repE0EEENS1_30default_config_static_selectorELNS0_4arch9wavefront6targetE0EEEvT1_,"axG",@progbits,_ZN7rocprim17ROCPRIM_400000_NS6detail17trampoline_kernelINS0_14default_configENS1_25partition_config_selectorILNS1_17partition_subalgoE9EddbEEZZNS1_14partition_implILS5_9ELb0ES3_jN6thrust23THRUST_200600_302600_NS6detail15normal_iteratorINS9_10device_ptrIdEEEESE_PNS0_10empty_typeENS0_5tupleIJSE_SF_EEENSH_IJSE_SG_EEENS0_18inequality_wrapperI22is_equal_div_10_uniqueIdEEEPmJSF_EEE10hipError_tPvRmT3_T4_T5_T6_T7_T9_mT8_P12ihipStream_tbDpT10_ENKUlT_T0_E_clISt17integral_constantIbLb0EES17_IbLb1EEEEDaS13_S14_EUlS13_E_NS1_11comp_targetILNS1_3genE5ELNS1_11target_archE942ELNS1_3gpuE9ELNS1_3repE0EEENS1_30default_config_static_selectorELNS0_4arch9wavefront6targetE0EEEvT1_,comdat
	.protected	_ZN7rocprim17ROCPRIM_400000_NS6detail17trampoline_kernelINS0_14default_configENS1_25partition_config_selectorILNS1_17partition_subalgoE9EddbEEZZNS1_14partition_implILS5_9ELb0ES3_jN6thrust23THRUST_200600_302600_NS6detail15normal_iteratorINS9_10device_ptrIdEEEESE_PNS0_10empty_typeENS0_5tupleIJSE_SF_EEENSH_IJSE_SG_EEENS0_18inequality_wrapperI22is_equal_div_10_uniqueIdEEEPmJSF_EEE10hipError_tPvRmT3_T4_T5_T6_T7_T9_mT8_P12ihipStream_tbDpT10_ENKUlT_T0_E_clISt17integral_constantIbLb0EES17_IbLb1EEEEDaS13_S14_EUlS13_E_NS1_11comp_targetILNS1_3genE5ELNS1_11target_archE942ELNS1_3gpuE9ELNS1_3repE0EEENS1_30default_config_static_selectorELNS0_4arch9wavefront6targetE0EEEvT1_ ; -- Begin function _ZN7rocprim17ROCPRIM_400000_NS6detail17trampoline_kernelINS0_14default_configENS1_25partition_config_selectorILNS1_17partition_subalgoE9EddbEEZZNS1_14partition_implILS5_9ELb0ES3_jN6thrust23THRUST_200600_302600_NS6detail15normal_iteratorINS9_10device_ptrIdEEEESE_PNS0_10empty_typeENS0_5tupleIJSE_SF_EEENSH_IJSE_SG_EEENS0_18inequality_wrapperI22is_equal_div_10_uniqueIdEEEPmJSF_EEE10hipError_tPvRmT3_T4_T5_T6_T7_T9_mT8_P12ihipStream_tbDpT10_ENKUlT_T0_E_clISt17integral_constantIbLb0EES17_IbLb1EEEEDaS13_S14_EUlS13_E_NS1_11comp_targetILNS1_3genE5ELNS1_11target_archE942ELNS1_3gpuE9ELNS1_3repE0EEENS1_30default_config_static_selectorELNS0_4arch9wavefront6targetE0EEEvT1_
	.globl	_ZN7rocprim17ROCPRIM_400000_NS6detail17trampoline_kernelINS0_14default_configENS1_25partition_config_selectorILNS1_17partition_subalgoE9EddbEEZZNS1_14partition_implILS5_9ELb0ES3_jN6thrust23THRUST_200600_302600_NS6detail15normal_iteratorINS9_10device_ptrIdEEEESE_PNS0_10empty_typeENS0_5tupleIJSE_SF_EEENSH_IJSE_SG_EEENS0_18inequality_wrapperI22is_equal_div_10_uniqueIdEEEPmJSF_EEE10hipError_tPvRmT3_T4_T5_T6_T7_T9_mT8_P12ihipStream_tbDpT10_ENKUlT_T0_E_clISt17integral_constantIbLb0EES17_IbLb1EEEEDaS13_S14_EUlS13_E_NS1_11comp_targetILNS1_3genE5ELNS1_11target_archE942ELNS1_3gpuE9ELNS1_3repE0EEENS1_30default_config_static_selectorELNS0_4arch9wavefront6targetE0EEEvT1_
	.p2align	8
	.type	_ZN7rocprim17ROCPRIM_400000_NS6detail17trampoline_kernelINS0_14default_configENS1_25partition_config_selectorILNS1_17partition_subalgoE9EddbEEZZNS1_14partition_implILS5_9ELb0ES3_jN6thrust23THRUST_200600_302600_NS6detail15normal_iteratorINS9_10device_ptrIdEEEESE_PNS0_10empty_typeENS0_5tupleIJSE_SF_EEENSH_IJSE_SG_EEENS0_18inequality_wrapperI22is_equal_div_10_uniqueIdEEEPmJSF_EEE10hipError_tPvRmT3_T4_T5_T6_T7_T9_mT8_P12ihipStream_tbDpT10_ENKUlT_T0_E_clISt17integral_constantIbLb0EES17_IbLb1EEEEDaS13_S14_EUlS13_E_NS1_11comp_targetILNS1_3genE5ELNS1_11target_archE942ELNS1_3gpuE9ELNS1_3repE0EEENS1_30default_config_static_selectorELNS0_4arch9wavefront6targetE0EEEvT1_,@function
_ZN7rocprim17ROCPRIM_400000_NS6detail17trampoline_kernelINS0_14default_configENS1_25partition_config_selectorILNS1_17partition_subalgoE9EddbEEZZNS1_14partition_implILS5_9ELb0ES3_jN6thrust23THRUST_200600_302600_NS6detail15normal_iteratorINS9_10device_ptrIdEEEESE_PNS0_10empty_typeENS0_5tupleIJSE_SF_EEENSH_IJSE_SG_EEENS0_18inequality_wrapperI22is_equal_div_10_uniqueIdEEEPmJSF_EEE10hipError_tPvRmT3_T4_T5_T6_T7_T9_mT8_P12ihipStream_tbDpT10_ENKUlT_T0_E_clISt17integral_constantIbLb0EES17_IbLb1EEEEDaS13_S14_EUlS13_E_NS1_11comp_targetILNS1_3genE5ELNS1_11target_archE942ELNS1_3gpuE9ELNS1_3repE0EEENS1_30default_config_static_selectorELNS0_4arch9wavefront6targetE0EEEvT1_: ; @_ZN7rocprim17ROCPRIM_400000_NS6detail17trampoline_kernelINS0_14default_configENS1_25partition_config_selectorILNS1_17partition_subalgoE9EddbEEZZNS1_14partition_implILS5_9ELb0ES3_jN6thrust23THRUST_200600_302600_NS6detail15normal_iteratorINS9_10device_ptrIdEEEESE_PNS0_10empty_typeENS0_5tupleIJSE_SF_EEENSH_IJSE_SG_EEENS0_18inequality_wrapperI22is_equal_div_10_uniqueIdEEEPmJSF_EEE10hipError_tPvRmT3_T4_T5_T6_T7_T9_mT8_P12ihipStream_tbDpT10_ENKUlT_T0_E_clISt17integral_constantIbLb0EES17_IbLb1EEEEDaS13_S14_EUlS13_E_NS1_11comp_targetILNS1_3genE5ELNS1_11target_archE942ELNS1_3gpuE9ELNS1_3repE0EEENS1_30default_config_static_selectorELNS0_4arch9wavefront6targetE0EEEvT1_
; %bb.0:
	.section	.rodata,"a",@progbits
	.p2align	6, 0x0
	.amdhsa_kernel _ZN7rocprim17ROCPRIM_400000_NS6detail17trampoline_kernelINS0_14default_configENS1_25partition_config_selectorILNS1_17partition_subalgoE9EddbEEZZNS1_14partition_implILS5_9ELb0ES3_jN6thrust23THRUST_200600_302600_NS6detail15normal_iteratorINS9_10device_ptrIdEEEESE_PNS0_10empty_typeENS0_5tupleIJSE_SF_EEENSH_IJSE_SG_EEENS0_18inequality_wrapperI22is_equal_div_10_uniqueIdEEEPmJSF_EEE10hipError_tPvRmT3_T4_T5_T6_T7_T9_mT8_P12ihipStream_tbDpT10_ENKUlT_T0_E_clISt17integral_constantIbLb0EES17_IbLb1EEEEDaS13_S14_EUlS13_E_NS1_11comp_targetILNS1_3genE5ELNS1_11target_archE942ELNS1_3gpuE9ELNS1_3repE0EEENS1_30default_config_static_selectorELNS0_4arch9wavefront6targetE0EEEvT1_
		.amdhsa_group_segment_fixed_size 0
		.amdhsa_private_segment_fixed_size 0
		.amdhsa_kernarg_size 128
		.amdhsa_user_sgpr_count 15
		.amdhsa_user_sgpr_dispatch_ptr 0
		.amdhsa_user_sgpr_queue_ptr 0
		.amdhsa_user_sgpr_kernarg_segment_ptr 1
		.amdhsa_user_sgpr_dispatch_id 0
		.amdhsa_user_sgpr_private_segment_size 0
		.amdhsa_wavefront_size32 1
		.amdhsa_uses_dynamic_stack 0
		.amdhsa_enable_private_segment 0
		.amdhsa_system_sgpr_workgroup_id_x 1
		.amdhsa_system_sgpr_workgroup_id_y 0
		.amdhsa_system_sgpr_workgroup_id_z 0
		.amdhsa_system_sgpr_workgroup_info 0
		.amdhsa_system_vgpr_workitem_id 0
		.amdhsa_next_free_vgpr 1
		.amdhsa_next_free_sgpr 1
		.amdhsa_reserve_vcc 0
		.amdhsa_float_round_mode_32 0
		.amdhsa_float_round_mode_16_64 0
		.amdhsa_float_denorm_mode_32 3
		.amdhsa_float_denorm_mode_16_64 3
		.amdhsa_dx10_clamp 1
		.amdhsa_ieee_mode 1
		.amdhsa_fp16_overflow 0
		.amdhsa_workgroup_processor_mode 1
		.amdhsa_memory_ordered 1
		.amdhsa_forward_progress 0
		.amdhsa_shared_vgpr_count 0
		.amdhsa_exception_fp_ieee_invalid_op 0
		.amdhsa_exception_fp_denorm_src 0
		.amdhsa_exception_fp_ieee_div_zero 0
		.amdhsa_exception_fp_ieee_overflow 0
		.amdhsa_exception_fp_ieee_underflow 0
		.amdhsa_exception_fp_ieee_inexact 0
		.amdhsa_exception_int_div_zero 0
	.end_amdhsa_kernel
	.section	.text._ZN7rocprim17ROCPRIM_400000_NS6detail17trampoline_kernelINS0_14default_configENS1_25partition_config_selectorILNS1_17partition_subalgoE9EddbEEZZNS1_14partition_implILS5_9ELb0ES3_jN6thrust23THRUST_200600_302600_NS6detail15normal_iteratorINS9_10device_ptrIdEEEESE_PNS0_10empty_typeENS0_5tupleIJSE_SF_EEENSH_IJSE_SG_EEENS0_18inequality_wrapperI22is_equal_div_10_uniqueIdEEEPmJSF_EEE10hipError_tPvRmT3_T4_T5_T6_T7_T9_mT8_P12ihipStream_tbDpT10_ENKUlT_T0_E_clISt17integral_constantIbLb0EES17_IbLb1EEEEDaS13_S14_EUlS13_E_NS1_11comp_targetILNS1_3genE5ELNS1_11target_archE942ELNS1_3gpuE9ELNS1_3repE0EEENS1_30default_config_static_selectorELNS0_4arch9wavefront6targetE0EEEvT1_,"axG",@progbits,_ZN7rocprim17ROCPRIM_400000_NS6detail17trampoline_kernelINS0_14default_configENS1_25partition_config_selectorILNS1_17partition_subalgoE9EddbEEZZNS1_14partition_implILS5_9ELb0ES3_jN6thrust23THRUST_200600_302600_NS6detail15normal_iteratorINS9_10device_ptrIdEEEESE_PNS0_10empty_typeENS0_5tupleIJSE_SF_EEENSH_IJSE_SG_EEENS0_18inequality_wrapperI22is_equal_div_10_uniqueIdEEEPmJSF_EEE10hipError_tPvRmT3_T4_T5_T6_T7_T9_mT8_P12ihipStream_tbDpT10_ENKUlT_T0_E_clISt17integral_constantIbLb0EES17_IbLb1EEEEDaS13_S14_EUlS13_E_NS1_11comp_targetILNS1_3genE5ELNS1_11target_archE942ELNS1_3gpuE9ELNS1_3repE0EEENS1_30default_config_static_selectorELNS0_4arch9wavefront6targetE0EEEvT1_,comdat
.Lfunc_end72:
	.size	_ZN7rocprim17ROCPRIM_400000_NS6detail17trampoline_kernelINS0_14default_configENS1_25partition_config_selectorILNS1_17partition_subalgoE9EddbEEZZNS1_14partition_implILS5_9ELb0ES3_jN6thrust23THRUST_200600_302600_NS6detail15normal_iteratorINS9_10device_ptrIdEEEESE_PNS0_10empty_typeENS0_5tupleIJSE_SF_EEENSH_IJSE_SG_EEENS0_18inequality_wrapperI22is_equal_div_10_uniqueIdEEEPmJSF_EEE10hipError_tPvRmT3_T4_T5_T6_T7_T9_mT8_P12ihipStream_tbDpT10_ENKUlT_T0_E_clISt17integral_constantIbLb0EES17_IbLb1EEEEDaS13_S14_EUlS13_E_NS1_11comp_targetILNS1_3genE5ELNS1_11target_archE942ELNS1_3gpuE9ELNS1_3repE0EEENS1_30default_config_static_selectorELNS0_4arch9wavefront6targetE0EEEvT1_, .Lfunc_end72-_ZN7rocprim17ROCPRIM_400000_NS6detail17trampoline_kernelINS0_14default_configENS1_25partition_config_selectorILNS1_17partition_subalgoE9EddbEEZZNS1_14partition_implILS5_9ELb0ES3_jN6thrust23THRUST_200600_302600_NS6detail15normal_iteratorINS9_10device_ptrIdEEEESE_PNS0_10empty_typeENS0_5tupleIJSE_SF_EEENSH_IJSE_SG_EEENS0_18inequality_wrapperI22is_equal_div_10_uniqueIdEEEPmJSF_EEE10hipError_tPvRmT3_T4_T5_T6_T7_T9_mT8_P12ihipStream_tbDpT10_ENKUlT_T0_E_clISt17integral_constantIbLb0EES17_IbLb1EEEEDaS13_S14_EUlS13_E_NS1_11comp_targetILNS1_3genE5ELNS1_11target_archE942ELNS1_3gpuE9ELNS1_3repE0EEENS1_30default_config_static_selectorELNS0_4arch9wavefront6targetE0EEEvT1_
                                        ; -- End function
	.section	.AMDGPU.csdata,"",@progbits
; Kernel info:
; codeLenInByte = 0
; NumSgprs: 0
; NumVgprs: 0
; ScratchSize: 0
; MemoryBound: 0
; FloatMode: 240
; IeeeMode: 1
; LDSByteSize: 0 bytes/workgroup (compile time only)
; SGPRBlocks: 0
; VGPRBlocks: 0
; NumSGPRsForWavesPerEU: 1
; NumVGPRsForWavesPerEU: 1
; Occupancy: 16
; WaveLimiterHint : 0
; COMPUTE_PGM_RSRC2:SCRATCH_EN: 0
; COMPUTE_PGM_RSRC2:USER_SGPR: 15
; COMPUTE_PGM_RSRC2:TRAP_HANDLER: 0
; COMPUTE_PGM_RSRC2:TGID_X_EN: 1
; COMPUTE_PGM_RSRC2:TGID_Y_EN: 0
; COMPUTE_PGM_RSRC2:TGID_Z_EN: 0
; COMPUTE_PGM_RSRC2:TIDIG_COMP_CNT: 0
	.section	.text._ZN7rocprim17ROCPRIM_400000_NS6detail17trampoline_kernelINS0_14default_configENS1_25partition_config_selectorILNS1_17partition_subalgoE9EddbEEZZNS1_14partition_implILS5_9ELb0ES3_jN6thrust23THRUST_200600_302600_NS6detail15normal_iteratorINS9_10device_ptrIdEEEESE_PNS0_10empty_typeENS0_5tupleIJSE_SF_EEENSH_IJSE_SG_EEENS0_18inequality_wrapperI22is_equal_div_10_uniqueIdEEEPmJSF_EEE10hipError_tPvRmT3_T4_T5_T6_T7_T9_mT8_P12ihipStream_tbDpT10_ENKUlT_T0_E_clISt17integral_constantIbLb0EES17_IbLb1EEEEDaS13_S14_EUlS13_E_NS1_11comp_targetILNS1_3genE4ELNS1_11target_archE910ELNS1_3gpuE8ELNS1_3repE0EEENS1_30default_config_static_selectorELNS0_4arch9wavefront6targetE0EEEvT1_,"axG",@progbits,_ZN7rocprim17ROCPRIM_400000_NS6detail17trampoline_kernelINS0_14default_configENS1_25partition_config_selectorILNS1_17partition_subalgoE9EddbEEZZNS1_14partition_implILS5_9ELb0ES3_jN6thrust23THRUST_200600_302600_NS6detail15normal_iteratorINS9_10device_ptrIdEEEESE_PNS0_10empty_typeENS0_5tupleIJSE_SF_EEENSH_IJSE_SG_EEENS0_18inequality_wrapperI22is_equal_div_10_uniqueIdEEEPmJSF_EEE10hipError_tPvRmT3_T4_T5_T6_T7_T9_mT8_P12ihipStream_tbDpT10_ENKUlT_T0_E_clISt17integral_constantIbLb0EES17_IbLb1EEEEDaS13_S14_EUlS13_E_NS1_11comp_targetILNS1_3genE4ELNS1_11target_archE910ELNS1_3gpuE8ELNS1_3repE0EEENS1_30default_config_static_selectorELNS0_4arch9wavefront6targetE0EEEvT1_,comdat
	.protected	_ZN7rocprim17ROCPRIM_400000_NS6detail17trampoline_kernelINS0_14default_configENS1_25partition_config_selectorILNS1_17partition_subalgoE9EddbEEZZNS1_14partition_implILS5_9ELb0ES3_jN6thrust23THRUST_200600_302600_NS6detail15normal_iteratorINS9_10device_ptrIdEEEESE_PNS0_10empty_typeENS0_5tupleIJSE_SF_EEENSH_IJSE_SG_EEENS0_18inequality_wrapperI22is_equal_div_10_uniqueIdEEEPmJSF_EEE10hipError_tPvRmT3_T4_T5_T6_T7_T9_mT8_P12ihipStream_tbDpT10_ENKUlT_T0_E_clISt17integral_constantIbLb0EES17_IbLb1EEEEDaS13_S14_EUlS13_E_NS1_11comp_targetILNS1_3genE4ELNS1_11target_archE910ELNS1_3gpuE8ELNS1_3repE0EEENS1_30default_config_static_selectorELNS0_4arch9wavefront6targetE0EEEvT1_ ; -- Begin function _ZN7rocprim17ROCPRIM_400000_NS6detail17trampoline_kernelINS0_14default_configENS1_25partition_config_selectorILNS1_17partition_subalgoE9EddbEEZZNS1_14partition_implILS5_9ELb0ES3_jN6thrust23THRUST_200600_302600_NS6detail15normal_iteratorINS9_10device_ptrIdEEEESE_PNS0_10empty_typeENS0_5tupleIJSE_SF_EEENSH_IJSE_SG_EEENS0_18inequality_wrapperI22is_equal_div_10_uniqueIdEEEPmJSF_EEE10hipError_tPvRmT3_T4_T5_T6_T7_T9_mT8_P12ihipStream_tbDpT10_ENKUlT_T0_E_clISt17integral_constantIbLb0EES17_IbLb1EEEEDaS13_S14_EUlS13_E_NS1_11comp_targetILNS1_3genE4ELNS1_11target_archE910ELNS1_3gpuE8ELNS1_3repE0EEENS1_30default_config_static_selectorELNS0_4arch9wavefront6targetE0EEEvT1_
	.globl	_ZN7rocprim17ROCPRIM_400000_NS6detail17trampoline_kernelINS0_14default_configENS1_25partition_config_selectorILNS1_17partition_subalgoE9EddbEEZZNS1_14partition_implILS5_9ELb0ES3_jN6thrust23THRUST_200600_302600_NS6detail15normal_iteratorINS9_10device_ptrIdEEEESE_PNS0_10empty_typeENS0_5tupleIJSE_SF_EEENSH_IJSE_SG_EEENS0_18inequality_wrapperI22is_equal_div_10_uniqueIdEEEPmJSF_EEE10hipError_tPvRmT3_T4_T5_T6_T7_T9_mT8_P12ihipStream_tbDpT10_ENKUlT_T0_E_clISt17integral_constantIbLb0EES17_IbLb1EEEEDaS13_S14_EUlS13_E_NS1_11comp_targetILNS1_3genE4ELNS1_11target_archE910ELNS1_3gpuE8ELNS1_3repE0EEENS1_30default_config_static_selectorELNS0_4arch9wavefront6targetE0EEEvT1_
	.p2align	8
	.type	_ZN7rocprim17ROCPRIM_400000_NS6detail17trampoline_kernelINS0_14default_configENS1_25partition_config_selectorILNS1_17partition_subalgoE9EddbEEZZNS1_14partition_implILS5_9ELb0ES3_jN6thrust23THRUST_200600_302600_NS6detail15normal_iteratorINS9_10device_ptrIdEEEESE_PNS0_10empty_typeENS0_5tupleIJSE_SF_EEENSH_IJSE_SG_EEENS0_18inequality_wrapperI22is_equal_div_10_uniqueIdEEEPmJSF_EEE10hipError_tPvRmT3_T4_T5_T6_T7_T9_mT8_P12ihipStream_tbDpT10_ENKUlT_T0_E_clISt17integral_constantIbLb0EES17_IbLb1EEEEDaS13_S14_EUlS13_E_NS1_11comp_targetILNS1_3genE4ELNS1_11target_archE910ELNS1_3gpuE8ELNS1_3repE0EEENS1_30default_config_static_selectorELNS0_4arch9wavefront6targetE0EEEvT1_,@function
_ZN7rocprim17ROCPRIM_400000_NS6detail17trampoline_kernelINS0_14default_configENS1_25partition_config_selectorILNS1_17partition_subalgoE9EddbEEZZNS1_14partition_implILS5_9ELb0ES3_jN6thrust23THRUST_200600_302600_NS6detail15normal_iteratorINS9_10device_ptrIdEEEESE_PNS0_10empty_typeENS0_5tupleIJSE_SF_EEENSH_IJSE_SG_EEENS0_18inequality_wrapperI22is_equal_div_10_uniqueIdEEEPmJSF_EEE10hipError_tPvRmT3_T4_T5_T6_T7_T9_mT8_P12ihipStream_tbDpT10_ENKUlT_T0_E_clISt17integral_constantIbLb0EES17_IbLb1EEEEDaS13_S14_EUlS13_E_NS1_11comp_targetILNS1_3genE4ELNS1_11target_archE910ELNS1_3gpuE8ELNS1_3repE0EEENS1_30default_config_static_selectorELNS0_4arch9wavefront6targetE0EEEvT1_: ; @_ZN7rocprim17ROCPRIM_400000_NS6detail17trampoline_kernelINS0_14default_configENS1_25partition_config_selectorILNS1_17partition_subalgoE9EddbEEZZNS1_14partition_implILS5_9ELb0ES3_jN6thrust23THRUST_200600_302600_NS6detail15normal_iteratorINS9_10device_ptrIdEEEESE_PNS0_10empty_typeENS0_5tupleIJSE_SF_EEENSH_IJSE_SG_EEENS0_18inequality_wrapperI22is_equal_div_10_uniqueIdEEEPmJSF_EEE10hipError_tPvRmT3_T4_T5_T6_T7_T9_mT8_P12ihipStream_tbDpT10_ENKUlT_T0_E_clISt17integral_constantIbLb0EES17_IbLb1EEEEDaS13_S14_EUlS13_E_NS1_11comp_targetILNS1_3genE4ELNS1_11target_archE910ELNS1_3gpuE8ELNS1_3repE0EEENS1_30default_config_static_selectorELNS0_4arch9wavefront6targetE0EEEvT1_
; %bb.0:
	.section	.rodata,"a",@progbits
	.p2align	6, 0x0
	.amdhsa_kernel _ZN7rocprim17ROCPRIM_400000_NS6detail17trampoline_kernelINS0_14default_configENS1_25partition_config_selectorILNS1_17partition_subalgoE9EddbEEZZNS1_14partition_implILS5_9ELb0ES3_jN6thrust23THRUST_200600_302600_NS6detail15normal_iteratorINS9_10device_ptrIdEEEESE_PNS0_10empty_typeENS0_5tupleIJSE_SF_EEENSH_IJSE_SG_EEENS0_18inequality_wrapperI22is_equal_div_10_uniqueIdEEEPmJSF_EEE10hipError_tPvRmT3_T4_T5_T6_T7_T9_mT8_P12ihipStream_tbDpT10_ENKUlT_T0_E_clISt17integral_constantIbLb0EES17_IbLb1EEEEDaS13_S14_EUlS13_E_NS1_11comp_targetILNS1_3genE4ELNS1_11target_archE910ELNS1_3gpuE8ELNS1_3repE0EEENS1_30default_config_static_selectorELNS0_4arch9wavefront6targetE0EEEvT1_
		.amdhsa_group_segment_fixed_size 0
		.amdhsa_private_segment_fixed_size 0
		.amdhsa_kernarg_size 128
		.amdhsa_user_sgpr_count 15
		.amdhsa_user_sgpr_dispatch_ptr 0
		.amdhsa_user_sgpr_queue_ptr 0
		.amdhsa_user_sgpr_kernarg_segment_ptr 1
		.amdhsa_user_sgpr_dispatch_id 0
		.amdhsa_user_sgpr_private_segment_size 0
		.amdhsa_wavefront_size32 1
		.amdhsa_uses_dynamic_stack 0
		.amdhsa_enable_private_segment 0
		.amdhsa_system_sgpr_workgroup_id_x 1
		.amdhsa_system_sgpr_workgroup_id_y 0
		.amdhsa_system_sgpr_workgroup_id_z 0
		.amdhsa_system_sgpr_workgroup_info 0
		.amdhsa_system_vgpr_workitem_id 0
		.amdhsa_next_free_vgpr 1
		.amdhsa_next_free_sgpr 1
		.amdhsa_reserve_vcc 0
		.amdhsa_float_round_mode_32 0
		.amdhsa_float_round_mode_16_64 0
		.amdhsa_float_denorm_mode_32 3
		.amdhsa_float_denorm_mode_16_64 3
		.amdhsa_dx10_clamp 1
		.amdhsa_ieee_mode 1
		.amdhsa_fp16_overflow 0
		.amdhsa_workgroup_processor_mode 1
		.amdhsa_memory_ordered 1
		.amdhsa_forward_progress 0
		.amdhsa_shared_vgpr_count 0
		.amdhsa_exception_fp_ieee_invalid_op 0
		.amdhsa_exception_fp_denorm_src 0
		.amdhsa_exception_fp_ieee_div_zero 0
		.amdhsa_exception_fp_ieee_overflow 0
		.amdhsa_exception_fp_ieee_underflow 0
		.amdhsa_exception_fp_ieee_inexact 0
		.amdhsa_exception_int_div_zero 0
	.end_amdhsa_kernel
	.section	.text._ZN7rocprim17ROCPRIM_400000_NS6detail17trampoline_kernelINS0_14default_configENS1_25partition_config_selectorILNS1_17partition_subalgoE9EddbEEZZNS1_14partition_implILS5_9ELb0ES3_jN6thrust23THRUST_200600_302600_NS6detail15normal_iteratorINS9_10device_ptrIdEEEESE_PNS0_10empty_typeENS0_5tupleIJSE_SF_EEENSH_IJSE_SG_EEENS0_18inequality_wrapperI22is_equal_div_10_uniqueIdEEEPmJSF_EEE10hipError_tPvRmT3_T4_T5_T6_T7_T9_mT8_P12ihipStream_tbDpT10_ENKUlT_T0_E_clISt17integral_constantIbLb0EES17_IbLb1EEEEDaS13_S14_EUlS13_E_NS1_11comp_targetILNS1_3genE4ELNS1_11target_archE910ELNS1_3gpuE8ELNS1_3repE0EEENS1_30default_config_static_selectorELNS0_4arch9wavefront6targetE0EEEvT1_,"axG",@progbits,_ZN7rocprim17ROCPRIM_400000_NS6detail17trampoline_kernelINS0_14default_configENS1_25partition_config_selectorILNS1_17partition_subalgoE9EddbEEZZNS1_14partition_implILS5_9ELb0ES3_jN6thrust23THRUST_200600_302600_NS6detail15normal_iteratorINS9_10device_ptrIdEEEESE_PNS0_10empty_typeENS0_5tupleIJSE_SF_EEENSH_IJSE_SG_EEENS0_18inequality_wrapperI22is_equal_div_10_uniqueIdEEEPmJSF_EEE10hipError_tPvRmT3_T4_T5_T6_T7_T9_mT8_P12ihipStream_tbDpT10_ENKUlT_T0_E_clISt17integral_constantIbLb0EES17_IbLb1EEEEDaS13_S14_EUlS13_E_NS1_11comp_targetILNS1_3genE4ELNS1_11target_archE910ELNS1_3gpuE8ELNS1_3repE0EEENS1_30default_config_static_selectorELNS0_4arch9wavefront6targetE0EEEvT1_,comdat
.Lfunc_end73:
	.size	_ZN7rocprim17ROCPRIM_400000_NS6detail17trampoline_kernelINS0_14default_configENS1_25partition_config_selectorILNS1_17partition_subalgoE9EddbEEZZNS1_14partition_implILS5_9ELb0ES3_jN6thrust23THRUST_200600_302600_NS6detail15normal_iteratorINS9_10device_ptrIdEEEESE_PNS0_10empty_typeENS0_5tupleIJSE_SF_EEENSH_IJSE_SG_EEENS0_18inequality_wrapperI22is_equal_div_10_uniqueIdEEEPmJSF_EEE10hipError_tPvRmT3_T4_T5_T6_T7_T9_mT8_P12ihipStream_tbDpT10_ENKUlT_T0_E_clISt17integral_constantIbLb0EES17_IbLb1EEEEDaS13_S14_EUlS13_E_NS1_11comp_targetILNS1_3genE4ELNS1_11target_archE910ELNS1_3gpuE8ELNS1_3repE0EEENS1_30default_config_static_selectorELNS0_4arch9wavefront6targetE0EEEvT1_, .Lfunc_end73-_ZN7rocprim17ROCPRIM_400000_NS6detail17trampoline_kernelINS0_14default_configENS1_25partition_config_selectorILNS1_17partition_subalgoE9EddbEEZZNS1_14partition_implILS5_9ELb0ES3_jN6thrust23THRUST_200600_302600_NS6detail15normal_iteratorINS9_10device_ptrIdEEEESE_PNS0_10empty_typeENS0_5tupleIJSE_SF_EEENSH_IJSE_SG_EEENS0_18inequality_wrapperI22is_equal_div_10_uniqueIdEEEPmJSF_EEE10hipError_tPvRmT3_T4_T5_T6_T7_T9_mT8_P12ihipStream_tbDpT10_ENKUlT_T0_E_clISt17integral_constantIbLb0EES17_IbLb1EEEEDaS13_S14_EUlS13_E_NS1_11comp_targetILNS1_3genE4ELNS1_11target_archE910ELNS1_3gpuE8ELNS1_3repE0EEENS1_30default_config_static_selectorELNS0_4arch9wavefront6targetE0EEEvT1_
                                        ; -- End function
	.section	.AMDGPU.csdata,"",@progbits
; Kernel info:
; codeLenInByte = 0
; NumSgprs: 0
; NumVgprs: 0
; ScratchSize: 0
; MemoryBound: 0
; FloatMode: 240
; IeeeMode: 1
; LDSByteSize: 0 bytes/workgroup (compile time only)
; SGPRBlocks: 0
; VGPRBlocks: 0
; NumSGPRsForWavesPerEU: 1
; NumVGPRsForWavesPerEU: 1
; Occupancy: 16
; WaveLimiterHint : 0
; COMPUTE_PGM_RSRC2:SCRATCH_EN: 0
; COMPUTE_PGM_RSRC2:USER_SGPR: 15
; COMPUTE_PGM_RSRC2:TRAP_HANDLER: 0
; COMPUTE_PGM_RSRC2:TGID_X_EN: 1
; COMPUTE_PGM_RSRC2:TGID_Y_EN: 0
; COMPUTE_PGM_RSRC2:TGID_Z_EN: 0
; COMPUTE_PGM_RSRC2:TIDIG_COMP_CNT: 0
	.section	.text._ZN7rocprim17ROCPRIM_400000_NS6detail17trampoline_kernelINS0_14default_configENS1_25partition_config_selectorILNS1_17partition_subalgoE9EddbEEZZNS1_14partition_implILS5_9ELb0ES3_jN6thrust23THRUST_200600_302600_NS6detail15normal_iteratorINS9_10device_ptrIdEEEESE_PNS0_10empty_typeENS0_5tupleIJSE_SF_EEENSH_IJSE_SG_EEENS0_18inequality_wrapperI22is_equal_div_10_uniqueIdEEEPmJSF_EEE10hipError_tPvRmT3_T4_T5_T6_T7_T9_mT8_P12ihipStream_tbDpT10_ENKUlT_T0_E_clISt17integral_constantIbLb0EES17_IbLb1EEEEDaS13_S14_EUlS13_E_NS1_11comp_targetILNS1_3genE3ELNS1_11target_archE908ELNS1_3gpuE7ELNS1_3repE0EEENS1_30default_config_static_selectorELNS0_4arch9wavefront6targetE0EEEvT1_,"axG",@progbits,_ZN7rocprim17ROCPRIM_400000_NS6detail17trampoline_kernelINS0_14default_configENS1_25partition_config_selectorILNS1_17partition_subalgoE9EddbEEZZNS1_14partition_implILS5_9ELb0ES3_jN6thrust23THRUST_200600_302600_NS6detail15normal_iteratorINS9_10device_ptrIdEEEESE_PNS0_10empty_typeENS0_5tupleIJSE_SF_EEENSH_IJSE_SG_EEENS0_18inequality_wrapperI22is_equal_div_10_uniqueIdEEEPmJSF_EEE10hipError_tPvRmT3_T4_T5_T6_T7_T9_mT8_P12ihipStream_tbDpT10_ENKUlT_T0_E_clISt17integral_constantIbLb0EES17_IbLb1EEEEDaS13_S14_EUlS13_E_NS1_11comp_targetILNS1_3genE3ELNS1_11target_archE908ELNS1_3gpuE7ELNS1_3repE0EEENS1_30default_config_static_selectorELNS0_4arch9wavefront6targetE0EEEvT1_,comdat
	.protected	_ZN7rocprim17ROCPRIM_400000_NS6detail17trampoline_kernelINS0_14default_configENS1_25partition_config_selectorILNS1_17partition_subalgoE9EddbEEZZNS1_14partition_implILS5_9ELb0ES3_jN6thrust23THRUST_200600_302600_NS6detail15normal_iteratorINS9_10device_ptrIdEEEESE_PNS0_10empty_typeENS0_5tupleIJSE_SF_EEENSH_IJSE_SG_EEENS0_18inequality_wrapperI22is_equal_div_10_uniqueIdEEEPmJSF_EEE10hipError_tPvRmT3_T4_T5_T6_T7_T9_mT8_P12ihipStream_tbDpT10_ENKUlT_T0_E_clISt17integral_constantIbLb0EES17_IbLb1EEEEDaS13_S14_EUlS13_E_NS1_11comp_targetILNS1_3genE3ELNS1_11target_archE908ELNS1_3gpuE7ELNS1_3repE0EEENS1_30default_config_static_selectorELNS0_4arch9wavefront6targetE0EEEvT1_ ; -- Begin function _ZN7rocprim17ROCPRIM_400000_NS6detail17trampoline_kernelINS0_14default_configENS1_25partition_config_selectorILNS1_17partition_subalgoE9EddbEEZZNS1_14partition_implILS5_9ELb0ES3_jN6thrust23THRUST_200600_302600_NS6detail15normal_iteratorINS9_10device_ptrIdEEEESE_PNS0_10empty_typeENS0_5tupleIJSE_SF_EEENSH_IJSE_SG_EEENS0_18inequality_wrapperI22is_equal_div_10_uniqueIdEEEPmJSF_EEE10hipError_tPvRmT3_T4_T5_T6_T7_T9_mT8_P12ihipStream_tbDpT10_ENKUlT_T0_E_clISt17integral_constantIbLb0EES17_IbLb1EEEEDaS13_S14_EUlS13_E_NS1_11comp_targetILNS1_3genE3ELNS1_11target_archE908ELNS1_3gpuE7ELNS1_3repE0EEENS1_30default_config_static_selectorELNS0_4arch9wavefront6targetE0EEEvT1_
	.globl	_ZN7rocprim17ROCPRIM_400000_NS6detail17trampoline_kernelINS0_14default_configENS1_25partition_config_selectorILNS1_17partition_subalgoE9EddbEEZZNS1_14partition_implILS5_9ELb0ES3_jN6thrust23THRUST_200600_302600_NS6detail15normal_iteratorINS9_10device_ptrIdEEEESE_PNS0_10empty_typeENS0_5tupleIJSE_SF_EEENSH_IJSE_SG_EEENS0_18inequality_wrapperI22is_equal_div_10_uniqueIdEEEPmJSF_EEE10hipError_tPvRmT3_T4_T5_T6_T7_T9_mT8_P12ihipStream_tbDpT10_ENKUlT_T0_E_clISt17integral_constantIbLb0EES17_IbLb1EEEEDaS13_S14_EUlS13_E_NS1_11comp_targetILNS1_3genE3ELNS1_11target_archE908ELNS1_3gpuE7ELNS1_3repE0EEENS1_30default_config_static_selectorELNS0_4arch9wavefront6targetE0EEEvT1_
	.p2align	8
	.type	_ZN7rocprim17ROCPRIM_400000_NS6detail17trampoline_kernelINS0_14default_configENS1_25partition_config_selectorILNS1_17partition_subalgoE9EddbEEZZNS1_14partition_implILS5_9ELb0ES3_jN6thrust23THRUST_200600_302600_NS6detail15normal_iteratorINS9_10device_ptrIdEEEESE_PNS0_10empty_typeENS0_5tupleIJSE_SF_EEENSH_IJSE_SG_EEENS0_18inequality_wrapperI22is_equal_div_10_uniqueIdEEEPmJSF_EEE10hipError_tPvRmT3_T4_T5_T6_T7_T9_mT8_P12ihipStream_tbDpT10_ENKUlT_T0_E_clISt17integral_constantIbLb0EES17_IbLb1EEEEDaS13_S14_EUlS13_E_NS1_11comp_targetILNS1_3genE3ELNS1_11target_archE908ELNS1_3gpuE7ELNS1_3repE0EEENS1_30default_config_static_selectorELNS0_4arch9wavefront6targetE0EEEvT1_,@function
_ZN7rocprim17ROCPRIM_400000_NS6detail17trampoline_kernelINS0_14default_configENS1_25partition_config_selectorILNS1_17partition_subalgoE9EddbEEZZNS1_14partition_implILS5_9ELb0ES3_jN6thrust23THRUST_200600_302600_NS6detail15normal_iteratorINS9_10device_ptrIdEEEESE_PNS0_10empty_typeENS0_5tupleIJSE_SF_EEENSH_IJSE_SG_EEENS0_18inequality_wrapperI22is_equal_div_10_uniqueIdEEEPmJSF_EEE10hipError_tPvRmT3_T4_T5_T6_T7_T9_mT8_P12ihipStream_tbDpT10_ENKUlT_T0_E_clISt17integral_constantIbLb0EES17_IbLb1EEEEDaS13_S14_EUlS13_E_NS1_11comp_targetILNS1_3genE3ELNS1_11target_archE908ELNS1_3gpuE7ELNS1_3repE0EEENS1_30default_config_static_selectorELNS0_4arch9wavefront6targetE0EEEvT1_: ; @_ZN7rocprim17ROCPRIM_400000_NS6detail17trampoline_kernelINS0_14default_configENS1_25partition_config_selectorILNS1_17partition_subalgoE9EddbEEZZNS1_14partition_implILS5_9ELb0ES3_jN6thrust23THRUST_200600_302600_NS6detail15normal_iteratorINS9_10device_ptrIdEEEESE_PNS0_10empty_typeENS0_5tupleIJSE_SF_EEENSH_IJSE_SG_EEENS0_18inequality_wrapperI22is_equal_div_10_uniqueIdEEEPmJSF_EEE10hipError_tPvRmT3_T4_T5_T6_T7_T9_mT8_P12ihipStream_tbDpT10_ENKUlT_T0_E_clISt17integral_constantIbLb0EES17_IbLb1EEEEDaS13_S14_EUlS13_E_NS1_11comp_targetILNS1_3genE3ELNS1_11target_archE908ELNS1_3gpuE7ELNS1_3repE0EEENS1_30default_config_static_selectorELNS0_4arch9wavefront6targetE0EEEvT1_
; %bb.0:
	.section	.rodata,"a",@progbits
	.p2align	6, 0x0
	.amdhsa_kernel _ZN7rocprim17ROCPRIM_400000_NS6detail17trampoline_kernelINS0_14default_configENS1_25partition_config_selectorILNS1_17partition_subalgoE9EddbEEZZNS1_14partition_implILS5_9ELb0ES3_jN6thrust23THRUST_200600_302600_NS6detail15normal_iteratorINS9_10device_ptrIdEEEESE_PNS0_10empty_typeENS0_5tupleIJSE_SF_EEENSH_IJSE_SG_EEENS0_18inequality_wrapperI22is_equal_div_10_uniqueIdEEEPmJSF_EEE10hipError_tPvRmT3_T4_T5_T6_T7_T9_mT8_P12ihipStream_tbDpT10_ENKUlT_T0_E_clISt17integral_constantIbLb0EES17_IbLb1EEEEDaS13_S14_EUlS13_E_NS1_11comp_targetILNS1_3genE3ELNS1_11target_archE908ELNS1_3gpuE7ELNS1_3repE0EEENS1_30default_config_static_selectorELNS0_4arch9wavefront6targetE0EEEvT1_
		.amdhsa_group_segment_fixed_size 0
		.amdhsa_private_segment_fixed_size 0
		.amdhsa_kernarg_size 128
		.amdhsa_user_sgpr_count 15
		.amdhsa_user_sgpr_dispatch_ptr 0
		.amdhsa_user_sgpr_queue_ptr 0
		.amdhsa_user_sgpr_kernarg_segment_ptr 1
		.amdhsa_user_sgpr_dispatch_id 0
		.amdhsa_user_sgpr_private_segment_size 0
		.amdhsa_wavefront_size32 1
		.amdhsa_uses_dynamic_stack 0
		.amdhsa_enable_private_segment 0
		.amdhsa_system_sgpr_workgroup_id_x 1
		.amdhsa_system_sgpr_workgroup_id_y 0
		.amdhsa_system_sgpr_workgroup_id_z 0
		.amdhsa_system_sgpr_workgroup_info 0
		.amdhsa_system_vgpr_workitem_id 0
		.amdhsa_next_free_vgpr 1
		.amdhsa_next_free_sgpr 1
		.amdhsa_reserve_vcc 0
		.amdhsa_float_round_mode_32 0
		.amdhsa_float_round_mode_16_64 0
		.amdhsa_float_denorm_mode_32 3
		.amdhsa_float_denorm_mode_16_64 3
		.amdhsa_dx10_clamp 1
		.amdhsa_ieee_mode 1
		.amdhsa_fp16_overflow 0
		.amdhsa_workgroup_processor_mode 1
		.amdhsa_memory_ordered 1
		.amdhsa_forward_progress 0
		.amdhsa_shared_vgpr_count 0
		.amdhsa_exception_fp_ieee_invalid_op 0
		.amdhsa_exception_fp_denorm_src 0
		.amdhsa_exception_fp_ieee_div_zero 0
		.amdhsa_exception_fp_ieee_overflow 0
		.amdhsa_exception_fp_ieee_underflow 0
		.amdhsa_exception_fp_ieee_inexact 0
		.amdhsa_exception_int_div_zero 0
	.end_amdhsa_kernel
	.section	.text._ZN7rocprim17ROCPRIM_400000_NS6detail17trampoline_kernelINS0_14default_configENS1_25partition_config_selectorILNS1_17partition_subalgoE9EddbEEZZNS1_14partition_implILS5_9ELb0ES3_jN6thrust23THRUST_200600_302600_NS6detail15normal_iteratorINS9_10device_ptrIdEEEESE_PNS0_10empty_typeENS0_5tupleIJSE_SF_EEENSH_IJSE_SG_EEENS0_18inequality_wrapperI22is_equal_div_10_uniqueIdEEEPmJSF_EEE10hipError_tPvRmT3_T4_T5_T6_T7_T9_mT8_P12ihipStream_tbDpT10_ENKUlT_T0_E_clISt17integral_constantIbLb0EES17_IbLb1EEEEDaS13_S14_EUlS13_E_NS1_11comp_targetILNS1_3genE3ELNS1_11target_archE908ELNS1_3gpuE7ELNS1_3repE0EEENS1_30default_config_static_selectorELNS0_4arch9wavefront6targetE0EEEvT1_,"axG",@progbits,_ZN7rocprim17ROCPRIM_400000_NS6detail17trampoline_kernelINS0_14default_configENS1_25partition_config_selectorILNS1_17partition_subalgoE9EddbEEZZNS1_14partition_implILS5_9ELb0ES3_jN6thrust23THRUST_200600_302600_NS6detail15normal_iteratorINS9_10device_ptrIdEEEESE_PNS0_10empty_typeENS0_5tupleIJSE_SF_EEENSH_IJSE_SG_EEENS0_18inequality_wrapperI22is_equal_div_10_uniqueIdEEEPmJSF_EEE10hipError_tPvRmT3_T4_T5_T6_T7_T9_mT8_P12ihipStream_tbDpT10_ENKUlT_T0_E_clISt17integral_constantIbLb0EES17_IbLb1EEEEDaS13_S14_EUlS13_E_NS1_11comp_targetILNS1_3genE3ELNS1_11target_archE908ELNS1_3gpuE7ELNS1_3repE0EEENS1_30default_config_static_selectorELNS0_4arch9wavefront6targetE0EEEvT1_,comdat
.Lfunc_end74:
	.size	_ZN7rocprim17ROCPRIM_400000_NS6detail17trampoline_kernelINS0_14default_configENS1_25partition_config_selectorILNS1_17partition_subalgoE9EddbEEZZNS1_14partition_implILS5_9ELb0ES3_jN6thrust23THRUST_200600_302600_NS6detail15normal_iteratorINS9_10device_ptrIdEEEESE_PNS0_10empty_typeENS0_5tupleIJSE_SF_EEENSH_IJSE_SG_EEENS0_18inequality_wrapperI22is_equal_div_10_uniqueIdEEEPmJSF_EEE10hipError_tPvRmT3_T4_T5_T6_T7_T9_mT8_P12ihipStream_tbDpT10_ENKUlT_T0_E_clISt17integral_constantIbLb0EES17_IbLb1EEEEDaS13_S14_EUlS13_E_NS1_11comp_targetILNS1_3genE3ELNS1_11target_archE908ELNS1_3gpuE7ELNS1_3repE0EEENS1_30default_config_static_selectorELNS0_4arch9wavefront6targetE0EEEvT1_, .Lfunc_end74-_ZN7rocprim17ROCPRIM_400000_NS6detail17trampoline_kernelINS0_14default_configENS1_25partition_config_selectorILNS1_17partition_subalgoE9EddbEEZZNS1_14partition_implILS5_9ELb0ES3_jN6thrust23THRUST_200600_302600_NS6detail15normal_iteratorINS9_10device_ptrIdEEEESE_PNS0_10empty_typeENS0_5tupleIJSE_SF_EEENSH_IJSE_SG_EEENS0_18inequality_wrapperI22is_equal_div_10_uniqueIdEEEPmJSF_EEE10hipError_tPvRmT3_T4_T5_T6_T7_T9_mT8_P12ihipStream_tbDpT10_ENKUlT_T0_E_clISt17integral_constantIbLb0EES17_IbLb1EEEEDaS13_S14_EUlS13_E_NS1_11comp_targetILNS1_3genE3ELNS1_11target_archE908ELNS1_3gpuE7ELNS1_3repE0EEENS1_30default_config_static_selectorELNS0_4arch9wavefront6targetE0EEEvT1_
                                        ; -- End function
	.section	.AMDGPU.csdata,"",@progbits
; Kernel info:
; codeLenInByte = 0
; NumSgprs: 0
; NumVgprs: 0
; ScratchSize: 0
; MemoryBound: 0
; FloatMode: 240
; IeeeMode: 1
; LDSByteSize: 0 bytes/workgroup (compile time only)
; SGPRBlocks: 0
; VGPRBlocks: 0
; NumSGPRsForWavesPerEU: 1
; NumVGPRsForWavesPerEU: 1
; Occupancy: 16
; WaveLimiterHint : 0
; COMPUTE_PGM_RSRC2:SCRATCH_EN: 0
; COMPUTE_PGM_RSRC2:USER_SGPR: 15
; COMPUTE_PGM_RSRC2:TRAP_HANDLER: 0
; COMPUTE_PGM_RSRC2:TGID_X_EN: 1
; COMPUTE_PGM_RSRC2:TGID_Y_EN: 0
; COMPUTE_PGM_RSRC2:TGID_Z_EN: 0
; COMPUTE_PGM_RSRC2:TIDIG_COMP_CNT: 0
	.section	.text._ZN7rocprim17ROCPRIM_400000_NS6detail17trampoline_kernelINS0_14default_configENS1_25partition_config_selectorILNS1_17partition_subalgoE9EddbEEZZNS1_14partition_implILS5_9ELb0ES3_jN6thrust23THRUST_200600_302600_NS6detail15normal_iteratorINS9_10device_ptrIdEEEESE_PNS0_10empty_typeENS0_5tupleIJSE_SF_EEENSH_IJSE_SG_EEENS0_18inequality_wrapperI22is_equal_div_10_uniqueIdEEEPmJSF_EEE10hipError_tPvRmT3_T4_T5_T6_T7_T9_mT8_P12ihipStream_tbDpT10_ENKUlT_T0_E_clISt17integral_constantIbLb0EES17_IbLb1EEEEDaS13_S14_EUlS13_E_NS1_11comp_targetILNS1_3genE2ELNS1_11target_archE906ELNS1_3gpuE6ELNS1_3repE0EEENS1_30default_config_static_selectorELNS0_4arch9wavefront6targetE0EEEvT1_,"axG",@progbits,_ZN7rocprim17ROCPRIM_400000_NS6detail17trampoline_kernelINS0_14default_configENS1_25partition_config_selectorILNS1_17partition_subalgoE9EddbEEZZNS1_14partition_implILS5_9ELb0ES3_jN6thrust23THRUST_200600_302600_NS6detail15normal_iteratorINS9_10device_ptrIdEEEESE_PNS0_10empty_typeENS0_5tupleIJSE_SF_EEENSH_IJSE_SG_EEENS0_18inequality_wrapperI22is_equal_div_10_uniqueIdEEEPmJSF_EEE10hipError_tPvRmT3_T4_T5_T6_T7_T9_mT8_P12ihipStream_tbDpT10_ENKUlT_T0_E_clISt17integral_constantIbLb0EES17_IbLb1EEEEDaS13_S14_EUlS13_E_NS1_11comp_targetILNS1_3genE2ELNS1_11target_archE906ELNS1_3gpuE6ELNS1_3repE0EEENS1_30default_config_static_selectorELNS0_4arch9wavefront6targetE0EEEvT1_,comdat
	.protected	_ZN7rocprim17ROCPRIM_400000_NS6detail17trampoline_kernelINS0_14default_configENS1_25partition_config_selectorILNS1_17partition_subalgoE9EddbEEZZNS1_14partition_implILS5_9ELb0ES3_jN6thrust23THRUST_200600_302600_NS6detail15normal_iteratorINS9_10device_ptrIdEEEESE_PNS0_10empty_typeENS0_5tupleIJSE_SF_EEENSH_IJSE_SG_EEENS0_18inequality_wrapperI22is_equal_div_10_uniqueIdEEEPmJSF_EEE10hipError_tPvRmT3_T4_T5_T6_T7_T9_mT8_P12ihipStream_tbDpT10_ENKUlT_T0_E_clISt17integral_constantIbLb0EES17_IbLb1EEEEDaS13_S14_EUlS13_E_NS1_11comp_targetILNS1_3genE2ELNS1_11target_archE906ELNS1_3gpuE6ELNS1_3repE0EEENS1_30default_config_static_selectorELNS0_4arch9wavefront6targetE0EEEvT1_ ; -- Begin function _ZN7rocprim17ROCPRIM_400000_NS6detail17trampoline_kernelINS0_14default_configENS1_25partition_config_selectorILNS1_17partition_subalgoE9EddbEEZZNS1_14partition_implILS5_9ELb0ES3_jN6thrust23THRUST_200600_302600_NS6detail15normal_iteratorINS9_10device_ptrIdEEEESE_PNS0_10empty_typeENS0_5tupleIJSE_SF_EEENSH_IJSE_SG_EEENS0_18inequality_wrapperI22is_equal_div_10_uniqueIdEEEPmJSF_EEE10hipError_tPvRmT3_T4_T5_T6_T7_T9_mT8_P12ihipStream_tbDpT10_ENKUlT_T0_E_clISt17integral_constantIbLb0EES17_IbLb1EEEEDaS13_S14_EUlS13_E_NS1_11comp_targetILNS1_3genE2ELNS1_11target_archE906ELNS1_3gpuE6ELNS1_3repE0EEENS1_30default_config_static_selectorELNS0_4arch9wavefront6targetE0EEEvT1_
	.globl	_ZN7rocprim17ROCPRIM_400000_NS6detail17trampoline_kernelINS0_14default_configENS1_25partition_config_selectorILNS1_17partition_subalgoE9EddbEEZZNS1_14partition_implILS5_9ELb0ES3_jN6thrust23THRUST_200600_302600_NS6detail15normal_iteratorINS9_10device_ptrIdEEEESE_PNS0_10empty_typeENS0_5tupleIJSE_SF_EEENSH_IJSE_SG_EEENS0_18inequality_wrapperI22is_equal_div_10_uniqueIdEEEPmJSF_EEE10hipError_tPvRmT3_T4_T5_T6_T7_T9_mT8_P12ihipStream_tbDpT10_ENKUlT_T0_E_clISt17integral_constantIbLb0EES17_IbLb1EEEEDaS13_S14_EUlS13_E_NS1_11comp_targetILNS1_3genE2ELNS1_11target_archE906ELNS1_3gpuE6ELNS1_3repE0EEENS1_30default_config_static_selectorELNS0_4arch9wavefront6targetE0EEEvT1_
	.p2align	8
	.type	_ZN7rocprim17ROCPRIM_400000_NS6detail17trampoline_kernelINS0_14default_configENS1_25partition_config_selectorILNS1_17partition_subalgoE9EddbEEZZNS1_14partition_implILS5_9ELb0ES3_jN6thrust23THRUST_200600_302600_NS6detail15normal_iteratorINS9_10device_ptrIdEEEESE_PNS0_10empty_typeENS0_5tupleIJSE_SF_EEENSH_IJSE_SG_EEENS0_18inequality_wrapperI22is_equal_div_10_uniqueIdEEEPmJSF_EEE10hipError_tPvRmT3_T4_T5_T6_T7_T9_mT8_P12ihipStream_tbDpT10_ENKUlT_T0_E_clISt17integral_constantIbLb0EES17_IbLb1EEEEDaS13_S14_EUlS13_E_NS1_11comp_targetILNS1_3genE2ELNS1_11target_archE906ELNS1_3gpuE6ELNS1_3repE0EEENS1_30default_config_static_selectorELNS0_4arch9wavefront6targetE0EEEvT1_,@function
_ZN7rocprim17ROCPRIM_400000_NS6detail17trampoline_kernelINS0_14default_configENS1_25partition_config_selectorILNS1_17partition_subalgoE9EddbEEZZNS1_14partition_implILS5_9ELb0ES3_jN6thrust23THRUST_200600_302600_NS6detail15normal_iteratorINS9_10device_ptrIdEEEESE_PNS0_10empty_typeENS0_5tupleIJSE_SF_EEENSH_IJSE_SG_EEENS0_18inequality_wrapperI22is_equal_div_10_uniqueIdEEEPmJSF_EEE10hipError_tPvRmT3_T4_T5_T6_T7_T9_mT8_P12ihipStream_tbDpT10_ENKUlT_T0_E_clISt17integral_constantIbLb0EES17_IbLb1EEEEDaS13_S14_EUlS13_E_NS1_11comp_targetILNS1_3genE2ELNS1_11target_archE906ELNS1_3gpuE6ELNS1_3repE0EEENS1_30default_config_static_selectorELNS0_4arch9wavefront6targetE0EEEvT1_: ; @_ZN7rocprim17ROCPRIM_400000_NS6detail17trampoline_kernelINS0_14default_configENS1_25partition_config_selectorILNS1_17partition_subalgoE9EddbEEZZNS1_14partition_implILS5_9ELb0ES3_jN6thrust23THRUST_200600_302600_NS6detail15normal_iteratorINS9_10device_ptrIdEEEESE_PNS0_10empty_typeENS0_5tupleIJSE_SF_EEENSH_IJSE_SG_EEENS0_18inequality_wrapperI22is_equal_div_10_uniqueIdEEEPmJSF_EEE10hipError_tPvRmT3_T4_T5_T6_T7_T9_mT8_P12ihipStream_tbDpT10_ENKUlT_T0_E_clISt17integral_constantIbLb0EES17_IbLb1EEEEDaS13_S14_EUlS13_E_NS1_11comp_targetILNS1_3genE2ELNS1_11target_archE906ELNS1_3gpuE6ELNS1_3repE0EEENS1_30default_config_static_selectorELNS0_4arch9wavefront6targetE0EEEvT1_
; %bb.0:
	.section	.rodata,"a",@progbits
	.p2align	6, 0x0
	.amdhsa_kernel _ZN7rocprim17ROCPRIM_400000_NS6detail17trampoline_kernelINS0_14default_configENS1_25partition_config_selectorILNS1_17partition_subalgoE9EddbEEZZNS1_14partition_implILS5_9ELb0ES3_jN6thrust23THRUST_200600_302600_NS6detail15normal_iteratorINS9_10device_ptrIdEEEESE_PNS0_10empty_typeENS0_5tupleIJSE_SF_EEENSH_IJSE_SG_EEENS0_18inequality_wrapperI22is_equal_div_10_uniqueIdEEEPmJSF_EEE10hipError_tPvRmT3_T4_T5_T6_T7_T9_mT8_P12ihipStream_tbDpT10_ENKUlT_T0_E_clISt17integral_constantIbLb0EES17_IbLb1EEEEDaS13_S14_EUlS13_E_NS1_11comp_targetILNS1_3genE2ELNS1_11target_archE906ELNS1_3gpuE6ELNS1_3repE0EEENS1_30default_config_static_selectorELNS0_4arch9wavefront6targetE0EEEvT1_
		.amdhsa_group_segment_fixed_size 0
		.amdhsa_private_segment_fixed_size 0
		.amdhsa_kernarg_size 128
		.amdhsa_user_sgpr_count 15
		.amdhsa_user_sgpr_dispatch_ptr 0
		.amdhsa_user_sgpr_queue_ptr 0
		.amdhsa_user_sgpr_kernarg_segment_ptr 1
		.amdhsa_user_sgpr_dispatch_id 0
		.amdhsa_user_sgpr_private_segment_size 0
		.amdhsa_wavefront_size32 1
		.amdhsa_uses_dynamic_stack 0
		.amdhsa_enable_private_segment 0
		.amdhsa_system_sgpr_workgroup_id_x 1
		.amdhsa_system_sgpr_workgroup_id_y 0
		.amdhsa_system_sgpr_workgroup_id_z 0
		.amdhsa_system_sgpr_workgroup_info 0
		.amdhsa_system_vgpr_workitem_id 0
		.amdhsa_next_free_vgpr 1
		.amdhsa_next_free_sgpr 1
		.amdhsa_reserve_vcc 0
		.amdhsa_float_round_mode_32 0
		.amdhsa_float_round_mode_16_64 0
		.amdhsa_float_denorm_mode_32 3
		.amdhsa_float_denorm_mode_16_64 3
		.amdhsa_dx10_clamp 1
		.amdhsa_ieee_mode 1
		.amdhsa_fp16_overflow 0
		.amdhsa_workgroup_processor_mode 1
		.amdhsa_memory_ordered 1
		.amdhsa_forward_progress 0
		.amdhsa_shared_vgpr_count 0
		.amdhsa_exception_fp_ieee_invalid_op 0
		.amdhsa_exception_fp_denorm_src 0
		.amdhsa_exception_fp_ieee_div_zero 0
		.amdhsa_exception_fp_ieee_overflow 0
		.amdhsa_exception_fp_ieee_underflow 0
		.amdhsa_exception_fp_ieee_inexact 0
		.amdhsa_exception_int_div_zero 0
	.end_amdhsa_kernel
	.section	.text._ZN7rocprim17ROCPRIM_400000_NS6detail17trampoline_kernelINS0_14default_configENS1_25partition_config_selectorILNS1_17partition_subalgoE9EddbEEZZNS1_14partition_implILS5_9ELb0ES3_jN6thrust23THRUST_200600_302600_NS6detail15normal_iteratorINS9_10device_ptrIdEEEESE_PNS0_10empty_typeENS0_5tupleIJSE_SF_EEENSH_IJSE_SG_EEENS0_18inequality_wrapperI22is_equal_div_10_uniqueIdEEEPmJSF_EEE10hipError_tPvRmT3_T4_T5_T6_T7_T9_mT8_P12ihipStream_tbDpT10_ENKUlT_T0_E_clISt17integral_constantIbLb0EES17_IbLb1EEEEDaS13_S14_EUlS13_E_NS1_11comp_targetILNS1_3genE2ELNS1_11target_archE906ELNS1_3gpuE6ELNS1_3repE0EEENS1_30default_config_static_selectorELNS0_4arch9wavefront6targetE0EEEvT1_,"axG",@progbits,_ZN7rocprim17ROCPRIM_400000_NS6detail17trampoline_kernelINS0_14default_configENS1_25partition_config_selectorILNS1_17partition_subalgoE9EddbEEZZNS1_14partition_implILS5_9ELb0ES3_jN6thrust23THRUST_200600_302600_NS6detail15normal_iteratorINS9_10device_ptrIdEEEESE_PNS0_10empty_typeENS0_5tupleIJSE_SF_EEENSH_IJSE_SG_EEENS0_18inequality_wrapperI22is_equal_div_10_uniqueIdEEEPmJSF_EEE10hipError_tPvRmT3_T4_T5_T6_T7_T9_mT8_P12ihipStream_tbDpT10_ENKUlT_T0_E_clISt17integral_constantIbLb0EES17_IbLb1EEEEDaS13_S14_EUlS13_E_NS1_11comp_targetILNS1_3genE2ELNS1_11target_archE906ELNS1_3gpuE6ELNS1_3repE0EEENS1_30default_config_static_selectorELNS0_4arch9wavefront6targetE0EEEvT1_,comdat
.Lfunc_end75:
	.size	_ZN7rocprim17ROCPRIM_400000_NS6detail17trampoline_kernelINS0_14default_configENS1_25partition_config_selectorILNS1_17partition_subalgoE9EddbEEZZNS1_14partition_implILS5_9ELb0ES3_jN6thrust23THRUST_200600_302600_NS6detail15normal_iteratorINS9_10device_ptrIdEEEESE_PNS0_10empty_typeENS0_5tupleIJSE_SF_EEENSH_IJSE_SG_EEENS0_18inequality_wrapperI22is_equal_div_10_uniqueIdEEEPmJSF_EEE10hipError_tPvRmT3_T4_T5_T6_T7_T9_mT8_P12ihipStream_tbDpT10_ENKUlT_T0_E_clISt17integral_constantIbLb0EES17_IbLb1EEEEDaS13_S14_EUlS13_E_NS1_11comp_targetILNS1_3genE2ELNS1_11target_archE906ELNS1_3gpuE6ELNS1_3repE0EEENS1_30default_config_static_selectorELNS0_4arch9wavefront6targetE0EEEvT1_, .Lfunc_end75-_ZN7rocprim17ROCPRIM_400000_NS6detail17trampoline_kernelINS0_14default_configENS1_25partition_config_selectorILNS1_17partition_subalgoE9EddbEEZZNS1_14partition_implILS5_9ELb0ES3_jN6thrust23THRUST_200600_302600_NS6detail15normal_iteratorINS9_10device_ptrIdEEEESE_PNS0_10empty_typeENS0_5tupleIJSE_SF_EEENSH_IJSE_SG_EEENS0_18inequality_wrapperI22is_equal_div_10_uniqueIdEEEPmJSF_EEE10hipError_tPvRmT3_T4_T5_T6_T7_T9_mT8_P12ihipStream_tbDpT10_ENKUlT_T0_E_clISt17integral_constantIbLb0EES17_IbLb1EEEEDaS13_S14_EUlS13_E_NS1_11comp_targetILNS1_3genE2ELNS1_11target_archE906ELNS1_3gpuE6ELNS1_3repE0EEENS1_30default_config_static_selectorELNS0_4arch9wavefront6targetE0EEEvT1_
                                        ; -- End function
	.section	.AMDGPU.csdata,"",@progbits
; Kernel info:
; codeLenInByte = 0
; NumSgprs: 0
; NumVgprs: 0
; ScratchSize: 0
; MemoryBound: 0
; FloatMode: 240
; IeeeMode: 1
; LDSByteSize: 0 bytes/workgroup (compile time only)
; SGPRBlocks: 0
; VGPRBlocks: 0
; NumSGPRsForWavesPerEU: 1
; NumVGPRsForWavesPerEU: 1
; Occupancy: 16
; WaveLimiterHint : 0
; COMPUTE_PGM_RSRC2:SCRATCH_EN: 0
; COMPUTE_PGM_RSRC2:USER_SGPR: 15
; COMPUTE_PGM_RSRC2:TRAP_HANDLER: 0
; COMPUTE_PGM_RSRC2:TGID_X_EN: 1
; COMPUTE_PGM_RSRC2:TGID_Y_EN: 0
; COMPUTE_PGM_RSRC2:TGID_Z_EN: 0
; COMPUTE_PGM_RSRC2:TIDIG_COMP_CNT: 0
	.section	.text._ZN7rocprim17ROCPRIM_400000_NS6detail17trampoline_kernelINS0_14default_configENS1_25partition_config_selectorILNS1_17partition_subalgoE9EddbEEZZNS1_14partition_implILS5_9ELb0ES3_jN6thrust23THRUST_200600_302600_NS6detail15normal_iteratorINS9_10device_ptrIdEEEESE_PNS0_10empty_typeENS0_5tupleIJSE_SF_EEENSH_IJSE_SG_EEENS0_18inequality_wrapperI22is_equal_div_10_uniqueIdEEEPmJSF_EEE10hipError_tPvRmT3_T4_T5_T6_T7_T9_mT8_P12ihipStream_tbDpT10_ENKUlT_T0_E_clISt17integral_constantIbLb0EES17_IbLb1EEEEDaS13_S14_EUlS13_E_NS1_11comp_targetILNS1_3genE10ELNS1_11target_archE1200ELNS1_3gpuE4ELNS1_3repE0EEENS1_30default_config_static_selectorELNS0_4arch9wavefront6targetE0EEEvT1_,"axG",@progbits,_ZN7rocprim17ROCPRIM_400000_NS6detail17trampoline_kernelINS0_14default_configENS1_25partition_config_selectorILNS1_17partition_subalgoE9EddbEEZZNS1_14partition_implILS5_9ELb0ES3_jN6thrust23THRUST_200600_302600_NS6detail15normal_iteratorINS9_10device_ptrIdEEEESE_PNS0_10empty_typeENS0_5tupleIJSE_SF_EEENSH_IJSE_SG_EEENS0_18inequality_wrapperI22is_equal_div_10_uniqueIdEEEPmJSF_EEE10hipError_tPvRmT3_T4_T5_T6_T7_T9_mT8_P12ihipStream_tbDpT10_ENKUlT_T0_E_clISt17integral_constantIbLb0EES17_IbLb1EEEEDaS13_S14_EUlS13_E_NS1_11comp_targetILNS1_3genE10ELNS1_11target_archE1200ELNS1_3gpuE4ELNS1_3repE0EEENS1_30default_config_static_selectorELNS0_4arch9wavefront6targetE0EEEvT1_,comdat
	.protected	_ZN7rocprim17ROCPRIM_400000_NS6detail17trampoline_kernelINS0_14default_configENS1_25partition_config_selectorILNS1_17partition_subalgoE9EddbEEZZNS1_14partition_implILS5_9ELb0ES3_jN6thrust23THRUST_200600_302600_NS6detail15normal_iteratorINS9_10device_ptrIdEEEESE_PNS0_10empty_typeENS0_5tupleIJSE_SF_EEENSH_IJSE_SG_EEENS0_18inequality_wrapperI22is_equal_div_10_uniqueIdEEEPmJSF_EEE10hipError_tPvRmT3_T4_T5_T6_T7_T9_mT8_P12ihipStream_tbDpT10_ENKUlT_T0_E_clISt17integral_constantIbLb0EES17_IbLb1EEEEDaS13_S14_EUlS13_E_NS1_11comp_targetILNS1_3genE10ELNS1_11target_archE1200ELNS1_3gpuE4ELNS1_3repE0EEENS1_30default_config_static_selectorELNS0_4arch9wavefront6targetE0EEEvT1_ ; -- Begin function _ZN7rocprim17ROCPRIM_400000_NS6detail17trampoline_kernelINS0_14default_configENS1_25partition_config_selectorILNS1_17partition_subalgoE9EddbEEZZNS1_14partition_implILS5_9ELb0ES3_jN6thrust23THRUST_200600_302600_NS6detail15normal_iteratorINS9_10device_ptrIdEEEESE_PNS0_10empty_typeENS0_5tupleIJSE_SF_EEENSH_IJSE_SG_EEENS0_18inequality_wrapperI22is_equal_div_10_uniqueIdEEEPmJSF_EEE10hipError_tPvRmT3_T4_T5_T6_T7_T9_mT8_P12ihipStream_tbDpT10_ENKUlT_T0_E_clISt17integral_constantIbLb0EES17_IbLb1EEEEDaS13_S14_EUlS13_E_NS1_11comp_targetILNS1_3genE10ELNS1_11target_archE1200ELNS1_3gpuE4ELNS1_3repE0EEENS1_30default_config_static_selectorELNS0_4arch9wavefront6targetE0EEEvT1_
	.globl	_ZN7rocprim17ROCPRIM_400000_NS6detail17trampoline_kernelINS0_14default_configENS1_25partition_config_selectorILNS1_17partition_subalgoE9EddbEEZZNS1_14partition_implILS5_9ELb0ES3_jN6thrust23THRUST_200600_302600_NS6detail15normal_iteratorINS9_10device_ptrIdEEEESE_PNS0_10empty_typeENS0_5tupleIJSE_SF_EEENSH_IJSE_SG_EEENS0_18inequality_wrapperI22is_equal_div_10_uniqueIdEEEPmJSF_EEE10hipError_tPvRmT3_T4_T5_T6_T7_T9_mT8_P12ihipStream_tbDpT10_ENKUlT_T0_E_clISt17integral_constantIbLb0EES17_IbLb1EEEEDaS13_S14_EUlS13_E_NS1_11comp_targetILNS1_3genE10ELNS1_11target_archE1200ELNS1_3gpuE4ELNS1_3repE0EEENS1_30default_config_static_selectorELNS0_4arch9wavefront6targetE0EEEvT1_
	.p2align	8
	.type	_ZN7rocprim17ROCPRIM_400000_NS6detail17trampoline_kernelINS0_14default_configENS1_25partition_config_selectorILNS1_17partition_subalgoE9EddbEEZZNS1_14partition_implILS5_9ELb0ES3_jN6thrust23THRUST_200600_302600_NS6detail15normal_iteratorINS9_10device_ptrIdEEEESE_PNS0_10empty_typeENS0_5tupleIJSE_SF_EEENSH_IJSE_SG_EEENS0_18inequality_wrapperI22is_equal_div_10_uniqueIdEEEPmJSF_EEE10hipError_tPvRmT3_T4_T5_T6_T7_T9_mT8_P12ihipStream_tbDpT10_ENKUlT_T0_E_clISt17integral_constantIbLb0EES17_IbLb1EEEEDaS13_S14_EUlS13_E_NS1_11comp_targetILNS1_3genE10ELNS1_11target_archE1200ELNS1_3gpuE4ELNS1_3repE0EEENS1_30default_config_static_selectorELNS0_4arch9wavefront6targetE0EEEvT1_,@function
_ZN7rocprim17ROCPRIM_400000_NS6detail17trampoline_kernelINS0_14default_configENS1_25partition_config_selectorILNS1_17partition_subalgoE9EddbEEZZNS1_14partition_implILS5_9ELb0ES3_jN6thrust23THRUST_200600_302600_NS6detail15normal_iteratorINS9_10device_ptrIdEEEESE_PNS0_10empty_typeENS0_5tupleIJSE_SF_EEENSH_IJSE_SG_EEENS0_18inequality_wrapperI22is_equal_div_10_uniqueIdEEEPmJSF_EEE10hipError_tPvRmT3_T4_T5_T6_T7_T9_mT8_P12ihipStream_tbDpT10_ENKUlT_T0_E_clISt17integral_constantIbLb0EES17_IbLb1EEEEDaS13_S14_EUlS13_E_NS1_11comp_targetILNS1_3genE10ELNS1_11target_archE1200ELNS1_3gpuE4ELNS1_3repE0EEENS1_30default_config_static_selectorELNS0_4arch9wavefront6targetE0EEEvT1_: ; @_ZN7rocprim17ROCPRIM_400000_NS6detail17trampoline_kernelINS0_14default_configENS1_25partition_config_selectorILNS1_17partition_subalgoE9EddbEEZZNS1_14partition_implILS5_9ELb0ES3_jN6thrust23THRUST_200600_302600_NS6detail15normal_iteratorINS9_10device_ptrIdEEEESE_PNS0_10empty_typeENS0_5tupleIJSE_SF_EEENSH_IJSE_SG_EEENS0_18inequality_wrapperI22is_equal_div_10_uniqueIdEEEPmJSF_EEE10hipError_tPvRmT3_T4_T5_T6_T7_T9_mT8_P12ihipStream_tbDpT10_ENKUlT_T0_E_clISt17integral_constantIbLb0EES17_IbLb1EEEEDaS13_S14_EUlS13_E_NS1_11comp_targetILNS1_3genE10ELNS1_11target_archE1200ELNS1_3gpuE4ELNS1_3repE0EEENS1_30default_config_static_selectorELNS0_4arch9wavefront6targetE0EEEvT1_
; %bb.0:
	.section	.rodata,"a",@progbits
	.p2align	6, 0x0
	.amdhsa_kernel _ZN7rocprim17ROCPRIM_400000_NS6detail17trampoline_kernelINS0_14default_configENS1_25partition_config_selectorILNS1_17partition_subalgoE9EddbEEZZNS1_14partition_implILS5_9ELb0ES3_jN6thrust23THRUST_200600_302600_NS6detail15normal_iteratorINS9_10device_ptrIdEEEESE_PNS0_10empty_typeENS0_5tupleIJSE_SF_EEENSH_IJSE_SG_EEENS0_18inequality_wrapperI22is_equal_div_10_uniqueIdEEEPmJSF_EEE10hipError_tPvRmT3_T4_T5_T6_T7_T9_mT8_P12ihipStream_tbDpT10_ENKUlT_T0_E_clISt17integral_constantIbLb0EES17_IbLb1EEEEDaS13_S14_EUlS13_E_NS1_11comp_targetILNS1_3genE10ELNS1_11target_archE1200ELNS1_3gpuE4ELNS1_3repE0EEENS1_30default_config_static_selectorELNS0_4arch9wavefront6targetE0EEEvT1_
		.amdhsa_group_segment_fixed_size 0
		.amdhsa_private_segment_fixed_size 0
		.amdhsa_kernarg_size 128
		.amdhsa_user_sgpr_count 15
		.amdhsa_user_sgpr_dispatch_ptr 0
		.amdhsa_user_sgpr_queue_ptr 0
		.amdhsa_user_sgpr_kernarg_segment_ptr 1
		.amdhsa_user_sgpr_dispatch_id 0
		.amdhsa_user_sgpr_private_segment_size 0
		.amdhsa_wavefront_size32 1
		.amdhsa_uses_dynamic_stack 0
		.amdhsa_enable_private_segment 0
		.amdhsa_system_sgpr_workgroup_id_x 1
		.amdhsa_system_sgpr_workgroup_id_y 0
		.amdhsa_system_sgpr_workgroup_id_z 0
		.amdhsa_system_sgpr_workgroup_info 0
		.amdhsa_system_vgpr_workitem_id 0
		.amdhsa_next_free_vgpr 1
		.amdhsa_next_free_sgpr 1
		.amdhsa_reserve_vcc 0
		.amdhsa_float_round_mode_32 0
		.amdhsa_float_round_mode_16_64 0
		.amdhsa_float_denorm_mode_32 3
		.amdhsa_float_denorm_mode_16_64 3
		.amdhsa_dx10_clamp 1
		.amdhsa_ieee_mode 1
		.amdhsa_fp16_overflow 0
		.amdhsa_workgroup_processor_mode 1
		.amdhsa_memory_ordered 1
		.amdhsa_forward_progress 0
		.amdhsa_shared_vgpr_count 0
		.amdhsa_exception_fp_ieee_invalid_op 0
		.amdhsa_exception_fp_denorm_src 0
		.amdhsa_exception_fp_ieee_div_zero 0
		.amdhsa_exception_fp_ieee_overflow 0
		.amdhsa_exception_fp_ieee_underflow 0
		.amdhsa_exception_fp_ieee_inexact 0
		.amdhsa_exception_int_div_zero 0
	.end_amdhsa_kernel
	.section	.text._ZN7rocprim17ROCPRIM_400000_NS6detail17trampoline_kernelINS0_14default_configENS1_25partition_config_selectorILNS1_17partition_subalgoE9EddbEEZZNS1_14partition_implILS5_9ELb0ES3_jN6thrust23THRUST_200600_302600_NS6detail15normal_iteratorINS9_10device_ptrIdEEEESE_PNS0_10empty_typeENS0_5tupleIJSE_SF_EEENSH_IJSE_SG_EEENS0_18inequality_wrapperI22is_equal_div_10_uniqueIdEEEPmJSF_EEE10hipError_tPvRmT3_T4_T5_T6_T7_T9_mT8_P12ihipStream_tbDpT10_ENKUlT_T0_E_clISt17integral_constantIbLb0EES17_IbLb1EEEEDaS13_S14_EUlS13_E_NS1_11comp_targetILNS1_3genE10ELNS1_11target_archE1200ELNS1_3gpuE4ELNS1_3repE0EEENS1_30default_config_static_selectorELNS0_4arch9wavefront6targetE0EEEvT1_,"axG",@progbits,_ZN7rocprim17ROCPRIM_400000_NS6detail17trampoline_kernelINS0_14default_configENS1_25partition_config_selectorILNS1_17partition_subalgoE9EddbEEZZNS1_14partition_implILS5_9ELb0ES3_jN6thrust23THRUST_200600_302600_NS6detail15normal_iteratorINS9_10device_ptrIdEEEESE_PNS0_10empty_typeENS0_5tupleIJSE_SF_EEENSH_IJSE_SG_EEENS0_18inequality_wrapperI22is_equal_div_10_uniqueIdEEEPmJSF_EEE10hipError_tPvRmT3_T4_T5_T6_T7_T9_mT8_P12ihipStream_tbDpT10_ENKUlT_T0_E_clISt17integral_constantIbLb0EES17_IbLb1EEEEDaS13_S14_EUlS13_E_NS1_11comp_targetILNS1_3genE10ELNS1_11target_archE1200ELNS1_3gpuE4ELNS1_3repE0EEENS1_30default_config_static_selectorELNS0_4arch9wavefront6targetE0EEEvT1_,comdat
.Lfunc_end76:
	.size	_ZN7rocprim17ROCPRIM_400000_NS6detail17trampoline_kernelINS0_14default_configENS1_25partition_config_selectorILNS1_17partition_subalgoE9EddbEEZZNS1_14partition_implILS5_9ELb0ES3_jN6thrust23THRUST_200600_302600_NS6detail15normal_iteratorINS9_10device_ptrIdEEEESE_PNS0_10empty_typeENS0_5tupleIJSE_SF_EEENSH_IJSE_SG_EEENS0_18inequality_wrapperI22is_equal_div_10_uniqueIdEEEPmJSF_EEE10hipError_tPvRmT3_T4_T5_T6_T7_T9_mT8_P12ihipStream_tbDpT10_ENKUlT_T0_E_clISt17integral_constantIbLb0EES17_IbLb1EEEEDaS13_S14_EUlS13_E_NS1_11comp_targetILNS1_3genE10ELNS1_11target_archE1200ELNS1_3gpuE4ELNS1_3repE0EEENS1_30default_config_static_selectorELNS0_4arch9wavefront6targetE0EEEvT1_, .Lfunc_end76-_ZN7rocprim17ROCPRIM_400000_NS6detail17trampoline_kernelINS0_14default_configENS1_25partition_config_selectorILNS1_17partition_subalgoE9EddbEEZZNS1_14partition_implILS5_9ELb0ES3_jN6thrust23THRUST_200600_302600_NS6detail15normal_iteratorINS9_10device_ptrIdEEEESE_PNS0_10empty_typeENS0_5tupleIJSE_SF_EEENSH_IJSE_SG_EEENS0_18inequality_wrapperI22is_equal_div_10_uniqueIdEEEPmJSF_EEE10hipError_tPvRmT3_T4_T5_T6_T7_T9_mT8_P12ihipStream_tbDpT10_ENKUlT_T0_E_clISt17integral_constantIbLb0EES17_IbLb1EEEEDaS13_S14_EUlS13_E_NS1_11comp_targetILNS1_3genE10ELNS1_11target_archE1200ELNS1_3gpuE4ELNS1_3repE0EEENS1_30default_config_static_selectorELNS0_4arch9wavefront6targetE0EEEvT1_
                                        ; -- End function
	.section	.AMDGPU.csdata,"",@progbits
; Kernel info:
; codeLenInByte = 0
; NumSgprs: 0
; NumVgprs: 0
; ScratchSize: 0
; MemoryBound: 0
; FloatMode: 240
; IeeeMode: 1
; LDSByteSize: 0 bytes/workgroup (compile time only)
; SGPRBlocks: 0
; VGPRBlocks: 0
; NumSGPRsForWavesPerEU: 1
; NumVGPRsForWavesPerEU: 1
; Occupancy: 15
; WaveLimiterHint : 0
; COMPUTE_PGM_RSRC2:SCRATCH_EN: 0
; COMPUTE_PGM_RSRC2:USER_SGPR: 15
; COMPUTE_PGM_RSRC2:TRAP_HANDLER: 0
; COMPUTE_PGM_RSRC2:TGID_X_EN: 1
; COMPUTE_PGM_RSRC2:TGID_Y_EN: 0
; COMPUTE_PGM_RSRC2:TGID_Z_EN: 0
; COMPUTE_PGM_RSRC2:TIDIG_COMP_CNT: 0
	.section	.text._ZN7rocprim17ROCPRIM_400000_NS6detail17trampoline_kernelINS0_14default_configENS1_25partition_config_selectorILNS1_17partition_subalgoE9EddbEEZZNS1_14partition_implILS5_9ELb0ES3_jN6thrust23THRUST_200600_302600_NS6detail15normal_iteratorINS9_10device_ptrIdEEEESE_PNS0_10empty_typeENS0_5tupleIJSE_SF_EEENSH_IJSE_SG_EEENS0_18inequality_wrapperI22is_equal_div_10_uniqueIdEEEPmJSF_EEE10hipError_tPvRmT3_T4_T5_T6_T7_T9_mT8_P12ihipStream_tbDpT10_ENKUlT_T0_E_clISt17integral_constantIbLb0EES17_IbLb1EEEEDaS13_S14_EUlS13_E_NS1_11comp_targetILNS1_3genE9ELNS1_11target_archE1100ELNS1_3gpuE3ELNS1_3repE0EEENS1_30default_config_static_selectorELNS0_4arch9wavefront6targetE0EEEvT1_,"axG",@progbits,_ZN7rocprim17ROCPRIM_400000_NS6detail17trampoline_kernelINS0_14default_configENS1_25partition_config_selectorILNS1_17partition_subalgoE9EddbEEZZNS1_14partition_implILS5_9ELb0ES3_jN6thrust23THRUST_200600_302600_NS6detail15normal_iteratorINS9_10device_ptrIdEEEESE_PNS0_10empty_typeENS0_5tupleIJSE_SF_EEENSH_IJSE_SG_EEENS0_18inequality_wrapperI22is_equal_div_10_uniqueIdEEEPmJSF_EEE10hipError_tPvRmT3_T4_T5_T6_T7_T9_mT8_P12ihipStream_tbDpT10_ENKUlT_T0_E_clISt17integral_constantIbLb0EES17_IbLb1EEEEDaS13_S14_EUlS13_E_NS1_11comp_targetILNS1_3genE9ELNS1_11target_archE1100ELNS1_3gpuE3ELNS1_3repE0EEENS1_30default_config_static_selectorELNS0_4arch9wavefront6targetE0EEEvT1_,comdat
	.protected	_ZN7rocprim17ROCPRIM_400000_NS6detail17trampoline_kernelINS0_14default_configENS1_25partition_config_selectorILNS1_17partition_subalgoE9EddbEEZZNS1_14partition_implILS5_9ELb0ES3_jN6thrust23THRUST_200600_302600_NS6detail15normal_iteratorINS9_10device_ptrIdEEEESE_PNS0_10empty_typeENS0_5tupleIJSE_SF_EEENSH_IJSE_SG_EEENS0_18inequality_wrapperI22is_equal_div_10_uniqueIdEEEPmJSF_EEE10hipError_tPvRmT3_T4_T5_T6_T7_T9_mT8_P12ihipStream_tbDpT10_ENKUlT_T0_E_clISt17integral_constantIbLb0EES17_IbLb1EEEEDaS13_S14_EUlS13_E_NS1_11comp_targetILNS1_3genE9ELNS1_11target_archE1100ELNS1_3gpuE3ELNS1_3repE0EEENS1_30default_config_static_selectorELNS0_4arch9wavefront6targetE0EEEvT1_ ; -- Begin function _ZN7rocprim17ROCPRIM_400000_NS6detail17trampoline_kernelINS0_14default_configENS1_25partition_config_selectorILNS1_17partition_subalgoE9EddbEEZZNS1_14partition_implILS5_9ELb0ES3_jN6thrust23THRUST_200600_302600_NS6detail15normal_iteratorINS9_10device_ptrIdEEEESE_PNS0_10empty_typeENS0_5tupleIJSE_SF_EEENSH_IJSE_SG_EEENS0_18inequality_wrapperI22is_equal_div_10_uniqueIdEEEPmJSF_EEE10hipError_tPvRmT3_T4_T5_T6_T7_T9_mT8_P12ihipStream_tbDpT10_ENKUlT_T0_E_clISt17integral_constantIbLb0EES17_IbLb1EEEEDaS13_S14_EUlS13_E_NS1_11comp_targetILNS1_3genE9ELNS1_11target_archE1100ELNS1_3gpuE3ELNS1_3repE0EEENS1_30default_config_static_selectorELNS0_4arch9wavefront6targetE0EEEvT1_
	.globl	_ZN7rocprim17ROCPRIM_400000_NS6detail17trampoline_kernelINS0_14default_configENS1_25partition_config_selectorILNS1_17partition_subalgoE9EddbEEZZNS1_14partition_implILS5_9ELb0ES3_jN6thrust23THRUST_200600_302600_NS6detail15normal_iteratorINS9_10device_ptrIdEEEESE_PNS0_10empty_typeENS0_5tupleIJSE_SF_EEENSH_IJSE_SG_EEENS0_18inequality_wrapperI22is_equal_div_10_uniqueIdEEEPmJSF_EEE10hipError_tPvRmT3_T4_T5_T6_T7_T9_mT8_P12ihipStream_tbDpT10_ENKUlT_T0_E_clISt17integral_constantIbLb0EES17_IbLb1EEEEDaS13_S14_EUlS13_E_NS1_11comp_targetILNS1_3genE9ELNS1_11target_archE1100ELNS1_3gpuE3ELNS1_3repE0EEENS1_30default_config_static_selectorELNS0_4arch9wavefront6targetE0EEEvT1_
	.p2align	8
	.type	_ZN7rocprim17ROCPRIM_400000_NS6detail17trampoline_kernelINS0_14default_configENS1_25partition_config_selectorILNS1_17partition_subalgoE9EddbEEZZNS1_14partition_implILS5_9ELb0ES3_jN6thrust23THRUST_200600_302600_NS6detail15normal_iteratorINS9_10device_ptrIdEEEESE_PNS0_10empty_typeENS0_5tupleIJSE_SF_EEENSH_IJSE_SG_EEENS0_18inequality_wrapperI22is_equal_div_10_uniqueIdEEEPmJSF_EEE10hipError_tPvRmT3_T4_T5_T6_T7_T9_mT8_P12ihipStream_tbDpT10_ENKUlT_T0_E_clISt17integral_constantIbLb0EES17_IbLb1EEEEDaS13_S14_EUlS13_E_NS1_11comp_targetILNS1_3genE9ELNS1_11target_archE1100ELNS1_3gpuE3ELNS1_3repE0EEENS1_30default_config_static_selectorELNS0_4arch9wavefront6targetE0EEEvT1_,@function
_ZN7rocprim17ROCPRIM_400000_NS6detail17trampoline_kernelINS0_14default_configENS1_25partition_config_selectorILNS1_17partition_subalgoE9EddbEEZZNS1_14partition_implILS5_9ELb0ES3_jN6thrust23THRUST_200600_302600_NS6detail15normal_iteratorINS9_10device_ptrIdEEEESE_PNS0_10empty_typeENS0_5tupleIJSE_SF_EEENSH_IJSE_SG_EEENS0_18inequality_wrapperI22is_equal_div_10_uniqueIdEEEPmJSF_EEE10hipError_tPvRmT3_T4_T5_T6_T7_T9_mT8_P12ihipStream_tbDpT10_ENKUlT_T0_E_clISt17integral_constantIbLb0EES17_IbLb1EEEEDaS13_S14_EUlS13_E_NS1_11comp_targetILNS1_3genE9ELNS1_11target_archE1100ELNS1_3gpuE3ELNS1_3repE0EEENS1_30default_config_static_selectorELNS0_4arch9wavefront6targetE0EEEvT1_: ; @_ZN7rocprim17ROCPRIM_400000_NS6detail17trampoline_kernelINS0_14default_configENS1_25partition_config_selectorILNS1_17partition_subalgoE9EddbEEZZNS1_14partition_implILS5_9ELb0ES3_jN6thrust23THRUST_200600_302600_NS6detail15normal_iteratorINS9_10device_ptrIdEEEESE_PNS0_10empty_typeENS0_5tupleIJSE_SF_EEENSH_IJSE_SG_EEENS0_18inequality_wrapperI22is_equal_div_10_uniqueIdEEEPmJSF_EEE10hipError_tPvRmT3_T4_T5_T6_T7_T9_mT8_P12ihipStream_tbDpT10_ENKUlT_T0_E_clISt17integral_constantIbLb0EES17_IbLb1EEEEDaS13_S14_EUlS13_E_NS1_11comp_targetILNS1_3genE9ELNS1_11target_archE1100ELNS1_3gpuE3ELNS1_3repE0EEENS1_30default_config_static_selectorELNS0_4arch9wavefront6targetE0EEEvT1_
; %bb.0:
	s_clause 0x4
	s_load_b128 s[4:7], s[0:1], 0x8
	s_load_b64 s[18:19], s[0:1], 0x18
	s_load_b128 s[8:11], s[0:1], 0x40
	s_load_b64 s[22:23], s[0:1], 0x50
	s_load_b64 s[16:17], s[0:1], 0x60
	v_cmp_ne_u32_e64 s3, 0, v0
	v_cmp_eq_u32_e64 s2, 0, v0
	s_delay_alu instid0(VALU_DEP_1)
	s_and_saveexec_b32 s12, s2
	s_cbranch_execz .LBB77_4
; %bb.1:
	s_mov_b32 s14, exec_lo
	s_mov_b32 s13, exec_lo
	v_mbcnt_lo_u32_b32 v1, s14, 0
                                        ; implicit-def: $vgpr2
	s_delay_alu instid0(VALU_DEP_1)
	v_cmpx_eq_u32_e32 0, v1
	s_cbranch_execz .LBB77_3
; %bb.2:
	s_load_b64 s[20:21], s[0:1], 0x70
	s_bcnt1_i32_b32 s14, s14
	s_delay_alu instid0(SALU_CYCLE_1)
	v_dual_mov_b32 v2, 0 :: v_dual_mov_b32 v3, s14
	s_waitcnt lgkmcnt(0)
	global_atomic_add_u32 v2, v2, v3, s[20:21] glc
.LBB77_3:
	s_or_b32 exec_lo, exec_lo, s13
	s_waitcnt vmcnt(0)
	v_readfirstlane_b32 s13, v2
	s_delay_alu instid0(VALU_DEP_1)
	v_dual_mov_b32 v2, 0 :: v_dual_add_nc_u32 v1, s13, v1
	ds_store_b32 v2, v1
.LBB77_4:
	s_or_b32 exec_lo, exec_lo, s12
	v_mov_b32_e32 v1, 0
	s_clause 0x1
	s_load_b128 s[12:15], s[0:1], 0x28
	s_load_b32 s0, s[0:1], 0x68
	s_waitcnt lgkmcnt(0)
	s_barrier
	buffer_gl0_inv
	ds_load_b32 v3, v1
	s_waitcnt lgkmcnt(0)
	s_barrier
	buffer_gl0_inv
	global_load_b64 v[1:2], v1, s[10:11]
	s_lshl_b64 s[20:21], s[6:7], 3
	s_mov_b32 s11, 0
	s_add_u32 s26, s4, s20
	s_addc_u32 s28, s5, s21
	v_lshlrev_b32_e32 v55, 3, v0
	v_lshrrev_b32_e32 v34, 2, v0
	v_or_b32_e32 v39, 0x200, v0
	v_or_b32_e32 v38, 0x400, v0
	v_or_b32_e32 v40, 0x600, v0
	v_or_b32_e32 v37, 0x800, v0
	v_or_b32_e32 v35, 0xa00, v0
	s_add_i32 s4, s0, -1
	s_lshl_b32 s0, s0, 12
	s_lshl_b32 s1, s4, 12
	v_or_b32_e32 v33, 0xc00, v0
	v_readfirstlane_b32 s24, v3
	s_add_i32 s1, s6, s1
	v_or_b32_e32 v36, 0xe00, v0
	s_sub_i32 s25, s22, s1
	s_delay_alu instid0(VALU_DEP_2)
	s_lshl_b32 s10, s24, 12
	s_add_u32 s0, s6, s0
	s_addc_u32 s1, s7, 0
	s_cmp_eq_u32 s24, s4
	v_cmp_ge_u64_e64 s0, s[0:1], s[22:23]
	s_cselect_b32 s22, -1, 0
	s_lshl_b64 s[4:5], s[10:11], 3
	s_delay_alu instid0(VALU_DEP_1) | instskip(NEXT) | instid1(SALU_CYCLE_1)
	s_and_b32 s1, s0, s22
	s_xor_b32 s23, s1, -1
	s_add_u32 s27, s26, s4
	s_addc_u32 s26, s28, s5
	s_and_b32 vcc_lo, exec_lo, s23
	s_mov_b32 s28, -1
	s_waitcnt vmcnt(0)
	v_readfirstlane_b32 s10, v1
	v_readfirstlane_b32 s11, v2
	s_cbranch_vccz .LBB77_6
; %bb.5:
	v_add_co_u32 v1, s0, s27, v55
	s_delay_alu instid0(VALU_DEP_1) | instskip(SKIP_1) | instid1(VALU_DEP_3)
	v_add_co_ci_u32_e64 v2, null, s26, 0, s0
	v_lshrrev_b32_e32 v18, 2, v39
	v_add_co_u32 v3, vcc_lo, 0x1000, v1
	s_delay_alu instid0(VALU_DEP_3)
	v_add_co_ci_u32_e32 v4, vcc_lo, 0, v2, vcc_lo
	v_add_co_u32 v5, vcc_lo, 0x2000, v1
	v_add_co_ci_u32_e32 v6, vcc_lo, 0, v2, vcc_lo
	v_add_co_u32 v7, vcc_lo, 0x3000, v1
	;; [unrolled: 2-line block ×6, first 2 shown]
	v_add_co_ci_u32_e32 v16, vcc_lo, 0, v2, vcc_lo
	s_clause 0x7
	flat_load_b64 v[1:2], v[1:2]
	flat_load_b64 v[3:4], v[3:4]
	;; [unrolled: 1-line block ×8, first 2 shown]
	v_lshrrev_b32_e32 v19, 2, v38
	v_lshrrev_b32_e32 v20, 2, v40
	;; [unrolled: 1-line block ×3, first 2 shown]
	v_and_b32_e32 v17, 0x78, v34
	v_lshrrev_b32_e32 v22, 2, v35
	v_lshrrev_b32_e32 v23, 2, v33
	;; [unrolled: 1-line block ×3, first 2 shown]
	v_and_b32_e32 v18, 0xf8, v18
	v_and_b32_e32 v19, 0x178, v19
	v_and_b32_e32 v20, 0x1f8, v20
	v_and_b32_e32 v21, 0x278, v21
	v_add_nc_u32_e32 v17, v17, v55
	v_and_b32_e32 v22, 0x2f8, v22
	v_and_b32_e32 v23, 0x378, v23
	;; [unrolled: 1-line block ×3, first 2 shown]
	v_add_nc_u32_e32 v18, v18, v55
	v_add_nc_u32_e32 v19, v19, v55
	v_add_nc_u32_e32 v20, v20, v55
	v_add_nc_u32_e32 v21, v21, v55
	s_mov_b32 s28, 0
	v_add_nc_u32_e32 v22, v22, v55
	v_add_nc_u32_e32 v23, v23, v55
	;; [unrolled: 1-line block ×3, first 2 shown]
	s_waitcnt vmcnt(7) lgkmcnt(7)
	ds_store_b64 v17, v[1:2]
	s_waitcnt vmcnt(6) lgkmcnt(7)
	ds_store_b64 v18, v[3:4] offset:4096
	s_waitcnt vmcnt(5) lgkmcnt(7)
	ds_store_b64 v19, v[5:6] offset:8192
	;; [unrolled: 2-line block ×7, first 2 shown]
	s_waitcnt lgkmcnt(0)
	s_barrier
.LBB77_6:
	v_cmp_gt_u32_e64 s0, s25, v0
	s_and_not1_b32 vcc_lo, exec_lo, s28
	s_cbranch_vccnz .LBB77_24
; %bb.7:
                                        ; implicit-def: $vgpr1_vgpr2_vgpr3_vgpr4_vgpr5_vgpr6_vgpr7_vgpr8_vgpr9_vgpr10_vgpr11_vgpr12_vgpr13_vgpr14_vgpr15_vgpr16
	s_delay_alu instid0(VALU_DEP_1)
	s_and_saveexec_b32 s28, s0
	s_cbranch_execz .LBB77_15
; %bb.8:
	v_add_co_u32 v1, s0, s27, v55
	s_delay_alu instid0(VALU_DEP_1) | instskip(SKIP_2) | instid1(SALU_CYCLE_1)
	v_add_co_ci_u32_e64 v2, null, s26, 0, s0
	flat_load_b64 v[1:2], v[1:2]
	s_or_b32 exec_lo, exec_lo, s28
	s_mov_b32 s0, exec_lo
	v_cmpx_gt_u32_e64 s25, v39
	s_cbranch_execnz .LBB77_16
.LBB77_9:
	s_or_b32 exec_lo, exec_lo, s0
	s_delay_alu instid0(SALU_CYCLE_1)
	s_mov_b32 s0, exec_lo
	v_cmpx_gt_u32_e64 s25, v38
	s_cbranch_execz .LBB77_17
.LBB77_10:
	v_lshlrev_b32_e32 v5, 3, v38
	s_delay_alu instid0(VALU_DEP_1) | instskip(NEXT) | instid1(VALU_DEP_1)
	v_add_co_u32 v5, s28, s27, v5
	v_add_co_ci_u32_e64 v6, null, s26, 0, s28
	flat_load_b64 v[5:6], v[5:6]
	s_or_b32 exec_lo, exec_lo, s0
	s_delay_alu instid0(SALU_CYCLE_1)
	s_mov_b32 s0, exec_lo
	v_cmpx_gt_u32_e64 s25, v40
	s_cbranch_execnz .LBB77_18
.LBB77_11:
	s_or_b32 exec_lo, exec_lo, s0
	s_delay_alu instid0(SALU_CYCLE_1)
	s_mov_b32 s0, exec_lo
	v_cmpx_gt_u32_e64 s25, v37
	s_cbranch_execz .LBB77_19
.LBB77_12:
	v_lshlrev_b32_e32 v9, 3, v37
	s_delay_alu instid0(VALU_DEP_1) | instskip(NEXT) | instid1(VALU_DEP_1)
	v_add_co_u32 v9, s28, s27, v9
	v_add_co_ci_u32_e64 v10, null, s26, 0, s28
	flat_load_b64 v[9:10], v[9:10]
	s_or_b32 exec_lo, exec_lo, s0
	s_delay_alu instid0(SALU_CYCLE_1)
	s_mov_b32 s0, exec_lo
	v_cmpx_gt_u32_e64 s25, v35
	s_cbranch_execnz .LBB77_20
.LBB77_13:
	s_or_b32 exec_lo, exec_lo, s0
	s_delay_alu instid0(SALU_CYCLE_1)
	s_mov_b32 s0, exec_lo
	v_cmpx_gt_u32_e64 s25, v33
	s_cbranch_execz .LBB77_21
.LBB77_14:
	v_lshlrev_b32_e32 v13, 3, v33
	s_delay_alu instid0(VALU_DEP_1) | instskip(NEXT) | instid1(VALU_DEP_1)
	v_add_co_u32 v13, s28, s27, v13
	v_add_co_ci_u32_e64 v14, null, s26, 0, s28
	flat_load_b64 v[13:14], v[13:14]
	s_or_b32 exec_lo, exec_lo, s0
	s_delay_alu instid0(SALU_CYCLE_1)
	s_mov_b32 s0, exec_lo
	v_cmpx_gt_u32_e64 s25, v36
	s_cbranch_execnz .LBB77_22
	s_branch .LBB77_23
.LBB77_15:
	s_or_b32 exec_lo, exec_lo, s28
	s_delay_alu instid0(SALU_CYCLE_1)
	s_mov_b32 s0, exec_lo
	v_cmpx_gt_u32_e64 s25, v39
	s_cbranch_execz .LBB77_9
.LBB77_16:
	v_lshlrev_b32_e32 v3, 3, v39
	s_delay_alu instid0(VALU_DEP_1) | instskip(NEXT) | instid1(VALU_DEP_1)
	v_add_co_u32 v3, s28, s27, v3
	v_add_co_ci_u32_e64 v4, null, s26, 0, s28
	flat_load_b64 v[3:4], v[3:4]
	s_or_b32 exec_lo, exec_lo, s0
	s_delay_alu instid0(SALU_CYCLE_1)
	s_mov_b32 s0, exec_lo
	v_cmpx_gt_u32_e64 s25, v38
	s_cbranch_execnz .LBB77_10
.LBB77_17:
	s_or_b32 exec_lo, exec_lo, s0
	s_delay_alu instid0(SALU_CYCLE_1)
	s_mov_b32 s0, exec_lo
	v_cmpx_gt_u32_e64 s25, v40
	s_cbranch_execz .LBB77_11
.LBB77_18:
	v_lshlrev_b32_e32 v7, 3, v40
	s_delay_alu instid0(VALU_DEP_1) | instskip(NEXT) | instid1(VALU_DEP_1)
	v_add_co_u32 v7, s28, s27, v7
	v_add_co_ci_u32_e64 v8, null, s26, 0, s28
	flat_load_b64 v[7:8], v[7:8]
	s_or_b32 exec_lo, exec_lo, s0
	s_delay_alu instid0(SALU_CYCLE_1)
	s_mov_b32 s0, exec_lo
	v_cmpx_gt_u32_e64 s25, v37
	s_cbranch_execnz .LBB77_12
.LBB77_19:
	s_or_b32 exec_lo, exec_lo, s0
	s_delay_alu instid0(SALU_CYCLE_1)
	s_mov_b32 s0, exec_lo
	v_cmpx_gt_u32_e64 s25, v35
	s_cbranch_execz .LBB77_13
.LBB77_20:
	v_lshlrev_b32_e32 v11, 3, v35
	s_delay_alu instid0(VALU_DEP_1) | instskip(NEXT) | instid1(VALU_DEP_1)
	v_add_co_u32 v11, s28, s27, v11
	v_add_co_ci_u32_e64 v12, null, s26, 0, s28
	flat_load_b64 v[11:12], v[11:12]
	s_or_b32 exec_lo, exec_lo, s0
	s_delay_alu instid0(SALU_CYCLE_1)
	s_mov_b32 s0, exec_lo
	v_cmpx_gt_u32_e64 s25, v33
	s_cbranch_execnz .LBB77_14
.LBB77_21:
	s_or_b32 exec_lo, exec_lo, s0
	s_delay_alu instid0(SALU_CYCLE_1)
	s_mov_b32 s0, exec_lo
	v_cmpx_gt_u32_e64 s25, v36
	s_cbranch_execz .LBB77_23
.LBB77_22:
	v_lshlrev_b32_e32 v15, 3, v36
	s_delay_alu instid0(VALU_DEP_1) | instskip(NEXT) | instid1(VALU_DEP_1)
	v_add_co_u32 v15, s28, s27, v15
	v_add_co_ci_u32_e64 v16, null, s26, 0, s28
	flat_load_b64 v[15:16], v[15:16]
.LBB77_23:
	s_or_b32 exec_lo, exec_lo, s0
	v_lshrrev_b32_e32 v17, 2, v39
	v_lshrrev_b32_e32 v18, 2, v38
	;; [unrolled: 1-line block ×4, first 2 shown]
	v_and_b32_e32 v19, 0x78, v34
	v_lshrrev_b32_e32 v22, 2, v35
	v_lshrrev_b32_e32 v23, 2, v33
	;; [unrolled: 1-line block ×3, first 2 shown]
	v_and_b32_e32 v17, 0xf8, v17
	v_and_b32_e32 v18, 0x1f8, v18
	;; [unrolled: 1-line block ×4, first 2 shown]
	v_add_nc_u32_e32 v19, v19, v55
	v_and_b32_e32 v22, 0x3f8, v22
	v_and_b32_e32 v23, 0x3f8, v23
	;; [unrolled: 1-line block ×3, first 2 shown]
	v_add_nc_u32_e32 v17, v17, v55
	v_add_nc_u32_e32 v18, v18, v55
	;; [unrolled: 1-line block ×7, first 2 shown]
	s_waitcnt vmcnt(0) lgkmcnt(0)
	ds_store_b64 v19, v[1:2]
	ds_store_b64 v17, v[3:4] offset:4096
	ds_store_b64 v18, v[5:6] offset:8192
	;; [unrolled: 1-line block ×7, first 2 shown]
	s_waitcnt lgkmcnt(0)
	s_barrier
.LBB77_24:
	v_add_lshl_u32 v41, v34, v55, 3
	buffer_gl0_inv
	s_add_u32 s0, s18, s20
	s_addc_u32 s18, s19, s21
	s_add_u32 s0, s0, s4
	ds_load_2addr_b64 v[29:32], v41 offset1:1
	ds_load_2addr_b64 v[25:28], v41 offset0:2 offset1:3
	ds_load_2addr_b64 v[21:24], v41 offset0:4 offset1:5
	;; [unrolled: 1-line block ×3, first 2 shown]
	s_addc_u32 s4, s18, s5
	s_and_b32 vcc_lo, exec_lo, s23
	s_mov_b32 s5, -1
	s_waitcnt lgkmcnt(0)
	s_barrier
	buffer_gl0_inv
	s_cbranch_vccz .LBB77_26
; %bb.25:
	v_add_co_u32 v1, s5, s0, v55
	s_delay_alu instid0(VALU_DEP_1) | instskip(SKIP_1) | instid1(VALU_DEP_3)
	v_add_co_ci_u32_e64 v2, null, s4, 0, s5
	v_lshrrev_b32_e32 v43, 2, v39
	v_add_co_u32 v3, vcc_lo, 0x1000, v1
	s_delay_alu instid0(VALU_DEP_3)
	v_add_co_ci_u32_e32 v4, vcc_lo, 0, v2, vcc_lo
	v_add_co_u32 v5, vcc_lo, 0x2000, v1
	v_add_co_ci_u32_e32 v6, vcc_lo, 0, v2, vcc_lo
	v_add_co_u32 v7, vcc_lo, 0x3000, v1
	;; [unrolled: 2-line block ×6, first 2 shown]
	v_add_co_ci_u32_e32 v16, vcc_lo, 0, v2, vcc_lo
	s_clause 0x7
	flat_load_b64 v[1:2], v[1:2]
	flat_load_b64 v[3:4], v[3:4]
	;; [unrolled: 1-line block ×8, first 2 shown]
	v_lshrrev_b32_e32 v44, 2, v38
	v_lshrrev_b32_e32 v45, 2, v40
	;; [unrolled: 1-line block ×3, first 2 shown]
	v_and_b32_e32 v42, 0x78, v34
	v_lshrrev_b32_e32 v47, 2, v35
	v_lshrrev_b32_e32 v48, 2, v33
	v_lshrrev_b32_e32 v49, 2, v36
	v_and_b32_e32 v43, 0xf8, v43
	v_and_b32_e32 v44, 0x178, v44
	;; [unrolled: 1-line block ×4, first 2 shown]
	v_add_nc_u32_e32 v42, v42, v55
	v_and_b32_e32 v47, 0x2f8, v47
	v_and_b32_e32 v48, 0x378, v48
	;; [unrolled: 1-line block ×3, first 2 shown]
	v_add_nc_u32_e32 v43, v43, v55
	v_add_nc_u32_e32 v44, v44, v55
	;; [unrolled: 1-line block ×4, first 2 shown]
	s_mov_b32 s5, 0
	v_add_nc_u32_e32 v47, v47, v55
	v_add_nc_u32_e32 v48, v48, v55
	;; [unrolled: 1-line block ×3, first 2 shown]
	s_waitcnt vmcnt(7) lgkmcnt(7)
	ds_store_b64 v42, v[1:2]
	s_waitcnt vmcnt(6) lgkmcnt(7)
	ds_store_b64 v43, v[3:4] offset:4096
	s_waitcnt vmcnt(5) lgkmcnt(7)
	ds_store_b64 v44, v[5:6] offset:8192
	;; [unrolled: 2-line block ×7, first 2 shown]
	s_waitcnt lgkmcnt(0)
	s_barrier
.LBB77_26:
	s_and_not1_b32 vcc_lo, exec_lo, s5
	s_cbranch_vccnz .LBB77_44
; %bb.27:
	s_mov_b32 s5, exec_lo
                                        ; implicit-def: $vgpr1_vgpr2
	v_cmpx_gt_u32_e64 s25, v0
	s_cbranch_execz .LBB77_29
; %bb.28:
	v_add_co_u32 v1, s18, s0, v55
	s_delay_alu instid0(VALU_DEP_1)
	v_add_co_ci_u32_e64 v2, null, s4, 0, s18
	flat_load_b64 v[1:2], v[1:2]
.LBB77_29:
	s_or_b32 exec_lo, exec_lo, s5
	s_delay_alu instid0(SALU_CYCLE_1)
	s_mov_b32 s5, exec_lo
                                        ; implicit-def: $vgpr3_vgpr4
	v_cmpx_gt_u32_e64 s25, v39
	s_cbranch_execz .LBB77_31
; %bb.30:
	v_lshlrev_b32_e32 v3, 3, v39
	s_delay_alu instid0(VALU_DEP_1) | instskip(NEXT) | instid1(VALU_DEP_1)
	v_add_co_u32 v3, s18, s0, v3
	v_add_co_ci_u32_e64 v4, null, s4, 0, s18
	flat_load_b64 v[3:4], v[3:4]
.LBB77_31:
	s_or_b32 exec_lo, exec_lo, s5
	s_delay_alu instid0(SALU_CYCLE_1)
	s_mov_b32 s5, exec_lo
                                        ; implicit-def: $vgpr5_vgpr6
	v_cmpx_gt_u32_e64 s25, v38
	s_cbranch_execz .LBB77_33
; %bb.32:
	v_lshlrev_b32_e32 v5, 3, v38
	s_delay_alu instid0(VALU_DEP_1) | instskip(NEXT) | instid1(VALU_DEP_1)
	v_add_co_u32 v5, s18, s0, v5
	v_add_co_ci_u32_e64 v6, null, s4, 0, s18
	flat_load_b64 v[5:6], v[5:6]
.LBB77_33:
	s_or_b32 exec_lo, exec_lo, s5
	s_delay_alu instid0(SALU_CYCLE_1)
	s_mov_b32 s5, exec_lo
                                        ; implicit-def: $vgpr7_vgpr8
	v_cmpx_gt_u32_e64 s25, v40
	s_cbranch_execz .LBB77_35
; %bb.34:
	v_lshlrev_b32_e32 v7, 3, v40
	s_delay_alu instid0(VALU_DEP_1) | instskip(NEXT) | instid1(VALU_DEP_1)
	v_add_co_u32 v7, s18, s0, v7
	v_add_co_ci_u32_e64 v8, null, s4, 0, s18
	flat_load_b64 v[7:8], v[7:8]
.LBB77_35:
	s_or_b32 exec_lo, exec_lo, s5
	s_delay_alu instid0(SALU_CYCLE_1)
	s_mov_b32 s5, exec_lo
                                        ; implicit-def: $vgpr9_vgpr10
	v_cmpx_gt_u32_e64 s25, v37
	s_cbranch_execz .LBB77_37
; %bb.36:
	v_lshlrev_b32_e32 v9, 3, v37
	s_delay_alu instid0(VALU_DEP_1) | instskip(NEXT) | instid1(VALU_DEP_1)
	v_add_co_u32 v9, s18, s0, v9
	v_add_co_ci_u32_e64 v10, null, s4, 0, s18
	flat_load_b64 v[9:10], v[9:10]
.LBB77_37:
	s_or_b32 exec_lo, exec_lo, s5
	s_delay_alu instid0(SALU_CYCLE_1)
	s_mov_b32 s5, exec_lo
                                        ; implicit-def: $vgpr11_vgpr12
	v_cmpx_gt_u32_e64 s25, v35
	s_cbranch_execz .LBB77_39
; %bb.38:
	v_lshlrev_b32_e32 v11, 3, v35
	s_delay_alu instid0(VALU_DEP_1) | instskip(NEXT) | instid1(VALU_DEP_1)
	v_add_co_u32 v11, s18, s0, v11
	v_add_co_ci_u32_e64 v12, null, s4, 0, s18
	flat_load_b64 v[11:12], v[11:12]
.LBB77_39:
	s_or_b32 exec_lo, exec_lo, s5
	s_delay_alu instid0(SALU_CYCLE_1)
	s_mov_b32 s5, exec_lo
                                        ; implicit-def: $vgpr13_vgpr14
	v_cmpx_gt_u32_e64 s25, v33
	s_cbranch_execz .LBB77_41
; %bb.40:
	v_lshlrev_b32_e32 v13, 3, v33
	s_delay_alu instid0(VALU_DEP_1) | instskip(NEXT) | instid1(VALU_DEP_1)
	v_add_co_u32 v13, s18, s0, v13
	v_add_co_ci_u32_e64 v14, null, s4, 0, s18
	flat_load_b64 v[13:14], v[13:14]
.LBB77_41:
	s_or_b32 exec_lo, exec_lo, s5
	s_delay_alu instid0(SALU_CYCLE_1)
	s_mov_b32 s5, exec_lo
                                        ; implicit-def: $vgpr15_vgpr16
	v_cmpx_gt_u32_e64 s25, v36
	s_cbranch_execz .LBB77_43
; %bb.42:
	v_lshlrev_b32_e32 v15, 3, v36
	s_delay_alu instid0(VALU_DEP_1) | instskip(NEXT) | instid1(VALU_DEP_1)
	v_add_co_u32 v15, s0, s0, v15
	v_add_co_ci_u32_e64 v16, null, s4, 0, s0
	flat_load_b64 v[15:16], v[15:16]
.LBB77_43:
	s_or_b32 exec_lo, exec_lo, s5
	v_lshrrev_b32_e32 v39, 2, v39
	v_lshrrev_b32_e32 v38, 2, v38
	;; [unrolled: 1-line block ×4, first 2 shown]
	v_and_b32_e32 v34, 0x78, v34
	v_lshrrev_b32_e32 v35, 2, v35
	v_lshrrev_b32_e32 v33, 2, v33
	;; [unrolled: 1-line block ×3, first 2 shown]
	v_and_b32_e32 v39, 0xf8, v39
	v_and_b32_e32 v38, 0x1f8, v38
	;; [unrolled: 1-line block ×4, first 2 shown]
	v_add_nc_u32_e32 v34, v34, v55
	v_and_b32_e32 v35, 0x3f8, v35
	v_and_b32_e32 v33, 0x3f8, v33
	;; [unrolled: 1-line block ×3, first 2 shown]
	v_add_nc_u32_e32 v39, v39, v55
	v_add_nc_u32_e32 v38, v38, v55
	;; [unrolled: 1-line block ×7, first 2 shown]
	s_waitcnt vmcnt(0) lgkmcnt(0)
	ds_store_b64 v34, v[1:2]
	ds_store_b64 v39, v[3:4] offset:4096
	ds_store_b64 v38, v[5:6] offset:8192
	;; [unrolled: 1-line block ×7, first 2 shown]
	s_waitcnt lgkmcnt(0)
	s_barrier
.LBB77_44:
	buffer_gl0_inv
	ds_load_2addr_b64 v[13:16], v41 offset1:1
	ds_load_2addr_b64 v[9:12], v41 offset0:2 offset1:3
	ds_load_2addr_b64 v[5:8], v41 offset0:4 offset1:5
	;; [unrolled: 1-line block ×3, first 2 shown]
	s_cmp_lg_u32 s24, 0
	s_waitcnt lgkmcnt(0)
	s_cselect_b32 s18, -1, 0
	s_cmp_lg_u64 s[6:7], 0
	s_barrier
	s_cselect_b32 s0, -1, 0
	buffer_gl0_inv
	s_or_b32 s0, s0, s18
	s_delay_alu instid0(SALU_CYCLE_1)
	s_and_b32 vcc_lo, exec_lo, s0
	s_mov_b32 s0, 0
	s_cbranch_vccz .LBB77_49
; %bb.45:
	v_add_co_u32 v33, s0, -8, s27
	s_delay_alu instid0(VALU_DEP_1)
	v_add_co_ci_u32_e64 v34, null, -1, s26, s0
	s_mov_b32 s0, -1
	s_and_b32 vcc_lo, exec_lo, s23
	flat_load_b64 v[35:36], v[33:34]
	ds_store_b64 v55, v[19:20]
	s_cbranch_vccz .LBB77_50
; %bb.46:
	s_waitcnt vmcnt(0) lgkmcnt(1)
	v_dual_mov_b32 v33, v35 :: v_dual_mov_b32 v34, v36
	s_waitcnt lgkmcnt(0)
	s_barrier
	buffer_gl0_inv
	s_and_saveexec_b32 s0, s3
	s_cbranch_execz .LBB77_48
; %bb.47:
	v_add_nc_u32_e32 v33, -8, v55
	ds_load_b64 v[33:34], v33
.LBB77_48:
	s_or_b32 exec_lo, exec_lo, s0
	v_cvt_i32_f64_e32 v37, v[17:18]
	v_cvt_i32_f64_e32 v38, v[19:20]
	;; [unrolled: 1-line block ×8, first 2 shown]
	s_waitcnt lgkmcnt(0)
	v_cvt_i32_f64_e32 v33, v[33:34]
	v_mul_hi_i32 v34, 0x66666667, v37
	v_mul_hi_i32 v37, 0x66666667, v38
	;; [unrolled: 1-line block ×8, first 2 shown]
	v_lshrrev_b32_e32 v44, 31, v34
	v_ashrrev_i32_e32 v34, 2, v34
	v_lshrrev_b32_e32 v45, 31, v37
	v_ashrrev_i32_e32 v37, 2, v37
	;; [unrolled: 2-line block ×3, first 2 shown]
	v_add_nc_u32_e32 v34, v34, v44
	v_lshrrev_b32_e32 v47, 31, v39
	v_add_nc_u32_e32 v37, v37, v45
	v_ashrrev_i32_e32 v39, 2, v39
	v_add_nc_u32_e32 v38, v38, v46
	v_lshrrev_b32_e32 v48, 31, v40
	v_ashrrev_i32_e32 v40, 2, v40
	v_cmp_ne_u32_e32 vcc_lo, v34, v37
	v_add_nc_u32_e32 v39, v39, v47
	v_lshrrev_b32_e32 v49, 31, v41
	v_ashrrev_i32_e32 v41, 2, v41
	v_add_nc_u32_e32 v40, v40, v48
	v_cndmask_b32_e64 v37, 0, 1, vcc_lo
	v_cmp_ne_u32_e32 vcc_lo, v38, v34
	v_lshrrev_b32_e32 v50, 31, v42
	v_ashrrev_i32_e32 v42, 2, v42
	v_add_nc_u32_e32 v41, v41, v49
	v_lshrrev_b32_e32 v51, 31, v43
	v_cndmask_b32_e64 v34, 0, 1, vcc_lo
	v_cmp_ne_u32_e32 vcc_lo, v39, v38
	v_ashrrev_i32_e32 v43, 2, v43
	v_add_nc_u32_e32 v42, v42, v50
	v_mul_hi_i32 v33, 0x66666667, v33
	v_lshlrev_b16 v37, 8, v37
	v_cndmask_b32_e64 v38, 0, 1, vcc_lo
	v_cmp_ne_u32_e32 vcc_lo, v40, v39
	v_add_nc_u32_e32 v43, v43, v51
	s_delay_alu instid0(VALU_DEP_4) | instskip(NEXT) | instid1(VALU_DEP_4)
	v_or_b32_e32 v34, v34, v37
	v_lshlrev_b16 v38, 8, v38
	v_cndmask_b32_e64 v39, 0, 1, vcc_lo
	v_cmp_ne_u32_e32 vcc_lo, v41, v40
	v_lshrrev_b32_e32 v52, 31, v33
	v_ashrrev_i32_e32 v33, 2, v33
	v_lshlrev_b32_e32 v34, 16, v34
	v_or_b32_e32 v38, v39, v38
	v_cndmask_b32_e64 v40, 0, 1, vcc_lo
	v_cmp_ne_u32_e32 vcc_lo, v42, v41
	v_add_nc_u32_e32 v33, v33, v52
	s_delay_alu instid0(VALU_DEP_4) | instskip(NEXT) | instid1(VALU_DEP_4)
	v_and_b32_e32 v38, 0xffff, v38
	v_lshlrev_b16 v40, 8, v40
	v_cndmask_b32_e64 v41, 0, 1, vcc_lo
	v_cmp_ne_u32_e32 vcc_lo, v43, v42
	v_cmp_ne_u32_e64 s4, v33, v43
	v_or_b32_e32 v34, v38, v34
	s_delay_alu instid0(VALU_DEP_4) | instskip(SKIP_1) | instid1(VALU_DEP_2)
	v_or_b32_e32 v40, v41, v40
	v_cndmask_b32_e64 v42, 0, 1, vcc_lo
	v_lshlrev_b32_e32 v39, 16, v40
	s_delay_alu instid0(VALU_DEP_2) | instskip(NEXT) | instid1(VALU_DEP_1)
	v_lshlrev_b16 v42, 8, v42
	v_and_b32_e32 v37, 0xffff, v42
	s_delay_alu instid0(VALU_DEP_1)
	v_or_b32_e32 v33, v37, v39
	s_branch .LBB77_70
.LBB77_49:
                                        ; implicit-def: $sgpr4
                                        ; implicit-def: $vgpr34
	s_branch .LBB77_71
.LBB77_50:
                                        ; implicit-def: $sgpr4
                                        ; implicit-def: $vgpr34
	s_and_b32 vcc_lo, exec_lo, s0
	s_cbranch_vccz .LBB77_70
; %bb.51:
	v_or_b32_e32 v33, 7, v55
	s_mov_b32 s0, 0
	s_mov_b32 s4, 0
	s_mov_b32 s5, exec_lo
	s_delay_alu instid0(VALU_DEP_1)
	v_cmpx_gt_u32_e64 s25, v33
	s_cbranch_execz .LBB77_53
; %bb.52:
	v_cvt_i32_f64_e32 v33, v[17:18]
	v_cvt_i32_f64_e32 v34, v[19:20]
	s_delay_alu instid0(VALU_DEP_2) | instskip(NEXT) | instid1(VALU_DEP_2)
	v_mul_hi_i32 v33, 0x66666667, v33
	v_mul_hi_i32 v34, 0x66666667, v34
	s_delay_alu instid0(VALU_DEP_2) | instskip(SKIP_1) | instid1(VALU_DEP_3)
	v_lshrrev_b32_e32 v37, 31, v33
	v_ashrrev_i32_e32 v33, 2, v33
	v_lshrrev_b32_e32 v38, 31, v34
	v_ashrrev_i32_e32 v34, 2, v34
	s_delay_alu instid0(VALU_DEP_3) | instskip(NEXT) | instid1(VALU_DEP_2)
	v_add_nc_u32_e32 v33, v33, v37
	v_add_nc_u32_e32 v34, v34, v38
	s_delay_alu instid0(VALU_DEP_1)
	v_cmp_ne_u32_e32 vcc_lo, v33, v34
	s_and_b32 s4, vcc_lo, exec_lo
.LBB77_53:
	s_or_b32 exec_lo, exec_lo, s5
	v_or_b32_e32 v33, 6, v55
	s_mov_b32 s5, exec_lo
	s_delay_alu instid0(VALU_DEP_1)
	v_cmpx_gt_u32_e64 s25, v33
	s_cbranch_execz .LBB77_55
; %bb.54:
	v_cvt_i32_f64_e32 v33, v[23:24]
	v_cvt_i32_f64_e32 v34, v[17:18]
	s_delay_alu instid0(VALU_DEP_2) | instskip(NEXT) | instid1(VALU_DEP_2)
	v_mul_hi_i32 v33, 0x66666667, v33
	v_mul_hi_i32 v34, 0x66666667, v34
	s_delay_alu instid0(VALU_DEP_2) | instskip(SKIP_1) | instid1(VALU_DEP_3)
	v_lshrrev_b32_e32 v37, 31, v33
	v_ashrrev_i32_e32 v33, 2, v33
	v_lshrrev_b32_e32 v38, 31, v34
	v_ashrrev_i32_e32 v34, 2, v34
	s_delay_alu instid0(VALU_DEP_3) | instskip(NEXT) | instid1(VALU_DEP_2)
	v_add_nc_u32_e32 v33, v33, v37
	v_add_nc_u32_e32 v34, v34, v38
	s_delay_alu instid0(VALU_DEP_1)
	v_cmp_ne_u32_e32 vcc_lo, v33, v34
	s_and_b32 s0, vcc_lo, exec_lo
.LBB77_55:
	s_or_b32 exec_lo, exec_lo, s5
	v_or_b32_e32 v33, 5, v55
	s_mov_b32 s6, 0
	s_mov_b32 s5, 0
	s_mov_b32 s7, exec_lo
	s_delay_alu instid0(VALU_DEP_1)
	v_cmpx_gt_u32_e64 s25, v33
	s_cbranch_execz .LBB77_57
; %bb.56:
	v_cvt_i32_f64_e32 v33, v[21:22]
	v_cvt_i32_f64_e32 v34, v[23:24]
	s_delay_alu instid0(VALU_DEP_2) | instskip(NEXT) | instid1(VALU_DEP_2)
	v_mul_hi_i32 v33, 0x66666667, v33
	v_mul_hi_i32 v34, 0x66666667, v34
	s_delay_alu instid0(VALU_DEP_2) | instskip(SKIP_1) | instid1(VALU_DEP_3)
	v_lshrrev_b32_e32 v37, 31, v33
	v_ashrrev_i32_e32 v33, 2, v33
	v_lshrrev_b32_e32 v38, 31, v34
	v_ashrrev_i32_e32 v34, 2, v34
	s_delay_alu instid0(VALU_DEP_3) | instskip(NEXT) | instid1(VALU_DEP_2)
	v_add_nc_u32_e32 v33, v33, v37
	v_add_nc_u32_e32 v34, v34, v38
	s_delay_alu instid0(VALU_DEP_1)
	v_cmp_ne_u32_e32 vcc_lo, v33, v34
	s_and_b32 s5, vcc_lo, exec_lo
.LBB77_57:
	s_or_b32 exec_lo, exec_lo, s7
	v_or_b32_e32 v33, 4, v55
	s_mov_b32 s7, exec_lo
	s_delay_alu instid0(VALU_DEP_1)
	v_cmpx_gt_u32_e64 s25, v33
	s_cbranch_execz .LBB77_59
; %bb.58:
	v_cvt_i32_f64_e32 v33, v[27:28]
	v_cvt_i32_f64_e32 v34, v[21:22]
	s_delay_alu instid0(VALU_DEP_2) | instskip(NEXT) | instid1(VALU_DEP_2)
	v_mul_hi_i32 v33, 0x66666667, v33
	v_mul_hi_i32 v34, 0x66666667, v34
	s_delay_alu instid0(VALU_DEP_2) | instskip(SKIP_1) | instid1(VALU_DEP_3)
	v_lshrrev_b32_e32 v37, 31, v33
	v_ashrrev_i32_e32 v33, 2, v33
	v_lshrrev_b32_e32 v38, 31, v34
	v_ashrrev_i32_e32 v34, 2, v34
	s_delay_alu instid0(VALU_DEP_3) | instskip(NEXT) | instid1(VALU_DEP_2)
	v_add_nc_u32_e32 v33, v33, v37
	v_add_nc_u32_e32 v34, v34, v38
	s_delay_alu instid0(VALU_DEP_1)
	v_cmp_ne_u32_e32 vcc_lo, v33, v34
	s_and_b32 s6, vcc_lo, exec_lo
.LBB77_59:
	s_or_b32 exec_lo, exec_lo, s7
	;; [unrolled: 50-line block ×3, first 2 shown]
	v_or_b32_e32 v33, 1, v55
	s_mov_b32 s20, 0
	s_mov_b32 s21, exec_lo
	s_delay_alu instid0(VALU_DEP_1)
	v_cmpx_gt_u32_e64 s25, v33
	s_cbranch_execz .LBB77_65
; %bb.64:
	v_cvt_i32_f64_e32 v33, v[29:30]
	v_cvt_i32_f64_e32 v34, v[31:32]
	s_delay_alu instid0(VALU_DEP_2) | instskip(NEXT) | instid1(VALU_DEP_2)
	v_mul_hi_i32 v33, 0x66666667, v33
	v_mul_hi_i32 v34, 0x66666667, v34
	s_delay_alu instid0(VALU_DEP_2) | instskip(SKIP_1) | instid1(VALU_DEP_3)
	v_lshrrev_b32_e32 v37, 31, v33
	v_ashrrev_i32_e32 v33, 2, v33
	v_lshrrev_b32_e32 v38, 31, v34
	v_ashrrev_i32_e32 v34, 2, v34
	s_delay_alu instid0(VALU_DEP_3) | instskip(NEXT) | instid1(VALU_DEP_2)
	v_add_nc_u32_e32 v33, v33, v37
	v_add_nc_u32_e32 v34, v34, v38
	s_delay_alu instid0(VALU_DEP_1)
	v_cmp_ne_u32_e32 vcc_lo, v33, v34
	s_and_b32 s20, vcc_lo, exec_lo
.LBB77_65:
	s_or_b32 exec_lo, exec_lo, s21
	s_waitcnt vmcnt(0) lgkmcnt(0)
	s_barrier
	buffer_gl0_inv
	s_and_saveexec_b32 s21, s3
	s_cbranch_execz .LBB77_67
; %bb.66:
	v_add_nc_u32_e32 v33, -8, v55
	ds_load_b64 v[35:36], v33
.LBB77_67:
	s_or_b32 exec_lo, exec_lo, s21
	v_cndmask_b32_e64 v34, 0, 1, s7
	v_cndmask_b32_e64 v38, 0, 1, s5
	;; [unrolled: 1-line block ×7, first 2 shown]
	v_lshlrev_b16 v34, 8, v34
	v_lshlrev_b16 v38, 8, v38
	;; [unrolled: 1-line block ×3, first 2 shown]
	s_mov_b32 s4, 0
	v_lshlrev_b16 v41, 8, v41
	v_or_b32_e32 v34, v33, v34
	v_or_b32_e32 v37, v37, v38
	;; [unrolled: 1-line block ×3, first 2 shown]
	s_mov_b32 s0, exec_lo
	v_and_b32_e32 v33, 0xffff, v41
	v_lshlrev_b32_e32 v34, 16, v34
	v_and_b32_e32 v37, 0xffff, v37
	v_lshlrev_b32_e32 v38, 16, v38
	v_cmpx_gt_u32_e64 s25, v55
	s_cbranch_execz .LBB77_69
; %bb.68:
	s_waitcnt lgkmcnt(0)
	v_cvt_i32_f64_e32 v35, v[35:36]
	v_cvt_i32_f64_e32 v36, v[29:30]
	s_delay_alu instid0(VALU_DEP_2) | instskip(NEXT) | instid1(VALU_DEP_2)
	v_mul_hi_i32 v35, 0x66666667, v35
	v_mul_hi_i32 v36, 0x66666667, v36
	s_delay_alu instid0(VALU_DEP_2) | instskip(SKIP_1) | instid1(VALU_DEP_3)
	v_lshrrev_b32_e32 v39, 31, v35
	v_ashrrev_i32_e32 v35, 2, v35
	v_lshrrev_b32_e32 v40, 31, v36
	v_ashrrev_i32_e32 v36, 2, v36
	s_delay_alu instid0(VALU_DEP_3) | instskip(NEXT) | instid1(VALU_DEP_2)
	v_add_nc_u32_e32 v35, v35, v39
	v_add_nc_u32_e32 v36, v36, v40
	s_delay_alu instid0(VALU_DEP_1)
	v_cmp_ne_u32_e32 vcc_lo, v35, v36
	s_and_b32 s4, vcc_lo, exec_lo
.LBB77_69:
	s_or_b32 exec_lo, exec_lo, s0
	v_or_b32_e32 v33, v33, v34
	v_or_b32_e32 v34, v37, v38
.LBB77_70:
	s_mov_b32 s0, -1
	s_cbranch_execnz .LBB77_95
.LBB77_71:
	v_cvt_i32_f64_e32 v33, v[17:18]
	v_cvt_i32_f64_e32 v34, v[23:24]
	s_waitcnt vmcnt(0) lgkmcnt(0)
	v_cvt_i32_f64_e32 v35, v[21:22]
	v_cvt_i32_f64_e32 v36, v[27:28]
	v_cvt_i32_f64_e32 v41, v[25:26]
	v_cvt_i32_f64_e32 v42, v[31:32]
	s_and_b32 vcc_lo, exec_lo, s23
	ds_store_b64 v55, v[19:20]
	v_mul_hi_i32 v40, 0x66666667, v33
	v_mul_hi_i32 v39, 0x66666667, v34
	v_mul_hi_i32 v38, 0x66666667, v35
	v_mul_hi_i32 v37, 0x66666667, v36
	v_mul_hi_i32 v36, 0x66666667, v41
	v_mul_hi_i32 v35, 0x66666667, v42
	s_cbranch_vccz .LBB77_75
; %bb.72:
	v_cvt_i32_f64_e32 v33, v[19:20]
	v_cvt_i32_f64_e32 v34, v[29:30]
	v_lshrrev_b32_e32 v41, 31, v40
	v_ashrrev_i32_e32 v42, 2, v40
	v_lshrrev_b32_e32 v43, 31, v39
	v_ashrrev_i32_e32 v44, 2, v39
	;; [unrolled: 2-line block ×3, first 2 shown]
	v_add_nc_u32_e32 v42, v42, v41
	v_lshrrev_b32_e32 v47, 31, v37
	v_add_nc_u32_e32 v41, v44, v43
	v_ashrrev_i32_e32 v48, 2, v37
	v_add_nc_u32_e32 v43, v46, v45
	v_lshrrev_b32_e32 v49, 31, v36
	v_ashrrev_i32_e32 v50, 2, v36
	v_cmp_ne_u32_e32 vcc_lo, v41, v42
	v_add_nc_u32_e32 v44, v48, v47
	v_lshrrev_b32_e32 v51, 31, v35
	v_ashrrev_i32_e32 v52, 2, v35
	v_add_nc_u32_e32 v45, v50, v49
	v_cndmask_b32_e64 v47, 0, 1, vcc_lo
	v_cmp_ne_u32_e32 vcc_lo, v43, v41
	s_waitcnt lgkmcnt(0)
	v_add_nc_u32_e32 v46, v52, v51
	s_barrier
	buffer_gl0_inv
	v_cndmask_b32_e64 v50, 0, 1, vcc_lo
	v_cmp_ne_u32_e32 vcc_lo, v44, v43
                                        ; implicit-def: $sgpr4
	v_cndmask_b32_e64 v43, 0, 1, vcc_lo
	v_cmp_ne_u32_e32 vcc_lo, v45, v44
	v_mul_hi_i32 v33, 0x66666667, v33
	v_mul_hi_i32 v34, 0x66666667, v34
	s_delay_alu instid0(VALU_DEP_2) | instskip(SKIP_1) | instid1(VALU_DEP_3)
	v_lshrrev_b32_e32 v48, 31, v33
	v_ashrrev_i32_e32 v33, 2, v33
	v_lshrrev_b32_e32 v49, 31, v34
	v_ashrrev_i32_e32 v34, 2, v34
	s_delay_alu instid0(VALU_DEP_3) | instskip(NEXT) | instid1(VALU_DEP_2)
	v_add_nc_u32_e32 v33, v33, v48
	v_add_nc_u32_e32 v41, v34, v49
	v_cndmask_b32_e64 v34, 0, 1, vcc_lo
	s_delay_alu instid0(VALU_DEP_3) | instskip(NEXT) | instid1(VALU_DEP_2)
	v_cmp_ne_u32_e32 vcc_lo, v42, v33
	v_lshlrev_b16 v34, 8, v34
	v_cndmask_b32_e64 v33, 0, 1, vcc_lo
	v_cmp_ne_u32_e32 vcc_lo, v41, v46
	s_delay_alu instid0(VALU_DEP_2) | instskip(SKIP_3) | instid1(VALU_DEP_4)
	v_lshlrev_b16 v33, 8, v33
	v_cndmask_b32_e64 v42, 0, 1, vcc_lo
	v_cmp_ne_u32_e32 vcc_lo, v46, v45
	v_lshlrev_b16 v45, 8, v50
	v_or_b32_e32 v33, v47, v33
	s_delay_alu instid0(VALU_DEP_4) | instskip(SKIP_1) | instid1(VALU_DEP_4)
	v_lshlrev_b16 v42, 8, v42
	v_cndmask_b32_e64 v44, 0, 1, vcc_lo
	v_or_b32_e32 v43, v43, v45
	s_delay_alu instid0(VALU_DEP_4) | instskip(NEXT) | instid1(VALU_DEP_4)
	v_lshlrev_b32_e32 v33, 16, v33
	v_or_b32_e32 v42, 1, v42
	s_delay_alu instid0(VALU_DEP_4) | instskip(NEXT) | instid1(VALU_DEP_4)
	v_or_b32_e32 v34, v44, v34
	v_and_b32_e32 v43, 0xffff, v43
	s_delay_alu instid0(VALU_DEP_3) | instskip(NEXT) | instid1(VALU_DEP_3)
	v_and_b32_e32 v42, 0xffff, v42
	v_lshlrev_b32_e32 v44, 16, v34
	s_delay_alu instid0(VALU_DEP_3) | instskip(NEXT) | instid1(VALU_DEP_2)
	v_or_b32_e32 v34, v43, v33
	v_or_b32_e32 v33, v42, v44
	s_and_saveexec_b32 s5, s3
	s_delay_alu instid0(SALU_CYCLE_1)
	s_xor_b32 s5, exec_lo, s5
	s_cbranch_execz .LBB77_74
; %bb.73:
	v_add_nc_u32_e32 v42, -8, v55
	s_or_b32 s0, s0, exec_lo
	ds_load_b64 v[42:43], v42
	s_waitcnt lgkmcnt(0)
	v_cvt_i32_f64_e32 v42, v[42:43]
	s_delay_alu instid0(VALU_DEP_1) | instskip(NEXT) | instid1(VALU_DEP_1)
	v_mul_hi_i32 v42, 0x66666667, v42
	v_lshrrev_b32_e32 v43, 31, v42
	v_ashrrev_i32_e32 v42, 2, v42
	s_delay_alu instid0(VALU_DEP_1) | instskip(NEXT) | instid1(VALU_DEP_1)
	v_add_nc_u32_e32 v42, v42, v43
	v_cmp_ne_u32_e32 vcc_lo, v42, v41
	s_and_b32 s4, vcc_lo, exec_lo
.LBB77_74:
	s_or_b32 exec_lo, exec_lo, s5
	s_branch .LBB77_95
.LBB77_75:
                                        ; implicit-def: $sgpr4
                                        ; implicit-def: $vgpr34
	s_cbranch_execz .LBB77_95
; %bb.76:
	v_or_b32_e32 v33, 7, v55
	s_mov_b32 s4, 0
	s_mov_b32 s5, 0
	s_mov_b32 s6, exec_lo
	s_delay_alu instid0(VALU_DEP_1)
	v_cmpx_gt_u32_e64 s25, v33
; %bb.77:
	v_cvt_i32_f64_e32 v33, v[19:20]
	v_lshrrev_b32_e32 v34, 31, v40
	v_ashrrev_i32_e32 v41, 2, v40
	s_delay_alu instid0(VALU_DEP_1) | instskip(NEXT) | instid1(VALU_DEP_4)
	v_add_nc_u32_e32 v34, v41, v34
	v_mul_hi_i32 v33, 0x66666667, v33
	s_delay_alu instid0(VALU_DEP_1) | instskip(SKIP_1) | instid1(VALU_DEP_1)
	v_lshrrev_b32_e32 v42, 31, v33
	v_ashrrev_i32_e32 v33, 2, v33
	v_add_nc_u32_e32 v33, v33, v42
	s_delay_alu instid0(VALU_DEP_1)
	v_cmp_ne_u32_e32 vcc_lo, v34, v33
	s_and_b32 s5, vcc_lo, exec_lo
; %bb.78:
	s_or_b32 exec_lo, exec_lo, s6
	v_or_b32_e32 v33, 6, v55
	s_mov_b32 s6, exec_lo
	s_delay_alu instid0(VALU_DEP_1)
	v_cmpx_gt_u32_e64 s25, v33
; %bb.79:
	v_lshrrev_b32_e32 v33, 31, v39
	v_ashrrev_i32_e32 v34, 2, v39
	v_lshrrev_b32_e32 v41, 31, v40
	v_ashrrev_i32_e32 v40, 2, v40
	s_delay_alu instid0(VALU_DEP_3) | instskip(NEXT) | instid1(VALU_DEP_2)
	v_add_nc_u32_e32 v33, v34, v33
	v_add_nc_u32_e32 v34, v40, v41
	s_delay_alu instid0(VALU_DEP_1)
	v_cmp_ne_u32_e32 vcc_lo, v33, v34
	s_and_b32 s4, vcc_lo, exec_lo
; %bb.80:
	s_or_b32 exec_lo, exec_lo, s6
	v_or_b32_e32 v33, 5, v55
	s_mov_b32 s6, 0
	s_mov_b32 s7, 0
	s_mov_b32 s19, exec_lo
	s_delay_alu instid0(VALU_DEP_1)
	v_cmpx_gt_u32_e64 s25, v33
; %bb.81:
	v_lshrrev_b32_e32 v33, 31, v38
	v_ashrrev_i32_e32 v34, 2, v38
	v_lshrrev_b32_e32 v40, 31, v39
	v_ashrrev_i32_e32 v39, 2, v39
	s_delay_alu instid0(VALU_DEP_3) | instskip(NEXT) | instid1(VALU_DEP_2)
	v_add_nc_u32_e32 v33, v34, v33
	v_add_nc_u32_e32 v34, v39, v40
	s_delay_alu instid0(VALU_DEP_1)
	v_cmp_ne_u32_e32 vcc_lo, v33, v34
	s_and_b32 s7, vcc_lo, exec_lo
; %bb.82:
	s_or_b32 exec_lo, exec_lo, s19
	v_or_b32_e32 v33, 4, v55
	s_mov_b32 s19, exec_lo
	s_delay_alu instid0(VALU_DEP_1)
	v_cmpx_gt_u32_e64 s25, v33
; %bb.83:
	v_lshrrev_b32_e32 v33, 31, v37
	v_ashrrev_i32_e32 v34, 2, v37
	v_lshrrev_b32_e32 v39, 31, v38
	v_ashrrev_i32_e32 v38, 2, v38
	s_delay_alu instid0(VALU_DEP_3) | instskip(NEXT) | instid1(VALU_DEP_2)
	v_add_nc_u32_e32 v33, v34, v33
	v_add_nc_u32_e32 v34, v38, v39
	s_delay_alu instid0(VALU_DEP_1)
	v_cmp_ne_u32_e32 vcc_lo, v33, v34
	s_and_b32 s6, vcc_lo, exec_lo
; %bb.84:
	s_or_b32 exec_lo, exec_lo, s19
	v_or_b32_e32 v33, 3, v55
	s_mov_b32 s20, 0
	s_mov_b32 s19, 0
	s_mov_b32 s21, exec_lo
	s_delay_alu instid0(VALU_DEP_1)
	v_cmpx_gt_u32_e64 s25, v33
; %bb.85:
	v_lshrrev_b32_e32 v33, 31, v36
	v_ashrrev_i32_e32 v34, 2, v36
	v_lshrrev_b32_e32 v38, 31, v37
	v_ashrrev_i32_e32 v37, 2, v37
	s_delay_alu instid0(VALU_DEP_3) | instskip(NEXT) | instid1(VALU_DEP_2)
	v_add_nc_u32_e32 v33, v34, v33
	v_add_nc_u32_e32 v34, v37, v38
	s_delay_alu instid0(VALU_DEP_1)
	v_cmp_ne_u32_e32 vcc_lo, v33, v34
	s_and_b32 s19, vcc_lo, exec_lo
; %bb.86:
	s_or_b32 exec_lo, exec_lo, s21
	v_or_b32_e32 v33, 2, v55
	s_mov_b32 s21, exec_lo
	s_delay_alu instid0(VALU_DEP_1)
	v_cmpx_gt_u32_e64 s25, v33
; %bb.87:
	v_lshrrev_b32_e32 v33, 31, v35
	v_ashrrev_i32_e32 v34, 2, v35
	v_lshrrev_b32_e32 v37, 31, v36
	v_ashrrev_i32_e32 v36, 2, v36
	s_delay_alu instid0(VALU_DEP_3) | instskip(NEXT) | instid1(VALU_DEP_2)
	v_add_nc_u32_e32 v33, v34, v33
	v_add_nc_u32_e32 v34, v36, v37
	s_delay_alu instid0(VALU_DEP_1)
	v_cmp_ne_u32_e32 vcc_lo, v33, v34
	s_and_b32 s20, vcc_lo, exec_lo
; %bb.88:
	s_or_b32 exec_lo, exec_lo, s21
	v_or_b32_e32 v33, 1, v55
	s_mov_b32 s26, 0
	s_mov_b32 s21, exec_lo
	s_delay_alu instid0(VALU_DEP_1)
	v_cmpx_gt_u32_e64 s25, v33
; %bb.89:
	v_cvt_i32_f64_e32 v33, v[29:30]
	v_lshrrev_b32_e32 v34, 31, v35
	v_ashrrev_i32_e32 v35, 2, v35
	s_delay_alu instid0(VALU_DEP_1) | instskip(NEXT) | instid1(VALU_DEP_4)
	v_add_nc_u32_e32 v34, v35, v34
	v_mul_hi_i32 v33, 0x66666667, v33
	s_delay_alu instid0(VALU_DEP_1) | instskip(SKIP_1) | instid1(VALU_DEP_1)
	v_lshrrev_b32_e32 v36, 31, v33
	v_ashrrev_i32_e32 v33, 2, v33
	v_add_nc_u32_e32 v33, v33, v36
	s_delay_alu instid0(VALU_DEP_1)
	v_cmp_ne_u32_e32 vcc_lo, v33, v34
	s_and_b32 s26, vcc_lo, exec_lo
; %bb.90:
	s_or_b32 exec_lo, exec_lo, s21
	v_cndmask_b32_e64 v34, 0, 1, s19
	v_cndmask_b32_e64 v35, 0, 1, s7
	;; [unrolled: 1-line block ×7, first 2 shown]
	v_lshlrev_b16 v35, 8, v35
	v_lshlrev_b16 v36, 8, v36
	;; [unrolled: 1-line block ×4, first 2 shown]
	s_waitcnt lgkmcnt(0)
	v_or_b32_e32 v35, v38, v35
	v_or_b32_e32 v36, v39, v36
	;; [unrolled: 1-line block ×4, first 2 shown]
	s_barrier
	v_and_b32_e32 v34, 0xffff, v35
	v_lshlrev_b32_e32 v35, 16, v36
	v_and_b32_e32 v36, 0xffff, v37
	v_lshlrev_b32_e32 v33, 16, v33
	buffer_gl0_inv
                                        ; implicit-def: $sgpr4
	v_or_b32_e32 v34, v34, v35
	v_or_b32_e32 v33, v36, v33
	s_and_saveexec_b32 s5, s3
	s_cbranch_execz .LBB77_94
; %bb.91:
	s_mov_b32 s4, 0
	s_mov_b32 s3, exec_lo
	v_cmpx_gt_u32_e64 s25, v55
	s_cbranch_execz .LBB77_93
; %bb.92:
	v_add_nc_u32_e32 v35, -8, v55
	v_cvt_i32_f64_e32 v37, v[29:30]
	ds_load_b64 v[35:36], v35
	s_waitcnt lgkmcnt(0)
	v_cvt_i32_f64_e32 v35, v[35:36]
	v_mul_hi_i32 v36, 0x66666667, v37
	s_delay_alu instid0(VALU_DEP_1) | instskip(SKIP_1) | instid1(VALU_DEP_1)
	v_lshrrev_b32_e32 v37, 31, v36
	v_ashrrev_i32_e32 v36, 2, v36
	v_add_nc_u32_e32 v36, v36, v37
	v_mul_hi_i32 v35, 0x66666667, v35
	s_delay_alu instid0(VALU_DEP_1) | instskip(SKIP_1) | instid1(VALU_DEP_1)
	v_lshrrev_b32_e32 v38, 31, v35
	v_ashrrev_i32_e32 v35, 2, v35
	v_add_nc_u32_e32 v35, v35, v38
	s_delay_alu instid0(VALU_DEP_1)
	v_cmp_ne_u32_e32 vcc_lo, v35, v36
	s_and_b32 s4, vcc_lo, exec_lo
.LBB77_93:
	s_or_b32 exec_lo, exec_lo, s3
	s_delay_alu instid0(SALU_CYCLE_1)
	s_and_b32 s4, s4, exec_lo
	s_or_b32 s0, s0, exec_lo
.LBB77_94:
	s_or_b32 exec_lo, exec_lo, s5
.LBB77_95:
	s_and_saveexec_b32 s3, s0
	s_cbranch_execz .LBB77_97
; %bb.96:
	s_waitcnt vmcnt(0) lgkmcnt(0)
	v_and_b32_e32 v35, 0xffffff00, v33
	v_cndmask_b32_e64 v36, 0, 1, s4
	s_delay_alu instid0(VALU_DEP_1) | instskip(NEXT) | instid1(VALU_DEP_1)
	v_or_b32_e32 v35, v36, v35
	v_and_b32_e32 v35, 0xffff, v35
	s_delay_alu instid0(VALU_DEP_1)
	v_and_or_b32 v33, 0xffff0000, v33, v35
.LBB77_97:
	s_or_b32 exec_lo, exec_lo, s3
	s_delay_alu instid0(SALU_CYCLE_1)
	s_and_not1_b32 vcc_lo, exec_lo, s1
	s_cbranch_vccnz .LBB77_99
; %bb.98:
	v_cmp_gt_u32_e32 vcc_lo, s25, v55
	s_waitcnt vmcnt(0) lgkmcnt(0)
	v_or_b32_e32 v36, 1, v55
	v_and_b32_e32 v37, 0xffffff00, v34
	v_or_b32_e32 v38, 2, v55
	v_cndmask_b32_e32 v35, 0, v33, vcc_lo
	s_delay_alu instid0(VALU_DEP_4) | instskip(SKIP_1) | instid1(VALU_DEP_4)
	v_cmp_gt_u32_e32 vcc_lo, s25, v36
	v_or_b32_e32 v36, 4, v55
	v_cmp_gt_u32_e64 s0, s25, v38
	v_or_b32_e32 v38, 3, v55
	v_and_b32_e32 v35, 0xff, v35
	s_delay_alu instid0(VALU_DEP_2) | instskip(NEXT) | instid1(VALU_DEP_2)
	v_cmp_gt_u32_e64 s1, s25, v38
	v_cndmask_b32_e32 v35, v35, v33, vcc_lo
	v_cmp_gt_u32_e32 vcc_lo, s25, v36
	v_cndmask_b32_e32 v36, v37, v34, vcc_lo
	v_or_b32_e32 v37, 5, v55
	s_delay_alu instid0(VALU_DEP_2) | instskip(SKIP_1) | instid1(VALU_DEP_1)
	v_and_b32_e32 v36, 0xffff00ff, v36
	v_and_b32_e32 v35, 0xffff, v35
	v_cndmask_b32_e64 v35, v35, v33, s0
	s_delay_alu instid0(VALU_DEP_4) | instskip(SKIP_1) | instid1(VALU_DEP_3)
	v_cmp_gt_u32_e64 s0, s25, v37
	v_or_b32_e32 v37, 6, v55
	v_and_b32_e32 v35, 0xffffff, v35
	s_delay_alu instid0(VALU_DEP_3) | instskip(NEXT) | instid1(VALU_DEP_2)
	v_cndmask_b32_e64 v36, v36, v34, s0
	v_cndmask_b32_e64 v35, v35, v33, s1
	s_delay_alu instid0(VALU_DEP_1) | instskip(SKIP_2) | instid1(VALU_DEP_3)
	v_dual_cndmask_b32 v35, v35, v33 :: v_dual_and_b32 v36, 0xff00ffff, v36
	v_cmp_gt_u32_e32 vcc_lo, s25, v37
	v_or_b32_e32 v37, 7, v55
	v_cndmask_b32_e64 v35, v35, v33, s0
	s_delay_alu instid0(VALU_DEP_1) | instskip(NEXT) | instid1(VALU_DEP_1)
	v_dual_cndmask_b32 v36, v36, v34 :: v_dual_cndmask_b32 v35, v35, v33
	v_and_b32_e32 v36, 0xffffff, v36
	s_delay_alu instid0(VALU_DEP_4) | instskip(NEXT) | instid1(VALU_DEP_2)
	v_cmp_gt_u32_e32 vcc_lo, s25, v37
	v_dual_cndmask_b32 v34, v36, v34 :: v_dual_cndmask_b32 v33, v35, v33
.LBB77_99:
	s_delay_alu instid0(VALU_DEP_1) | instskip(SKIP_1) | instid1(VALU_DEP_2)
	v_and_b32_e32 v44, 0xff, v33
	s_waitcnt vmcnt(0) lgkmcnt(0)
	v_alignbit_b32 v35, v34, v33, 24
	v_bfe_u32 v46, v33, 8, 8
	v_bfe_u32 v48, v33, 16, 8
	v_and_b32_e32 v52, 0xff, v34
	v_bfe_u32 v54, v34, 8, 8
	v_and_b32_e32 v50, 0xff, v35
	v_add_nc_u32_e32 v35, v46, v44
	v_mbcnt_lo_u32_b32 v58, -1, 0
	v_bfe_u32 v57, v34, 16, 8
	v_lshrrev_b32_e32 v56, 24, v34
	v_lshrrev_b32_e32 v59, 5, v0
	v_add3_u32 v35, v35, v48, v50
	v_and_b32_e32 v36, 15, v58
	v_and_b32_e32 v37, 16, v58
	s_and_b32 vcc_lo, exec_lo, s18
	s_mov_b32 s7, -1
	v_add3_u32 v35, v35, v52, v54
	v_cmp_eq_u32_e64 s3, 0, v36
	v_cmp_lt_u32_e64 s0, 1, v36
	v_cmp_lt_u32_e64 s4, 3, v36
	;; [unrolled: 1-line block ×3, first 2 shown]
	v_add3_u32 v60, v35, v57, v56
	v_or_b32_e32 v35, 31, v0
	v_cmp_eq_u32_e64 s6, 0, v37
	s_barrier
	buffer_gl0_inv
	v_cmp_eq_u32_e64 s5, v35, v0
	s_cbranch_vccz .LBB77_125
; %bb.100:
	v_mov_b32_dpp v35, v60 row_shr:1 row_mask:0xf bank_mask:0xf
	s_delay_alu instid0(VALU_DEP_1) | instskip(NEXT) | instid1(VALU_DEP_1)
	v_cndmask_b32_e64 v35, v35, 0, s3
	v_add_nc_u32_e32 v35, v35, v60
	s_delay_alu instid0(VALU_DEP_1) | instskip(NEXT) | instid1(VALU_DEP_1)
	v_mov_b32_dpp v36, v35 row_shr:2 row_mask:0xf bank_mask:0xf
	v_cndmask_b32_e64 v36, 0, v36, s0
	s_delay_alu instid0(VALU_DEP_1) | instskip(NEXT) | instid1(VALU_DEP_1)
	v_add_nc_u32_e32 v35, v35, v36
	v_mov_b32_dpp v36, v35 row_shr:4 row_mask:0xf bank_mask:0xf
	s_delay_alu instid0(VALU_DEP_1) | instskip(NEXT) | instid1(VALU_DEP_1)
	v_cndmask_b32_e64 v36, 0, v36, s4
	v_add_nc_u32_e32 v35, v35, v36
	s_delay_alu instid0(VALU_DEP_1) | instskip(NEXT) | instid1(VALU_DEP_1)
	v_mov_b32_dpp v36, v35 row_shr:8 row_mask:0xf bank_mask:0xf
	v_cndmask_b32_e64 v36, 0, v36, s1
	s_delay_alu instid0(VALU_DEP_1) | instskip(SKIP_3) | instid1(VALU_DEP_1)
	v_add_nc_u32_e32 v35, v35, v36
	ds_swizzle_b32 v36, v35 offset:swizzle(BROADCAST,32,15)
	s_waitcnt lgkmcnt(0)
	v_cndmask_b32_e64 v36, v36, 0, s6
	v_add_nc_u32_e32 v35, v35, v36
	s_and_saveexec_b32 s7, s5
	s_cbranch_execz .LBB77_102
; %bb.101:
	v_lshlrev_b32_e32 v36, 2, v59
	ds_store_b32 v36, v35
.LBB77_102:
	s_or_b32 exec_lo, exec_lo, s7
	s_delay_alu instid0(SALU_CYCLE_1)
	s_mov_b32 s7, exec_lo
	s_waitcnt lgkmcnt(0)
	s_barrier
	buffer_gl0_inv
	v_cmpx_gt_u32_e32 16, v0
	s_cbranch_execz .LBB77_104
; %bb.103:
	v_lshlrev_b32_e32 v36, 2, v0
	ds_load_b32 v37, v36
	s_waitcnt lgkmcnt(0)
	v_mov_b32_dpp v38, v37 row_shr:1 row_mask:0xf bank_mask:0xf
	s_delay_alu instid0(VALU_DEP_1) | instskip(NEXT) | instid1(VALU_DEP_1)
	v_cndmask_b32_e64 v38, v38, 0, s3
	v_add_nc_u32_e32 v37, v38, v37
	s_delay_alu instid0(VALU_DEP_1) | instskip(NEXT) | instid1(VALU_DEP_1)
	v_mov_b32_dpp v38, v37 row_shr:2 row_mask:0xf bank_mask:0xf
	v_cndmask_b32_e64 v38, 0, v38, s0
	s_delay_alu instid0(VALU_DEP_1) | instskip(NEXT) | instid1(VALU_DEP_1)
	v_add_nc_u32_e32 v37, v37, v38
	v_mov_b32_dpp v38, v37 row_shr:4 row_mask:0xf bank_mask:0xf
	s_delay_alu instid0(VALU_DEP_1) | instskip(NEXT) | instid1(VALU_DEP_1)
	v_cndmask_b32_e64 v38, 0, v38, s4
	v_add_nc_u32_e32 v37, v37, v38
	s_delay_alu instid0(VALU_DEP_1) | instskip(NEXT) | instid1(VALU_DEP_1)
	v_mov_b32_dpp v38, v37 row_shr:8 row_mask:0xf bank_mask:0xf
	v_cndmask_b32_e64 v38, 0, v38, s1
	s_delay_alu instid0(VALU_DEP_1)
	v_add_nc_u32_e32 v37, v37, v38
	ds_store_b32 v36, v37
.LBB77_104:
	s_or_b32 exec_lo, exec_lo, s7
	v_cmp_gt_u32_e32 vcc_lo, 32, v0
	s_mov_b32 s18, exec_lo
	s_waitcnt lgkmcnt(0)
	s_barrier
	buffer_gl0_inv
                                        ; implicit-def: $vgpr43
	v_cmpx_lt_u32_e32 31, v0
	s_cbranch_execz .LBB77_106
; %bb.105:
	v_lshl_add_u32 v36, v59, 2, -4
	ds_load_b32 v43, v36
	s_waitcnt lgkmcnt(0)
	v_add_nc_u32_e32 v35, v43, v35
.LBB77_106:
	s_or_b32 exec_lo, exec_lo, s18
	v_add_nc_u32_e32 v36, -1, v58
	s_delay_alu instid0(VALU_DEP_1) | instskip(NEXT) | instid1(VALU_DEP_1)
	v_cmp_gt_i32_e64 s7, 0, v36
	v_cndmask_b32_e64 v36, v36, v58, s7
	v_cmp_eq_u32_e64 s7, 0, v58
	s_delay_alu instid0(VALU_DEP_2)
	v_lshlrev_b32_e32 v36, 2, v36
	ds_bpermute_b32 v45, v36, v35
	s_and_saveexec_b32 s18, vcc_lo
	s_cbranch_execz .LBB77_124
; %bb.107:
	v_mov_b32_e32 v39, 0
	ds_load_b32 v35, v39 offset:60
	s_and_saveexec_b32 s19, s7
	s_cbranch_execz .LBB77_109
; %bb.108:
	s_add_i32 s20, s24, 32
	s_mov_b32 s21, 0
	v_mov_b32_e32 v36, 1
	s_lshl_b64 s[20:21], s[20:21], 3
	s_delay_alu instid0(SALU_CYCLE_1)
	s_add_u32 s20, s16, s20
	s_addc_u32 s21, s17, s21
	s_waitcnt lgkmcnt(0)
	global_store_b64 v39, v[35:36], s[20:21]
.LBB77_109:
	s_or_b32 exec_lo, exec_lo, s19
	v_xad_u32 v37, v58, -1, s24
	s_mov_b32 s20, 0
	s_mov_b32 s19, exec_lo
	s_delay_alu instid0(VALU_DEP_1) | instskip(NEXT) | instid1(VALU_DEP_1)
	v_add_nc_u32_e32 v38, 32, v37
	v_lshlrev_b64 v[38:39], 3, v[38:39]
	s_delay_alu instid0(VALU_DEP_1) | instskip(NEXT) | instid1(VALU_DEP_2)
	v_add_co_u32 v41, vcc_lo, s16, v38
	v_add_co_ci_u32_e32 v42, vcc_lo, s17, v39, vcc_lo
	global_load_b64 v[39:40], v[41:42], off glc
	s_waitcnt vmcnt(0)
	v_and_b32_e32 v36, 0xff, v40
	s_delay_alu instid0(VALU_DEP_1)
	v_cmpx_eq_u16_e32 0, v36
	s_cbranch_execz .LBB77_112
.LBB77_110:                             ; =>This Inner Loop Header: Depth=1
	global_load_b64 v[39:40], v[41:42], off glc
	s_waitcnt vmcnt(0)
	v_and_b32_e32 v36, 0xff, v40
	s_delay_alu instid0(VALU_DEP_1) | instskip(SKIP_1) | instid1(SALU_CYCLE_1)
	v_cmp_ne_u16_e32 vcc_lo, 0, v36
	s_or_b32 s20, vcc_lo, s20
	s_and_not1_b32 exec_lo, exec_lo, s20
	s_cbranch_execnz .LBB77_110
; %bb.111:
	s_or_b32 exec_lo, exec_lo, s20
.LBB77_112:
	s_delay_alu instid0(SALU_CYCLE_1)
	s_or_b32 exec_lo, exec_lo, s19
	v_cmp_ne_u32_e32 vcc_lo, 31, v58
	v_lshlrev_b32_e64 v49, v58, -1
	v_add_nc_u32_e32 v53, 2, v58
	v_add_nc_u32_e32 v66, 16, v58
	v_add_co_ci_u32_e32 v36, vcc_lo, 0, v58, vcc_lo
	s_delay_alu instid0(VALU_DEP_1)
	v_lshlrev_b32_e32 v47, 2, v36
	v_and_b32_e32 v36, 0xff, v40
	ds_bpermute_b32 v38, v47, v39
	v_cmp_eq_u16_e32 vcc_lo, 2, v36
	v_and_or_b32 v36, vcc_lo, v49, 0x80000000
	v_cmp_gt_u32_e32 vcc_lo, 30, v58
	s_delay_alu instid0(VALU_DEP_2) | instskip(SKIP_1) | instid1(VALU_DEP_2)
	v_ctz_i32_b32_e32 v36, v36
	v_cndmask_b32_e64 v41, 0, 1, vcc_lo
	v_cmp_lt_u32_e32 vcc_lo, v58, v36
	s_waitcnt lgkmcnt(0)
	s_delay_alu instid0(VALU_DEP_2) | instskip(NEXT) | instid1(VALU_DEP_1)
	v_dual_cndmask_b32 v38, 0, v38 :: v_dual_lshlrev_b32 v41, 1, v41
	v_add_lshl_u32 v51, v41, v58, 2
	v_cmp_gt_u32_e32 vcc_lo, 28, v58
	s_delay_alu instid0(VALU_DEP_3) | instskip(SKIP_4) | instid1(VALU_DEP_1)
	v_add_nc_u32_e32 v38, v38, v39
	v_cndmask_b32_e64 v41, 0, 1, vcc_lo
	v_cmp_le_u32_e32 vcc_lo, v53, v36
	ds_bpermute_b32 v39, v51, v38
	v_lshlrev_b32_e32 v41, 2, v41
	v_add_lshl_u32 v61, v41, v58, 2
	s_waitcnt lgkmcnt(0)
	v_cndmask_b32_e32 v39, 0, v39, vcc_lo
	v_cmp_gt_u32_e32 vcc_lo, 24, v58
	s_delay_alu instid0(VALU_DEP_2) | instskip(SKIP_4) | instid1(VALU_DEP_2)
	v_add_nc_u32_e32 v38, v38, v39
	v_cndmask_b32_e64 v41, 0, 1, vcc_lo
	ds_bpermute_b32 v39, v61, v38
	v_add_nc_u32_e32 v62, 4, v58
	v_lshlrev_b32_e32 v41, 3, v41
	v_cmp_le_u32_e32 vcc_lo, v62, v36
	s_delay_alu instid0(VALU_DEP_2) | instskip(SKIP_3) | instid1(VALU_DEP_2)
	v_add_lshl_u32 v63, v41, v58, 2
	s_waitcnt lgkmcnt(0)
	v_cndmask_b32_e32 v39, 0, v39, vcc_lo
	v_cmp_gt_u32_e32 vcc_lo, 16, v58
	v_add_nc_u32_e32 v38, v38, v39
	v_cndmask_b32_e64 v41, 0, 1, vcc_lo
	ds_bpermute_b32 v39, v63, v38
	v_add_nc_u32_e32 v64, 8, v58
	v_lshlrev_b32_e32 v41, 4, v41
	s_delay_alu instid0(VALU_DEP_2) | instskip(NEXT) | instid1(VALU_DEP_2)
	v_cmp_le_u32_e32 vcc_lo, v64, v36
	v_add_lshl_u32 v65, v41, v58, 2
	s_waitcnt lgkmcnt(0)
	v_cndmask_b32_e32 v39, 0, v39, vcc_lo
	v_cmp_le_u32_e32 vcc_lo, v66, v36
	s_delay_alu instid0(VALU_DEP_2) | instskip(SKIP_3) | instid1(VALU_DEP_1)
	v_add_nc_u32_e32 v38, v38, v39
	ds_bpermute_b32 v39, v65, v38
	s_waitcnt lgkmcnt(0)
	v_cndmask_b32_e32 v36, 0, v39, vcc_lo
	v_dual_mov_b32 v38, 0 :: v_dual_add_nc_u32 v39, v38, v36
	s_branch .LBB77_114
.LBB77_113:                             ;   in Loop: Header=BB77_114 Depth=1
	s_or_b32 exec_lo, exec_lo, s19
	ds_bpermute_b32 v42, v47, v39
	v_and_b32_e32 v41, 0xff, v40
	v_subrev_nc_u32_e32 v37, 32, v37
	s_delay_alu instid0(VALU_DEP_2) | instskip(SKIP_1) | instid1(VALU_DEP_1)
	v_cmp_eq_u16_e32 vcc_lo, 2, v41
	v_and_or_b32 v41, vcc_lo, v49, 0x80000000
	v_ctz_i32_b32_e32 v41, v41
	s_delay_alu instid0(VALU_DEP_1) | instskip(SKIP_3) | instid1(VALU_DEP_2)
	v_cmp_lt_u32_e32 vcc_lo, v58, v41
	s_waitcnt lgkmcnt(0)
	v_cndmask_b32_e32 v42, 0, v42, vcc_lo
	v_cmp_le_u32_e32 vcc_lo, v53, v41
	v_add_nc_u32_e32 v39, v42, v39
	ds_bpermute_b32 v42, v51, v39
	s_waitcnt lgkmcnt(0)
	v_cndmask_b32_e32 v42, 0, v42, vcc_lo
	v_cmp_le_u32_e32 vcc_lo, v62, v41
	s_delay_alu instid0(VALU_DEP_2) | instskip(SKIP_4) | instid1(VALU_DEP_2)
	v_add_nc_u32_e32 v39, v39, v42
	ds_bpermute_b32 v42, v61, v39
	s_waitcnt lgkmcnt(0)
	v_cndmask_b32_e32 v42, 0, v42, vcc_lo
	v_cmp_le_u32_e32 vcc_lo, v64, v41
	v_add_nc_u32_e32 v39, v39, v42
	ds_bpermute_b32 v42, v63, v39
	s_waitcnt lgkmcnt(0)
	v_cndmask_b32_e32 v42, 0, v42, vcc_lo
	v_cmp_le_u32_e32 vcc_lo, v66, v41
	s_delay_alu instid0(VALU_DEP_2) | instskip(SKIP_3) | instid1(VALU_DEP_1)
	v_add_nc_u32_e32 v39, v39, v42
	ds_bpermute_b32 v42, v65, v39
	s_waitcnt lgkmcnt(0)
	v_cndmask_b32_e32 v41, 0, v42, vcc_lo
	v_add3_u32 v39, v41, v36, v39
.LBB77_114:                             ; =>This Loop Header: Depth=1
                                        ;     Child Loop BB77_117 Depth 2
	v_and_b32_e32 v36, 0xff, v40
	s_delay_alu instid0(VALU_DEP_1) | instskip(SKIP_2) | instid1(VALU_DEP_1)
	v_cmp_ne_u16_e32 vcc_lo, 2, v36
	v_cndmask_b32_e64 v36, 0, 1, vcc_lo
	;;#ASMSTART
	;;#ASMEND
	v_cmp_ne_u32_e32 vcc_lo, 0, v36
	v_mov_b32_e32 v36, v39
	s_cmp_lg_u32 vcc_lo, exec_lo
	s_cbranch_scc1 .LBB77_119
; %bb.115:                              ;   in Loop: Header=BB77_114 Depth=1
	v_lshlrev_b64 v[39:40], 3, v[37:38]
	s_mov_b32 s19, exec_lo
	s_delay_alu instid0(VALU_DEP_1) | instskip(NEXT) | instid1(VALU_DEP_2)
	v_add_co_u32 v41, vcc_lo, s16, v39
	v_add_co_ci_u32_e32 v42, vcc_lo, s17, v40, vcc_lo
	global_load_b64 v[39:40], v[41:42], off glc
	s_waitcnt vmcnt(0)
	v_and_b32_e32 v67, 0xff, v40
	s_delay_alu instid0(VALU_DEP_1)
	v_cmpx_eq_u16_e32 0, v67
	s_cbranch_execz .LBB77_113
; %bb.116:                              ;   in Loop: Header=BB77_114 Depth=1
	s_mov_b32 s20, 0
.LBB77_117:                             ;   Parent Loop BB77_114 Depth=1
                                        ; =>  This Inner Loop Header: Depth=2
	global_load_b64 v[39:40], v[41:42], off glc
	s_waitcnt vmcnt(0)
	v_and_b32_e32 v67, 0xff, v40
	s_delay_alu instid0(VALU_DEP_1) | instskip(SKIP_1) | instid1(SALU_CYCLE_1)
	v_cmp_ne_u16_e32 vcc_lo, 0, v67
	s_or_b32 s20, vcc_lo, s20
	s_and_not1_b32 exec_lo, exec_lo, s20
	s_cbranch_execnz .LBB77_117
; %bb.118:                              ;   in Loop: Header=BB77_114 Depth=1
	s_or_b32 exec_lo, exec_lo, s20
	s_branch .LBB77_113
.LBB77_119:                             ;   in Loop: Header=BB77_114 Depth=1
                                        ; implicit-def: $vgpr39
                                        ; implicit-def: $vgpr40
	s_cbranch_execz .LBB77_114
; %bb.120:
	s_and_saveexec_b32 s19, s7
	s_cbranch_execz .LBB77_122
; %bb.121:
	s_add_i32 s20, s24, 32
	s_mov_b32 s21, 0
	v_dual_mov_b32 v38, 2 :: v_dual_add_nc_u32 v37, v36, v35
	s_lshl_b64 s[20:21], s[20:21], 3
	v_mov_b32_e32 v39, 0
	s_add_u32 s20, s16, s20
	s_addc_u32 s21, s17, s21
	global_store_b64 v39, v[37:38], s[20:21]
	ds_store_b64 v39, v[35:36] offset:33792
.LBB77_122:
	s_or_b32 exec_lo, exec_lo, s19
	s_delay_alu instid0(SALU_CYCLE_1)
	s_and_b32 exec_lo, exec_lo, s2
	s_cbranch_execz .LBB77_124
; %bb.123:
	v_mov_b32_e32 v35, 0
	ds_store_b32 v35, v36 offset:60
.LBB77_124:
	s_or_b32 exec_lo, exec_lo, s18
	v_mov_b32_e32 v35, 0
	s_waitcnt lgkmcnt(0)
	s_waitcnt_vscnt null, 0x0
	s_barrier
	buffer_gl0_inv
	v_cndmask_b32_e64 v37, v45, v43, s7
	ds_load_b32 v36, v35 offset:60
	s_waitcnt lgkmcnt(0)
	s_barrier
	buffer_gl0_inv
	v_cndmask_b32_e64 v37, v37, 0, s2
	s_delay_alu instid0(VALU_DEP_1) | instskip(SKIP_2) | instid1(VALU_DEP_1)
	v_add_nc_u32_e32 v53, v36, v37
	ds_load_b64 v[35:36], v35 offset:33792
	v_add_nc_u32_e32 v51, v53, v44
	v_add_nc_u32_e32 v49, v51, v46
	s_delay_alu instid0(VALU_DEP_1) | instskip(NEXT) | instid1(VALU_DEP_1)
	v_add_nc_u32_e32 v47, v49, v48
	v_add_nc_u32_e32 v45, v47, v50
	s_waitcnt lgkmcnt(0)
	v_readfirstlane_b32 s18, v36
	s_delay_alu instid0(VALU_DEP_2) | instskip(NEXT) | instid1(VALU_DEP_1)
	v_add_nc_u32_e32 v43, v45, v52
	v_add_nc_u32_e32 v41, v43, v54
	s_delay_alu instid0(VALU_DEP_1)
	v_add_nc_u32_e32 v39, v41, v57
	v_lshrrev_b64 v[37:38], 24, v[33:34]
	s_branch .LBB77_135
.LBB77_125:
                                        ; implicit-def: $vgpr39
                                        ; implicit-def: $vgpr41
                                        ; implicit-def: $vgpr43
                                        ; implicit-def: $vgpr45
                                        ; implicit-def: $vgpr47
                                        ; implicit-def: $vgpr49
                                        ; implicit-def: $vgpr51
                                        ; implicit-def: $vgpr53
                                        ; implicit-def: $sgpr18
                                        ; implicit-def: $vgpr35
	v_lshrrev_b64 v[37:38], 24, v[33:34]
	s_and_b32 vcc_lo, exec_lo, s7
	s_cbranch_vccz .LBB77_135
; %bb.126:
	v_mov_b32_dpp v35, v60 row_shr:1 row_mask:0xf bank_mask:0xf
	s_delay_alu instid0(VALU_DEP_1) | instskip(NEXT) | instid1(VALU_DEP_1)
	v_cndmask_b32_e64 v35, v35, 0, s3
	v_add_nc_u32_e32 v35, v35, v60
	s_delay_alu instid0(VALU_DEP_1) | instskip(NEXT) | instid1(VALU_DEP_1)
	v_mov_b32_dpp v36, v35 row_shr:2 row_mask:0xf bank_mask:0xf
	v_cndmask_b32_e64 v36, 0, v36, s0
	s_delay_alu instid0(VALU_DEP_1) | instskip(NEXT) | instid1(VALU_DEP_1)
	v_add_nc_u32_e32 v35, v35, v36
	v_mov_b32_dpp v36, v35 row_shr:4 row_mask:0xf bank_mask:0xf
	s_delay_alu instid0(VALU_DEP_1) | instskip(NEXT) | instid1(VALU_DEP_1)
	v_cndmask_b32_e64 v36, 0, v36, s4
	v_add_nc_u32_e32 v35, v35, v36
	s_delay_alu instid0(VALU_DEP_1) | instskip(NEXT) | instid1(VALU_DEP_1)
	v_mov_b32_dpp v36, v35 row_shr:8 row_mask:0xf bank_mask:0xf
	v_cndmask_b32_e64 v36, 0, v36, s1
	s_delay_alu instid0(VALU_DEP_1) | instskip(SKIP_3) | instid1(VALU_DEP_1)
	v_add_nc_u32_e32 v35, v35, v36
	ds_swizzle_b32 v36, v35 offset:swizzle(BROADCAST,32,15)
	s_waitcnt lgkmcnt(0)
	v_cndmask_b32_e64 v36, v36, 0, s6
	v_add_nc_u32_e32 v35, v35, v36
	s_and_saveexec_b32 s6, s5
	s_cbranch_execz .LBB77_128
; %bb.127:
	v_lshlrev_b32_e32 v36, 2, v59
	ds_store_b32 v36, v35
.LBB77_128:
	s_or_b32 exec_lo, exec_lo, s6
	s_delay_alu instid0(SALU_CYCLE_1)
	s_mov_b32 s5, exec_lo
	s_waitcnt lgkmcnt(0)
	s_barrier
	buffer_gl0_inv
	v_cmpx_gt_u32_e32 16, v0
	s_cbranch_execz .LBB77_130
; %bb.129:
	v_lshlrev_b32_e32 v36, 2, v0
	ds_load_b32 v38, v36
	s_waitcnt lgkmcnt(0)
	v_mov_b32_dpp v39, v38 row_shr:1 row_mask:0xf bank_mask:0xf
	s_delay_alu instid0(VALU_DEP_1) | instskip(NEXT) | instid1(VALU_DEP_1)
	v_cndmask_b32_e64 v39, v39, 0, s3
	v_add_nc_u32_e32 v38, v39, v38
	s_delay_alu instid0(VALU_DEP_1) | instskip(NEXT) | instid1(VALU_DEP_1)
	v_mov_b32_dpp v39, v38 row_shr:2 row_mask:0xf bank_mask:0xf
	v_cndmask_b32_e64 v39, 0, v39, s0
	s_delay_alu instid0(VALU_DEP_1) | instskip(NEXT) | instid1(VALU_DEP_1)
	v_add_nc_u32_e32 v38, v38, v39
	v_mov_b32_dpp v39, v38 row_shr:4 row_mask:0xf bank_mask:0xf
	s_delay_alu instid0(VALU_DEP_1) | instskip(NEXT) | instid1(VALU_DEP_1)
	v_cndmask_b32_e64 v39, 0, v39, s4
	v_add_nc_u32_e32 v38, v38, v39
	s_delay_alu instid0(VALU_DEP_1) | instskip(NEXT) | instid1(VALU_DEP_1)
	v_mov_b32_dpp v39, v38 row_shr:8 row_mask:0xf bank_mask:0xf
	v_cndmask_b32_e64 v39, 0, v39, s1
	s_delay_alu instid0(VALU_DEP_1)
	v_add_nc_u32_e32 v38, v38, v39
	ds_store_b32 v36, v38
.LBB77_130:
	s_or_b32 exec_lo, exec_lo, s5
	v_mov_b32_e32 v36, 0
	v_mov_b32_e32 v38, 0
	s_mov_b32 s0, exec_lo
	s_waitcnt lgkmcnt(0)
	s_barrier
	buffer_gl0_inv
	v_cmpx_lt_u32_e32 31, v0
	s_cbranch_execz .LBB77_132
; %bb.131:
	v_lshl_add_u32 v38, v59, 2, -4
	ds_load_b32 v38, v38
.LBB77_132:
	s_or_b32 exec_lo, exec_lo, s0
	v_add_nc_u32_e32 v39, -1, v58
	s_waitcnt lgkmcnt(0)
	v_add_nc_u32_e32 v35, v38, v35
	s_mov_b32 s18, 0
	s_delay_alu instid0(VALU_DEP_2) | instskip(SKIP_1) | instid1(VALU_DEP_1)
	v_cmp_gt_i32_e32 vcc_lo, 0, v39
	v_cndmask_b32_e32 v39, v39, v58, vcc_lo
	v_lshlrev_b32_e32 v39, 2, v39
	ds_bpermute_b32 v39, v39, v35
	ds_load_b32 v35, v36 offset:60
	s_and_saveexec_b32 s0, s2
	s_cbranch_execz .LBB77_134
; %bb.133:
	v_mov_b32_e32 v40, 0
	v_mov_b32_e32 v36, 2
	s_waitcnt lgkmcnt(0)
	global_store_b64 v40, v[35:36], s[16:17] offset:256
.LBB77_134:
	s_or_b32 exec_lo, exec_lo, s0
	v_cmp_eq_u32_e32 vcc_lo, 0, v58
	s_waitcnt lgkmcnt(0)
	s_waitcnt_vscnt null, 0x0
	s_barrier
	buffer_gl0_inv
	v_cndmask_b32_e32 v36, v39, v38, vcc_lo
	s_delay_alu instid0(VALU_DEP_1) | instskip(NEXT) | instid1(VALU_DEP_1)
	v_cndmask_b32_e64 v53, v36, 0, s2
	v_add_nc_u32_e32 v51, v53, v44
	s_delay_alu instid0(VALU_DEP_1) | instskip(NEXT) | instid1(VALU_DEP_1)
	v_add_nc_u32_e32 v49, v51, v46
	v_add_nc_u32_e32 v47, v49, v48
	s_delay_alu instid0(VALU_DEP_1) | instskip(NEXT) | instid1(VALU_DEP_1)
	v_add_nc_u32_e32 v45, v47, v50
	;; [unrolled: 3-line block ×3, first 2 shown]
	v_add_nc_u32_e32 v39, v41, v57
.LBB77_135:
	v_add_nc_u32_e32 v59, s18, v35
	v_cmp_gt_u32_e64 s0, 0x201, v35
	v_lshrrev_b32_e32 v58, 8, v33
	v_lshrrev_b32_e32 v57, 16, v33
	;; [unrolled: 1-line block ×4, first 2 shown]
	v_cmp_lt_u32_e64 s1, v53, v59
	s_and_b32 vcc_lo, exec_lo, s0
	s_mov_b32 s3, -1
	s_cbranch_vccz .LBB77_161
; %bb.136:
	s_lshl_b64 s[4:5], s[10:11], 3
	s_delay_alu instid0(SALU_CYCLE_1) | instskip(SKIP_2) | instid1(SALU_CYCLE_1)
	s_add_u32 s3, s12, s4
	s_addc_u32 s4, s13, s5
	s_or_b32 s5, s23, s1
	s_and_saveexec_b32 s1, s5
	s_cbranch_execz .LBB77_139
; %bb.137:
	v_and_b32_e32 v40, 1, v33
	s_delay_alu instid0(VALU_DEP_1)
	v_cmp_eq_u32_e32 vcc_lo, 1, v40
	s_and_b32 exec_lo, exec_lo, vcc_lo
	s_cbranch_execz .LBB77_139
; %bb.138:
	v_mov_b32_e32 v54, 0
	s_delay_alu instid0(VALU_DEP_1) | instskip(NEXT) | instid1(VALU_DEP_1)
	v_lshlrev_b64 v[60:61], 3, v[53:54]
	v_add_co_u32 v60, vcc_lo, s3, v60
	s_delay_alu instid0(VALU_DEP_2)
	v_add_co_ci_u32_e32 v61, vcc_lo, s4, v61, vcc_lo
	global_store_b64 v[60:61], v[29:30], off
.LBB77_139:
	s_or_b32 exec_lo, exec_lo, s1
	v_cmp_lt_u32_e32 vcc_lo, v51, v59
	s_or_b32 s5, s23, vcc_lo
	s_delay_alu instid0(SALU_CYCLE_1)
	s_and_saveexec_b32 s1, s5
	s_cbranch_execz .LBB77_142
; %bb.140:
	v_and_b32_e32 v40, 1, v58
	s_delay_alu instid0(VALU_DEP_1)
	v_cmp_eq_u32_e32 vcc_lo, 1, v40
	s_and_b32 exec_lo, exec_lo, vcc_lo
	s_cbranch_execz .LBB77_142
; %bb.141:
	v_mov_b32_e32 v52, 0
	s_delay_alu instid0(VALU_DEP_1) | instskip(NEXT) | instid1(VALU_DEP_1)
	v_lshlrev_b64 v[60:61], 3, v[51:52]
	v_add_co_u32 v60, vcc_lo, s3, v60
	s_delay_alu instid0(VALU_DEP_2)
	v_add_co_ci_u32_e32 v61, vcc_lo, s4, v61, vcc_lo
	global_store_b64 v[60:61], v[31:32], off
.LBB77_142:
	s_or_b32 exec_lo, exec_lo, s1
	v_cmp_lt_u32_e32 vcc_lo, v49, v59
	s_or_b32 s5, s23, vcc_lo
	s_delay_alu instid0(SALU_CYCLE_1)
	s_and_saveexec_b32 s1, s5
	s_cbranch_execz .LBB77_145
; %bb.143:
	v_and_b32_e32 v40, 1, v57
	s_delay_alu instid0(VALU_DEP_1)
	v_cmp_eq_u32_e32 vcc_lo, 1, v40
	s_and_b32 exec_lo, exec_lo, vcc_lo
	s_cbranch_execz .LBB77_145
; %bb.144:
	v_mov_b32_e32 v50, 0
	s_delay_alu instid0(VALU_DEP_1) | instskip(NEXT) | instid1(VALU_DEP_1)
	v_lshlrev_b64 v[60:61], 3, v[49:50]
	v_add_co_u32 v60, vcc_lo, s3, v60
	s_delay_alu instid0(VALU_DEP_2)
	v_add_co_ci_u32_e32 v61, vcc_lo, s4, v61, vcc_lo
	global_store_b64 v[60:61], v[25:26], off
.LBB77_145:
	s_or_b32 exec_lo, exec_lo, s1
	v_cmp_lt_u32_e32 vcc_lo, v47, v59
	s_or_b32 s5, s23, vcc_lo
	s_delay_alu instid0(SALU_CYCLE_1)
	s_and_saveexec_b32 s1, s5
	s_cbranch_execz .LBB77_148
; %bb.146:
	v_and_b32_e32 v40, 1, v37
	s_delay_alu instid0(VALU_DEP_1)
	v_cmp_eq_u32_e32 vcc_lo, 1, v40
	s_and_b32 exec_lo, exec_lo, vcc_lo
	s_cbranch_execz .LBB77_148
; %bb.147:
	v_mov_b32_e32 v48, 0
	s_delay_alu instid0(VALU_DEP_1) | instskip(NEXT) | instid1(VALU_DEP_1)
	v_lshlrev_b64 v[60:61], 3, v[47:48]
	v_add_co_u32 v60, vcc_lo, s3, v60
	s_delay_alu instid0(VALU_DEP_2)
	v_add_co_ci_u32_e32 v61, vcc_lo, s4, v61, vcc_lo
	global_store_b64 v[60:61], v[27:28], off
.LBB77_148:
	s_or_b32 exec_lo, exec_lo, s1
	v_cmp_lt_u32_e32 vcc_lo, v45, v59
	s_or_b32 s5, s23, vcc_lo
	s_delay_alu instid0(SALU_CYCLE_1)
	s_and_saveexec_b32 s1, s5
	s_cbranch_execz .LBB77_151
; %bb.149:
	v_and_b32_e32 v40, 1, v34
	s_delay_alu instid0(VALU_DEP_1)
	v_cmp_eq_u32_e32 vcc_lo, 1, v40
	s_and_b32 exec_lo, exec_lo, vcc_lo
	s_cbranch_execz .LBB77_151
; %bb.150:
	v_mov_b32_e32 v46, 0
	s_delay_alu instid0(VALU_DEP_1) | instskip(NEXT) | instid1(VALU_DEP_1)
	v_lshlrev_b64 v[60:61], 3, v[45:46]
	v_add_co_u32 v60, vcc_lo, s3, v60
	s_delay_alu instid0(VALU_DEP_2)
	v_add_co_ci_u32_e32 v61, vcc_lo, s4, v61, vcc_lo
	global_store_b64 v[60:61], v[21:22], off
.LBB77_151:
	s_or_b32 exec_lo, exec_lo, s1
	v_cmp_lt_u32_e32 vcc_lo, v43, v59
	s_or_b32 s5, s23, vcc_lo
	s_delay_alu instid0(SALU_CYCLE_1)
	s_and_saveexec_b32 s1, s5
	s_cbranch_execz .LBB77_154
; %bb.152:
	v_and_b32_e32 v40, 1, v38
	s_delay_alu instid0(VALU_DEP_1)
	v_cmp_eq_u32_e32 vcc_lo, 1, v40
	s_and_b32 exec_lo, exec_lo, vcc_lo
	s_cbranch_execz .LBB77_154
; %bb.153:
	v_mov_b32_e32 v44, 0
	s_delay_alu instid0(VALU_DEP_1) | instskip(NEXT) | instid1(VALU_DEP_1)
	v_lshlrev_b64 v[60:61], 3, v[43:44]
	v_add_co_u32 v60, vcc_lo, s3, v60
	s_delay_alu instid0(VALU_DEP_2)
	v_add_co_ci_u32_e32 v61, vcc_lo, s4, v61, vcc_lo
	global_store_b64 v[60:61], v[23:24], off
.LBB77_154:
	s_or_b32 exec_lo, exec_lo, s1
	v_cmp_lt_u32_e32 vcc_lo, v41, v59
	s_or_b32 s5, s23, vcc_lo
	s_delay_alu instid0(SALU_CYCLE_1)
	s_and_saveexec_b32 s1, s5
	s_cbranch_execz .LBB77_157
; %bb.155:
	v_and_b32_e32 v40, 1, v36
	s_delay_alu instid0(VALU_DEP_1)
	v_cmp_eq_u32_e32 vcc_lo, 1, v40
	s_and_b32 exec_lo, exec_lo, vcc_lo
	s_cbranch_execz .LBB77_157
; %bb.156:
	v_mov_b32_e32 v42, 0
	s_delay_alu instid0(VALU_DEP_1) | instskip(NEXT) | instid1(VALU_DEP_1)
	v_lshlrev_b64 v[60:61], 3, v[41:42]
	v_add_co_u32 v60, vcc_lo, s3, v60
	s_delay_alu instid0(VALU_DEP_2)
	v_add_co_ci_u32_e32 v61, vcc_lo, s4, v61, vcc_lo
	global_store_b64 v[60:61], v[17:18], off
.LBB77_157:
	s_or_b32 exec_lo, exec_lo, s1
	v_cmp_lt_u32_e32 vcc_lo, v39, v59
	s_or_b32 s5, s23, vcc_lo
	s_delay_alu instid0(SALU_CYCLE_1)
	s_and_saveexec_b32 s1, s5
	s_cbranch_execz .LBB77_160
; %bb.158:
	v_and_b32_e32 v40, 1, v56
	s_delay_alu instid0(VALU_DEP_1)
	v_cmp_eq_u32_e32 vcc_lo, 1, v40
	s_and_b32 exec_lo, exec_lo, vcc_lo
	s_cbranch_execz .LBB77_160
; %bb.159:
	v_mov_b32_e32 v40, 0
	s_delay_alu instid0(VALU_DEP_1) | instskip(NEXT) | instid1(VALU_DEP_1)
	v_lshlrev_b64 v[60:61], 3, v[39:40]
	v_add_co_u32 v60, vcc_lo, s3, v60
	s_delay_alu instid0(VALU_DEP_2)
	v_add_co_ci_u32_e32 v61, vcc_lo, s4, v61, vcc_lo
	global_store_b64 v[60:61], v[19:20], off
.LBB77_160:
	s_or_b32 exec_lo, exec_lo, s1
	s_mov_b32 s3, 0
.LBB77_161:
	v_and_b32_e32 v33, 1, v33
	s_and_b32 vcc_lo, exec_lo, s3
	s_delay_alu instid0(VALU_DEP_1)
	v_cmp_eq_u32_e64 s1, 1, v33
	s_cbranch_vccz .LBB77_182
; %bb.162:
	s_delay_alu instid0(VALU_DEP_1)
	s_and_saveexec_b32 s3, s1
	s_cbranch_execz .LBB77_164
; %bb.163:
	v_subrev_nc_u32_e32 v40, s18, v53
	s_delay_alu instid0(VALU_DEP_1)
	v_lshlrev_b32_e32 v40, 3, v40
	ds_store_b64 v40, v[29:30]
.LBB77_164:
	s_or_b32 exec_lo, exec_lo, s3
	v_and_b32_e32 v29, 1, v58
	s_mov_b32 s1, exec_lo
	s_delay_alu instid0(VALU_DEP_1)
	v_cmpx_eq_u32_e32 1, v29
	s_cbranch_execz .LBB77_166
; %bb.165:
	v_subrev_nc_u32_e32 v29, s18, v51
	s_delay_alu instid0(VALU_DEP_1)
	v_lshlrev_b32_e32 v29, 3, v29
	ds_store_b64 v29, v[31:32]
.LBB77_166:
	s_or_b32 exec_lo, exec_lo, s1
	v_and_b32_e32 v29, 1, v57
	s_mov_b32 s1, exec_lo
	s_delay_alu instid0(VALU_DEP_1)
	v_cmpx_eq_u32_e32 1, v29
	;; [unrolled: 12-line block ×7, first 2 shown]
	s_cbranch_execz .LBB77_178
; %bb.177:
	v_subrev_nc_u32_e32 v17, s18, v39
	s_delay_alu instid0(VALU_DEP_1)
	v_lshlrev_b32_e32 v17, 3, v17
	ds_store_b64 v17, v[19:20]
.LBB77_178:
	s_or_b32 exec_lo, exec_lo, s1
	s_delay_alu instid0(SALU_CYCLE_1)
	s_mov_b32 s3, exec_lo
	s_waitcnt lgkmcnt(0)
	s_waitcnt_vscnt null, 0x0
	s_barrier
	buffer_gl0_inv
	v_cmpx_lt_u32_e64 v0, v35
	s_cbranch_execz .LBB77_181
; %bb.179:
	s_mov_b32 s19, 0
	s_lshl_b64 s[4:5], s[10:11], 3
	s_lshl_b64 s[6:7], s[18:19], 3
	v_dual_mov_b32 v19, v55 :: v_dual_mov_b32 v20, v0
	s_add_u32 s1, s4, s6
	s_addc_u32 s4, s5, s7
	s_add_u32 s1, s12, s1
	s_addc_u32 s4, s13, s4
	v_add_co_u32 v17, s1, s1, v55
	s_delay_alu instid0(VALU_DEP_1)
	v_add_co_ci_u32_e64 v18, null, s4, 0, s1
	.p2align	6
.LBB77_180:                             ; =>This Inner Loop Header: Depth=1
	ds_load_b64 v[21:22], v19
	v_add_nc_u32_e32 v20, 0x200, v20
	v_add_nc_u32_e32 v19, 0x1000, v19
	s_delay_alu instid0(VALU_DEP_2) | instskip(SKIP_4) | instid1(VALU_DEP_1)
	v_cmp_ge_u32_e32 vcc_lo, v20, v35
	s_or_b32 s19, vcc_lo, s19
	s_waitcnt lgkmcnt(0)
	global_store_b64 v[17:18], v[21:22], off
	v_add_co_u32 v17, s1, 0x1000, v17
	v_add_co_ci_u32_e64 v18, s1, 0, v18, s1
	s_and_not1_b32 exec_lo, exec_lo, s19
	s_cbranch_execnz .LBB77_180
.LBB77_181:
	s_or_b32 exec_lo, exec_lo, s3
.LBB77_182:
	s_delay_alu instid0(SALU_CYCLE_1)
	s_and_b32 vcc_lo, exec_lo, s0
	s_mov_b32 s0, -1
	s_waitcnt_vscnt null, 0x0
	s_barrier
	buffer_gl0_inv
	s_cbranch_vccz .LBB77_210
; %bb.183:
	v_cmp_lt_u32_e32 vcc_lo, v53, v59
	s_lshl_b64 s[0:1], s[10:11], 3
	s_delay_alu instid0(SALU_CYCLE_1) | instskip(SKIP_2) | instid1(SALU_CYCLE_1)
	s_add_u32 s0, s14, s0
	s_addc_u32 s1, s15, s1
	s_or_b32 s4, s23, vcc_lo
	s_and_saveexec_b32 s3, s4
	s_cbranch_execz .LBB77_186
; %bb.184:
	v_cmp_eq_u32_e32 vcc_lo, 1, v33
	s_and_b32 exec_lo, exec_lo, vcc_lo
	s_cbranch_execz .LBB77_186
; %bb.185:
	v_mov_b32_e32 v54, 0
	s_delay_alu instid0(VALU_DEP_1) | instskip(NEXT) | instid1(VALU_DEP_1)
	v_lshlrev_b64 v[17:18], 3, v[53:54]
	v_add_co_u32 v17, vcc_lo, s0, v17
	s_delay_alu instid0(VALU_DEP_2)
	v_add_co_ci_u32_e32 v18, vcc_lo, s1, v18, vcc_lo
	global_store_b64 v[17:18], v[13:14], off
.LBB77_186:
	s_or_b32 exec_lo, exec_lo, s3
	v_cmp_lt_u32_e32 vcc_lo, v51, v59
	s_or_b32 s4, s23, vcc_lo
	s_delay_alu instid0(SALU_CYCLE_1)
	s_and_saveexec_b32 s3, s4
	s_cbranch_execz .LBB77_189
; %bb.187:
	v_and_b32_e32 v17, 1, v58
	s_delay_alu instid0(VALU_DEP_1)
	v_cmp_eq_u32_e32 vcc_lo, 1, v17
	s_and_b32 exec_lo, exec_lo, vcc_lo
	s_cbranch_execz .LBB77_189
; %bb.188:
	v_mov_b32_e32 v52, 0
	s_delay_alu instid0(VALU_DEP_1) | instskip(NEXT) | instid1(VALU_DEP_1)
	v_lshlrev_b64 v[17:18], 3, v[51:52]
	v_add_co_u32 v17, vcc_lo, s0, v17
	s_delay_alu instid0(VALU_DEP_2)
	v_add_co_ci_u32_e32 v18, vcc_lo, s1, v18, vcc_lo
	global_store_b64 v[17:18], v[15:16], off
.LBB77_189:
	s_or_b32 exec_lo, exec_lo, s3
	v_cmp_lt_u32_e32 vcc_lo, v49, v59
	s_or_b32 s4, s23, vcc_lo
	s_delay_alu instid0(SALU_CYCLE_1)
	s_and_saveexec_b32 s3, s4
	s_cbranch_execz .LBB77_192
; %bb.190:
	v_and_b32_e32 v17, 1, v57
	s_delay_alu instid0(VALU_DEP_1)
	v_cmp_eq_u32_e32 vcc_lo, 1, v17
	s_and_b32 exec_lo, exec_lo, vcc_lo
	s_cbranch_execz .LBB77_192
; %bb.191:
	v_mov_b32_e32 v50, 0
	s_delay_alu instid0(VALU_DEP_1) | instskip(NEXT) | instid1(VALU_DEP_1)
	v_lshlrev_b64 v[17:18], 3, v[49:50]
	v_add_co_u32 v17, vcc_lo, s0, v17
	s_delay_alu instid0(VALU_DEP_2)
	v_add_co_ci_u32_e32 v18, vcc_lo, s1, v18, vcc_lo
	global_store_b64 v[17:18], v[9:10], off
.LBB77_192:
	;; [unrolled: 21-line block ×7, first 2 shown]
	s_or_b32 exec_lo, exec_lo, s3
.LBB77_208:
	s_and_b32 s0, s2, s22
	s_delay_alu instid0(SALU_CYCLE_1)
	s_and_saveexec_b32 s1, s0
	s_cbranch_execz .LBB77_231
.LBB77_209:
	v_add_co_u32 v0, s0, s10, v35
	s_delay_alu instid0(VALU_DEP_1) | instskip(SKIP_1) | instid1(VALU_DEP_3)
	v_add_co_ci_u32_e64 v1, null, s11, 0, s0
	v_mov_b32_e32 v2, 0
	v_add_co_u32 v0, vcc_lo, v0, s18
	s_delay_alu instid0(VALU_DEP_3)
	v_add_co_ci_u32_e32 v1, vcc_lo, 0, v1, vcc_lo
	global_store_b64 v2, v[0:1], s[8:9]
	s_nop 0
	s_sendmsg sendmsg(MSG_DEALLOC_VGPRS)
	s_endpgm
.LBB77_210:
	s_and_b32 vcc_lo, exec_lo, s0
	s_cbranch_vccz .LBB77_208
; %bb.211:
	s_mov_b32 s0, exec_lo
	v_cmpx_eq_u32_e32 1, v33
	s_cbranch_execz .LBB77_213
; %bb.212:
	v_subrev_nc_u32_e32 v17, s18, v53
	s_delay_alu instid0(VALU_DEP_1)
	v_lshlrev_b32_e32 v17, 3, v17
	ds_store_b64 v17, v[13:14]
.LBB77_213:
	s_or_b32 exec_lo, exec_lo, s0
	v_and_b32_e32 v13, 1, v58
	s_mov_b32 s0, exec_lo
	s_delay_alu instid0(VALU_DEP_1)
	v_cmpx_eq_u32_e32 1, v13
	s_cbranch_execz .LBB77_215
; %bb.214:
	v_subrev_nc_u32_e32 v13, s18, v51
	s_delay_alu instid0(VALU_DEP_1)
	v_lshlrev_b32_e32 v13, 3, v13
	ds_store_b64 v13, v[15:16]
.LBB77_215:
	s_or_b32 exec_lo, exec_lo, s0
	v_and_b32_e32 v13, 1, v57
	s_mov_b32 s0, exec_lo
	s_delay_alu instid0(VALU_DEP_1)
	;; [unrolled: 12-line block ×7, first 2 shown]
	v_cmpx_eq_u32_e32 1, v1
	s_cbranch_execz .LBB77_227
; %bb.226:
	v_subrev_nc_u32_e32 v1, s18, v39
	s_delay_alu instid0(VALU_DEP_1)
	v_lshlrev_b32_e32 v1, 3, v1
	ds_store_b64 v1, v[3:4]
.LBB77_227:
	s_or_b32 exec_lo, exec_lo, s0
	s_delay_alu instid0(SALU_CYCLE_1)
	s_mov_b32 s1, exec_lo
	s_waitcnt lgkmcnt(0)
	s_waitcnt_vscnt null, 0x0
	s_barrier
	buffer_gl0_inv
	v_cmpx_lt_u32_e64 v0, v35
	s_cbranch_execz .LBB77_230
; %bb.228:
	s_mov_b32 s19, 0
	s_lshl_b64 s[4:5], s[10:11], 3
	s_lshl_b64 s[6:7], s[18:19], 3
	s_delay_alu instid0(SALU_CYCLE_1) | instskip(SKIP_4) | instid1(VALU_DEP_1)
	s_add_u32 s0, s4, s6
	s_addc_u32 s3, s5, s7
	s_add_u32 s0, s14, s0
	s_addc_u32 s3, s15, s3
	v_add_co_u32 v1, s0, s0, v55
	v_add_co_ci_u32_e64 v2, null, s3, 0, s0
	.p2align	6
.LBB77_229:                             ; =>This Inner Loop Header: Depth=1
	ds_load_b64 v[3:4], v55
	v_add_nc_u32_e32 v0, 0x200, v0
	v_add_nc_u32_e32 v55, 0x1000, v55
	s_delay_alu instid0(VALU_DEP_2) | instskip(SKIP_4) | instid1(VALU_DEP_1)
	v_cmp_ge_u32_e32 vcc_lo, v0, v35
	s_or_b32 s19, vcc_lo, s19
	s_waitcnt lgkmcnt(0)
	global_store_b64 v[1:2], v[3:4], off
	v_add_co_u32 v1, s0, 0x1000, v1
	v_add_co_ci_u32_e64 v2, s0, 0, v2, s0
	s_and_not1_b32 exec_lo, exec_lo, s19
	s_cbranch_execnz .LBB77_229
.LBB77_230:
	s_or_b32 exec_lo, exec_lo, s1
	s_and_b32 s0, s2, s22
	s_delay_alu instid0(SALU_CYCLE_1)
	s_and_saveexec_b32 s1, s0
	s_cbranch_execnz .LBB77_209
.LBB77_231:
	s_nop 0
	s_sendmsg sendmsg(MSG_DEALLOC_VGPRS)
	s_endpgm
	.section	.rodata,"a",@progbits
	.p2align	6, 0x0
	.amdhsa_kernel _ZN7rocprim17ROCPRIM_400000_NS6detail17trampoline_kernelINS0_14default_configENS1_25partition_config_selectorILNS1_17partition_subalgoE9EddbEEZZNS1_14partition_implILS5_9ELb0ES3_jN6thrust23THRUST_200600_302600_NS6detail15normal_iteratorINS9_10device_ptrIdEEEESE_PNS0_10empty_typeENS0_5tupleIJSE_SF_EEENSH_IJSE_SG_EEENS0_18inequality_wrapperI22is_equal_div_10_uniqueIdEEEPmJSF_EEE10hipError_tPvRmT3_T4_T5_T6_T7_T9_mT8_P12ihipStream_tbDpT10_ENKUlT_T0_E_clISt17integral_constantIbLb0EES17_IbLb1EEEEDaS13_S14_EUlS13_E_NS1_11comp_targetILNS1_3genE9ELNS1_11target_archE1100ELNS1_3gpuE3ELNS1_3repE0EEENS1_30default_config_static_selectorELNS0_4arch9wavefront6targetE0EEEvT1_
		.amdhsa_group_segment_fixed_size 33800
		.amdhsa_private_segment_fixed_size 0
		.amdhsa_kernarg_size 128
		.amdhsa_user_sgpr_count 15
		.amdhsa_user_sgpr_dispatch_ptr 0
		.amdhsa_user_sgpr_queue_ptr 0
		.amdhsa_user_sgpr_kernarg_segment_ptr 1
		.amdhsa_user_sgpr_dispatch_id 0
		.amdhsa_user_sgpr_private_segment_size 0
		.amdhsa_wavefront_size32 1
		.amdhsa_uses_dynamic_stack 0
		.amdhsa_enable_private_segment 0
		.amdhsa_system_sgpr_workgroup_id_x 1
		.amdhsa_system_sgpr_workgroup_id_y 0
		.amdhsa_system_sgpr_workgroup_id_z 0
		.amdhsa_system_sgpr_workgroup_info 0
		.amdhsa_system_vgpr_workitem_id 0
		.amdhsa_next_free_vgpr 68
		.amdhsa_next_free_sgpr 29
		.amdhsa_reserve_vcc 1
		.amdhsa_float_round_mode_32 0
		.amdhsa_float_round_mode_16_64 0
		.amdhsa_float_denorm_mode_32 3
		.amdhsa_float_denorm_mode_16_64 3
		.amdhsa_dx10_clamp 1
		.amdhsa_ieee_mode 1
		.amdhsa_fp16_overflow 0
		.amdhsa_workgroup_processor_mode 1
		.amdhsa_memory_ordered 1
		.amdhsa_forward_progress 0
		.amdhsa_shared_vgpr_count 0
		.amdhsa_exception_fp_ieee_invalid_op 0
		.amdhsa_exception_fp_denorm_src 0
		.amdhsa_exception_fp_ieee_div_zero 0
		.amdhsa_exception_fp_ieee_overflow 0
		.amdhsa_exception_fp_ieee_underflow 0
		.amdhsa_exception_fp_ieee_inexact 0
		.amdhsa_exception_int_div_zero 0
	.end_amdhsa_kernel
	.section	.text._ZN7rocprim17ROCPRIM_400000_NS6detail17trampoline_kernelINS0_14default_configENS1_25partition_config_selectorILNS1_17partition_subalgoE9EddbEEZZNS1_14partition_implILS5_9ELb0ES3_jN6thrust23THRUST_200600_302600_NS6detail15normal_iteratorINS9_10device_ptrIdEEEESE_PNS0_10empty_typeENS0_5tupleIJSE_SF_EEENSH_IJSE_SG_EEENS0_18inequality_wrapperI22is_equal_div_10_uniqueIdEEEPmJSF_EEE10hipError_tPvRmT3_T4_T5_T6_T7_T9_mT8_P12ihipStream_tbDpT10_ENKUlT_T0_E_clISt17integral_constantIbLb0EES17_IbLb1EEEEDaS13_S14_EUlS13_E_NS1_11comp_targetILNS1_3genE9ELNS1_11target_archE1100ELNS1_3gpuE3ELNS1_3repE0EEENS1_30default_config_static_selectorELNS0_4arch9wavefront6targetE0EEEvT1_,"axG",@progbits,_ZN7rocprim17ROCPRIM_400000_NS6detail17trampoline_kernelINS0_14default_configENS1_25partition_config_selectorILNS1_17partition_subalgoE9EddbEEZZNS1_14partition_implILS5_9ELb0ES3_jN6thrust23THRUST_200600_302600_NS6detail15normal_iteratorINS9_10device_ptrIdEEEESE_PNS0_10empty_typeENS0_5tupleIJSE_SF_EEENSH_IJSE_SG_EEENS0_18inequality_wrapperI22is_equal_div_10_uniqueIdEEEPmJSF_EEE10hipError_tPvRmT3_T4_T5_T6_T7_T9_mT8_P12ihipStream_tbDpT10_ENKUlT_T0_E_clISt17integral_constantIbLb0EES17_IbLb1EEEEDaS13_S14_EUlS13_E_NS1_11comp_targetILNS1_3genE9ELNS1_11target_archE1100ELNS1_3gpuE3ELNS1_3repE0EEENS1_30default_config_static_selectorELNS0_4arch9wavefront6targetE0EEEvT1_,comdat
.Lfunc_end77:
	.size	_ZN7rocprim17ROCPRIM_400000_NS6detail17trampoline_kernelINS0_14default_configENS1_25partition_config_selectorILNS1_17partition_subalgoE9EddbEEZZNS1_14partition_implILS5_9ELb0ES3_jN6thrust23THRUST_200600_302600_NS6detail15normal_iteratorINS9_10device_ptrIdEEEESE_PNS0_10empty_typeENS0_5tupleIJSE_SF_EEENSH_IJSE_SG_EEENS0_18inequality_wrapperI22is_equal_div_10_uniqueIdEEEPmJSF_EEE10hipError_tPvRmT3_T4_T5_T6_T7_T9_mT8_P12ihipStream_tbDpT10_ENKUlT_T0_E_clISt17integral_constantIbLb0EES17_IbLb1EEEEDaS13_S14_EUlS13_E_NS1_11comp_targetILNS1_3genE9ELNS1_11target_archE1100ELNS1_3gpuE3ELNS1_3repE0EEENS1_30default_config_static_selectorELNS0_4arch9wavefront6targetE0EEEvT1_, .Lfunc_end77-_ZN7rocprim17ROCPRIM_400000_NS6detail17trampoline_kernelINS0_14default_configENS1_25partition_config_selectorILNS1_17partition_subalgoE9EddbEEZZNS1_14partition_implILS5_9ELb0ES3_jN6thrust23THRUST_200600_302600_NS6detail15normal_iteratorINS9_10device_ptrIdEEEESE_PNS0_10empty_typeENS0_5tupleIJSE_SF_EEENSH_IJSE_SG_EEENS0_18inequality_wrapperI22is_equal_div_10_uniqueIdEEEPmJSF_EEE10hipError_tPvRmT3_T4_T5_T6_T7_T9_mT8_P12ihipStream_tbDpT10_ENKUlT_T0_E_clISt17integral_constantIbLb0EES17_IbLb1EEEEDaS13_S14_EUlS13_E_NS1_11comp_targetILNS1_3genE9ELNS1_11target_archE1100ELNS1_3gpuE3ELNS1_3repE0EEENS1_30default_config_static_selectorELNS0_4arch9wavefront6targetE0EEEvT1_
                                        ; -- End function
	.section	.AMDGPU.csdata,"",@progbits
; Kernel info:
; codeLenInByte = 11116
; NumSgprs: 31
; NumVgprs: 68
; ScratchSize: 0
; MemoryBound: 0
; FloatMode: 240
; IeeeMode: 1
; LDSByteSize: 33800 bytes/workgroup (compile time only)
; SGPRBlocks: 3
; VGPRBlocks: 8
; NumSGPRsForWavesPerEU: 31
; NumVGPRsForWavesPerEU: 68
; Occupancy: 12
; WaveLimiterHint : 1
; COMPUTE_PGM_RSRC2:SCRATCH_EN: 0
; COMPUTE_PGM_RSRC2:USER_SGPR: 15
; COMPUTE_PGM_RSRC2:TRAP_HANDLER: 0
; COMPUTE_PGM_RSRC2:TGID_X_EN: 1
; COMPUTE_PGM_RSRC2:TGID_Y_EN: 0
; COMPUTE_PGM_RSRC2:TGID_Z_EN: 0
; COMPUTE_PGM_RSRC2:TIDIG_COMP_CNT: 0
	.section	.text._ZN7rocprim17ROCPRIM_400000_NS6detail17trampoline_kernelINS0_14default_configENS1_25partition_config_selectorILNS1_17partition_subalgoE9EddbEEZZNS1_14partition_implILS5_9ELb0ES3_jN6thrust23THRUST_200600_302600_NS6detail15normal_iteratorINS9_10device_ptrIdEEEESE_PNS0_10empty_typeENS0_5tupleIJSE_SF_EEENSH_IJSE_SG_EEENS0_18inequality_wrapperI22is_equal_div_10_uniqueIdEEEPmJSF_EEE10hipError_tPvRmT3_T4_T5_T6_T7_T9_mT8_P12ihipStream_tbDpT10_ENKUlT_T0_E_clISt17integral_constantIbLb0EES17_IbLb1EEEEDaS13_S14_EUlS13_E_NS1_11comp_targetILNS1_3genE8ELNS1_11target_archE1030ELNS1_3gpuE2ELNS1_3repE0EEENS1_30default_config_static_selectorELNS0_4arch9wavefront6targetE0EEEvT1_,"axG",@progbits,_ZN7rocprim17ROCPRIM_400000_NS6detail17trampoline_kernelINS0_14default_configENS1_25partition_config_selectorILNS1_17partition_subalgoE9EddbEEZZNS1_14partition_implILS5_9ELb0ES3_jN6thrust23THRUST_200600_302600_NS6detail15normal_iteratorINS9_10device_ptrIdEEEESE_PNS0_10empty_typeENS0_5tupleIJSE_SF_EEENSH_IJSE_SG_EEENS0_18inequality_wrapperI22is_equal_div_10_uniqueIdEEEPmJSF_EEE10hipError_tPvRmT3_T4_T5_T6_T7_T9_mT8_P12ihipStream_tbDpT10_ENKUlT_T0_E_clISt17integral_constantIbLb0EES17_IbLb1EEEEDaS13_S14_EUlS13_E_NS1_11comp_targetILNS1_3genE8ELNS1_11target_archE1030ELNS1_3gpuE2ELNS1_3repE0EEENS1_30default_config_static_selectorELNS0_4arch9wavefront6targetE0EEEvT1_,comdat
	.protected	_ZN7rocprim17ROCPRIM_400000_NS6detail17trampoline_kernelINS0_14default_configENS1_25partition_config_selectorILNS1_17partition_subalgoE9EddbEEZZNS1_14partition_implILS5_9ELb0ES3_jN6thrust23THRUST_200600_302600_NS6detail15normal_iteratorINS9_10device_ptrIdEEEESE_PNS0_10empty_typeENS0_5tupleIJSE_SF_EEENSH_IJSE_SG_EEENS0_18inequality_wrapperI22is_equal_div_10_uniqueIdEEEPmJSF_EEE10hipError_tPvRmT3_T4_T5_T6_T7_T9_mT8_P12ihipStream_tbDpT10_ENKUlT_T0_E_clISt17integral_constantIbLb0EES17_IbLb1EEEEDaS13_S14_EUlS13_E_NS1_11comp_targetILNS1_3genE8ELNS1_11target_archE1030ELNS1_3gpuE2ELNS1_3repE0EEENS1_30default_config_static_selectorELNS0_4arch9wavefront6targetE0EEEvT1_ ; -- Begin function _ZN7rocprim17ROCPRIM_400000_NS6detail17trampoline_kernelINS0_14default_configENS1_25partition_config_selectorILNS1_17partition_subalgoE9EddbEEZZNS1_14partition_implILS5_9ELb0ES3_jN6thrust23THRUST_200600_302600_NS6detail15normal_iteratorINS9_10device_ptrIdEEEESE_PNS0_10empty_typeENS0_5tupleIJSE_SF_EEENSH_IJSE_SG_EEENS0_18inequality_wrapperI22is_equal_div_10_uniqueIdEEEPmJSF_EEE10hipError_tPvRmT3_T4_T5_T6_T7_T9_mT8_P12ihipStream_tbDpT10_ENKUlT_T0_E_clISt17integral_constantIbLb0EES17_IbLb1EEEEDaS13_S14_EUlS13_E_NS1_11comp_targetILNS1_3genE8ELNS1_11target_archE1030ELNS1_3gpuE2ELNS1_3repE0EEENS1_30default_config_static_selectorELNS0_4arch9wavefront6targetE0EEEvT1_
	.globl	_ZN7rocprim17ROCPRIM_400000_NS6detail17trampoline_kernelINS0_14default_configENS1_25partition_config_selectorILNS1_17partition_subalgoE9EddbEEZZNS1_14partition_implILS5_9ELb0ES3_jN6thrust23THRUST_200600_302600_NS6detail15normal_iteratorINS9_10device_ptrIdEEEESE_PNS0_10empty_typeENS0_5tupleIJSE_SF_EEENSH_IJSE_SG_EEENS0_18inequality_wrapperI22is_equal_div_10_uniqueIdEEEPmJSF_EEE10hipError_tPvRmT3_T4_T5_T6_T7_T9_mT8_P12ihipStream_tbDpT10_ENKUlT_T0_E_clISt17integral_constantIbLb0EES17_IbLb1EEEEDaS13_S14_EUlS13_E_NS1_11comp_targetILNS1_3genE8ELNS1_11target_archE1030ELNS1_3gpuE2ELNS1_3repE0EEENS1_30default_config_static_selectorELNS0_4arch9wavefront6targetE0EEEvT1_
	.p2align	8
	.type	_ZN7rocprim17ROCPRIM_400000_NS6detail17trampoline_kernelINS0_14default_configENS1_25partition_config_selectorILNS1_17partition_subalgoE9EddbEEZZNS1_14partition_implILS5_9ELb0ES3_jN6thrust23THRUST_200600_302600_NS6detail15normal_iteratorINS9_10device_ptrIdEEEESE_PNS0_10empty_typeENS0_5tupleIJSE_SF_EEENSH_IJSE_SG_EEENS0_18inequality_wrapperI22is_equal_div_10_uniqueIdEEEPmJSF_EEE10hipError_tPvRmT3_T4_T5_T6_T7_T9_mT8_P12ihipStream_tbDpT10_ENKUlT_T0_E_clISt17integral_constantIbLb0EES17_IbLb1EEEEDaS13_S14_EUlS13_E_NS1_11comp_targetILNS1_3genE8ELNS1_11target_archE1030ELNS1_3gpuE2ELNS1_3repE0EEENS1_30default_config_static_selectorELNS0_4arch9wavefront6targetE0EEEvT1_,@function
_ZN7rocprim17ROCPRIM_400000_NS6detail17trampoline_kernelINS0_14default_configENS1_25partition_config_selectorILNS1_17partition_subalgoE9EddbEEZZNS1_14partition_implILS5_9ELb0ES3_jN6thrust23THRUST_200600_302600_NS6detail15normal_iteratorINS9_10device_ptrIdEEEESE_PNS0_10empty_typeENS0_5tupleIJSE_SF_EEENSH_IJSE_SG_EEENS0_18inequality_wrapperI22is_equal_div_10_uniqueIdEEEPmJSF_EEE10hipError_tPvRmT3_T4_T5_T6_T7_T9_mT8_P12ihipStream_tbDpT10_ENKUlT_T0_E_clISt17integral_constantIbLb0EES17_IbLb1EEEEDaS13_S14_EUlS13_E_NS1_11comp_targetILNS1_3genE8ELNS1_11target_archE1030ELNS1_3gpuE2ELNS1_3repE0EEENS1_30default_config_static_selectorELNS0_4arch9wavefront6targetE0EEEvT1_: ; @_ZN7rocprim17ROCPRIM_400000_NS6detail17trampoline_kernelINS0_14default_configENS1_25partition_config_selectorILNS1_17partition_subalgoE9EddbEEZZNS1_14partition_implILS5_9ELb0ES3_jN6thrust23THRUST_200600_302600_NS6detail15normal_iteratorINS9_10device_ptrIdEEEESE_PNS0_10empty_typeENS0_5tupleIJSE_SF_EEENSH_IJSE_SG_EEENS0_18inequality_wrapperI22is_equal_div_10_uniqueIdEEEPmJSF_EEE10hipError_tPvRmT3_T4_T5_T6_T7_T9_mT8_P12ihipStream_tbDpT10_ENKUlT_T0_E_clISt17integral_constantIbLb0EES17_IbLb1EEEEDaS13_S14_EUlS13_E_NS1_11comp_targetILNS1_3genE8ELNS1_11target_archE1030ELNS1_3gpuE2ELNS1_3repE0EEENS1_30default_config_static_selectorELNS0_4arch9wavefront6targetE0EEEvT1_
; %bb.0:
	.section	.rodata,"a",@progbits
	.p2align	6, 0x0
	.amdhsa_kernel _ZN7rocprim17ROCPRIM_400000_NS6detail17trampoline_kernelINS0_14default_configENS1_25partition_config_selectorILNS1_17partition_subalgoE9EddbEEZZNS1_14partition_implILS5_9ELb0ES3_jN6thrust23THRUST_200600_302600_NS6detail15normal_iteratorINS9_10device_ptrIdEEEESE_PNS0_10empty_typeENS0_5tupleIJSE_SF_EEENSH_IJSE_SG_EEENS0_18inequality_wrapperI22is_equal_div_10_uniqueIdEEEPmJSF_EEE10hipError_tPvRmT3_T4_T5_T6_T7_T9_mT8_P12ihipStream_tbDpT10_ENKUlT_T0_E_clISt17integral_constantIbLb0EES17_IbLb1EEEEDaS13_S14_EUlS13_E_NS1_11comp_targetILNS1_3genE8ELNS1_11target_archE1030ELNS1_3gpuE2ELNS1_3repE0EEENS1_30default_config_static_selectorELNS0_4arch9wavefront6targetE0EEEvT1_
		.amdhsa_group_segment_fixed_size 0
		.amdhsa_private_segment_fixed_size 0
		.amdhsa_kernarg_size 128
		.amdhsa_user_sgpr_count 15
		.amdhsa_user_sgpr_dispatch_ptr 0
		.amdhsa_user_sgpr_queue_ptr 0
		.amdhsa_user_sgpr_kernarg_segment_ptr 1
		.amdhsa_user_sgpr_dispatch_id 0
		.amdhsa_user_sgpr_private_segment_size 0
		.amdhsa_wavefront_size32 1
		.amdhsa_uses_dynamic_stack 0
		.amdhsa_enable_private_segment 0
		.amdhsa_system_sgpr_workgroup_id_x 1
		.amdhsa_system_sgpr_workgroup_id_y 0
		.amdhsa_system_sgpr_workgroup_id_z 0
		.amdhsa_system_sgpr_workgroup_info 0
		.amdhsa_system_vgpr_workitem_id 0
		.amdhsa_next_free_vgpr 1
		.amdhsa_next_free_sgpr 1
		.amdhsa_reserve_vcc 0
		.amdhsa_float_round_mode_32 0
		.amdhsa_float_round_mode_16_64 0
		.amdhsa_float_denorm_mode_32 3
		.amdhsa_float_denorm_mode_16_64 3
		.amdhsa_dx10_clamp 1
		.amdhsa_ieee_mode 1
		.amdhsa_fp16_overflow 0
		.amdhsa_workgroup_processor_mode 1
		.amdhsa_memory_ordered 1
		.amdhsa_forward_progress 0
		.amdhsa_shared_vgpr_count 0
		.amdhsa_exception_fp_ieee_invalid_op 0
		.amdhsa_exception_fp_denorm_src 0
		.amdhsa_exception_fp_ieee_div_zero 0
		.amdhsa_exception_fp_ieee_overflow 0
		.amdhsa_exception_fp_ieee_underflow 0
		.amdhsa_exception_fp_ieee_inexact 0
		.amdhsa_exception_int_div_zero 0
	.end_amdhsa_kernel
	.section	.text._ZN7rocprim17ROCPRIM_400000_NS6detail17trampoline_kernelINS0_14default_configENS1_25partition_config_selectorILNS1_17partition_subalgoE9EddbEEZZNS1_14partition_implILS5_9ELb0ES3_jN6thrust23THRUST_200600_302600_NS6detail15normal_iteratorINS9_10device_ptrIdEEEESE_PNS0_10empty_typeENS0_5tupleIJSE_SF_EEENSH_IJSE_SG_EEENS0_18inequality_wrapperI22is_equal_div_10_uniqueIdEEEPmJSF_EEE10hipError_tPvRmT3_T4_T5_T6_T7_T9_mT8_P12ihipStream_tbDpT10_ENKUlT_T0_E_clISt17integral_constantIbLb0EES17_IbLb1EEEEDaS13_S14_EUlS13_E_NS1_11comp_targetILNS1_3genE8ELNS1_11target_archE1030ELNS1_3gpuE2ELNS1_3repE0EEENS1_30default_config_static_selectorELNS0_4arch9wavefront6targetE0EEEvT1_,"axG",@progbits,_ZN7rocprim17ROCPRIM_400000_NS6detail17trampoline_kernelINS0_14default_configENS1_25partition_config_selectorILNS1_17partition_subalgoE9EddbEEZZNS1_14partition_implILS5_9ELb0ES3_jN6thrust23THRUST_200600_302600_NS6detail15normal_iteratorINS9_10device_ptrIdEEEESE_PNS0_10empty_typeENS0_5tupleIJSE_SF_EEENSH_IJSE_SG_EEENS0_18inequality_wrapperI22is_equal_div_10_uniqueIdEEEPmJSF_EEE10hipError_tPvRmT3_T4_T5_T6_T7_T9_mT8_P12ihipStream_tbDpT10_ENKUlT_T0_E_clISt17integral_constantIbLb0EES17_IbLb1EEEEDaS13_S14_EUlS13_E_NS1_11comp_targetILNS1_3genE8ELNS1_11target_archE1030ELNS1_3gpuE2ELNS1_3repE0EEENS1_30default_config_static_selectorELNS0_4arch9wavefront6targetE0EEEvT1_,comdat
.Lfunc_end78:
	.size	_ZN7rocprim17ROCPRIM_400000_NS6detail17trampoline_kernelINS0_14default_configENS1_25partition_config_selectorILNS1_17partition_subalgoE9EddbEEZZNS1_14partition_implILS5_9ELb0ES3_jN6thrust23THRUST_200600_302600_NS6detail15normal_iteratorINS9_10device_ptrIdEEEESE_PNS0_10empty_typeENS0_5tupleIJSE_SF_EEENSH_IJSE_SG_EEENS0_18inequality_wrapperI22is_equal_div_10_uniqueIdEEEPmJSF_EEE10hipError_tPvRmT3_T4_T5_T6_T7_T9_mT8_P12ihipStream_tbDpT10_ENKUlT_T0_E_clISt17integral_constantIbLb0EES17_IbLb1EEEEDaS13_S14_EUlS13_E_NS1_11comp_targetILNS1_3genE8ELNS1_11target_archE1030ELNS1_3gpuE2ELNS1_3repE0EEENS1_30default_config_static_selectorELNS0_4arch9wavefront6targetE0EEEvT1_, .Lfunc_end78-_ZN7rocprim17ROCPRIM_400000_NS6detail17trampoline_kernelINS0_14default_configENS1_25partition_config_selectorILNS1_17partition_subalgoE9EddbEEZZNS1_14partition_implILS5_9ELb0ES3_jN6thrust23THRUST_200600_302600_NS6detail15normal_iteratorINS9_10device_ptrIdEEEESE_PNS0_10empty_typeENS0_5tupleIJSE_SF_EEENSH_IJSE_SG_EEENS0_18inequality_wrapperI22is_equal_div_10_uniqueIdEEEPmJSF_EEE10hipError_tPvRmT3_T4_T5_T6_T7_T9_mT8_P12ihipStream_tbDpT10_ENKUlT_T0_E_clISt17integral_constantIbLb0EES17_IbLb1EEEEDaS13_S14_EUlS13_E_NS1_11comp_targetILNS1_3genE8ELNS1_11target_archE1030ELNS1_3gpuE2ELNS1_3repE0EEENS1_30default_config_static_selectorELNS0_4arch9wavefront6targetE0EEEvT1_
                                        ; -- End function
	.section	.AMDGPU.csdata,"",@progbits
; Kernel info:
; codeLenInByte = 0
; NumSgprs: 0
; NumVgprs: 0
; ScratchSize: 0
; MemoryBound: 0
; FloatMode: 240
; IeeeMode: 1
; LDSByteSize: 0 bytes/workgroup (compile time only)
; SGPRBlocks: 0
; VGPRBlocks: 0
; NumSGPRsForWavesPerEU: 1
; NumVGPRsForWavesPerEU: 1
; Occupancy: 16
; WaveLimiterHint : 0
; COMPUTE_PGM_RSRC2:SCRATCH_EN: 0
; COMPUTE_PGM_RSRC2:USER_SGPR: 15
; COMPUTE_PGM_RSRC2:TRAP_HANDLER: 0
; COMPUTE_PGM_RSRC2:TGID_X_EN: 1
; COMPUTE_PGM_RSRC2:TGID_Y_EN: 0
; COMPUTE_PGM_RSRC2:TGID_Z_EN: 0
; COMPUTE_PGM_RSRC2:TIDIG_COMP_CNT: 0
	.section	.text._ZN6thrust23THRUST_200600_302600_NS11hip_rocprim14__parallel_for6kernelILj256ENS1_20__uninitialized_fill7functorINS0_10device_ptrIfEEfEEmLj1EEEvT0_T1_SA_,"axG",@progbits,_ZN6thrust23THRUST_200600_302600_NS11hip_rocprim14__parallel_for6kernelILj256ENS1_20__uninitialized_fill7functorINS0_10device_ptrIfEEfEEmLj1EEEvT0_T1_SA_,comdat
	.protected	_ZN6thrust23THRUST_200600_302600_NS11hip_rocprim14__parallel_for6kernelILj256ENS1_20__uninitialized_fill7functorINS0_10device_ptrIfEEfEEmLj1EEEvT0_T1_SA_ ; -- Begin function _ZN6thrust23THRUST_200600_302600_NS11hip_rocprim14__parallel_for6kernelILj256ENS1_20__uninitialized_fill7functorINS0_10device_ptrIfEEfEEmLj1EEEvT0_T1_SA_
	.globl	_ZN6thrust23THRUST_200600_302600_NS11hip_rocprim14__parallel_for6kernelILj256ENS1_20__uninitialized_fill7functorINS0_10device_ptrIfEEfEEmLj1EEEvT0_T1_SA_
	.p2align	8
	.type	_ZN6thrust23THRUST_200600_302600_NS11hip_rocprim14__parallel_for6kernelILj256ENS1_20__uninitialized_fill7functorINS0_10device_ptrIfEEfEEmLj1EEEvT0_T1_SA_,@function
_ZN6thrust23THRUST_200600_302600_NS11hip_rocprim14__parallel_for6kernelILj256ENS1_20__uninitialized_fill7functorINS0_10device_ptrIfEEfEEmLj1EEEvT0_T1_SA_: ; @_ZN6thrust23THRUST_200600_302600_NS11hip_rocprim14__parallel_for6kernelILj256ENS1_20__uninitialized_fill7functorINS0_10device_ptrIfEEfEEmLj1EEEvT0_T1_SA_
; %bb.0:
	s_load_b128 s[4:7], s[0:1], 0x10
	s_lshl_b32 s2, s15, 8
	s_waitcnt lgkmcnt(0)
	s_add_u32 s2, s2, s6
	s_addc_u32 s3, 0, s7
	s_sub_u32 s4, s4, s2
	s_subb_u32 s5, s5, s3
	s_delay_alu instid0(SALU_CYCLE_1) | instskip(NEXT) | instid1(VALU_DEP_1)
	v_cmp_gt_u64_e64 s5, 0x100, s[4:5]
	s_and_b32 vcc_lo, exec_lo, s5
	s_mov_b32 s5, 0
	s_cbranch_vccz .LBB79_2
; %bb.1:
	v_cmp_gt_u32_e32 vcc_lo, s4, v0
	s_and_b32 s5, vcc_lo, exec_lo
	s_cbranch_execz .LBB79_3
	s_branch .LBB79_4
.LBB79_2:
.LBB79_3:
	s_or_b32 s5, s5, exec_lo
.LBB79_4:
	s_delay_alu instid0(SALU_CYCLE_1)
	s_and_saveexec_b32 s4, s5
	s_cbranch_execnz .LBB79_6
; %bb.5:
	s_endpgm
.LBB79_6:
	s_clause 0x1
	s_load_b64 s[4:5], s[0:1], 0x0
	s_load_b32 s6, s[0:1], 0x8
	v_mov_b32_e32 v1, 0
	s_lshl_b64 s[0:1], s[2:3], 2
	s_waitcnt lgkmcnt(0)
	s_add_u32 s0, s4, s0
	v_mov_b32_e32 v2, s6
	v_lshlrev_b64 v[0:1], 2, v[0:1]
	s_addc_u32 s1, s5, s1
	s_delay_alu instid0(VALU_DEP_1) | instskip(NEXT) | instid1(VALU_DEP_2)
	v_add_co_u32 v0, vcc_lo, s0, v0
	v_add_co_ci_u32_e32 v1, vcc_lo, s1, v1, vcc_lo
	flat_store_b32 v[0:1], v2
	s_endpgm
	.section	.rodata,"a",@progbits
	.p2align	6, 0x0
	.amdhsa_kernel _ZN6thrust23THRUST_200600_302600_NS11hip_rocprim14__parallel_for6kernelILj256ENS1_20__uninitialized_fill7functorINS0_10device_ptrIfEEfEEmLj1EEEvT0_T1_SA_
		.amdhsa_group_segment_fixed_size 0
		.amdhsa_private_segment_fixed_size 0
		.amdhsa_kernarg_size 32
		.amdhsa_user_sgpr_count 15
		.amdhsa_user_sgpr_dispatch_ptr 0
		.amdhsa_user_sgpr_queue_ptr 0
		.amdhsa_user_sgpr_kernarg_segment_ptr 1
		.amdhsa_user_sgpr_dispatch_id 0
		.amdhsa_user_sgpr_private_segment_size 0
		.amdhsa_wavefront_size32 1
		.amdhsa_uses_dynamic_stack 0
		.amdhsa_enable_private_segment 0
		.amdhsa_system_sgpr_workgroup_id_x 1
		.amdhsa_system_sgpr_workgroup_id_y 0
		.amdhsa_system_sgpr_workgroup_id_z 0
		.amdhsa_system_sgpr_workgroup_info 0
		.amdhsa_system_vgpr_workitem_id 0
		.amdhsa_next_free_vgpr 3
		.amdhsa_next_free_sgpr 16
		.amdhsa_reserve_vcc 1
		.amdhsa_float_round_mode_32 0
		.amdhsa_float_round_mode_16_64 0
		.amdhsa_float_denorm_mode_32 3
		.amdhsa_float_denorm_mode_16_64 3
		.amdhsa_dx10_clamp 1
		.amdhsa_ieee_mode 1
		.amdhsa_fp16_overflow 0
		.amdhsa_workgroup_processor_mode 1
		.amdhsa_memory_ordered 1
		.amdhsa_forward_progress 0
		.amdhsa_shared_vgpr_count 0
		.amdhsa_exception_fp_ieee_invalid_op 0
		.amdhsa_exception_fp_denorm_src 0
		.amdhsa_exception_fp_ieee_div_zero 0
		.amdhsa_exception_fp_ieee_overflow 0
		.amdhsa_exception_fp_ieee_underflow 0
		.amdhsa_exception_fp_ieee_inexact 0
		.amdhsa_exception_int_div_zero 0
	.end_amdhsa_kernel
	.section	.text._ZN6thrust23THRUST_200600_302600_NS11hip_rocprim14__parallel_for6kernelILj256ENS1_20__uninitialized_fill7functorINS0_10device_ptrIfEEfEEmLj1EEEvT0_T1_SA_,"axG",@progbits,_ZN6thrust23THRUST_200600_302600_NS11hip_rocprim14__parallel_for6kernelILj256ENS1_20__uninitialized_fill7functorINS0_10device_ptrIfEEfEEmLj1EEEvT0_T1_SA_,comdat
.Lfunc_end79:
	.size	_ZN6thrust23THRUST_200600_302600_NS11hip_rocprim14__parallel_for6kernelILj256ENS1_20__uninitialized_fill7functorINS0_10device_ptrIfEEfEEmLj1EEEvT0_T1_SA_, .Lfunc_end79-_ZN6thrust23THRUST_200600_302600_NS11hip_rocprim14__parallel_for6kernelILj256ENS1_20__uninitialized_fill7functorINS0_10device_ptrIfEEfEEmLj1EEEvT0_T1_SA_
                                        ; -- End function
	.section	.AMDGPU.csdata,"",@progbits
; Kernel info:
; codeLenInByte = 176
; NumSgprs: 18
; NumVgprs: 3
; ScratchSize: 0
; MemoryBound: 0
; FloatMode: 240
; IeeeMode: 1
; LDSByteSize: 0 bytes/workgroup (compile time only)
; SGPRBlocks: 2
; VGPRBlocks: 0
; NumSGPRsForWavesPerEU: 18
; NumVGPRsForWavesPerEU: 3
; Occupancy: 16
; WaveLimiterHint : 0
; COMPUTE_PGM_RSRC2:SCRATCH_EN: 0
; COMPUTE_PGM_RSRC2:USER_SGPR: 15
; COMPUTE_PGM_RSRC2:TRAP_HANDLER: 0
; COMPUTE_PGM_RSRC2:TGID_X_EN: 1
; COMPUTE_PGM_RSRC2:TGID_Y_EN: 0
; COMPUTE_PGM_RSRC2:TGID_Z_EN: 0
; COMPUTE_PGM_RSRC2:TIDIG_COMP_CNT: 0
	.section	.text._ZN7rocprim17ROCPRIM_400000_NS6detail17trampoline_kernelINS0_14default_configENS1_25partition_config_selectorILNS1_17partition_subalgoE9EffbEEZZNS1_14partition_implILS5_9ELb0ES3_jN6thrust23THRUST_200600_302600_NS6detail15normal_iteratorINS9_10device_ptrIfEEEESE_PNS0_10empty_typeENS0_5tupleIJSE_SF_EEENSH_IJSE_SG_EEENS0_18inequality_wrapperINS9_8equal_toIfEEEEPmJSF_EEE10hipError_tPvRmT3_T4_T5_T6_T7_T9_mT8_P12ihipStream_tbDpT10_ENKUlT_T0_E_clISt17integral_constantIbLb0EES18_EEDaS13_S14_EUlS13_E_NS1_11comp_targetILNS1_3genE0ELNS1_11target_archE4294967295ELNS1_3gpuE0ELNS1_3repE0EEENS1_30default_config_static_selectorELNS0_4arch9wavefront6targetE0EEEvT1_,"axG",@progbits,_ZN7rocprim17ROCPRIM_400000_NS6detail17trampoline_kernelINS0_14default_configENS1_25partition_config_selectorILNS1_17partition_subalgoE9EffbEEZZNS1_14partition_implILS5_9ELb0ES3_jN6thrust23THRUST_200600_302600_NS6detail15normal_iteratorINS9_10device_ptrIfEEEESE_PNS0_10empty_typeENS0_5tupleIJSE_SF_EEENSH_IJSE_SG_EEENS0_18inequality_wrapperINS9_8equal_toIfEEEEPmJSF_EEE10hipError_tPvRmT3_T4_T5_T6_T7_T9_mT8_P12ihipStream_tbDpT10_ENKUlT_T0_E_clISt17integral_constantIbLb0EES18_EEDaS13_S14_EUlS13_E_NS1_11comp_targetILNS1_3genE0ELNS1_11target_archE4294967295ELNS1_3gpuE0ELNS1_3repE0EEENS1_30default_config_static_selectorELNS0_4arch9wavefront6targetE0EEEvT1_,comdat
	.protected	_ZN7rocprim17ROCPRIM_400000_NS6detail17trampoline_kernelINS0_14default_configENS1_25partition_config_selectorILNS1_17partition_subalgoE9EffbEEZZNS1_14partition_implILS5_9ELb0ES3_jN6thrust23THRUST_200600_302600_NS6detail15normal_iteratorINS9_10device_ptrIfEEEESE_PNS0_10empty_typeENS0_5tupleIJSE_SF_EEENSH_IJSE_SG_EEENS0_18inequality_wrapperINS9_8equal_toIfEEEEPmJSF_EEE10hipError_tPvRmT3_T4_T5_T6_T7_T9_mT8_P12ihipStream_tbDpT10_ENKUlT_T0_E_clISt17integral_constantIbLb0EES18_EEDaS13_S14_EUlS13_E_NS1_11comp_targetILNS1_3genE0ELNS1_11target_archE4294967295ELNS1_3gpuE0ELNS1_3repE0EEENS1_30default_config_static_selectorELNS0_4arch9wavefront6targetE0EEEvT1_ ; -- Begin function _ZN7rocprim17ROCPRIM_400000_NS6detail17trampoline_kernelINS0_14default_configENS1_25partition_config_selectorILNS1_17partition_subalgoE9EffbEEZZNS1_14partition_implILS5_9ELb0ES3_jN6thrust23THRUST_200600_302600_NS6detail15normal_iteratorINS9_10device_ptrIfEEEESE_PNS0_10empty_typeENS0_5tupleIJSE_SF_EEENSH_IJSE_SG_EEENS0_18inequality_wrapperINS9_8equal_toIfEEEEPmJSF_EEE10hipError_tPvRmT3_T4_T5_T6_T7_T9_mT8_P12ihipStream_tbDpT10_ENKUlT_T0_E_clISt17integral_constantIbLb0EES18_EEDaS13_S14_EUlS13_E_NS1_11comp_targetILNS1_3genE0ELNS1_11target_archE4294967295ELNS1_3gpuE0ELNS1_3repE0EEENS1_30default_config_static_selectorELNS0_4arch9wavefront6targetE0EEEvT1_
	.globl	_ZN7rocprim17ROCPRIM_400000_NS6detail17trampoline_kernelINS0_14default_configENS1_25partition_config_selectorILNS1_17partition_subalgoE9EffbEEZZNS1_14partition_implILS5_9ELb0ES3_jN6thrust23THRUST_200600_302600_NS6detail15normal_iteratorINS9_10device_ptrIfEEEESE_PNS0_10empty_typeENS0_5tupleIJSE_SF_EEENSH_IJSE_SG_EEENS0_18inequality_wrapperINS9_8equal_toIfEEEEPmJSF_EEE10hipError_tPvRmT3_T4_T5_T6_T7_T9_mT8_P12ihipStream_tbDpT10_ENKUlT_T0_E_clISt17integral_constantIbLb0EES18_EEDaS13_S14_EUlS13_E_NS1_11comp_targetILNS1_3genE0ELNS1_11target_archE4294967295ELNS1_3gpuE0ELNS1_3repE0EEENS1_30default_config_static_selectorELNS0_4arch9wavefront6targetE0EEEvT1_
	.p2align	8
	.type	_ZN7rocprim17ROCPRIM_400000_NS6detail17trampoline_kernelINS0_14default_configENS1_25partition_config_selectorILNS1_17partition_subalgoE9EffbEEZZNS1_14partition_implILS5_9ELb0ES3_jN6thrust23THRUST_200600_302600_NS6detail15normal_iteratorINS9_10device_ptrIfEEEESE_PNS0_10empty_typeENS0_5tupleIJSE_SF_EEENSH_IJSE_SG_EEENS0_18inequality_wrapperINS9_8equal_toIfEEEEPmJSF_EEE10hipError_tPvRmT3_T4_T5_T6_T7_T9_mT8_P12ihipStream_tbDpT10_ENKUlT_T0_E_clISt17integral_constantIbLb0EES18_EEDaS13_S14_EUlS13_E_NS1_11comp_targetILNS1_3genE0ELNS1_11target_archE4294967295ELNS1_3gpuE0ELNS1_3repE0EEENS1_30default_config_static_selectorELNS0_4arch9wavefront6targetE0EEEvT1_,@function
_ZN7rocprim17ROCPRIM_400000_NS6detail17trampoline_kernelINS0_14default_configENS1_25partition_config_selectorILNS1_17partition_subalgoE9EffbEEZZNS1_14partition_implILS5_9ELb0ES3_jN6thrust23THRUST_200600_302600_NS6detail15normal_iteratorINS9_10device_ptrIfEEEESE_PNS0_10empty_typeENS0_5tupleIJSE_SF_EEENSH_IJSE_SG_EEENS0_18inequality_wrapperINS9_8equal_toIfEEEEPmJSF_EEE10hipError_tPvRmT3_T4_T5_T6_T7_T9_mT8_P12ihipStream_tbDpT10_ENKUlT_T0_E_clISt17integral_constantIbLb0EES18_EEDaS13_S14_EUlS13_E_NS1_11comp_targetILNS1_3genE0ELNS1_11target_archE4294967295ELNS1_3gpuE0ELNS1_3repE0EEENS1_30default_config_static_selectorELNS0_4arch9wavefront6targetE0EEEvT1_: ; @_ZN7rocprim17ROCPRIM_400000_NS6detail17trampoline_kernelINS0_14default_configENS1_25partition_config_selectorILNS1_17partition_subalgoE9EffbEEZZNS1_14partition_implILS5_9ELb0ES3_jN6thrust23THRUST_200600_302600_NS6detail15normal_iteratorINS9_10device_ptrIfEEEESE_PNS0_10empty_typeENS0_5tupleIJSE_SF_EEENSH_IJSE_SG_EEENS0_18inequality_wrapperINS9_8equal_toIfEEEEPmJSF_EEE10hipError_tPvRmT3_T4_T5_T6_T7_T9_mT8_P12ihipStream_tbDpT10_ENKUlT_T0_E_clISt17integral_constantIbLb0EES18_EEDaS13_S14_EUlS13_E_NS1_11comp_targetILNS1_3genE0ELNS1_11target_archE4294967295ELNS1_3gpuE0ELNS1_3repE0EEENS1_30default_config_static_selectorELNS0_4arch9wavefront6targetE0EEEvT1_
; %bb.0:
	.section	.rodata,"a",@progbits
	.p2align	6, 0x0
	.amdhsa_kernel _ZN7rocprim17ROCPRIM_400000_NS6detail17trampoline_kernelINS0_14default_configENS1_25partition_config_selectorILNS1_17partition_subalgoE9EffbEEZZNS1_14partition_implILS5_9ELb0ES3_jN6thrust23THRUST_200600_302600_NS6detail15normal_iteratorINS9_10device_ptrIfEEEESE_PNS0_10empty_typeENS0_5tupleIJSE_SF_EEENSH_IJSE_SG_EEENS0_18inequality_wrapperINS9_8equal_toIfEEEEPmJSF_EEE10hipError_tPvRmT3_T4_T5_T6_T7_T9_mT8_P12ihipStream_tbDpT10_ENKUlT_T0_E_clISt17integral_constantIbLb0EES18_EEDaS13_S14_EUlS13_E_NS1_11comp_targetILNS1_3genE0ELNS1_11target_archE4294967295ELNS1_3gpuE0ELNS1_3repE0EEENS1_30default_config_static_selectorELNS0_4arch9wavefront6targetE0EEEvT1_
		.amdhsa_group_segment_fixed_size 0
		.amdhsa_private_segment_fixed_size 0
		.amdhsa_kernarg_size 112
		.amdhsa_user_sgpr_count 15
		.amdhsa_user_sgpr_dispatch_ptr 0
		.amdhsa_user_sgpr_queue_ptr 0
		.amdhsa_user_sgpr_kernarg_segment_ptr 1
		.amdhsa_user_sgpr_dispatch_id 0
		.amdhsa_user_sgpr_private_segment_size 0
		.amdhsa_wavefront_size32 1
		.amdhsa_uses_dynamic_stack 0
		.amdhsa_enable_private_segment 0
		.amdhsa_system_sgpr_workgroup_id_x 1
		.amdhsa_system_sgpr_workgroup_id_y 0
		.amdhsa_system_sgpr_workgroup_id_z 0
		.amdhsa_system_sgpr_workgroup_info 0
		.amdhsa_system_vgpr_workitem_id 0
		.amdhsa_next_free_vgpr 1
		.amdhsa_next_free_sgpr 1
		.amdhsa_reserve_vcc 0
		.amdhsa_float_round_mode_32 0
		.amdhsa_float_round_mode_16_64 0
		.amdhsa_float_denorm_mode_32 3
		.amdhsa_float_denorm_mode_16_64 3
		.amdhsa_dx10_clamp 1
		.amdhsa_ieee_mode 1
		.amdhsa_fp16_overflow 0
		.amdhsa_workgroup_processor_mode 1
		.amdhsa_memory_ordered 1
		.amdhsa_forward_progress 0
		.amdhsa_shared_vgpr_count 0
		.amdhsa_exception_fp_ieee_invalid_op 0
		.amdhsa_exception_fp_denorm_src 0
		.amdhsa_exception_fp_ieee_div_zero 0
		.amdhsa_exception_fp_ieee_overflow 0
		.amdhsa_exception_fp_ieee_underflow 0
		.amdhsa_exception_fp_ieee_inexact 0
		.amdhsa_exception_int_div_zero 0
	.end_amdhsa_kernel
	.section	.text._ZN7rocprim17ROCPRIM_400000_NS6detail17trampoline_kernelINS0_14default_configENS1_25partition_config_selectorILNS1_17partition_subalgoE9EffbEEZZNS1_14partition_implILS5_9ELb0ES3_jN6thrust23THRUST_200600_302600_NS6detail15normal_iteratorINS9_10device_ptrIfEEEESE_PNS0_10empty_typeENS0_5tupleIJSE_SF_EEENSH_IJSE_SG_EEENS0_18inequality_wrapperINS9_8equal_toIfEEEEPmJSF_EEE10hipError_tPvRmT3_T4_T5_T6_T7_T9_mT8_P12ihipStream_tbDpT10_ENKUlT_T0_E_clISt17integral_constantIbLb0EES18_EEDaS13_S14_EUlS13_E_NS1_11comp_targetILNS1_3genE0ELNS1_11target_archE4294967295ELNS1_3gpuE0ELNS1_3repE0EEENS1_30default_config_static_selectorELNS0_4arch9wavefront6targetE0EEEvT1_,"axG",@progbits,_ZN7rocprim17ROCPRIM_400000_NS6detail17trampoline_kernelINS0_14default_configENS1_25partition_config_selectorILNS1_17partition_subalgoE9EffbEEZZNS1_14partition_implILS5_9ELb0ES3_jN6thrust23THRUST_200600_302600_NS6detail15normal_iteratorINS9_10device_ptrIfEEEESE_PNS0_10empty_typeENS0_5tupleIJSE_SF_EEENSH_IJSE_SG_EEENS0_18inequality_wrapperINS9_8equal_toIfEEEEPmJSF_EEE10hipError_tPvRmT3_T4_T5_T6_T7_T9_mT8_P12ihipStream_tbDpT10_ENKUlT_T0_E_clISt17integral_constantIbLb0EES18_EEDaS13_S14_EUlS13_E_NS1_11comp_targetILNS1_3genE0ELNS1_11target_archE4294967295ELNS1_3gpuE0ELNS1_3repE0EEENS1_30default_config_static_selectorELNS0_4arch9wavefront6targetE0EEEvT1_,comdat
.Lfunc_end80:
	.size	_ZN7rocprim17ROCPRIM_400000_NS6detail17trampoline_kernelINS0_14default_configENS1_25partition_config_selectorILNS1_17partition_subalgoE9EffbEEZZNS1_14partition_implILS5_9ELb0ES3_jN6thrust23THRUST_200600_302600_NS6detail15normal_iteratorINS9_10device_ptrIfEEEESE_PNS0_10empty_typeENS0_5tupleIJSE_SF_EEENSH_IJSE_SG_EEENS0_18inequality_wrapperINS9_8equal_toIfEEEEPmJSF_EEE10hipError_tPvRmT3_T4_T5_T6_T7_T9_mT8_P12ihipStream_tbDpT10_ENKUlT_T0_E_clISt17integral_constantIbLb0EES18_EEDaS13_S14_EUlS13_E_NS1_11comp_targetILNS1_3genE0ELNS1_11target_archE4294967295ELNS1_3gpuE0ELNS1_3repE0EEENS1_30default_config_static_selectorELNS0_4arch9wavefront6targetE0EEEvT1_, .Lfunc_end80-_ZN7rocprim17ROCPRIM_400000_NS6detail17trampoline_kernelINS0_14default_configENS1_25partition_config_selectorILNS1_17partition_subalgoE9EffbEEZZNS1_14partition_implILS5_9ELb0ES3_jN6thrust23THRUST_200600_302600_NS6detail15normal_iteratorINS9_10device_ptrIfEEEESE_PNS0_10empty_typeENS0_5tupleIJSE_SF_EEENSH_IJSE_SG_EEENS0_18inequality_wrapperINS9_8equal_toIfEEEEPmJSF_EEE10hipError_tPvRmT3_T4_T5_T6_T7_T9_mT8_P12ihipStream_tbDpT10_ENKUlT_T0_E_clISt17integral_constantIbLb0EES18_EEDaS13_S14_EUlS13_E_NS1_11comp_targetILNS1_3genE0ELNS1_11target_archE4294967295ELNS1_3gpuE0ELNS1_3repE0EEENS1_30default_config_static_selectorELNS0_4arch9wavefront6targetE0EEEvT1_
                                        ; -- End function
	.section	.AMDGPU.csdata,"",@progbits
; Kernel info:
; codeLenInByte = 0
; NumSgprs: 0
; NumVgprs: 0
; ScratchSize: 0
; MemoryBound: 0
; FloatMode: 240
; IeeeMode: 1
; LDSByteSize: 0 bytes/workgroup (compile time only)
; SGPRBlocks: 0
; VGPRBlocks: 0
; NumSGPRsForWavesPerEU: 1
; NumVGPRsForWavesPerEU: 1
; Occupancy: 16
; WaveLimiterHint : 0
; COMPUTE_PGM_RSRC2:SCRATCH_EN: 0
; COMPUTE_PGM_RSRC2:USER_SGPR: 15
; COMPUTE_PGM_RSRC2:TRAP_HANDLER: 0
; COMPUTE_PGM_RSRC2:TGID_X_EN: 1
; COMPUTE_PGM_RSRC2:TGID_Y_EN: 0
; COMPUTE_PGM_RSRC2:TGID_Z_EN: 0
; COMPUTE_PGM_RSRC2:TIDIG_COMP_CNT: 0
	.section	.text._ZN7rocprim17ROCPRIM_400000_NS6detail17trampoline_kernelINS0_14default_configENS1_25partition_config_selectorILNS1_17partition_subalgoE9EffbEEZZNS1_14partition_implILS5_9ELb0ES3_jN6thrust23THRUST_200600_302600_NS6detail15normal_iteratorINS9_10device_ptrIfEEEESE_PNS0_10empty_typeENS0_5tupleIJSE_SF_EEENSH_IJSE_SG_EEENS0_18inequality_wrapperINS9_8equal_toIfEEEEPmJSF_EEE10hipError_tPvRmT3_T4_T5_T6_T7_T9_mT8_P12ihipStream_tbDpT10_ENKUlT_T0_E_clISt17integral_constantIbLb0EES18_EEDaS13_S14_EUlS13_E_NS1_11comp_targetILNS1_3genE5ELNS1_11target_archE942ELNS1_3gpuE9ELNS1_3repE0EEENS1_30default_config_static_selectorELNS0_4arch9wavefront6targetE0EEEvT1_,"axG",@progbits,_ZN7rocprim17ROCPRIM_400000_NS6detail17trampoline_kernelINS0_14default_configENS1_25partition_config_selectorILNS1_17partition_subalgoE9EffbEEZZNS1_14partition_implILS5_9ELb0ES3_jN6thrust23THRUST_200600_302600_NS6detail15normal_iteratorINS9_10device_ptrIfEEEESE_PNS0_10empty_typeENS0_5tupleIJSE_SF_EEENSH_IJSE_SG_EEENS0_18inequality_wrapperINS9_8equal_toIfEEEEPmJSF_EEE10hipError_tPvRmT3_T4_T5_T6_T7_T9_mT8_P12ihipStream_tbDpT10_ENKUlT_T0_E_clISt17integral_constantIbLb0EES18_EEDaS13_S14_EUlS13_E_NS1_11comp_targetILNS1_3genE5ELNS1_11target_archE942ELNS1_3gpuE9ELNS1_3repE0EEENS1_30default_config_static_selectorELNS0_4arch9wavefront6targetE0EEEvT1_,comdat
	.protected	_ZN7rocprim17ROCPRIM_400000_NS6detail17trampoline_kernelINS0_14default_configENS1_25partition_config_selectorILNS1_17partition_subalgoE9EffbEEZZNS1_14partition_implILS5_9ELb0ES3_jN6thrust23THRUST_200600_302600_NS6detail15normal_iteratorINS9_10device_ptrIfEEEESE_PNS0_10empty_typeENS0_5tupleIJSE_SF_EEENSH_IJSE_SG_EEENS0_18inequality_wrapperINS9_8equal_toIfEEEEPmJSF_EEE10hipError_tPvRmT3_T4_T5_T6_T7_T9_mT8_P12ihipStream_tbDpT10_ENKUlT_T0_E_clISt17integral_constantIbLb0EES18_EEDaS13_S14_EUlS13_E_NS1_11comp_targetILNS1_3genE5ELNS1_11target_archE942ELNS1_3gpuE9ELNS1_3repE0EEENS1_30default_config_static_selectorELNS0_4arch9wavefront6targetE0EEEvT1_ ; -- Begin function _ZN7rocprim17ROCPRIM_400000_NS6detail17trampoline_kernelINS0_14default_configENS1_25partition_config_selectorILNS1_17partition_subalgoE9EffbEEZZNS1_14partition_implILS5_9ELb0ES3_jN6thrust23THRUST_200600_302600_NS6detail15normal_iteratorINS9_10device_ptrIfEEEESE_PNS0_10empty_typeENS0_5tupleIJSE_SF_EEENSH_IJSE_SG_EEENS0_18inequality_wrapperINS9_8equal_toIfEEEEPmJSF_EEE10hipError_tPvRmT3_T4_T5_T6_T7_T9_mT8_P12ihipStream_tbDpT10_ENKUlT_T0_E_clISt17integral_constantIbLb0EES18_EEDaS13_S14_EUlS13_E_NS1_11comp_targetILNS1_3genE5ELNS1_11target_archE942ELNS1_3gpuE9ELNS1_3repE0EEENS1_30default_config_static_selectorELNS0_4arch9wavefront6targetE0EEEvT1_
	.globl	_ZN7rocprim17ROCPRIM_400000_NS6detail17trampoline_kernelINS0_14default_configENS1_25partition_config_selectorILNS1_17partition_subalgoE9EffbEEZZNS1_14partition_implILS5_9ELb0ES3_jN6thrust23THRUST_200600_302600_NS6detail15normal_iteratorINS9_10device_ptrIfEEEESE_PNS0_10empty_typeENS0_5tupleIJSE_SF_EEENSH_IJSE_SG_EEENS0_18inequality_wrapperINS9_8equal_toIfEEEEPmJSF_EEE10hipError_tPvRmT3_T4_T5_T6_T7_T9_mT8_P12ihipStream_tbDpT10_ENKUlT_T0_E_clISt17integral_constantIbLb0EES18_EEDaS13_S14_EUlS13_E_NS1_11comp_targetILNS1_3genE5ELNS1_11target_archE942ELNS1_3gpuE9ELNS1_3repE0EEENS1_30default_config_static_selectorELNS0_4arch9wavefront6targetE0EEEvT1_
	.p2align	8
	.type	_ZN7rocprim17ROCPRIM_400000_NS6detail17trampoline_kernelINS0_14default_configENS1_25partition_config_selectorILNS1_17partition_subalgoE9EffbEEZZNS1_14partition_implILS5_9ELb0ES3_jN6thrust23THRUST_200600_302600_NS6detail15normal_iteratorINS9_10device_ptrIfEEEESE_PNS0_10empty_typeENS0_5tupleIJSE_SF_EEENSH_IJSE_SG_EEENS0_18inequality_wrapperINS9_8equal_toIfEEEEPmJSF_EEE10hipError_tPvRmT3_T4_T5_T6_T7_T9_mT8_P12ihipStream_tbDpT10_ENKUlT_T0_E_clISt17integral_constantIbLb0EES18_EEDaS13_S14_EUlS13_E_NS1_11comp_targetILNS1_3genE5ELNS1_11target_archE942ELNS1_3gpuE9ELNS1_3repE0EEENS1_30default_config_static_selectorELNS0_4arch9wavefront6targetE0EEEvT1_,@function
_ZN7rocprim17ROCPRIM_400000_NS6detail17trampoline_kernelINS0_14default_configENS1_25partition_config_selectorILNS1_17partition_subalgoE9EffbEEZZNS1_14partition_implILS5_9ELb0ES3_jN6thrust23THRUST_200600_302600_NS6detail15normal_iteratorINS9_10device_ptrIfEEEESE_PNS0_10empty_typeENS0_5tupleIJSE_SF_EEENSH_IJSE_SG_EEENS0_18inequality_wrapperINS9_8equal_toIfEEEEPmJSF_EEE10hipError_tPvRmT3_T4_T5_T6_T7_T9_mT8_P12ihipStream_tbDpT10_ENKUlT_T0_E_clISt17integral_constantIbLb0EES18_EEDaS13_S14_EUlS13_E_NS1_11comp_targetILNS1_3genE5ELNS1_11target_archE942ELNS1_3gpuE9ELNS1_3repE0EEENS1_30default_config_static_selectorELNS0_4arch9wavefront6targetE0EEEvT1_: ; @_ZN7rocprim17ROCPRIM_400000_NS6detail17trampoline_kernelINS0_14default_configENS1_25partition_config_selectorILNS1_17partition_subalgoE9EffbEEZZNS1_14partition_implILS5_9ELb0ES3_jN6thrust23THRUST_200600_302600_NS6detail15normal_iteratorINS9_10device_ptrIfEEEESE_PNS0_10empty_typeENS0_5tupleIJSE_SF_EEENSH_IJSE_SG_EEENS0_18inequality_wrapperINS9_8equal_toIfEEEEPmJSF_EEE10hipError_tPvRmT3_T4_T5_T6_T7_T9_mT8_P12ihipStream_tbDpT10_ENKUlT_T0_E_clISt17integral_constantIbLb0EES18_EEDaS13_S14_EUlS13_E_NS1_11comp_targetILNS1_3genE5ELNS1_11target_archE942ELNS1_3gpuE9ELNS1_3repE0EEENS1_30default_config_static_selectorELNS0_4arch9wavefront6targetE0EEEvT1_
; %bb.0:
	.section	.rodata,"a",@progbits
	.p2align	6, 0x0
	.amdhsa_kernel _ZN7rocprim17ROCPRIM_400000_NS6detail17trampoline_kernelINS0_14default_configENS1_25partition_config_selectorILNS1_17partition_subalgoE9EffbEEZZNS1_14partition_implILS5_9ELb0ES3_jN6thrust23THRUST_200600_302600_NS6detail15normal_iteratorINS9_10device_ptrIfEEEESE_PNS0_10empty_typeENS0_5tupleIJSE_SF_EEENSH_IJSE_SG_EEENS0_18inequality_wrapperINS9_8equal_toIfEEEEPmJSF_EEE10hipError_tPvRmT3_T4_T5_T6_T7_T9_mT8_P12ihipStream_tbDpT10_ENKUlT_T0_E_clISt17integral_constantIbLb0EES18_EEDaS13_S14_EUlS13_E_NS1_11comp_targetILNS1_3genE5ELNS1_11target_archE942ELNS1_3gpuE9ELNS1_3repE0EEENS1_30default_config_static_selectorELNS0_4arch9wavefront6targetE0EEEvT1_
		.amdhsa_group_segment_fixed_size 0
		.amdhsa_private_segment_fixed_size 0
		.amdhsa_kernarg_size 112
		.amdhsa_user_sgpr_count 15
		.amdhsa_user_sgpr_dispatch_ptr 0
		.amdhsa_user_sgpr_queue_ptr 0
		.amdhsa_user_sgpr_kernarg_segment_ptr 1
		.amdhsa_user_sgpr_dispatch_id 0
		.amdhsa_user_sgpr_private_segment_size 0
		.amdhsa_wavefront_size32 1
		.amdhsa_uses_dynamic_stack 0
		.amdhsa_enable_private_segment 0
		.amdhsa_system_sgpr_workgroup_id_x 1
		.amdhsa_system_sgpr_workgroup_id_y 0
		.amdhsa_system_sgpr_workgroup_id_z 0
		.amdhsa_system_sgpr_workgroup_info 0
		.amdhsa_system_vgpr_workitem_id 0
		.amdhsa_next_free_vgpr 1
		.amdhsa_next_free_sgpr 1
		.amdhsa_reserve_vcc 0
		.amdhsa_float_round_mode_32 0
		.amdhsa_float_round_mode_16_64 0
		.amdhsa_float_denorm_mode_32 3
		.amdhsa_float_denorm_mode_16_64 3
		.amdhsa_dx10_clamp 1
		.amdhsa_ieee_mode 1
		.amdhsa_fp16_overflow 0
		.amdhsa_workgroup_processor_mode 1
		.amdhsa_memory_ordered 1
		.amdhsa_forward_progress 0
		.amdhsa_shared_vgpr_count 0
		.amdhsa_exception_fp_ieee_invalid_op 0
		.amdhsa_exception_fp_denorm_src 0
		.amdhsa_exception_fp_ieee_div_zero 0
		.amdhsa_exception_fp_ieee_overflow 0
		.amdhsa_exception_fp_ieee_underflow 0
		.amdhsa_exception_fp_ieee_inexact 0
		.amdhsa_exception_int_div_zero 0
	.end_amdhsa_kernel
	.section	.text._ZN7rocprim17ROCPRIM_400000_NS6detail17trampoline_kernelINS0_14default_configENS1_25partition_config_selectorILNS1_17partition_subalgoE9EffbEEZZNS1_14partition_implILS5_9ELb0ES3_jN6thrust23THRUST_200600_302600_NS6detail15normal_iteratorINS9_10device_ptrIfEEEESE_PNS0_10empty_typeENS0_5tupleIJSE_SF_EEENSH_IJSE_SG_EEENS0_18inequality_wrapperINS9_8equal_toIfEEEEPmJSF_EEE10hipError_tPvRmT3_T4_T5_T6_T7_T9_mT8_P12ihipStream_tbDpT10_ENKUlT_T0_E_clISt17integral_constantIbLb0EES18_EEDaS13_S14_EUlS13_E_NS1_11comp_targetILNS1_3genE5ELNS1_11target_archE942ELNS1_3gpuE9ELNS1_3repE0EEENS1_30default_config_static_selectorELNS0_4arch9wavefront6targetE0EEEvT1_,"axG",@progbits,_ZN7rocprim17ROCPRIM_400000_NS6detail17trampoline_kernelINS0_14default_configENS1_25partition_config_selectorILNS1_17partition_subalgoE9EffbEEZZNS1_14partition_implILS5_9ELb0ES3_jN6thrust23THRUST_200600_302600_NS6detail15normal_iteratorINS9_10device_ptrIfEEEESE_PNS0_10empty_typeENS0_5tupleIJSE_SF_EEENSH_IJSE_SG_EEENS0_18inequality_wrapperINS9_8equal_toIfEEEEPmJSF_EEE10hipError_tPvRmT3_T4_T5_T6_T7_T9_mT8_P12ihipStream_tbDpT10_ENKUlT_T0_E_clISt17integral_constantIbLb0EES18_EEDaS13_S14_EUlS13_E_NS1_11comp_targetILNS1_3genE5ELNS1_11target_archE942ELNS1_3gpuE9ELNS1_3repE0EEENS1_30default_config_static_selectorELNS0_4arch9wavefront6targetE0EEEvT1_,comdat
.Lfunc_end81:
	.size	_ZN7rocprim17ROCPRIM_400000_NS6detail17trampoline_kernelINS0_14default_configENS1_25partition_config_selectorILNS1_17partition_subalgoE9EffbEEZZNS1_14partition_implILS5_9ELb0ES3_jN6thrust23THRUST_200600_302600_NS6detail15normal_iteratorINS9_10device_ptrIfEEEESE_PNS0_10empty_typeENS0_5tupleIJSE_SF_EEENSH_IJSE_SG_EEENS0_18inequality_wrapperINS9_8equal_toIfEEEEPmJSF_EEE10hipError_tPvRmT3_T4_T5_T6_T7_T9_mT8_P12ihipStream_tbDpT10_ENKUlT_T0_E_clISt17integral_constantIbLb0EES18_EEDaS13_S14_EUlS13_E_NS1_11comp_targetILNS1_3genE5ELNS1_11target_archE942ELNS1_3gpuE9ELNS1_3repE0EEENS1_30default_config_static_selectorELNS0_4arch9wavefront6targetE0EEEvT1_, .Lfunc_end81-_ZN7rocprim17ROCPRIM_400000_NS6detail17trampoline_kernelINS0_14default_configENS1_25partition_config_selectorILNS1_17partition_subalgoE9EffbEEZZNS1_14partition_implILS5_9ELb0ES3_jN6thrust23THRUST_200600_302600_NS6detail15normal_iteratorINS9_10device_ptrIfEEEESE_PNS0_10empty_typeENS0_5tupleIJSE_SF_EEENSH_IJSE_SG_EEENS0_18inequality_wrapperINS9_8equal_toIfEEEEPmJSF_EEE10hipError_tPvRmT3_T4_T5_T6_T7_T9_mT8_P12ihipStream_tbDpT10_ENKUlT_T0_E_clISt17integral_constantIbLb0EES18_EEDaS13_S14_EUlS13_E_NS1_11comp_targetILNS1_3genE5ELNS1_11target_archE942ELNS1_3gpuE9ELNS1_3repE0EEENS1_30default_config_static_selectorELNS0_4arch9wavefront6targetE0EEEvT1_
                                        ; -- End function
	.section	.AMDGPU.csdata,"",@progbits
; Kernel info:
; codeLenInByte = 0
; NumSgprs: 0
; NumVgprs: 0
; ScratchSize: 0
; MemoryBound: 0
; FloatMode: 240
; IeeeMode: 1
; LDSByteSize: 0 bytes/workgroup (compile time only)
; SGPRBlocks: 0
; VGPRBlocks: 0
; NumSGPRsForWavesPerEU: 1
; NumVGPRsForWavesPerEU: 1
; Occupancy: 16
; WaveLimiterHint : 0
; COMPUTE_PGM_RSRC2:SCRATCH_EN: 0
; COMPUTE_PGM_RSRC2:USER_SGPR: 15
; COMPUTE_PGM_RSRC2:TRAP_HANDLER: 0
; COMPUTE_PGM_RSRC2:TGID_X_EN: 1
; COMPUTE_PGM_RSRC2:TGID_Y_EN: 0
; COMPUTE_PGM_RSRC2:TGID_Z_EN: 0
; COMPUTE_PGM_RSRC2:TIDIG_COMP_CNT: 0
	.section	.text._ZN7rocprim17ROCPRIM_400000_NS6detail17trampoline_kernelINS0_14default_configENS1_25partition_config_selectorILNS1_17partition_subalgoE9EffbEEZZNS1_14partition_implILS5_9ELb0ES3_jN6thrust23THRUST_200600_302600_NS6detail15normal_iteratorINS9_10device_ptrIfEEEESE_PNS0_10empty_typeENS0_5tupleIJSE_SF_EEENSH_IJSE_SG_EEENS0_18inequality_wrapperINS9_8equal_toIfEEEEPmJSF_EEE10hipError_tPvRmT3_T4_T5_T6_T7_T9_mT8_P12ihipStream_tbDpT10_ENKUlT_T0_E_clISt17integral_constantIbLb0EES18_EEDaS13_S14_EUlS13_E_NS1_11comp_targetILNS1_3genE4ELNS1_11target_archE910ELNS1_3gpuE8ELNS1_3repE0EEENS1_30default_config_static_selectorELNS0_4arch9wavefront6targetE0EEEvT1_,"axG",@progbits,_ZN7rocprim17ROCPRIM_400000_NS6detail17trampoline_kernelINS0_14default_configENS1_25partition_config_selectorILNS1_17partition_subalgoE9EffbEEZZNS1_14partition_implILS5_9ELb0ES3_jN6thrust23THRUST_200600_302600_NS6detail15normal_iteratorINS9_10device_ptrIfEEEESE_PNS0_10empty_typeENS0_5tupleIJSE_SF_EEENSH_IJSE_SG_EEENS0_18inequality_wrapperINS9_8equal_toIfEEEEPmJSF_EEE10hipError_tPvRmT3_T4_T5_T6_T7_T9_mT8_P12ihipStream_tbDpT10_ENKUlT_T0_E_clISt17integral_constantIbLb0EES18_EEDaS13_S14_EUlS13_E_NS1_11comp_targetILNS1_3genE4ELNS1_11target_archE910ELNS1_3gpuE8ELNS1_3repE0EEENS1_30default_config_static_selectorELNS0_4arch9wavefront6targetE0EEEvT1_,comdat
	.protected	_ZN7rocprim17ROCPRIM_400000_NS6detail17trampoline_kernelINS0_14default_configENS1_25partition_config_selectorILNS1_17partition_subalgoE9EffbEEZZNS1_14partition_implILS5_9ELb0ES3_jN6thrust23THRUST_200600_302600_NS6detail15normal_iteratorINS9_10device_ptrIfEEEESE_PNS0_10empty_typeENS0_5tupleIJSE_SF_EEENSH_IJSE_SG_EEENS0_18inequality_wrapperINS9_8equal_toIfEEEEPmJSF_EEE10hipError_tPvRmT3_T4_T5_T6_T7_T9_mT8_P12ihipStream_tbDpT10_ENKUlT_T0_E_clISt17integral_constantIbLb0EES18_EEDaS13_S14_EUlS13_E_NS1_11comp_targetILNS1_3genE4ELNS1_11target_archE910ELNS1_3gpuE8ELNS1_3repE0EEENS1_30default_config_static_selectorELNS0_4arch9wavefront6targetE0EEEvT1_ ; -- Begin function _ZN7rocprim17ROCPRIM_400000_NS6detail17trampoline_kernelINS0_14default_configENS1_25partition_config_selectorILNS1_17partition_subalgoE9EffbEEZZNS1_14partition_implILS5_9ELb0ES3_jN6thrust23THRUST_200600_302600_NS6detail15normal_iteratorINS9_10device_ptrIfEEEESE_PNS0_10empty_typeENS0_5tupleIJSE_SF_EEENSH_IJSE_SG_EEENS0_18inequality_wrapperINS9_8equal_toIfEEEEPmJSF_EEE10hipError_tPvRmT3_T4_T5_T6_T7_T9_mT8_P12ihipStream_tbDpT10_ENKUlT_T0_E_clISt17integral_constantIbLb0EES18_EEDaS13_S14_EUlS13_E_NS1_11comp_targetILNS1_3genE4ELNS1_11target_archE910ELNS1_3gpuE8ELNS1_3repE0EEENS1_30default_config_static_selectorELNS0_4arch9wavefront6targetE0EEEvT1_
	.globl	_ZN7rocprim17ROCPRIM_400000_NS6detail17trampoline_kernelINS0_14default_configENS1_25partition_config_selectorILNS1_17partition_subalgoE9EffbEEZZNS1_14partition_implILS5_9ELb0ES3_jN6thrust23THRUST_200600_302600_NS6detail15normal_iteratorINS9_10device_ptrIfEEEESE_PNS0_10empty_typeENS0_5tupleIJSE_SF_EEENSH_IJSE_SG_EEENS0_18inequality_wrapperINS9_8equal_toIfEEEEPmJSF_EEE10hipError_tPvRmT3_T4_T5_T6_T7_T9_mT8_P12ihipStream_tbDpT10_ENKUlT_T0_E_clISt17integral_constantIbLb0EES18_EEDaS13_S14_EUlS13_E_NS1_11comp_targetILNS1_3genE4ELNS1_11target_archE910ELNS1_3gpuE8ELNS1_3repE0EEENS1_30default_config_static_selectorELNS0_4arch9wavefront6targetE0EEEvT1_
	.p2align	8
	.type	_ZN7rocprim17ROCPRIM_400000_NS6detail17trampoline_kernelINS0_14default_configENS1_25partition_config_selectorILNS1_17partition_subalgoE9EffbEEZZNS1_14partition_implILS5_9ELb0ES3_jN6thrust23THRUST_200600_302600_NS6detail15normal_iteratorINS9_10device_ptrIfEEEESE_PNS0_10empty_typeENS0_5tupleIJSE_SF_EEENSH_IJSE_SG_EEENS0_18inequality_wrapperINS9_8equal_toIfEEEEPmJSF_EEE10hipError_tPvRmT3_T4_T5_T6_T7_T9_mT8_P12ihipStream_tbDpT10_ENKUlT_T0_E_clISt17integral_constantIbLb0EES18_EEDaS13_S14_EUlS13_E_NS1_11comp_targetILNS1_3genE4ELNS1_11target_archE910ELNS1_3gpuE8ELNS1_3repE0EEENS1_30default_config_static_selectorELNS0_4arch9wavefront6targetE0EEEvT1_,@function
_ZN7rocprim17ROCPRIM_400000_NS6detail17trampoline_kernelINS0_14default_configENS1_25partition_config_selectorILNS1_17partition_subalgoE9EffbEEZZNS1_14partition_implILS5_9ELb0ES3_jN6thrust23THRUST_200600_302600_NS6detail15normal_iteratorINS9_10device_ptrIfEEEESE_PNS0_10empty_typeENS0_5tupleIJSE_SF_EEENSH_IJSE_SG_EEENS0_18inequality_wrapperINS9_8equal_toIfEEEEPmJSF_EEE10hipError_tPvRmT3_T4_T5_T6_T7_T9_mT8_P12ihipStream_tbDpT10_ENKUlT_T0_E_clISt17integral_constantIbLb0EES18_EEDaS13_S14_EUlS13_E_NS1_11comp_targetILNS1_3genE4ELNS1_11target_archE910ELNS1_3gpuE8ELNS1_3repE0EEENS1_30default_config_static_selectorELNS0_4arch9wavefront6targetE0EEEvT1_: ; @_ZN7rocprim17ROCPRIM_400000_NS6detail17trampoline_kernelINS0_14default_configENS1_25partition_config_selectorILNS1_17partition_subalgoE9EffbEEZZNS1_14partition_implILS5_9ELb0ES3_jN6thrust23THRUST_200600_302600_NS6detail15normal_iteratorINS9_10device_ptrIfEEEESE_PNS0_10empty_typeENS0_5tupleIJSE_SF_EEENSH_IJSE_SG_EEENS0_18inequality_wrapperINS9_8equal_toIfEEEEPmJSF_EEE10hipError_tPvRmT3_T4_T5_T6_T7_T9_mT8_P12ihipStream_tbDpT10_ENKUlT_T0_E_clISt17integral_constantIbLb0EES18_EEDaS13_S14_EUlS13_E_NS1_11comp_targetILNS1_3genE4ELNS1_11target_archE910ELNS1_3gpuE8ELNS1_3repE0EEENS1_30default_config_static_selectorELNS0_4arch9wavefront6targetE0EEEvT1_
; %bb.0:
	.section	.rodata,"a",@progbits
	.p2align	6, 0x0
	.amdhsa_kernel _ZN7rocprim17ROCPRIM_400000_NS6detail17trampoline_kernelINS0_14default_configENS1_25partition_config_selectorILNS1_17partition_subalgoE9EffbEEZZNS1_14partition_implILS5_9ELb0ES3_jN6thrust23THRUST_200600_302600_NS6detail15normal_iteratorINS9_10device_ptrIfEEEESE_PNS0_10empty_typeENS0_5tupleIJSE_SF_EEENSH_IJSE_SG_EEENS0_18inequality_wrapperINS9_8equal_toIfEEEEPmJSF_EEE10hipError_tPvRmT3_T4_T5_T6_T7_T9_mT8_P12ihipStream_tbDpT10_ENKUlT_T0_E_clISt17integral_constantIbLb0EES18_EEDaS13_S14_EUlS13_E_NS1_11comp_targetILNS1_3genE4ELNS1_11target_archE910ELNS1_3gpuE8ELNS1_3repE0EEENS1_30default_config_static_selectorELNS0_4arch9wavefront6targetE0EEEvT1_
		.amdhsa_group_segment_fixed_size 0
		.amdhsa_private_segment_fixed_size 0
		.amdhsa_kernarg_size 112
		.amdhsa_user_sgpr_count 15
		.amdhsa_user_sgpr_dispatch_ptr 0
		.amdhsa_user_sgpr_queue_ptr 0
		.amdhsa_user_sgpr_kernarg_segment_ptr 1
		.amdhsa_user_sgpr_dispatch_id 0
		.amdhsa_user_sgpr_private_segment_size 0
		.amdhsa_wavefront_size32 1
		.amdhsa_uses_dynamic_stack 0
		.amdhsa_enable_private_segment 0
		.amdhsa_system_sgpr_workgroup_id_x 1
		.amdhsa_system_sgpr_workgroup_id_y 0
		.amdhsa_system_sgpr_workgroup_id_z 0
		.amdhsa_system_sgpr_workgroup_info 0
		.amdhsa_system_vgpr_workitem_id 0
		.amdhsa_next_free_vgpr 1
		.amdhsa_next_free_sgpr 1
		.amdhsa_reserve_vcc 0
		.amdhsa_float_round_mode_32 0
		.amdhsa_float_round_mode_16_64 0
		.amdhsa_float_denorm_mode_32 3
		.amdhsa_float_denorm_mode_16_64 3
		.amdhsa_dx10_clamp 1
		.amdhsa_ieee_mode 1
		.amdhsa_fp16_overflow 0
		.amdhsa_workgroup_processor_mode 1
		.amdhsa_memory_ordered 1
		.amdhsa_forward_progress 0
		.amdhsa_shared_vgpr_count 0
		.amdhsa_exception_fp_ieee_invalid_op 0
		.amdhsa_exception_fp_denorm_src 0
		.amdhsa_exception_fp_ieee_div_zero 0
		.amdhsa_exception_fp_ieee_overflow 0
		.amdhsa_exception_fp_ieee_underflow 0
		.amdhsa_exception_fp_ieee_inexact 0
		.amdhsa_exception_int_div_zero 0
	.end_amdhsa_kernel
	.section	.text._ZN7rocprim17ROCPRIM_400000_NS6detail17trampoline_kernelINS0_14default_configENS1_25partition_config_selectorILNS1_17partition_subalgoE9EffbEEZZNS1_14partition_implILS5_9ELb0ES3_jN6thrust23THRUST_200600_302600_NS6detail15normal_iteratorINS9_10device_ptrIfEEEESE_PNS0_10empty_typeENS0_5tupleIJSE_SF_EEENSH_IJSE_SG_EEENS0_18inequality_wrapperINS9_8equal_toIfEEEEPmJSF_EEE10hipError_tPvRmT3_T4_T5_T6_T7_T9_mT8_P12ihipStream_tbDpT10_ENKUlT_T0_E_clISt17integral_constantIbLb0EES18_EEDaS13_S14_EUlS13_E_NS1_11comp_targetILNS1_3genE4ELNS1_11target_archE910ELNS1_3gpuE8ELNS1_3repE0EEENS1_30default_config_static_selectorELNS0_4arch9wavefront6targetE0EEEvT1_,"axG",@progbits,_ZN7rocprim17ROCPRIM_400000_NS6detail17trampoline_kernelINS0_14default_configENS1_25partition_config_selectorILNS1_17partition_subalgoE9EffbEEZZNS1_14partition_implILS5_9ELb0ES3_jN6thrust23THRUST_200600_302600_NS6detail15normal_iteratorINS9_10device_ptrIfEEEESE_PNS0_10empty_typeENS0_5tupleIJSE_SF_EEENSH_IJSE_SG_EEENS0_18inequality_wrapperINS9_8equal_toIfEEEEPmJSF_EEE10hipError_tPvRmT3_T4_T5_T6_T7_T9_mT8_P12ihipStream_tbDpT10_ENKUlT_T0_E_clISt17integral_constantIbLb0EES18_EEDaS13_S14_EUlS13_E_NS1_11comp_targetILNS1_3genE4ELNS1_11target_archE910ELNS1_3gpuE8ELNS1_3repE0EEENS1_30default_config_static_selectorELNS0_4arch9wavefront6targetE0EEEvT1_,comdat
.Lfunc_end82:
	.size	_ZN7rocprim17ROCPRIM_400000_NS6detail17trampoline_kernelINS0_14default_configENS1_25partition_config_selectorILNS1_17partition_subalgoE9EffbEEZZNS1_14partition_implILS5_9ELb0ES3_jN6thrust23THRUST_200600_302600_NS6detail15normal_iteratorINS9_10device_ptrIfEEEESE_PNS0_10empty_typeENS0_5tupleIJSE_SF_EEENSH_IJSE_SG_EEENS0_18inequality_wrapperINS9_8equal_toIfEEEEPmJSF_EEE10hipError_tPvRmT3_T4_T5_T6_T7_T9_mT8_P12ihipStream_tbDpT10_ENKUlT_T0_E_clISt17integral_constantIbLb0EES18_EEDaS13_S14_EUlS13_E_NS1_11comp_targetILNS1_3genE4ELNS1_11target_archE910ELNS1_3gpuE8ELNS1_3repE0EEENS1_30default_config_static_selectorELNS0_4arch9wavefront6targetE0EEEvT1_, .Lfunc_end82-_ZN7rocprim17ROCPRIM_400000_NS6detail17trampoline_kernelINS0_14default_configENS1_25partition_config_selectorILNS1_17partition_subalgoE9EffbEEZZNS1_14partition_implILS5_9ELb0ES3_jN6thrust23THRUST_200600_302600_NS6detail15normal_iteratorINS9_10device_ptrIfEEEESE_PNS0_10empty_typeENS0_5tupleIJSE_SF_EEENSH_IJSE_SG_EEENS0_18inequality_wrapperINS9_8equal_toIfEEEEPmJSF_EEE10hipError_tPvRmT3_T4_T5_T6_T7_T9_mT8_P12ihipStream_tbDpT10_ENKUlT_T0_E_clISt17integral_constantIbLb0EES18_EEDaS13_S14_EUlS13_E_NS1_11comp_targetILNS1_3genE4ELNS1_11target_archE910ELNS1_3gpuE8ELNS1_3repE0EEENS1_30default_config_static_selectorELNS0_4arch9wavefront6targetE0EEEvT1_
                                        ; -- End function
	.section	.AMDGPU.csdata,"",@progbits
; Kernel info:
; codeLenInByte = 0
; NumSgprs: 0
; NumVgprs: 0
; ScratchSize: 0
; MemoryBound: 0
; FloatMode: 240
; IeeeMode: 1
; LDSByteSize: 0 bytes/workgroup (compile time only)
; SGPRBlocks: 0
; VGPRBlocks: 0
; NumSGPRsForWavesPerEU: 1
; NumVGPRsForWavesPerEU: 1
; Occupancy: 15
; WaveLimiterHint : 0
; COMPUTE_PGM_RSRC2:SCRATCH_EN: 0
; COMPUTE_PGM_RSRC2:USER_SGPR: 15
; COMPUTE_PGM_RSRC2:TRAP_HANDLER: 0
; COMPUTE_PGM_RSRC2:TGID_X_EN: 1
; COMPUTE_PGM_RSRC2:TGID_Y_EN: 0
; COMPUTE_PGM_RSRC2:TGID_Z_EN: 0
; COMPUTE_PGM_RSRC2:TIDIG_COMP_CNT: 0
	.section	.text._ZN7rocprim17ROCPRIM_400000_NS6detail17trampoline_kernelINS0_14default_configENS1_25partition_config_selectorILNS1_17partition_subalgoE9EffbEEZZNS1_14partition_implILS5_9ELb0ES3_jN6thrust23THRUST_200600_302600_NS6detail15normal_iteratorINS9_10device_ptrIfEEEESE_PNS0_10empty_typeENS0_5tupleIJSE_SF_EEENSH_IJSE_SG_EEENS0_18inequality_wrapperINS9_8equal_toIfEEEEPmJSF_EEE10hipError_tPvRmT3_T4_T5_T6_T7_T9_mT8_P12ihipStream_tbDpT10_ENKUlT_T0_E_clISt17integral_constantIbLb0EES18_EEDaS13_S14_EUlS13_E_NS1_11comp_targetILNS1_3genE3ELNS1_11target_archE908ELNS1_3gpuE7ELNS1_3repE0EEENS1_30default_config_static_selectorELNS0_4arch9wavefront6targetE0EEEvT1_,"axG",@progbits,_ZN7rocprim17ROCPRIM_400000_NS6detail17trampoline_kernelINS0_14default_configENS1_25partition_config_selectorILNS1_17partition_subalgoE9EffbEEZZNS1_14partition_implILS5_9ELb0ES3_jN6thrust23THRUST_200600_302600_NS6detail15normal_iteratorINS9_10device_ptrIfEEEESE_PNS0_10empty_typeENS0_5tupleIJSE_SF_EEENSH_IJSE_SG_EEENS0_18inequality_wrapperINS9_8equal_toIfEEEEPmJSF_EEE10hipError_tPvRmT3_T4_T5_T6_T7_T9_mT8_P12ihipStream_tbDpT10_ENKUlT_T0_E_clISt17integral_constantIbLb0EES18_EEDaS13_S14_EUlS13_E_NS1_11comp_targetILNS1_3genE3ELNS1_11target_archE908ELNS1_3gpuE7ELNS1_3repE0EEENS1_30default_config_static_selectorELNS0_4arch9wavefront6targetE0EEEvT1_,comdat
	.protected	_ZN7rocprim17ROCPRIM_400000_NS6detail17trampoline_kernelINS0_14default_configENS1_25partition_config_selectorILNS1_17partition_subalgoE9EffbEEZZNS1_14partition_implILS5_9ELb0ES3_jN6thrust23THRUST_200600_302600_NS6detail15normal_iteratorINS9_10device_ptrIfEEEESE_PNS0_10empty_typeENS0_5tupleIJSE_SF_EEENSH_IJSE_SG_EEENS0_18inequality_wrapperINS9_8equal_toIfEEEEPmJSF_EEE10hipError_tPvRmT3_T4_T5_T6_T7_T9_mT8_P12ihipStream_tbDpT10_ENKUlT_T0_E_clISt17integral_constantIbLb0EES18_EEDaS13_S14_EUlS13_E_NS1_11comp_targetILNS1_3genE3ELNS1_11target_archE908ELNS1_3gpuE7ELNS1_3repE0EEENS1_30default_config_static_selectorELNS0_4arch9wavefront6targetE0EEEvT1_ ; -- Begin function _ZN7rocprim17ROCPRIM_400000_NS6detail17trampoline_kernelINS0_14default_configENS1_25partition_config_selectorILNS1_17partition_subalgoE9EffbEEZZNS1_14partition_implILS5_9ELb0ES3_jN6thrust23THRUST_200600_302600_NS6detail15normal_iteratorINS9_10device_ptrIfEEEESE_PNS0_10empty_typeENS0_5tupleIJSE_SF_EEENSH_IJSE_SG_EEENS0_18inequality_wrapperINS9_8equal_toIfEEEEPmJSF_EEE10hipError_tPvRmT3_T4_T5_T6_T7_T9_mT8_P12ihipStream_tbDpT10_ENKUlT_T0_E_clISt17integral_constantIbLb0EES18_EEDaS13_S14_EUlS13_E_NS1_11comp_targetILNS1_3genE3ELNS1_11target_archE908ELNS1_3gpuE7ELNS1_3repE0EEENS1_30default_config_static_selectorELNS0_4arch9wavefront6targetE0EEEvT1_
	.globl	_ZN7rocprim17ROCPRIM_400000_NS6detail17trampoline_kernelINS0_14default_configENS1_25partition_config_selectorILNS1_17partition_subalgoE9EffbEEZZNS1_14partition_implILS5_9ELb0ES3_jN6thrust23THRUST_200600_302600_NS6detail15normal_iteratorINS9_10device_ptrIfEEEESE_PNS0_10empty_typeENS0_5tupleIJSE_SF_EEENSH_IJSE_SG_EEENS0_18inequality_wrapperINS9_8equal_toIfEEEEPmJSF_EEE10hipError_tPvRmT3_T4_T5_T6_T7_T9_mT8_P12ihipStream_tbDpT10_ENKUlT_T0_E_clISt17integral_constantIbLb0EES18_EEDaS13_S14_EUlS13_E_NS1_11comp_targetILNS1_3genE3ELNS1_11target_archE908ELNS1_3gpuE7ELNS1_3repE0EEENS1_30default_config_static_selectorELNS0_4arch9wavefront6targetE0EEEvT1_
	.p2align	8
	.type	_ZN7rocprim17ROCPRIM_400000_NS6detail17trampoline_kernelINS0_14default_configENS1_25partition_config_selectorILNS1_17partition_subalgoE9EffbEEZZNS1_14partition_implILS5_9ELb0ES3_jN6thrust23THRUST_200600_302600_NS6detail15normal_iteratorINS9_10device_ptrIfEEEESE_PNS0_10empty_typeENS0_5tupleIJSE_SF_EEENSH_IJSE_SG_EEENS0_18inequality_wrapperINS9_8equal_toIfEEEEPmJSF_EEE10hipError_tPvRmT3_T4_T5_T6_T7_T9_mT8_P12ihipStream_tbDpT10_ENKUlT_T0_E_clISt17integral_constantIbLb0EES18_EEDaS13_S14_EUlS13_E_NS1_11comp_targetILNS1_3genE3ELNS1_11target_archE908ELNS1_3gpuE7ELNS1_3repE0EEENS1_30default_config_static_selectorELNS0_4arch9wavefront6targetE0EEEvT1_,@function
_ZN7rocprim17ROCPRIM_400000_NS6detail17trampoline_kernelINS0_14default_configENS1_25partition_config_selectorILNS1_17partition_subalgoE9EffbEEZZNS1_14partition_implILS5_9ELb0ES3_jN6thrust23THRUST_200600_302600_NS6detail15normal_iteratorINS9_10device_ptrIfEEEESE_PNS0_10empty_typeENS0_5tupleIJSE_SF_EEENSH_IJSE_SG_EEENS0_18inequality_wrapperINS9_8equal_toIfEEEEPmJSF_EEE10hipError_tPvRmT3_T4_T5_T6_T7_T9_mT8_P12ihipStream_tbDpT10_ENKUlT_T0_E_clISt17integral_constantIbLb0EES18_EEDaS13_S14_EUlS13_E_NS1_11comp_targetILNS1_3genE3ELNS1_11target_archE908ELNS1_3gpuE7ELNS1_3repE0EEENS1_30default_config_static_selectorELNS0_4arch9wavefront6targetE0EEEvT1_: ; @_ZN7rocprim17ROCPRIM_400000_NS6detail17trampoline_kernelINS0_14default_configENS1_25partition_config_selectorILNS1_17partition_subalgoE9EffbEEZZNS1_14partition_implILS5_9ELb0ES3_jN6thrust23THRUST_200600_302600_NS6detail15normal_iteratorINS9_10device_ptrIfEEEESE_PNS0_10empty_typeENS0_5tupleIJSE_SF_EEENSH_IJSE_SG_EEENS0_18inequality_wrapperINS9_8equal_toIfEEEEPmJSF_EEE10hipError_tPvRmT3_T4_T5_T6_T7_T9_mT8_P12ihipStream_tbDpT10_ENKUlT_T0_E_clISt17integral_constantIbLb0EES18_EEDaS13_S14_EUlS13_E_NS1_11comp_targetILNS1_3genE3ELNS1_11target_archE908ELNS1_3gpuE7ELNS1_3repE0EEENS1_30default_config_static_selectorELNS0_4arch9wavefront6targetE0EEEvT1_
; %bb.0:
	.section	.rodata,"a",@progbits
	.p2align	6, 0x0
	.amdhsa_kernel _ZN7rocprim17ROCPRIM_400000_NS6detail17trampoline_kernelINS0_14default_configENS1_25partition_config_selectorILNS1_17partition_subalgoE9EffbEEZZNS1_14partition_implILS5_9ELb0ES3_jN6thrust23THRUST_200600_302600_NS6detail15normal_iteratorINS9_10device_ptrIfEEEESE_PNS0_10empty_typeENS0_5tupleIJSE_SF_EEENSH_IJSE_SG_EEENS0_18inequality_wrapperINS9_8equal_toIfEEEEPmJSF_EEE10hipError_tPvRmT3_T4_T5_T6_T7_T9_mT8_P12ihipStream_tbDpT10_ENKUlT_T0_E_clISt17integral_constantIbLb0EES18_EEDaS13_S14_EUlS13_E_NS1_11comp_targetILNS1_3genE3ELNS1_11target_archE908ELNS1_3gpuE7ELNS1_3repE0EEENS1_30default_config_static_selectorELNS0_4arch9wavefront6targetE0EEEvT1_
		.amdhsa_group_segment_fixed_size 0
		.amdhsa_private_segment_fixed_size 0
		.amdhsa_kernarg_size 112
		.amdhsa_user_sgpr_count 15
		.amdhsa_user_sgpr_dispatch_ptr 0
		.amdhsa_user_sgpr_queue_ptr 0
		.amdhsa_user_sgpr_kernarg_segment_ptr 1
		.amdhsa_user_sgpr_dispatch_id 0
		.amdhsa_user_sgpr_private_segment_size 0
		.amdhsa_wavefront_size32 1
		.amdhsa_uses_dynamic_stack 0
		.amdhsa_enable_private_segment 0
		.amdhsa_system_sgpr_workgroup_id_x 1
		.amdhsa_system_sgpr_workgroup_id_y 0
		.amdhsa_system_sgpr_workgroup_id_z 0
		.amdhsa_system_sgpr_workgroup_info 0
		.amdhsa_system_vgpr_workitem_id 0
		.amdhsa_next_free_vgpr 1
		.amdhsa_next_free_sgpr 1
		.amdhsa_reserve_vcc 0
		.amdhsa_float_round_mode_32 0
		.amdhsa_float_round_mode_16_64 0
		.amdhsa_float_denorm_mode_32 3
		.amdhsa_float_denorm_mode_16_64 3
		.amdhsa_dx10_clamp 1
		.amdhsa_ieee_mode 1
		.amdhsa_fp16_overflow 0
		.amdhsa_workgroup_processor_mode 1
		.amdhsa_memory_ordered 1
		.amdhsa_forward_progress 0
		.amdhsa_shared_vgpr_count 0
		.amdhsa_exception_fp_ieee_invalid_op 0
		.amdhsa_exception_fp_denorm_src 0
		.amdhsa_exception_fp_ieee_div_zero 0
		.amdhsa_exception_fp_ieee_overflow 0
		.amdhsa_exception_fp_ieee_underflow 0
		.amdhsa_exception_fp_ieee_inexact 0
		.amdhsa_exception_int_div_zero 0
	.end_amdhsa_kernel
	.section	.text._ZN7rocprim17ROCPRIM_400000_NS6detail17trampoline_kernelINS0_14default_configENS1_25partition_config_selectorILNS1_17partition_subalgoE9EffbEEZZNS1_14partition_implILS5_9ELb0ES3_jN6thrust23THRUST_200600_302600_NS6detail15normal_iteratorINS9_10device_ptrIfEEEESE_PNS0_10empty_typeENS0_5tupleIJSE_SF_EEENSH_IJSE_SG_EEENS0_18inequality_wrapperINS9_8equal_toIfEEEEPmJSF_EEE10hipError_tPvRmT3_T4_T5_T6_T7_T9_mT8_P12ihipStream_tbDpT10_ENKUlT_T0_E_clISt17integral_constantIbLb0EES18_EEDaS13_S14_EUlS13_E_NS1_11comp_targetILNS1_3genE3ELNS1_11target_archE908ELNS1_3gpuE7ELNS1_3repE0EEENS1_30default_config_static_selectorELNS0_4arch9wavefront6targetE0EEEvT1_,"axG",@progbits,_ZN7rocprim17ROCPRIM_400000_NS6detail17trampoline_kernelINS0_14default_configENS1_25partition_config_selectorILNS1_17partition_subalgoE9EffbEEZZNS1_14partition_implILS5_9ELb0ES3_jN6thrust23THRUST_200600_302600_NS6detail15normal_iteratorINS9_10device_ptrIfEEEESE_PNS0_10empty_typeENS0_5tupleIJSE_SF_EEENSH_IJSE_SG_EEENS0_18inequality_wrapperINS9_8equal_toIfEEEEPmJSF_EEE10hipError_tPvRmT3_T4_T5_T6_T7_T9_mT8_P12ihipStream_tbDpT10_ENKUlT_T0_E_clISt17integral_constantIbLb0EES18_EEDaS13_S14_EUlS13_E_NS1_11comp_targetILNS1_3genE3ELNS1_11target_archE908ELNS1_3gpuE7ELNS1_3repE0EEENS1_30default_config_static_selectorELNS0_4arch9wavefront6targetE0EEEvT1_,comdat
.Lfunc_end83:
	.size	_ZN7rocprim17ROCPRIM_400000_NS6detail17trampoline_kernelINS0_14default_configENS1_25partition_config_selectorILNS1_17partition_subalgoE9EffbEEZZNS1_14partition_implILS5_9ELb0ES3_jN6thrust23THRUST_200600_302600_NS6detail15normal_iteratorINS9_10device_ptrIfEEEESE_PNS0_10empty_typeENS0_5tupleIJSE_SF_EEENSH_IJSE_SG_EEENS0_18inequality_wrapperINS9_8equal_toIfEEEEPmJSF_EEE10hipError_tPvRmT3_T4_T5_T6_T7_T9_mT8_P12ihipStream_tbDpT10_ENKUlT_T0_E_clISt17integral_constantIbLb0EES18_EEDaS13_S14_EUlS13_E_NS1_11comp_targetILNS1_3genE3ELNS1_11target_archE908ELNS1_3gpuE7ELNS1_3repE0EEENS1_30default_config_static_selectorELNS0_4arch9wavefront6targetE0EEEvT1_, .Lfunc_end83-_ZN7rocprim17ROCPRIM_400000_NS6detail17trampoline_kernelINS0_14default_configENS1_25partition_config_selectorILNS1_17partition_subalgoE9EffbEEZZNS1_14partition_implILS5_9ELb0ES3_jN6thrust23THRUST_200600_302600_NS6detail15normal_iteratorINS9_10device_ptrIfEEEESE_PNS0_10empty_typeENS0_5tupleIJSE_SF_EEENSH_IJSE_SG_EEENS0_18inequality_wrapperINS9_8equal_toIfEEEEPmJSF_EEE10hipError_tPvRmT3_T4_T5_T6_T7_T9_mT8_P12ihipStream_tbDpT10_ENKUlT_T0_E_clISt17integral_constantIbLb0EES18_EEDaS13_S14_EUlS13_E_NS1_11comp_targetILNS1_3genE3ELNS1_11target_archE908ELNS1_3gpuE7ELNS1_3repE0EEENS1_30default_config_static_selectorELNS0_4arch9wavefront6targetE0EEEvT1_
                                        ; -- End function
	.section	.AMDGPU.csdata,"",@progbits
; Kernel info:
; codeLenInByte = 0
; NumSgprs: 0
; NumVgprs: 0
; ScratchSize: 0
; MemoryBound: 0
; FloatMode: 240
; IeeeMode: 1
; LDSByteSize: 0 bytes/workgroup (compile time only)
; SGPRBlocks: 0
; VGPRBlocks: 0
; NumSGPRsForWavesPerEU: 1
; NumVGPRsForWavesPerEU: 1
; Occupancy: 16
; WaveLimiterHint : 0
; COMPUTE_PGM_RSRC2:SCRATCH_EN: 0
; COMPUTE_PGM_RSRC2:USER_SGPR: 15
; COMPUTE_PGM_RSRC2:TRAP_HANDLER: 0
; COMPUTE_PGM_RSRC2:TGID_X_EN: 1
; COMPUTE_PGM_RSRC2:TGID_Y_EN: 0
; COMPUTE_PGM_RSRC2:TGID_Z_EN: 0
; COMPUTE_PGM_RSRC2:TIDIG_COMP_CNT: 0
	.section	.text._ZN7rocprim17ROCPRIM_400000_NS6detail17trampoline_kernelINS0_14default_configENS1_25partition_config_selectorILNS1_17partition_subalgoE9EffbEEZZNS1_14partition_implILS5_9ELb0ES3_jN6thrust23THRUST_200600_302600_NS6detail15normal_iteratorINS9_10device_ptrIfEEEESE_PNS0_10empty_typeENS0_5tupleIJSE_SF_EEENSH_IJSE_SG_EEENS0_18inequality_wrapperINS9_8equal_toIfEEEEPmJSF_EEE10hipError_tPvRmT3_T4_T5_T6_T7_T9_mT8_P12ihipStream_tbDpT10_ENKUlT_T0_E_clISt17integral_constantIbLb0EES18_EEDaS13_S14_EUlS13_E_NS1_11comp_targetILNS1_3genE2ELNS1_11target_archE906ELNS1_3gpuE6ELNS1_3repE0EEENS1_30default_config_static_selectorELNS0_4arch9wavefront6targetE0EEEvT1_,"axG",@progbits,_ZN7rocprim17ROCPRIM_400000_NS6detail17trampoline_kernelINS0_14default_configENS1_25partition_config_selectorILNS1_17partition_subalgoE9EffbEEZZNS1_14partition_implILS5_9ELb0ES3_jN6thrust23THRUST_200600_302600_NS6detail15normal_iteratorINS9_10device_ptrIfEEEESE_PNS0_10empty_typeENS0_5tupleIJSE_SF_EEENSH_IJSE_SG_EEENS0_18inequality_wrapperINS9_8equal_toIfEEEEPmJSF_EEE10hipError_tPvRmT3_T4_T5_T6_T7_T9_mT8_P12ihipStream_tbDpT10_ENKUlT_T0_E_clISt17integral_constantIbLb0EES18_EEDaS13_S14_EUlS13_E_NS1_11comp_targetILNS1_3genE2ELNS1_11target_archE906ELNS1_3gpuE6ELNS1_3repE0EEENS1_30default_config_static_selectorELNS0_4arch9wavefront6targetE0EEEvT1_,comdat
	.protected	_ZN7rocprim17ROCPRIM_400000_NS6detail17trampoline_kernelINS0_14default_configENS1_25partition_config_selectorILNS1_17partition_subalgoE9EffbEEZZNS1_14partition_implILS5_9ELb0ES3_jN6thrust23THRUST_200600_302600_NS6detail15normal_iteratorINS9_10device_ptrIfEEEESE_PNS0_10empty_typeENS0_5tupleIJSE_SF_EEENSH_IJSE_SG_EEENS0_18inequality_wrapperINS9_8equal_toIfEEEEPmJSF_EEE10hipError_tPvRmT3_T4_T5_T6_T7_T9_mT8_P12ihipStream_tbDpT10_ENKUlT_T0_E_clISt17integral_constantIbLb0EES18_EEDaS13_S14_EUlS13_E_NS1_11comp_targetILNS1_3genE2ELNS1_11target_archE906ELNS1_3gpuE6ELNS1_3repE0EEENS1_30default_config_static_selectorELNS0_4arch9wavefront6targetE0EEEvT1_ ; -- Begin function _ZN7rocprim17ROCPRIM_400000_NS6detail17trampoline_kernelINS0_14default_configENS1_25partition_config_selectorILNS1_17partition_subalgoE9EffbEEZZNS1_14partition_implILS5_9ELb0ES3_jN6thrust23THRUST_200600_302600_NS6detail15normal_iteratorINS9_10device_ptrIfEEEESE_PNS0_10empty_typeENS0_5tupleIJSE_SF_EEENSH_IJSE_SG_EEENS0_18inequality_wrapperINS9_8equal_toIfEEEEPmJSF_EEE10hipError_tPvRmT3_T4_T5_T6_T7_T9_mT8_P12ihipStream_tbDpT10_ENKUlT_T0_E_clISt17integral_constantIbLb0EES18_EEDaS13_S14_EUlS13_E_NS1_11comp_targetILNS1_3genE2ELNS1_11target_archE906ELNS1_3gpuE6ELNS1_3repE0EEENS1_30default_config_static_selectorELNS0_4arch9wavefront6targetE0EEEvT1_
	.globl	_ZN7rocprim17ROCPRIM_400000_NS6detail17trampoline_kernelINS0_14default_configENS1_25partition_config_selectorILNS1_17partition_subalgoE9EffbEEZZNS1_14partition_implILS5_9ELb0ES3_jN6thrust23THRUST_200600_302600_NS6detail15normal_iteratorINS9_10device_ptrIfEEEESE_PNS0_10empty_typeENS0_5tupleIJSE_SF_EEENSH_IJSE_SG_EEENS0_18inequality_wrapperINS9_8equal_toIfEEEEPmJSF_EEE10hipError_tPvRmT3_T4_T5_T6_T7_T9_mT8_P12ihipStream_tbDpT10_ENKUlT_T0_E_clISt17integral_constantIbLb0EES18_EEDaS13_S14_EUlS13_E_NS1_11comp_targetILNS1_3genE2ELNS1_11target_archE906ELNS1_3gpuE6ELNS1_3repE0EEENS1_30default_config_static_selectorELNS0_4arch9wavefront6targetE0EEEvT1_
	.p2align	8
	.type	_ZN7rocprim17ROCPRIM_400000_NS6detail17trampoline_kernelINS0_14default_configENS1_25partition_config_selectorILNS1_17partition_subalgoE9EffbEEZZNS1_14partition_implILS5_9ELb0ES3_jN6thrust23THRUST_200600_302600_NS6detail15normal_iteratorINS9_10device_ptrIfEEEESE_PNS0_10empty_typeENS0_5tupleIJSE_SF_EEENSH_IJSE_SG_EEENS0_18inequality_wrapperINS9_8equal_toIfEEEEPmJSF_EEE10hipError_tPvRmT3_T4_T5_T6_T7_T9_mT8_P12ihipStream_tbDpT10_ENKUlT_T0_E_clISt17integral_constantIbLb0EES18_EEDaS13_S14_EUlS13_E_NS1_11comp_targetILNS1_3genE2ELNS1_11target_archE906ELNS1_3gpuE6ELNS1_3repE0EEENS1_30default_config_static_selectorELNS0_4arch9wavefront6targetE0EEEvT1_,@function
_ZN7rocprim17ROCPRIM_400000_NS6detail17trampoline_kernelINS0_14default_configENS1_25partition_config_selectorILNS1_17partition_subalgoE9EffbEEZZNS1_14partition_implILS5_9ELb0ES3_jN6thrust23THRUST_200600_302600_NS6detail15normal_iteratorINS9_10device_ptrIfEEEESE_PNS0_10empty_typeENS0_5tupleIJSE_SF_EEENSH_IJSE_SG_EEENS0_18inequality_wrapperINS9_8equal_toIfEEEEPmJSF_EEE10hipError_tPvRmT3_T4_T5_T6_T7_T9_mT8_P12ihipStream_tbDpT10_ENKUlT_T0_E_clISt17integral_constantIbLb0EES18_EEDaS13_S14_EUlS13_E_NS1_11comp_targetILNS1_3genE2ELNS1_11target_archE906ELNS1_3gpuE6ELNS1_3repE0EEENS1_30default_config_static_selectorELNS0_4arch9wavefront6targetE0EEEvT1_: ; @_ZN7rocprim17ROCPRIM_400000_NS6detail17trampoline_kernelINS0_14default_configENS1_25partition_config_selectorILNS1_17partition_subalgoE9EffbEEZZNS1_14partition_implILS5_9ELb0ES3_jN6thrust23THRUST_200600_302600_NS6detail15normal_iteratorINS9_10device_ptrIfEEEESE_PNS0_10empty_typeENS0_5tupleIJSE_SF_EEENSH_IJSE_SG_EEENS0_18inequality_wrapperINS9_8equal_toIfEEEEPmJSF_EEE10hipError_tPvRmT3_T4_T5_T6_T7_T9_mT8_P12ihipStream_tbDpT10_ENKUlT_T0_E_clISt17integral_constantIbLb0EES18_EEDaS13_S14_EUlS13_E_NS1_11comp_targetILNS1_3genE2ELNS1_11target_archE906ELNS1_3gpuE6ELNS1_3repE0EEENS1_30default_config_static_selectorELNS0_4arch9wavefront6targetE0EEEvT1_
; %bb.0:
	.section	.rodata,"a",@progbits
	.p2align	6, 0x0
	.amdhsa_kernel _ZN7rocprim17ROCPRIM_400000_NS6detail17trampoline_kernelINS0_14default_configENS1_25partition_config_selectorILNS1_17partition_subalgoE9EffbEEZZNS1_14partition_implILS5_9ELb0ES3_jN6thrust23THRUST_200600_302600_NS6detail15normal_iteratorINS9_10device_ptrIfEEEESE_PNS0_10empty_typeENS0_5tupleIJSE_SF_EEENSH_IJSE_SG_EEENS0_18inequality_wrapperINS9_8equal_toIfEEEEPmJSF_EEE10hipError_tPvRmT3_T4_T5_T6_T7_T9_mT8_P12ihipStream_tbDpT10_ENKUlT_T0_E_clISt17integral_constantIbLb0EES18_EEDaS13_S14_EUlS13_E_NS1_11comp_targetILNS1_3genE2ELNS1_11target_archE906ELNS1_3gpuE6ELNS1_3repE0EEENS1_30default_config_static_selectorELNS0_4arch9wavefront6targetE0EEEvT1_
		.amdhsa_group_segment_fixed_size 0
		.amdhsa_private_segment_fixed_size 0
		.amdhsa_kernarg_size 112
		.amdhsa_user_sgpr_count 15
		.amdhsa_user_sgpr_dispatch_ptr 0
		.amdhsa_user_sgpr_queue_ptr 0
		.amdhsa_user_sgpr_kernarg_segment_ptr 1
		.amdhsa_user_sgpr_dispatch_id 0
		.amdhsa_user_sgpr_private_segment_size 0
		.amdhsa_wavefront_size32 1
		.amdhsa_uses_dynamic_stack 0
		.amdhsa_enable_private_segment 0
		.amdhsa_system_sgpr_workgroup_id_x 1
		.amdhsa_system_sgpr_workgroup_id_y 0
		.amdhsa_system_sgpr_workgroup_id_z 0
		.amdhsa_system_sgpr_workgroup_info 0
		.amdhsa_system_vgpr_workitem_id 0
		.amdhsa_next_free_vgpr 1
		.amdhsa_next_free_sgpr 1
		.amdhsa_reserve_vcc 0
		.amdhsa_float_round_mode_32 0
		.amdhsa_float_round_mode_16_64 0
		.amdhsa_float_denorm_mode_32 3
		.amdhsa_float_denorm_mode_16_64 3
		.amdhsa_dx10_clamp 1
		.amdhsa_ieee_mode 1
		.amdhsa_fp16_overflow 0
		.amdhsa_workgroup_processor_mode 1
		.amdhsa_memory_ordered 1
		.amdhsa_forward_progress 0
		.amdhsa_shared_vgpr_count 0
		.amdhsa_exception_fp_ieee_invalid_op 0
		.amdhsa_exception_fp_denorm_src 0
		.amdhsa_exception_fp_ieee_div_zero 0
		.amdhsa_exception_fp_ieee_overflow 0
		.amdhsa_exception_fp_ieee_underflow 0
		.amdhsa_exception_fp_ieee_inexact 0
		.amdhsa_exception_int_div_zero 0
	.end_amdhsa_kernel
	.section	.text._ZN7rocprim17ROCPRIM_400000_NS6detail17trampoline_kernelINS0_14default_configENS1_25partition_config_selectorILNS1_17partition_subalgoE9EffbEEZZNS1_14partition_implILS5_9ELb0ES3_jN6thrust23THRUST_200600_302600_NS6detail15normal_iteratorINS9_10device_ptrIfEEEESE_PNS0_10empty_typeENS0_5tupleIJSE_SF_EEENSH_IJSE_SG_EEENS0_18inequality_wrapperINS9_8equal_toIfEEEEPmJSF_EEE10hipError_tPvRmT3_T4_T5_T6_T7_T9_mT8_P12ihipStream_tbDpT10_ENKUlT_T0_E_clISt17integral_constantIbLb0EES18_EEDaS13_S14_EUlS13_E_NS1_11comp_targetILNS1_3genE2ELNS1_11target_archE906ELNS1_3gpuE6ELNS1_3repE0EEENS1_30default_config_static_selectorELNS0_4arch9wavefront6targetE0EEEvT1_,"axG",@progbits,_ZN7rocprim17ROCPRIM_400000_NS6detail17trampoline_kernelINS0_14default_configENS1_25partition_config_selectorILNS1_17partition_subalgoE9EffbEEZZNS1_14partition_implILS5_9ELb0ES3_jN6thrust23THRUST_200600_302600_NS6detail15normal_iteratorINS9_10device_ptrIfEEEESE_PNS0_10empty_typeENS0_5tupleIJSE_SF_EEENSH_IJSE_SG_EEENS0_18inequality_wrapperINS9_8equal_toIfEEEEPmJSF_EEE10hipError_tPvRmT3_T4_T5_T6_T7_T9_mT8_P12ihipStream_tbDpT10_ENKUlT_T0_E_clISt17integral_constantIbLb0EES18_EEDaS13_S14_EUlS13_E_NS1_11comp_targetILNS1_3genE2ELNS1_11target_archE906ELNS1_3gpuE6ELNS1_3repE0EEENS1_30default_config_static_selectorELNS0_4arch9wavefront6targetE0EEEvT1_,comdat
.Lfunc_end84:
	.size	_ZN7rocprim17ROCPRIM_400000_NS6detail17trampoline_kernelINS0_14default_configENS1_25partition_config_selectorILNS1_17partition_subalgoE9EffbEEZZNS1_14partition_implILS5_9ELb0ES3_jN6thrust23THRUST_200600_302600_NS6detail15normal_iteratorINS9_10device_ptrIfEEEESE_PNS0_10empty_typeENS0_5tupleIJSE_SF_EEENSH_IJSE_SG_EEENS0_18inequality_wrapperINS9_8equal_toIfEEEEPmJSF_EEE10hipError_tPvRmT3_T4_T5_T6_T7_T9_mT8_P12ihipStream_tbDpT10_ENKUlT_T0_E_clISt17integral_constantIbLb0EES18_EEDaS13_S14_EUlS13_E_NS1_11comp_targetILNS1_3genE2ELNS1_11target_archE906ELNS1_3gpuE6ELNS1_3repE0EEENS1_30default_config_static_selectorELNS0_4arch9wavefront6targetE0EEEvT1_, .Lfunc_end84-_ZN7rocprim17ROCPRIM_400000_NS6detail17trampoline_kernelINS0_14default_configENS1_25partition_config_selectorILNS1_17partition_subalgoE9EffbEEZZNS1_14partition_implILS5_9ELb0ES3_jN6thrust23THRUST_200600_302600_NS6detail15normal_iteratorINS9_10device_ptrIfEEEESE_PNS0_10empty_typeENS0_5tupleIJSE_SF_EEENSH_IJSE_SG_EEENS0_18inequality_wrapperINS9_8equal_toIfEEEEPmJSF_EEE10hipError_tPvRmT3_T4_T5_T6_T7_T9_mT8_P12ihipStream_tbDpT10_ENKUlT_T0_E_clISt17integral_constantIbLb0EES18_EEDaS13_S14_EUlS13_E_NS1_11comp_targetILNS1_3genE2ELNS1_11target_archE906ELNS1_3gpuE6ELNS1_3repE0EEENS1_30default_config_static_selectorELNS0_4arch9wavefront6targetE0EEEvT1_
                                        ; -- End function
	.section	.AMDGPU.csdata,"",@progbits
; Kernel info:
; codeLenInByte = 0
; NumSgprs: 0
; NumVgprs: 0
; ScratchSize: 0
; MemoryBound: 0
; FloatMode: 240
; IeeeMode: 1
; LDSByteSize: 0 bytes/workgroup (compile time only)
; SGPRBlocks: 0
; VGPRBlocks: 0
; NumSGPRsForWavesPerEU: 1
; NumVGPRsForWavesPerEU: 1
; Occupancy: 16
; WaveLimiterHint : 0
; COMPUTE_PGM_RSRC2:SCRATCH_EN: 0
; COMPUTE_PGM_RSRC2:USER_SGPR: 15
; COMPUTE_PGM_RSRC2:TRAP_HANDLER: 0
; COMPUTE_PGM_RSRC2:TGID_X_EN: 1
; COMPUTE_PGM_RSRC2:TGID_Y_EN: 0
; COMPUTE_PGM_RSRC2:TGID_Z_EN: 0
; COMPUTE_PGM_RSRC2:TIDIG_COMP_CNT: 0
	.section	.text._ZN7rocprim17ROCPRIM_400000_NS6detail17trampoline_kernelINS0_14default_configENS1_25partition_config_selectorILNS1_17partition_subalgoE9EffbEEZZNS1_14partition_implILS5_9ELb0ES3_jN6thrust23THRUST_200600_302600_NS6detail15normal_iteratorINS9_10device_ptrIfEEEESE_PNS0_10empty_typeENS0_5tupleIJSE_SF_EEENSH_IJSE_SG_EEENS0_18inequality_wrapperINS9_8equal_toIfEEEEPmJSF_EEE10hipError_tPvRmT3_T4_T5_T6_T7_T9_mT8_P12ihipStream_tbDpT10_ENKUlT_T0_E_clISt17integral_constantIbLb0EES18_EEDaS13_S14_EUlS13_E_NS1_11comp_targetILNS1_3genE10ELNS1_11target_archE1200ELNS1_3gpuE4ELNS1_3repE0EEENS1_30default_config_static_selectorELNS0_4arch9wavefront6targetE0EEEvT1_,"axG",@progbits,_ZN7rocprim17ROCPRIM_400000_NS6detail17trampoline_kernelINS0_14default_configENS1_25partition_config_selectorILNS1_17partition_subalgoE9EffbEEZZNS1_14partition_implILS5_9ELb0ES3_jN6thrust23THRUST_200600_302600_NS6detail15normal_iteratorINS9_10device_ptrIfEEEESE_PNS0_10empty_typeENS0_5tupleIJSE_SF_EEENSH_IJSE_SG_EEENS0_18inequality_wrapperINS9_8equal_toIfEEEEPmJSF_EEE10hipError_tPvRmT3_T4_T5_T6_T7_T9_mT8_P12ihipStream_tbDpT10_ENKUlT_T0_E_clISt17integral_constantIbLb0EES18_EEDaS13_S14_EUlS13_E_NS1_11comp_targetILNS1_3genE10ELNS1_11target_archE1200ELNS1_3gpuE4ELNS1_3repE0EEENS1_30default_config_static_selectorELNS0_4arch9wavefront6targetE0EEEvT1_,comdat
	.protected	_ZN7rocprim17ROCPRIM_400000_NS6detail17trampoline_kernelINS0_14default_configENS1_25partition_config_selectorILNS1_17partition_subalgoE9EffbEEZZNS1_14partition_implILS5_9ELb0ES3_jN6thrust23THRUST_200600_302600_NS6detail15normal_iteratorINS9_10device_ptrIfEEEESE_PNS0_10empty_typeENS0_5tupleIJSE_SF_EEENSH_IJSE_SG_EEENS0_18inequality_wrapperINS9_8equal_toIfEEEEPmJSF_EEE10hipError_tPvRmT3_T4_T5_T6_T7_T9_mT8_P12ihipStream_tbDpT10_ENKUlT_T0_E_clISt17integral_constantIbLb0EES18_EEDaS13_S14_EUlS13_E_NS1_11comp_targetILNS1_3genE10ELNS1_11target_archE1200ELNS1_3gpuE4ELNS1_3repE0EEENS1_30default_config_static_selectorELNS0_4arch9wavefront6targetE0EEEvT1_ ; -- Begin function _ZN7rocprim17ROCPRIM_400000_NS6detail17trampoline_kernelINS0_14default_configENS1_25partition_config_selectorILNS1_17partition_subalgoE9EffbEEZZNS1_14partition_implILS5_9ELb0ES3_jN6thrust23THRUST_200600_302600_NS6detail15normal_iteratorINS9_10device_ptrIfEEEESE_PNS0_10empty_typeENS0_5tupleIJSE_SF_EEENSH_IJSE_SG_EEENS0_18inequality_wrapperINS9_8equal_toIfEEEEPmJSF_EEE10hipError_tPvRmT3_T4_T5_T6_T7_T9_mT8_P12ihipStream_tbDpT10_ENKUlT_T0_E_clISt17integral_constantIbLb0EES18_EEDaS13_S14_EUlS13_E_NS1_11comp_targetILNS1_3genE10ELNS1_11target_archE1200ELNS1_3gpuE4ELNS1_3repE0EEENS1_30default_config_static_selectorELNS0_4arch9wavefront6targetE0EEEvT1_
	.globl	_ZN7rocprim17ROCPRIM_400000_NS6detail17trampoline_kernelINS0_14default_configENS1_25partition_config_selectorILNS1_17partition_subalgoE9EffbEEZZNS1_14partition_implILS5_9ELb0ES3_jN6thrust23THRUST_200600_302600_NS6detail15normal_iteratorINS9_10device_ptrIfEEEESE_PNS0_10empty_typeENS0_5tupleIJSE_SF_EEENSH_IJSE_SG_EEENS0_18inequality_wrapperINS9_8equal_toIfEEEEPmJSF_EEE10hipError_tPvRmT3_T4_T5_T6_T7_T9_mT8_P12ihipStream_tbDpT10_ENKUlT_T0_E_clISt17integral_constantIbLb0EES18_EEDaS13_S14_EUlS13_E_NS1_11comp_targetILNS1_3genE10ELNS1_11target_archE1200ELNS1_3gpuE4ELNS1_3repE0EEENS1_30default_config_static_selectorELNS0_4arch9wavefront6targetE0EEEvT1_
	.p2align	8
	.type	_ZN7rocprim17ROCPRIM_400000_NS6detail17trampoline_kernelINS0_14default_configENS1_25partition_config_selectorILNS1_17partition_subalgoE9EffbEEZZNS1_14partition_implILS5_9ELb0ES3_jN6thrust23THRUST_200600_302600_NS6detail15normal_iteratorINS9_10device_ptrIfEEEESE_PNS0_10empty_typeENS0_5tupleIJSE_SF_EEENSH_IJSE_SG_EEENS0_18inequality_wrapperINS9_8equal_toIfEEEEPmJSF_EEE10hipError_tPvRmT3_T4_T5_T6_T7_T9_mT8_P12ihipStream_tbDpT10_ENKUlT_T0_E_clISt17integral_constantIbLb0EES18_EEDaS13_S14_EUlS13_E_NS1_11comp_targetILNS1_3genE10ELNS1_11target_archE1200ELNS1_3gpuE4ELNS1_3repE0EEENS1_30default_config_static_selectorELNS0_4arch9wavefront6targetE0EEEvT1_,@function
_ZN7rocprim17ROCPRIM_400000_NS6detail17trampoline_kernelINS0_14default_configENS1_25partition_config_selectorILNS1_17partition_subalgoE9EffbEEZZNS1_14partition_implILS5_9ELb0ES3_jN6thrust23THRUST_200600_302600_NS6detail15normal_iteratorINS9_10device_ptrIfEEEESE_PNS0_10empty_typeENS0_5tupleIJSE_SF_EEENSH_IJSE_SG_EEENS0_18inequality_wrapperINS9_8equal_toIfEEEEPmJSF_EEE10hipError_tPvRmT3_T4_T5_T6_T7_T9_mT8_P12ihipStream_tbDpT10_ENKUlT_T0_E_clISt17integral_constantIbLb0EES18_EEDaS13_S14_EUlS13_E_NS1_11comp_targetILNS1_3genE10ELNS1_11target_archE1200ELNS1_3gpuE4ELNS1_3repE0EEENS1_30default_config_static_selectorELNS0_4arch9wavefront6targetE0EEEvT1_: ; @_ZN7rocprim17ROCPRIM_400000_NS6detail17trampoline_kernelINS0_14default_configENS1_25partition_config_selectorILNS1_17partition_subalgoE9EffbEEZZNS1_14partition_implILS5_9ELb0ES3_jN6thrust23THRUST_200600_302600_NS6detail15normal_iteratorINS9_10device_ptrIfEEEESE_PNS0_10empty_typeENS0_5tupleIJSE_SF_EEENSH_IJSE_SG_EEENS0_18inequality_wrapperINS9_8equal_toIfEEEEPmJSF_EEE10hipError_tPvRmT3_T4_T5_T6_T7_T9_mT8_P12ihipStream_tbDpT10_ENKUlT_T0_E_clISt17integral_constantIbLb0EES18_EEDaS13_S14_EUlS13_E_NS1_11comp_targetILNS1_3genE10ELNS1_11target_archE1200ELNS1_3gpuE4ELNS1_3repE0EEENS1_30default_config_static_selectorELNS0_4arch9wavefront6targetE0EEEvT1_
; %bb.0:
	.section	.rodata,"a",@progbits
	.p2align	6, 0x0
	.amdhsa_kernel _ZN7rocprim17ROCPRIM_400000_NS6detail17trampoline_kernelINS0_14default_configENS1_25partition_config_selectorILNS1_17partition_subalgoE9EffbEEZZNS1_14partition_implILS5_9ELb0ES3_jN6thrust23THRUST_200600_302600_NS6detail15normal_iteratorINS9_10device_ptrIfEEEESE_PNS0_10empty_typeENS0_5tupleIJSE_SF_EEENSH_IJSE_SG_EEENS0_18inequality_wrapperINS9_8equal_toIfEEEEPmJSF_EEE10hipError_tPvRmT3_T4_T5_T6_T7_T9_mT8_P12ihipStream_tbDpT10_ENKUlT_T0_E_clISt17integral_constantIbLb0EES18_EEDaS13_S14_EUlS13_E_NS1_11comp_targetILNS1_3genE10ELNS1_11target_archE1200ELNS1_3gpuE4ELNS1_3repE0EEENS1_30default_config_static_selectorELNS0_4arch9wavefront6targetE0EEEvT1_
		.amdhsa_group_segment_fixed_size 0
		.amdhsa_private_segment_fixed_size 0
		.amdhsa_kernarg_size 112
		.amdhsa_user_sgpr_count 15
		.amdhsa_user_sgpr_dispatch_ptr 0
		.amdhsa_user_sgpr_queue_ptr 0
		.amdhsa_user_sgpr_kernarg_segment_ptr 1
		.amdhsa_user_sgpr_dispatch_id 0
		.amdhsa_user_sgpr_private_segment_size 0
		.amdhsa_wavefront_size32 1
		.amdhsa_uses_dynamic_stack 0
		.amdhsa_enable_private_segment 0
		.amdhsa_system_sgpr_workgroup_id_x 1
		.amdhsa_system_sgpr_workgroup_id_y 0
		.amdhsa_system_sgpr_workgroup_id_z 0
		.amdhsa_system_sgpr_workgroup_info 0
		.amdhsa_system_vgpr_workitem_id 0
		.amdhsa_next_free_vgpr 1
		.amdhsa_next_free_sgpr 1
		.amdhsa_reserve_vcc 0
		.amdhsa_float_round_mode_32 0
		.amdhsa_float_round_mode_16_64 0
		.amdhsa_float_denorm_mode_32 3
		.amdhsa_float_denorm_mode_16_64 3
		.amdhsa_dx10_clamp 1
		.amdhsa_ieee_mode 1
		.amdhsa_fp16_overflow 0
		.amdhsa_workgroup_processor_mode 1
		.amdhsa_memory_ordered 1
		.amdhsa_forward_progress 0
		.amdhsa_shared_vgpr_count 0
		.amdhsa_exception_fp_ieee_invalid_op 0
		.amdhsa_exception_fp_denorm_src 0
		.amdhsa_exception_fp_ieee_div_zero 0
		.amdhsa_exception_fp_ieee_overflow 0
		.amdhsa_exception_fp_ieee_underflow 0
		.amdhsa_exception_fp_ieee_inexact 0
		.amdhsa_exception_int_div_zero 0
	.end_amdhsa_kernel
	.section	.text._ZN7rocprim17ROCPRIM_400000_NS6detail17trampoline_kernelINS0_14default_configENS1_25partition_config_selectorILNS1_17partition_subalgoE9EffbEEZZNS1_14partition_implILS5_9ELb0ES3_jN6thrust23THRUST_200600_302600_NS6detail15normal_iteratorINS9_10device_ptrIfEEEESE_PNS0_10empty_typeENS0_5tupleIJSE_SF_EEENSH_IJSE_SG_EEENS0_18inequality_wrapperINS9_8equal_toIfEEEEPmJSF_EEE10hipError_tPvRmT3_T4_T5_T6_T7_T9_mT8_P12ihipStream_tbDpT10_ENKUlT_T0_E_clISt17integral_constantIbLb0EES18_EEDaS13_S14_EUlS13_E_NS1_11comp_targetILNS1_3genE10ELNS1_11target_archE1200ELNS1_3gpuE4ELNS1_3repE0EEENS1_30default_config_static_selectorELNS0_4arch9wavefront6targetE0EEEvT1_,"axG",@progbits,_ZN7rocprim17ROCPRIM_400000_NS6detail17trampoline_kernelINS0_14default_configENS1_25partition_config_selectorILNS1_17partition_subalgoE9EffbEEZZNS1_14partition_implILS5_9ELb0ES3_jN6thrust23THRUST_200600_302600_NS6detail15normal_iteratorINS9_10device_ptrIfEEEESE_PNS0_10empty_typeENS0_5tupleIJSE_SF_EEENSH_IJSE_SG_EEENS0_18inequality_wrapperINS9_8equal_toIfEEEEPmJSF_EEE10hipError_tPvRmT3_T4_T5_T6_T7_T9_mT8_P12ihipStream_tbDpT10_ENKUlT_T0_E_clISt17integral_constantIbLb0EES18_EEDaS13_S14_EUlS13_E_NS1_11comp_targetILNS1_3genE10ELNS1_11target_archE1200ELNS1_3gpuE4ELNS1_3repE0EEENS1_30default_config_static_selectorELNS0_4arch9wavefront6targetE0EEEvT1_,comdat
.Lfunc_end85:
	.size	_ZN7rocprim17ROCPRIM_400000_NS6detail17trampoline_kernelINS0_14default_configENS1_25partition_config_selectorILNS1_17partition_subalgoE9EffbEEZZNS1_14partition_implILS5_9ELb0ES3_jN6thrust23THRUST_200600_302600_NS6detail15normal_iteratorINS9_10device_ptrIfEEEESE_PNS0_10empty_typeENS0_5tupleIJSE_SF_EEENSH_IJSE_SG_EEENS0_18inequality_wrapperINS9_8equal_toIfEEEEPmJSF_EEE10hipError_tPvRmT3_T4_T5_T6_T7_T9_mT8_P12ihipStream_tbDpT10_ENKUlT_T0_E_clISt17integral_constantIbLb0EES18_EEDaS13_S14_EUlS13_E_NS1_11comp_targetILNS1_3genE10ELNS1_11target_archE1200ELNS1_3gpuE4ELNS1_3repE0EEENS1_30default_config_static_selectorELNS0_4arch9wavefront6targetE0EEEvT1_, .Lfunc_end85-_ZN7rocprim17ROCPRIM_400000_NS6detail17trampoline_kernelINS0_14default_configENS1_25partition_config_selectorILNS1_17partition_subalgoE9EffbEEZZNS1_14partition_implILS5_9ELb0ES3_jN6thrust23THRUST_200600_302600_NS6detail15normal_iteratorINS9_10device_ptrIfEEEESE_PNS0_10empty_typeENS0_5tupleIJSE_SF_EEENSH_IJSE_SG_EEENS0_18inequality_wrapperINS9_8equal_toIfEEEEPmJSF_EEE10hipError_tPvRmT3_T4_T5_T6_T7_T9_mT8_P12ihipStream_tbDpT10_ENKUlT_T0_E_clISt17integral_constantIbLb0EES18_EEDaS13_S14_EUlS13_E_NS1_11comp_targetILNS1_3genE10ELNS1_11target_archE1200ELNS1_3gpuE4ELNS1_3repE0EEENS1_30default_config_static_selectorELNS0_4arch9wavefront6targetE0EEEvT1_
                                        ; -- End function
	.section	.AMDGPU.csdata,"",@progbits
; Kernel info:
; codeLenInByte = 0
; NumSgprs: 0
; NumVgprs: 0
; ScratchSize: 0
; MemoryBound: 0
; FloatMode: 240
; IeeeMode: 1
; LDSByteSize: 0 bytes/workgroup (compile time only)
; SGPRBlocks: 0
; VGPRBlocks: 0
; NumSGPRsForWavesPerEU: 1
; NumVGPRsForWavesPerEU: 1
; Occupancy: 15
; WaveLimiterHint : 0
; COMPUTE_PGM_RSRC2:SCRATCH_EN: 0
; COMPUTE_PGM_RSRC2:USER_SGPR: 15
; COMPUTE_PGM_RSRC2:TRAP_HANDLER: 0
; COMPUTE_PGM_RSRC2:TGID_X_EN: 1
; COMPUTE_PGM_RSRC2:TGID_Y_EN: 0
; COMPUTE_PGM_RSRC2:TGID_Z_EN: 0
; COMPUTE_PGM_RSRC2:TIDIG_COMP_CNT: 0
	.section	.text._ZN7rocprim17ROCPRIM_400000_NS6detail17trampoline_kernelINS0_14default_configENS1_25partition_config_selectorILNS1_17partition_subalgoE9EffbEEZZNS1_14partition_implILS5_9ELb0ES3_jN6thrust23THRUST_200600_302600_NS6detail15normal_iteratorINS9_10device_ptrIfEEEESE_PNS0_10empty_typeENS0_5tupleIJSE_SF_EEENSH_IJSE_SG_EEENS0_18inequality_wrapperINS9_8equal_toIfEEEEPmJSF_EEE10hipError_tPvRmT3_T4_T5_T6_T7_T9_mT8_P12ihipStream_tbDpT10_ENKUlT_T0_E_clISt17integral_constantIbLb0EES18_EEDaS13_S14_EUlS13_E_NS1_11comp_targetILNS1_3genE9ELNS1_11target_archE1100ELNS1_3gpuE3ELNS1_3repE0EEENS1_30default_config_static_selectorELNS0_4arch9wavefront6targetE0EEEvT1_,"axG",@progbits,_ZN7rocprim17ROCPRIM_400000_NS6detail17trampoline_kernelINS0_14default_configENS1_25partition_config_selectorILNS1_17partition_subalgoE9EffbEEZZNS1_14partition_implILS5_9ELb0ES3_jN6thrust23THRUST_200600_302600_NS6detail15normal_iteratorINS9_10device_ptrIfEEEESE_PNS0_10empty_typeENS0_5tupleIJSE_SF_EEENSH_IJSE_SG_EEENS0_18inequality_wrapperINS9_8equal_toIfEEEEPmJSF_EEE10hipError_tPvRmT3_T4_T5_T6_T7_T9_mT8_P12ihipStream_tbDpT10_ENKUlT_T0_E_clISt17integral_constantIbLb0EES18_EEDaS13_S14_EUlS13_E_NS1_11comp_targetILNS1_3genE9ELNS1_11target_archE1100ELNS1_3gpuE3ELNS1_3repE0EEENS1_30default_config_static_selectorELNS0_4arch9wavefront6targetE0EEEvT1_,comdat
	.protected	_ZN7rocprim17ROCPRIM_400000_NS6detail17trampoline_kernelINS0_14default_configENS1_25partition_config_selectorILNS1_17partition_subalgoE9EffbEEZZNS1_14partition_implILS5_9ELb0ES3_jN6thrust23THRUST_200600_302600_NS6detail15normal_iteratorINS9_10device_ptrIfEEEESE_PNS0_10empty_typeENS0_5tupleIJSE_SF_EEENSH_IJSE_SG_EEENS0_18inequality_wrapperINS9_8equal_toIfEEEEPmJSF_EEE10hipError_tPvRmT3_T4_T5_T6_T7_T9_mT8_P12ihipStream_tbDpT10_ENKUlT_T0_E_clISt17integral_constantIbLb0EES18_EEDaS13_S14_EUlS13_E_NS1_11comp_targetILNS1_3genE9ELNS1_11target_archE1100ELNS1_3gpuE3ELNS1_3repE0EEENS1_30default_config_static_selectorELNS0_4arch9wavefront6targetE0EEEvT1_ ; -- Begin function _ZN7rocprim17ROCPRIM_400000_NS6detail17trampoline_kernelINS0_14default_configENS1_25partition_config_selectorILNS1_17partition_subalgoE9EffbEEZZNS1_14partition_implILS5_9ELb0ES3_jN6thrust23THRUST_200600_302600_NS6detail15normal_iteratorINS9_10device_ptrIfEEEESE_PNS0_10empty_typeENS0_5tupleIJSE_SF_EEENSH_IJSE_SG_EEENS0_18inequality_wrapperINS9_8equal_toIfEEEEPmJSF_EEE10hipError_tPvRmT3_T4_T5_T6_T7_T9_mT8_P12ihipStream_tbDpT10_ENKUlT_T0_E_clISt17integral_constantIbLb0EES18_EEDaS13_S14_EUlS13_E_NS1_11comp_targetILNS1_3genE9ELNS1_11target_archE1100ELNS1_3gpuE3ELNS1_3repE0EEENS1_30default_config_static_selectorELNS0_4arch9wavefront6targetE0EEEvT1_
	.globl	_ZN7rocprim17ROCPRIM_400000_NS6detail17trampoline_kernelINS0_14default_configENS1_25partition_config_selectorILNS1_17partition_subalgoE9EffbEEZZNS1_14partition_implILS5_9ELb0ES3_jN6thrust23THRUST_200600_302600_NS6detail15normal_iteratorINS9_10device_ptrIfEEEESE_PNS0_10empty_typeENS0_5tupleIJSE_SF_EEENSH_IJSE_SG_EEENS0_18inequality_wrapperINS9_8equal_toIfEEEEPmJSF_EEE10hipError_tPvRmT3_T4_T5_T6_T7_T9_mT8_P12ihipStream_tbDpT10_ENKUlT_T0_E_clISt17integral_constantIbLb0EES18_EEDaS13_S14_EUlS13_E_NS1_11comp_targetILNS1_3genE9ELNS1_11target_archE1100ELNS1_3gpuE3ELNS1_3repE0EEENS1_30default_config_static_selectorELNS0_4arch9wavefront6targetE0EEEvT1_
	.p2align	8
	.type	_ZN7rocprim17ROCPRIM_400000_NS6detail17trampoline_kernelINS0_14default_configENS1_25partition_config_selectorILNS1_17partition_subalgoE9EffbEEZZNS1_14partition_implILS5_9ELb0ES3_jN6thrust23THRUST_200600_302600_NS6detail15normal_iteratorINS9_10device_ptrIfEEEESE_PNS0_10empty_typeENS0_5tupleIJSE_SF_EEENSH_IJSE_SG_EEENS0_18inequality_wrapperINS9_8equal_toIfEEEEPmJSF_EEE10hipError_tPvRmT3_T4_T5_T6_T7_T9_mT8_P12ihipStream_tbDpT10_ENKUlT_T0_E_clISt17integral_constantIbLb0EES18_EEDaS13_S14_EUlS13_E_NS1_11comp_targetILNS1_3genE9ELNS1_11target_archE1100ELNS1_3gpuE3ELNS1_3repE0EEENS1_30default_config_static_selectorELNS0_4arch9wavefront6targetE0EEEvT1_,@function
_ZN7rocprim17ROCPRIM_400000_NS6detail17trampoline_kernelINS0_14default_configENS1_25partition_config_selectorILNS1_17partition_subalgoE9EffbEEZZNS1_14partition_implILS5_9ELb0ES3_jN6thrust23THRUST_200600_302600_NS6detail15normal_iteratorINS9_10device_ptrIfEEEESE_PNS0_10empty_typeENS0_5tupleIJSE_SF_EEENSH_IJSE_SG_EEENS0_18inequality_wrapperINS9_8equal_toIfEEEEPmJSF_EEE10hipError_tPvRmT3_T4_T5_T6_T7_T9_mT8_P12ihipStream_tbDpT10_ENKUlT_T0_E_clISt17integral_constantIbLb0EES18_EEDaS13_S14_EUlS13_E_NS1_11comp_targetILNS1_3genE9ELNS1_11target_archE1100ELNS1_3gpuE3ELNS1_3repE0EEENS1_30default_config_static_selectorELNS0_4arch9wavefront6targetE0EEEvT1_: ; @_ZN7rocprim17ROCPRIM_400000_NS6detail17trampoline_kernelINS0_14default_configENS1_25partition_config_selectorILNS1_17partition_subalgoE9EffbEEZZNS1_14partition_implILS5_9ELb0ES3_jN6thrust23THRUST_200600_302600_NS6detail15normal_iteratorINS9_10device_ptrIfEEEESE_PNS0_10empty_typeENS0_5tupleIJSE_SF_EEENSH_IJSE_SG_EEENS0_18inequality_wrapperINS9_8equal_toIfEEEEPmJSF_EEE10hipError_tPvRmT3_T4_T5_T6_T7_T9_mT8_P12ihipStream_tbDpT10_ENKUlT_T0_E_clISt17integral_constantIbLb0EES18_EEDaS13_S14_EUlS13_E_NS1_11comp_targetILNS1_3genE9ELNS1_11target_archE1100ELNS1_3gpuE3ELNS1_3repE0EEENS1_30default_config_static_selectorELNS0_4arch9wavefront6targetE0EEEvT1_
; %bb.0:
	s_clause 0x4
	s_load_b128 s[4:7], s[0:1], 0x8
	s_load_b32 s14, s[0:1], 0x68
	s_load_b128 s[16:19], s[0:1], 0x40
	s_load_b64 s[2:3], s[0:1], 0x50
	s_load_b64 s[8:9], s[0:1], 0x18
	s_mov_b32 s23, 0
	s_mul_i32 s22, s15, 0xc00
	v_lshrrev_b32_e32 v18, 3, v0
	v_add_nc_u32_e32 v23, 0x180, v0
	v_add_nc_u32_e32 v22, 0x300, v0
	;; [unrolled: 1-line block ×3, first 2 shown]
	v_or_b32_e32 v24, 0x600, v0
	v_add_nc_u32_e32 v20, 0x780, v0
	v_add_nc_u32_e32 v17, 0x900, v0
	v_add_nc_u32_e32 v21, 0xa80, v0
	s_waitcnt lgkmcnt(0)
	s_lshl_b64 s[12:13], s[6:7], 2
	s_mul_i32 s20, s14, 0xc00
	s_add_u32 s21, s4, s12
	s_addc_u32 s24, s5, s13
	s_add_i32 s4, s20, s6
	s_load_b64 s[10:11], s[18:19], 0x0
	s_sub_i32 s19, s2, s4
	s_add_i32 s14, s14, -1
	s_addk_i32 s19, 0xc00
	s_add_u32 s4, s6, s20
	s_addc_u32 s5, s7, 0
	s_cmp_eq_u32 s15, s14
	v_cmp_ge_u64_e64 s2, s[4:5], s[2:3]
	s_cselect_b32 s14, -1, 0
	s_lshl_b64 s[4:5], s[22:23], 2
	s_mov_b32 s22, -1
	s_delay_alu instid0(VALU_DEP_1) | instskip(NEXT) | instid1(SALU_CYCLE_1)
	s_and_b32 s20, s14, s2
	s_xor_b32 s18, s20, -1
	s_add_u32 s21, s21, s4
	s_addc_u32 s3, s24, s5
	s_and_b32 vcc_lo, exec_lo, s18
	s_cbranch_vccz .LBB86_2
; %bb.1:
	v_lshlrev_b32_e32 v7, 2, v0
	v_lshrrev_b32_e32 v11, 3, v23
	v_lshrrev_b32_e32 v12, 3, v22
	;; [unrolled: 1-line block ×4, first 2 shown]
	v_add_co_u32 v1, s2, s21, v7
	s_delay_alu instid0(VALU_DEP_1) | instskip(SKIP_1) | instid1(VALU_DEP_3)
	v_add_co_ci_u32_e64 v2, null, s3, 0, s2
	v_lshrrev_b32_e32 v15, 3, v20
	v_add_co_u32 v3, vcc_lo, 0x1000, v1
	s_delay_alu instid0(VALU_DEP_3)
	v_add_co_ci_u32_e32 v4, vcc_lo, 0, v2, vcc_lo
	v_add_co_u32 v5, vcc_lo, 0x2000, v1
	v_add_co_ci_u32_e32 v6, vcc_lo, 0, v2, vcc_lo
	s_clause 0x7
	flat_load_b32 v8, v[1:2]
	flat_load_b32 v9, v[1:2] offset:1536
	flat_load_b32 v1, v[1:2] offset:3072
	flat_load_b32 v2, v[3:4] offset:512
	flat_load_b32 v10, v[3:4] offset:2048
	flat_load_b32 v3, v[3:4] offset:3584
	flat_load_b32 v4, v[5:6] offset:1024
	flat_load_b32 v5, v[5:6] offset:2560
	v_and_b32_e32 v6, 60, v18
	v_lshrrev_b32_e32 v16, 3, v17
	v_lshrrev_b32_e32 v19, 3, v21
	v_and_b32_e32 v11, 0x7c, v11
	v_and_b32_e32 v12, 0xfc, v12
	v_and_b32_e32 v13, 0xfc, v13
	v_and_b32_e32 v14, 0xfc, v14
	v_add_nc_u32_e32 v6, v6, v7
	v_and_b32_e32 v15, 0x1fc, v15
	v_and_b32_e32 v16, 0x17c, v16
	;; [unrolled: 1-line block ×3, first 2 shown]
	v_add_nc_u32_e32 v11, v11, v7
	v_add_nc_u32_e32 v12, v12, v7
	;; [unrolled: 1-line block ×4, first 2 shown]
	s_mov_b32 s22, 0
	v_add_nc_u32_e32 v15, v15, v7
	v_add_nc_u32_e32 v16, v16, v7
	;; [unrolled: 1-line block ×3, first 2 shown]
	s_waitcnt vmcnt(7) lgkmcnt(0)
	ds_store_b32 v6, v8
	s_waitcnt vmcnt(6)
	ds_store_b32 v11, v9 offset:1536
	s_waitcnt vmcnt(5)
	ds_store_b32 v12, v1 offset:3072
	;; [unrolled: 2-line block ×7, first 2 shown]
	s_waitcnt lgkmcnt(0)
	s_barrier
.LBB86_2:
	v_cmp_gt_u32_e64 s2, s19, v0
	s_and_not1_b32 vcc_lo, exec_lo, s22
	s_cbranch_vccnz .LBB86_20
; %bb.3:
                                        ; implicit-def: $vgpr1_vgpr2_vgpr3_vgpr4_vgpr5_vgpr6_vgpr7_vgpr8
	s_delay_alu instid0(VALU_DEP_1)
	s_and_saveexec_b32 s22, s2
	s_cbranch_execz .LBB86_11
; %bb.4:
	v_lshlrev_b32_e32 v1, 2, v0
	s_delay_alu instid0(VALU_DEP_1) | instskip(NEXT) | instid1(VALU_DEP_1)
	v_add_co_u32 v1, s2, s21, v1
	v_add_co_ci_u32_e64 v2, null, s3, 0, s2
	flat_load_b32 v1, v[1:2]
	s_or_b32 exec_lo, exec_lo, s22
	s_delay_alu instid0(SALU_CYCLE_1)
	s_mov_b32 s2, exec_lo
	v_cmpx_gt_u32_e64 s19, v23
	s_cbranch_execnz .LBB86_12
.LBB86_5:
	s_or_b32 exec_lo, exec_lo, s2
	s_delay_alu instid0(SALU_CYCLE_1)
	s_mov_b32 s2, exec_lo
	v_cmpx_gt_u32_e64 s19, v22
	s_cbranch_execz .LBB86_13
.LBB86_6:
	v_lshlrev_b32_e32 v3, 2, v0
	s_delay_alu instid0(VALU_DEP_1) | instskip(NEXT) | instid1(VALU_DEP_1)
	v_add_co_u32 v9, s22, s21, v3
	v_add_co_ci_u32_e64 v10, null, s3, 0, s22
	flat_load_b32 v3, v[9:10] offset:3072
	s_or_b32 exec_lo, exec_lo, s2
	s_delay_alu instid0(SALU_CYCLE_1)
	s_mov_b32 s2, exec_lo
	v_cmpx_gt_u32_e64 s19, v25
	s_cbranch_execnz .LBB86_14
.LBB86_7:
	s_or_b32 exec_lo, exec_lo, s2
	s_delay_alu instid0(SALU_CYCLE_1)
	s_mov_b32 s2, exec_lo
	v_cmpx_gt_u32_e64 s19, v24
	s_cbranch_execz .LBB86_15
.LBB86_8:
	v_lshlrev_b32_e32 v5, 2, v24
	s_delay_alu instid0(VALU_DEP_1) | instskip(NEXT) | instid1(VALU_DEP_1)
	v_add_co_u32 v9, s22, s21, v5
	v_add_co_ci_u32_e64 v10, null, s3, 0, s22
	flat_load_b32 v5, v[9:10]
	s_or_b32 exec_lo, exec_lo, s2
	s_delay_alu instid0(SALU_CYCLE_1)
	s_mov_b32 s2, exec_lo
	v_cmpx_gt_u32_e64 s19, v20
	s_cbranch_execnz .LBB86_16
.LBB86_9:
	s_or_b32 exec_lo, exec_lo, s2
	s_delay_alu instid0(SALU_CYCLE_1)
	s_mov_b32 s2, exec_lo
	v_cmpx_gt_u32_e64 s19, v17
	s_cbranch_execz .LBB86_17
.LBB86_10:
	v_lshlrev_b32_e32 v7, 2, v17
	s_delay_alu instid0(VALU_DEP_1) | instskip(NEXT) | instid1(VALU_DEP_1)
	v_add_co_u32 v9, s22, s21, v7
	v_add_co_ci_u32_e64 v10, null, s3, 0, s22
	flat_load_b32 v7, v[9:10]
	s_or_b32 exec_lo, exec_lo, s2
	s_delay_alu instid0(SALU_CYCLE_1)
	s_mov_b32 s2, exec_lo
	v_cmpx_gt_u32_e64 s19, v21
	s_cbranch_execnz .LBB86_18
	s_branch .LBB86_19
.LBB86_11:
	s_or_b32 exec_lo, exec_lo, s22
	s_delay_alu instid0(SALU_CYCLE_1)
	s_mov_b32 s2, exec_lo
	v_cmpx_gt_u32_e64 s19, v23
	s_cbranch_execz .LBB86_5
.LBB86_12:
	v_lshlrev_b32_e32 v2, 2, v0
	s_delay_alu instid0(VALU_DEP_1) | instskip(NEXT) | instid1(VALU_DEP_1)
	v_add_co_u32 v9, s22, s21, v2
	v_add_co_ci_u32_e64 v10, null, s3, 0, s22
	flat_load_b32 v2, v[9:10] offset:1536
	s_or_b32 exec_lo, exec_lo, s2
	s_delay_alu instid0(SALU_CYCLE_1)
	s_mov_b32 s2, exec_lo
	v_cmpx_gt_u32_e64 s19, v22
	s_cbranch_execnz .LBB86_6
.LBB86_13:
	s_or_b32 exec_lo, exec_lo, s2
	s_delay_alu instid0(SALU_CYCLE_1)
	s_mov_b32 s2, exec_lo
	v_cmpx_gt_u32_e64 s19, v25
	s_cbranch_execz .LBB86_7
.LBB86_14:
	v_lshlrev_b32_e32 v4, 2, v25
	s_delay_alu instid0(VALU_DEP_1) | instskip(NEXT) | instid1(VALU_DEP_1)
	v_add_co_u32 v9, s22, s21, v4
	v_add_co_ci_u32_e64 v10, null, s3, 0, s22
	flat_load_b32 v4, v[9:10]
	s_or_b32 exec_lo, exec_lo, s2
	s_delay_alu instid0(SALU_CYCLE_1)
	s_mov_b32 s2, exec_lo
	v_cmpx_gt_u32_e64 s19, v24
	s_cbranch_execnz .LBB86_8
.LBB86_15:
	s_or_b32 exec_lo, exec_lo, s2
	s_delay_alu instid0(SALU_CYCLE_1)
	s_mov_b32 s2, exec_lo
	v_cmpx_gt_u32_e64 s19, v20
	s_cbranch_execz .LBB86_9
.LBB86_16:
	v_lshlrev_b32_e32 v6, 2, v20
	s_delay_alu instid0(VALU_DEP_1) | instskip(NEXT) | instid1(VALU_DEP_1)
	v_add_co_u32 v9, s22, s21, v6
	v_add_co_ci_u32_e64 v10, null, s3, 0, s22
	flat_load_b32 v6, v[9:10]
	s_or_b32 exec_lo, exec_lo, s2
	s_delay_alu instid0(SALU_CYCLE_1)
	s_mov_b32 s2, exec_lo
	v_cmpx_gt_u32_e64 s19, v17
	s_cbranch_execnz .LBB86_10
.LBB86_17:
	s_or_b32 exec_lo, exec_lo, s2
	s_delay_alu instid0(SALU_CYCLE_1)
	s_mov_b32 s2, exec_lo
	v_cmpx_gt_u32_e64 s19, v21
	s_cbranch_execz .LBB86_19
.LBB86_18:
	v_lshlrev_b32_e32 v8, 2, v21
	s_delay_alu instid0(VALU_DEP_1) | instskip(NEXT) | instid1(VALU_DEP_1)
	v_add_co_u32 v8, s22, s21, v8
	v_add_co_ci_u32_e64 v9, null, s3, 0, s22
	flat_load_b32 v8, v[8:9]
.LBB86_19:
	s_or_b32 exec_lo, exec_lo, s2
	v_lshrrev_b32_e32 v9, 3, v23
	v_lshrrev_b32_e32 v10, 3, v22
	;; [unrolled: 1-line block ×4, first 2 shown]
	v_and_b32_e32 v11, 60, v18
	v_lshlrev_b32_e32 v12, 2, v0
	v_lshrrev_b32_e32 v15, 3, v20
	v_lshrrev_b32_e32 v16, 3, v17
	;; [unrolled: 1-line block ×3, first 2 shown]
	v_and_b32_e32 v9, 0x7c, v9
	v_and_b32_e32 v10, 0xfc, v10
	;; [unrolled: 1-line block ×4, first 2 shown]
	v_add_nc_u32_e32 v11, v11, v12
	v_and_b32_e32 v15, 0x1fc, v15
	v_and_b32_e32 v16, 0x1fc, v16
	;; [unrolled: 1-line block ×3, first 2 shown]
	v_add_nc_u32_e32 v9, v9, v12
	v_add_nc_u32_e32 v10, v10, v12
	;; [unrolled: 1-line block ×7, first 2 shown]
	s_waitcnt vmcnt(0) lgkmcnt(0)
	ds_store_b32 v11, v1
	ds_store_b32 v9, v2 offset:1536
	ds_store_b32 v10, v3 offset:3072
	;; [unrolled: 1-line block ×7, first 2 shown]
	s_waitcnt lgkmcnt(0)
	s_barrier
.LBB86_20:
	v_lshlrev_b32_e32 v19, 3, v0
	v_lshrrev_b32_e32 v1, 2, v0
	s_waitcnt lgkmcnt(0)
	buffer_gl0_inv
	s_add_u32 s2, s8, s12
	s_addc_u32 s8, s9, s13
	s_add_u32 s2, s2, s4
	v_add_lshl_u32 v1, v1, v19, 2
	s_addc_u32 s4, s8, s5
	s_and_b32 vcc_lo, exec_lo, s18
	s_mov_b32 s5, -1
	ds_load_2addr_b32 v[15:16], v1 offset1:1
	ds_load_2addr_b32 v[13:14], v1 offset0:2 offset1:3
	ds_load_2addr_b32 v[11:12], v1 offset0:4 offset1:5
	;; [unrolled: 1-line block ×3, first 2 shown]
	s_waitcnt lgkmcnt(0)
	s_barrier
	buffer_gl0_inv
	s_cbranch_vccz .LBB86_22
; %bb.21:
	v_lshlrev_b32_e32 v8, 2, v0
	v_lshrrev_b32_e32 v29, 3, v23
	v_lshrrev_b32_e32 v30, 3, v22
	;; [unrolled: 1-line block ×4, first 2 shown]
	v_add_co_u32 v2, s5, s2, v8
	s_delay_alu instid0(VALU_DEP_1) | instskip(SKIP_1) | instid1(VALU_DEP_3)
	v_add_co_ci_u32_e64 v3, null, s4, 0, s5
	v_lshrrev_b32_e32 v33, 3, v20
	v_add_co_u32 v4, vcc_lo, 0x1000, v2
	s_delay_alu instid0(VALU_DEP_3)
	v_add_co_ci_u32_e32 v5, vcc_lo, 0, v3, vcc_lo
	v_add_co_u32 v6, vcc_lo, 0x2000, v2
	v_add_co_ci_u32_e32 v7, vcc_lo, 0, v3, vcc_lo
	s_clause 0x7
	flat_load_b32 v26, v[2:3]
	flat_load_b32 v27, v[2:3] offset:1536
	flat_load_b32 v2, v[2:3] offset:3072
	;; [unrolled: 1-line block ×7, first 2 shown]
	v_and_b32_e32 v7, 60, v18
	v_lshrrev_b32_e32 v34, 3, v17
	v_lshrrev_b32_e32 v35, 3, v21
	v_and_b32_e32 v29, 0x7c, v29
	v_and_b32_e32 v30, 0xfc, v30
	;; [unrolled: 1-line block ×4, first 2 shown]
	v_add_nc_u32_e32 v7, v7, v8
	v_and_b32_e32 v33, 0x1fc, v33
	v_and_b32_e32 v34, 0x17c, v34
	;; [unrolled: 1-line block ×3, first 2 shown]
	v_add_nc_u32_e32 v29, v29, v8
	v_add_nc_u32_e32 v30, v30, v8
	;; [unrolled: 1-line block ×4, first 2 shown]
	s_mov_b32 s5, 0
	v_add_nc_u32_e32 v33, v33, v8
	v_add_nc_u32_e32 v34, v34, v8
	;; [unrolled: 1-line block ×3, first 2 shown]
	s_waitcnt vmcnt(7) lgkmcnt(7)
	ds_store_b32 v7, v26
	s_waitcnt vmcnt(6) lgkmcnt(7)
	ds_store_b32 v29, v27 offset:1536
	s_waitcnt vmcnt(5) lgkmcnt(7)
	ds_store_b32 v30, v2 offset:3072
	;; [unrolled: 2-line block ×7, first 2 shown]
	s_waitcnt lgkmcnt(0)
	s_barrier
.LBB86_22:
	s_and_not1_b32 vcc_lo, exec_lo, s5
	s_cbranch_vccnz .LBB86_40
; %bb.23:
	s_mov_b32 s5, exec_lo
                                        ; implicit-def: $vgpr2
	v_cmpx_gt_u32_e64 s19, v0
	s_cbranch_execz .LBB86_25
; %bb.24:
	v_lshlrev_b32_e32 v2, 2, v0
	s_delay_alu instid0(VALU_DEP_1) | instskip(NEXT) | instid1(VALU_DEP_1)
	v_add_co_u32 v2, s8, s2, v2
	v_add_co_ci_u32_e64 v3, null, s4, 0, s8
	flat_load_b32 v2, v[2:3]
.LBB86_25:
	s_or_b32 exec_lo, exec_lo, s5
	s_delay_alu instid0(SALU_CYCLE_1)
	s_mov_b32 s5, exec_lo
                                        ; implicit-def: $vgpr3
	v_cmpx_gt_u32_e64 s19, v23
	s_cbranch_execz .LBB86_27
; %bb.26:
	v_lshlrev_b32_e32 v3, 2, v0
	s_delay_alu instid0(VALU_DEP_1) | instskip(NEXT) | instid1(VALU_DEP_1)
	v_add_co_u32 v3, s8, s2, v3
	v_add_co_ci_u32_e64 v4, null, s4, 0, s8
	flat_load_b32 v3, v[3:4] offset:1536
.LBB86_27:
	s_or_b32 exec_lo, exec_lo, s5
	s_delay_alu instid0(SALU_CYCLE_1)
	s_mov_b32 s5, exec_lo
                                        ; implicit-def: $vgpr4
	v_cmpx_gt_u32_e64 s19, v22
	s_cbranch_execz .LBB86_29
; %bb.28:
	v_lshlrev_b32_e32 v4, 2, v0
	s_delay_alu instid0(VALU_DEP_1) | instskip(NEXT) | instid1(VALU_DEP_1)
	v_add_co_u32 v4, s8, s2, v4
	v_add_co_ci_u32_e64 v5, null, s4, 0, s8
	flat_load_b32 v4, v[4:5] offset:3072
.LBB86_29:
	s_or_b32 exec_lo, exec_lo, s5
	s_delay_alu instid0(SALU_CYCLE_1)
	s_mov_b32 s5, exec_lo
                                        ; implicit-def: $vgpr5
	v_cmpx_gt_u32_e64 s19, v25
	s_cbranch_execz .LBB86_31
; %bb.30:
	v_lshlrev_b32_e32 v5, 2, v25
	s_delay_alu instid0(VALU_DEP_1) | instskip(NEXT) | instid1(VALU_DEP_1)
	v_add_co_u32 v5, s8, s2, v5
	v_add_co_ci_u32_e64 v6, null, s4, 0, s8
	flat_load_b32 v5, v[5:6]
.LBB86_31:
	s_or_b32 exec_lo, exec_lo, s5
	s_delay_alu instid0(SALU_CYCLE_1)
	s_mov_b32 s5, exec_lo
                                        ; implicit-def: $vgpr6
	v_cmpx_gt_u32_e64 s19, v24
	s_cbranch_execz .LBB86_33
; %bb.32:
	v_lshlrev_b32_e32 v6, 2, v24
	s_delay_alu instid0(VALU_DEP_1) | instskip(NEXT) | instid1(VALU_DEP_1)
	v_add_co_u32 v6, s8, s2, v6
	v_add_co_ci_u32_e64 v7, null, s4, 0, s8
	flat_load_b32 v6, v[6:7]
.LBB86_33:
	s_or_b32 exec_lo, exec_lo, s5
	s_delay_alu instid0(SALU_CYCLE_1)
	s_mov_b32 s5, exec_lo
                                        ; implicit-def: $vgpr7
	v_cmpx_gt_u32_e64 s19, v20
	s_cbranch_execz .LBB86_35
; %bb.34:
	v_lshlrev_b32_e32 v7, 2, v20
	s_delay_alu instid0(VALU_DEP_1) | instskip(NEXT) | instid1(VALU_DEP_1)
	v_add_co_u32 v7, s8, s2, v7
	v_add_co_ci_u32_e64 v8, null, s4, 0, s8
	flat_load_b32 v7, v[7:8]
.LBB86_35:
	s_or_b32 exec_lo, exec_lo, s5
	s_delay_alu instid0(SALU_CYCLE_1)
	s_mov_b32 s5, exec_lo
                                        ; implicit-def: $vgpr8
	v_cmpx_gt_u32_e64 s19, v17
	s_cbranch_execz .LBB86_37
; %bb.36:
	v_lshlrev_b32_e32 v8, 2, v17
	s_delay_alu instid0(VALU_DEP_1) | instskip(NEXT) | instid1(VALU_DEP_1)
	v_add_co_u32 v26, s8, s2, v8
	v_add_co_ci_u32_e64 v27, null, s4, 0, s8
	flat_load_b32 v8, v[26:27]
.LBB86_37:
	s_or_b32 exec_lo, exec_lo, s5
	s_delay_alu instid0(SALU_CYCLE_1)
	s_mov_b32 s5, exec_lo
                                        ; implicit-def: $vgpr26
	v_cmpx_gt_u32_e64 s19, v21
	s_cbranch_execz .LBB86_39
; %bb.38:
	v_lshlrev_b32_e32 v26, 2, v21
	s_delay_alu instid0(VALU_DEP_1) | instskip(NEXT) | instid1(VALU_DEP_1)
	v_add_co_u32 v26, s2, s2, v26
	v_add_co_ci_u32_e64 v27, null, s4, 0, s2
	flat_load_b32 v26, v[26:27]
.LBB86_39:
	s_or_b32 exec_lo, exec_lo, s5
	v_lshrrev_b32_e32 v23, 3, v23
	v_lshrrev_b32_e32 v22, 3, v22
	;; [unrolled: 1-line block ×4, first 2 shown]
	v_and_b32_e32 v18, 60, v18
	v_lshlrev_b32_e32 v27, 2, v0
	v_lshrrev_b32_e32 v20, 3, v20
	v_lshrrev_b32_e32 v17, 3, v17
	;; [unrolled: 1-line block ×3, first 2 shown]
	v_and_b32_e32 v23, 0x7c, v23
	v_and_b32_e32 v22, 0xfc, v22
	;; [unrolled: 1-line block ×4, first 2 shown]
	v_add_nc_u32_e32 v18, v18, v27
	v_and_b32_e32 v20, 0x1fc, v20
	v_and_b32_e32 v17, 0x1fc, v17
	;; [unrolled: 1-line block ×3, first 2 shown]
	v_add_nc_u32_e32 v23, v23, v27
	v_add_nc_u32_e32 v22, v22, v27
	;; [unrolled: 1-line block ×7, first 2 shown]
	s_waitcnt vmcnt(0) lgkmcnt(0)
	ds_store_b32 v18, v2
	ds_store_b32 v23, v3 offset:1536
	ds_store_b32 v22, v4 offset:3072
	;; [unrolled: 1-line block ×7, first 2 shown]
	s_waitcnt lgkmcnt(0)
	s_barrier
.LBB86_40:
	buffer_gl0_inv
	ds_load_2addr_b32 v[7:8], v1 offset1:1
	ds_load_2addr_b32 v[5:6], v1 offset0:2 offset1:3
	ds_load_2addr_b32 v[3:4], v1 offset0:4 offset1:5
	;; [unrolled: 1-line block ×3, first 2 shown]
	s_cmp_lg_u32 s15, 0
	s_mov_b32 s12, 0
	s_cselect_b32 s9, -1, 0
	s_cmp_lg_u64 s[6:7], 0
	s_waitcnt lgkmcnt(0)
	s_cselect_b32 s2, -1, 0
	s_barrier
	s_or_b32 s2, s9, s2
	buffer_gl0_inv
	s_and_b32 vcc_lo, exec_lo, s2
	s_cbranch_vccz .LBB86_45
; %bb.41:
	v_add_co_u32 v17, s2, -4, s21
	s_delay_alu instid0(VALU_DEP_1)
	v_add_co_ci_u32_e64 v18, null, -1, s3, s2
	v_lshlrev_b32_e32 v21, 2, v0
	s_mov_b32 s3, -1
	s_and_b32 vcc_lo, exec_lo, s18
	flat_load_b32 v20, v[17:18]
	ds_store_b32 v21, v10
	s_cbranch_vccz .LBB86_46
; %bb.42:
	s_waitcnt vmcnt(0) lgkmcnt(1)
	v_mov_b32_e32 v17, v20
	s_mov_b32 s3, 0
	s_mov_b32 s2, exec_lo
	s_waitcnt lgkmcnt(0)
	s_barrier
	buffer_gl0_inv
	v_cmpx_ne_u32_e32 0, v0
	s_cbranch_execz .LBB86_44
; %bb.43:
	v_add_nc_u32_e32 v17, -4, v21
	ds_load_b32 v17, v17
.LBB86_44:
	s_or_b32 exec_lo, exec_lo, s2
	v_cmp_neq_f32_e32 vcc_lo, v9, v10
	s_waitcnt lgkmcnt(0)
	v_cmp_neq_f32_e64 s2, v17, v15
	v_cndmask_b32_e64 v18, 0, 1, vcc_lo
	v_cmp_neq_f32_e32 vcc_lo, v12, v9
	s_delay_alu instid0(VALU_DEP_2) | instskip(SKIP_2) | instid1(VALU_DEP_2)
	v_lshlrev_b16 v18, 8, v18
	v_cndmask_b32_e64 v22, 0, 1, vcc_lo
	v_cmp_neq_f32_e32 vcc_lo, v11, v12
	v_or_b32_e32 v18, v22, v18
	v_cndmask_b32_e64 v23, 0, 1, vcc_lo
	v_cmp_neq_f32_e32 vcc_lo, v13, v14
	s_delay_alu instid0(VALU_DEP_3) | instskip(NEXT) | instid1(VALU_DEP_3)
	v_lshlrev_b32_e32 v18, 16, v18
	v_lshlrev_b16 v23, 8, v23
	v_cndmask_b32_e64 v24, 0, 1, vcc_lo
	v_cmp_neq_f32_e32 vcc_lo, v14, v11
	s_delay_alu instid0(VALU_DEP_2) | instskip(SKIP_2) | instid1(VALU_DEP_2)
	v_lshlrev_b16 v24, 8, v24
	v_cndmask_b32_e64 v25, 0, 1, vcc_lo
	v_cmp_neq_f32_e32 vcc_lo, v16, v13
	v_or_b32_e32 v23, v25, v23
	v_cndmask_b32_e64 v26, 0, 1, vcc_lo
	v_cmp_neq_f32_e32 vcc_lo, v15, v16
	s_delay_alu instid0(VALU_DEP_3) | instskip(NEXT) | instid1(VALU_DEP_3)
	v_and_b32_e32 v23, 0xffff, v23
	v_or_b32_e32 v24, v26, v24
	v_cndmask_b32_e64 v27, 0, 1, vcc_lo
	s_delay_alu instid0(VALU_DEP_3) | instskip(NEXT) | instid1(VALU_DEP_3)
	v_or_b32_e32 v18, v23, v18
	v_lshlrev_b32_e32 v22, 16, v24
	s_delay_alu instid0(VALU_DEP_3) | instskip(NEXT) | instid1(VALU_DEP_1)
	v_lshlrev_b16 v26, 8, v27
	v_and_b32_e32 v24, 0xffff, v26
	s_delay_alu instid0(VALU_DEP_1)
	v_or_b32_e32 v17, v24, v22
	s_and_b32 vcc_lo, exec_lo, s3
	s_cbranch_vccnz .LBB86_47
	s_branch .LBB86_50
.LBB86_45:
                                        ; implicit-def: $sgpr2
                                        ; implicit-def: $vgpr18
	s_branch .LBB86_51
.LBB86_46:
                                        ; implicit-def: $sgpr2
                                        ; implicit-def: $vgpr18
	s_and_b32 vcc_lo, exec_lo, s3
	s_cbranch_vccz .LBB86_50
.LBB86_47:
	s_mov_b32 s2, exec_lo
	s_waitcnt vmcnt(0) lgkmcnt(0)
	s_barrier
	buffer_gl0_inv
	v_cmpx_ne_u32_e32 0, v0
	s_cbranch_execz .LBB86_49
; %bb.48:
	v_add_nc_u32_e32 v17, -4, v21
	ds_load_b32 v20, v17
.LBB86_49:
	s_or_b32 exec_lo, exec_lo, s2
	v_or_b32_e32 v17, 7, v19
	v_or_b32_e32 v18, 6, v19
	;; [unrolled: 1-line block ×3, first 2 shown]
	v_cmp_neq_f32_e32 vcc_lo, v9, v10
	v_cmp_neq_f32_e64 s3, v12, v9
	v_cmp_gt_u32_e64 s2, s19, v17
	v_cmp_gt_u32_e64 s5, s19, v18
	v_cmp_neq_f32_e64 s4, v11, v12
	v_cmp_gt_u32_e64 s6, s19, v21
	v_or_b32_e32 v18, 3, v19
	s_and_b32 s2, s2, vcc_lo
	v_or_b32_e32 v22, 4, v19
	v_cndmask_b32_e64 v17, 0, 1, s2
	s_and_b32 s2, s5, s3
	v_cmp_gt_u32_e32 vcc_lo, s19, v18
	v_cndmask_b32_e64 v21, 0, 1, s2
	s_and_b32 s2, s6, s4
	v_or_b32_e32 v18, 2, v19
	v_cndmask_b32_e64 v23, 0, 1, s2
	v_cmp_neq_f32_e64 s2, v13, v14
	v_cmp_gt_u32_e64 s3, s19, v22
	v_or_b32_e32 v22, 1, v19
	v_cmp_neq_f32_e64 s4, v14, v11
	v_cmp_neq_f32_e64 s6, v15, v16
	s_and_b32 s2, vcc_lo, s2
	v_cmp_gt_u32_e32 vcc_lo, s19, v18
	v_cndmask_b32_e64 v24, 0, 1, s2
	v_cmp_neq_f32_e64 s2, v16, v13
	v_cmp_gt_u32_e64 s5, s19, v22
	s_and_b32 s3, s3, s4
	v_lshlrev_b16 v23, 8, v23
	v_cndmask_b32_e64 v18, 0, 1, s3
	s_and_b32 s2, vcc_lo, s2
	v_lshlrev_b16 v24, 8, v24
	v_cndmask_b32_e64 v22, 0, 1, s2
	s_and_b32 s2, s5, s6
	v_lshlrev_b16 v17, 8, v17
	v_cndmask_b32_e64 v25, 0, 1, s2
	v_or_b32_e32 v18, v18, v23
	v_or_b32_e32 v22, v22, v24
	v_cmp_gt_u32_e32 vcc_lo, s19, v19
	v_or_b32_e32 v17, v21, v17
	v_lshlrev_b16 v24, 8, v25
	v_and_b32_e32 v18, 0xffff, v18
	v_lshlrev_b32_e32 v21, 16, v22
	s_waitcnt lgkmcnt(0)
	v_cmp_neq_f32_e64 s2, v20, v15
	v_lshlrev_b32_e32 v23, 16, v17
	v_and_b32_e32 v22, 0xffff, v24
	s_delay_alu instid0(VALU_DEP_3) | instskip(NEXT) | instid1(VALU_DEP_2)
	s_and_b32 s2, vcc_lo, s2
	v_or_b32_e32 v18, v18, v23
	s_delay_alu instid0(VALU_DEP_2)
	v_or_b32_e32 v17, v22, v21
.LBB86_50:
	s_mov_b32 s12, -1
	s_cbranch_execnz .LBB86_59
.LBB86_51:
	s_waitcnt vmcnt(0) lgkmcnt(1)
	v_lshlrev_b32_e32 v20, 2, v0
	v_cmp_neq_f32_e64 s3, v9, v10
	v_cmp_neq_f32_e64 s4, v12, v9
	;; [unrolled: 1-line block ×7, first 2 shown]
	s_and_b32 vcc_lo, exec_lo, s18
	ds_store_b32 v20, v10
	s_cbranch_vccz .LBB86_55
; %bb.52:
	v_cndmask_b32_e64 v17, 0, 1, s3
	v_cndmask_b32_e64 v21, 0, 1, s5
	v_cndmask_b32_e64 v23, 0, 1, s7
	v_cndmask_b32_e64 v24, 0, 1, s8
	v_cndmask_b32_e64 v18, 0, 1, s4
	v_cndmask_b32_e64 v22, 0, 1, s6
	v_cndmask_b32_e64 v25, 0, 1, s2
	v_lshlrev_b16 v21, 8, v21
	v_lshlrev_b16 v17, 8, v17
	;; [unrolled: 1-line block ×4, first 2 shown]
	s_mov_b32 s3, 0
	v_or_b32_e32 v21, v22, v21
	v_or_b32_e32 v17, v18, v17
	;; [unrolled: 1-line block ×4, first 2 shown]
	s_mov_b32 s4, exec_lo
	v_and_b32_e32 v21, 0xffff, v21
	v_lshlrev_b32_e32 v17, 16, v17
	v_lshlrev_b32_e32 v23, 16, v18
	v_and_b32_e32 v22, 0xffff, v22
	s_waitcnt lgkmcnt(0)
	s_barrier
	v_or_b32_e32 v18, v21, v17
	buffer_gl0_inv
	v_or_b32_e32 v17, v22, v23
                                        ; implicit-def: $sgpr2
	v_cmpx_ne_u32_e32 0, v0
	s_xor_b32 s4, exec_lo, s4
	s_cbranch_execz .LBB86_54
; %bb.53:
	v_add_nc_u32_e32 v21, -4, v20
	s_or_b32 s12, s12, exec_lo
	ds_load_b32 v21, v21
	s_waitcnt lgkmcnt(0)
	v_cmp_neq_f32_e32 vcc_lo, v21, v15
	s_and_b32 s2, vcc_lo, exec_lo
.LBB86_54:
	s_or_b32 exec_lo, exec_lo, s4
	s_delay_alu instid0(SALU_CYCLE_1)
	s_and_b32 vcc_lo, exec_lo, s3
	s_cbranch_vccnz .LBB86_56
	s_branch .LBB86_59
.LBB86_55:
                                        ; implicit-def: $sgpr2
                                        ; implicit-def: $vgpr18
	s_cbranch_execz .LBB86_59
.LBB86_56:
	v_or_b32_e32 v17, 7, v19
	v_or_b32_e32 v18, 6, v19
	v_cmp_neq_f32_e32 vcc_lo, v9, v10
	v_cmp_neq_f32_e64 s3, v12, v9
	v_or_b32_e32 v21, 5, v19
	v_cmp_gt_u32_e64 s2, s19, v17
	v_cmp_gt_u32_e64 s4, s19, v18
	v_or_b32_e32 v17, 4, v19
	v_or_b32_e32 v22, 3, v19
	v_cmp_gt_u32_e64 s5, s19, v21
	s_and_b32 s2, s2, vcc_lo
	v_cmp_neq_f32_e32 vcc_lo, v11, v12
	v_cndmask_b32_e64 v18, 0, 1, s2
	s_and_b32 s2, s4, s3
	v_cmp_neq_f32_e64 s3, v14, v11
	v_cndmask_b32_e64 v21, 0, 1, s2
	v_cmp_gt_u32_e64 s2, s19, v17
	v_or_b32_e32 v23, 1, v19
	s_and_b32 s4, s5, vcc_lo
	v_cmp_gt_u32_e32 vcc_lo, s19, v22
	v_cndmask_b32_e64 v17, 0, 1, s4
	s_and_b32 s2, s2, s3
	v_or_b32_e32 v25, 2, v19
	v_cndmask_b32_e64 v24, 0, 1, s2
	v_cmp_neq_f32_e64 s2, v13, v14
	v_cmp_gt_u32_e64 s3, s19, v23
	v_cmp_neq_f32_e64 s4, v15, v16
	v_cmp_gt_u32_e64 s5, s19, v25
	v_cmp_neq_f32_e64 s6, v16, v13
	s_and_b32 s2, vcc_lo, s2
	v_lshlrev_b16 v17, 8, v17
	v_cndmask_b32_e64 v22, 0, 1, s2
	s_and_b32 s2, s3, s4
	v_lshlrev_b16 v18, 8, v18
	v_cndmask_b32_e64 v23, 0, 1, s2
	s_and_b32 s2, s5, s6
	v_lshlrev_b16 v22, 8, v22
	v_cndmask_b32_e64 v25, 0, 1, s2
	v_or_b32_e32 v17, v24, v17
	v_lshlrev_b16 v23, 8, v23
	v_or_b32_e32 v18, v21, v18
	s_mov_b32 s3, exec_lo
	v_or_b32_e32 v21, v25, v22
	v_and_b32_e32 v17, 0xffff, v17
	v_or_b32_e32 v22, 1, v23
	v_lshlrev_b32_e32 v18, 16, v18
	s_waitcnt lgkmcnt(0)
	v_lshlrev_b32_e32 v21, 16, v21
	s_barrier
	v_and_b32_e32 v22, 0xffff, v22
	v_or_b32_e32 v18, v17, v18
	buffer_gl0_inv
                                        ; implicit-def: $sgpr2
	v_or_b32_e32 v17, v22, v21
	v_cmpx_ne_u32_e32 0, v0
	s_cbranch_execz .LBB86_58
; %bb.57:
	v_add_nc_u32_e32 v20, -4, v20
	v_cmp_gt_u32_e32 vcc_lo, s19, v19
	s_or_b32 s12, s12, exec_lo
	ds_load_b32 v20, v20
	s_waitcnt lgkmcnt(0)
	v_cmp_neq_f32_e64 s2, v20, v15
	s_delay_alu instid0(VALU_DEP_1) | instskip(NEXT) | instid1(SALU_CYCLE_1)
	s_and_b32 s2, vcc_lo, s2
	s_and_b32 s2, s2, exec_lo
.LBB86_58:
	s_or_b32 exec_lo, exec_lo, s3
.LBB86_59:
	s_and_saveexec_b32 s3, s12
	s_cbranch_execz .LBB86_61
; %bb.60:
	s_waitcnt vmcnt(0) lgkmcnt(1)
	v_and_b32_e32 v20, 0xffffff00, v17
	v_cndmask_b32_e64 v21, 0, 1, s2
	s_delay_alu instid0(VALU_DEP_1) | instskip(NEXT) | instid1(VALU_DEP_1)
	v_or_b32_e32 v20, v21, v20
	v_and_b32_e32 v20, 0xffff, v20
	s_delay_alu instid0(VALU_DEP_1)
	v_and_or_b32 v17, 0xffff0000, v17, v20
.LBB86_61:
	s_or_b32 exec_lo, exec_lo, s3
	s_load_b64 s[12:13], s[0:1], 0x60
	s_and_not1_b32 vcc_lo, exec_lo, s20
	s_cbranch_vccnz .LBB86_63
; %bb.62:
	v_cmp_gt_u32_e32 vcc_lo, s19, v19
	v_or_b32_e32 v21, 1, v19
	v_and_b32_e32 v22, 0xffffff00, v18
	v_or_b32_e32 v23, 2, v19
	s_waitcnt vmcnt(0) lgkmcnt(0)
	v_cndmask_b32_e32 v20, 0, v17, vcc_lo
	v_cmp_gt_u32_e32 vcc_lo, s19, v21
	v_or_b32_e32 v21, 4, v19
	v_cmp_gt_u32_e64 s2, s19, v23
	v_or_b32_e32 v23, 3, v19
	v_and_b32_e32 v20, 0xff, v20
	s_delay_alu instid0(VALU_DEP_2) | instskip(NEXT) | instid1(VALU_DEP_2)
	v_cmp_gt_u32_e64 s3, s19, v23
	v_cndmask_b32_e32 v20, v20, v17, vcc_lo
	v_cmp_gt_u32_e32 vcc_lo, s19, v21
	s_delay_alu instid0(VALU_DEP_2) | instskip(SKIP_1) | instid1(VALU_DEP_2)
	v_dual_cndmask_b32 v21, v22, v18 :: v_dual_and_b32 v20, 0xffff, v20
	v_or_b32_e32 v22, 5, v19
	v_cndmask_b32_e64 v20, v20, v17, s2
	s_delay_alu instid0(VALU_DEP_3) | instskip(NEXT) | instid1(VALU_DEP_3)
	v_and_b32_e32 v21, 0xffff00ff, v21
	v_cmp_gt_u32_e64 s2, s19, v22
	v_or_b32_e32 v22, 6, v19
	v_or_b32_e32 v19, 7, v19
	v_and_b32_e32 v20, 0xffffff, v20
	s_delay_alu instid0(VALU_DEP_4) | instskip(NEXT) | instid1(VALU_DEP_2)
	v_cndmask_b32_e64 v21, v21, v18, s2
	v_cndmask_b32_e64 v20, v20, v17, s3
	s_delay_alu instid0(VALU_DEP_2) | instskip(NEXT) | instid1(VALU_DEP_2)
	v_and_b32_e32 v21, 0xff00ffff, v21
	v_cndmask_b32_e32 v20, v20, v17, vcc_lo
	v_cmp_gt_u32_e32 vcc_lo, s19, v22
	s_delay_alu instid0(VALU_DEP_2) | instskip(NEXT) | instid1(VALU_DEP_1)
	v_cndmask_b32_e64 v20, v20, v17, s2
	v_dual_cndmask_b32 v21, v21, v18 :: v_dual_cndmask_b32 v20, v20, v17
	s_delay_alu instid0(VALU_DEP_1) | instskip(SKIP_1) | instid1(VALU_DEP_2)
	v_and_b32_e32 v21, 0xffffff, v21
	v_cmp_gt_u32_e32 vcc_lo, s19, v19
	v_dual_cndmask_b32 v18, v21, v18 :: v_dual_cndmask_b32 v17, v20, v17
.LBB86_63:
	s_delay_alu instid0(VALU_DEP_1) | instskip(NEXT) | instid1(VALU_DEP_2)
	v_and_b32_e32 v28, 0xff, v17
	v_alignbit_b32 v19, v18, v17, 24
	v_bfe_u32 v30, v17, 8, 8
	v_bfe_u32 v32, v17, 16, 8
	v_and_b32_e32 v36, 0xff, v18
	v_bfe_u32 v38, v18, 8, 8
	v_and_b32_e32 v34, 0xff, v19
	v_add_nc_u32_e32 v19, v30, v28
	s_waitcnt vmcnt(0) lgkmcnt(0)
	v_and_b32_e32 v20, 0x1e0, v0
	v_mbcnt_lo_u32_b32 v41, -1, 0
	v_bfe_u32 v40, v18, 16, 8
	v_lshrrev_b32_e32 v39, 24, v18
	v_add3_u32 v19, v19, v32, v34
	v_min_u32_e32 v20, 0x160, v20
	v_and_b32_e32 v21, 15, v41
	v_lshrrev_b32_e32 v42, 5, v0
	s_and_b32 vcc_lo, exec_lo, s9
	v_add3_u32 v19, v19, v36, v38
	v_or_b32_e32 v20, 31, v20
	v_cmp_eq_u32_e64 s4, 0, v21
	v_cmp_lt_u32_e64 s5, 1, v21
	v_cmp_lt_u32_e64 s3, 3, v21
	v_add3_u32 v43, v19, v40, v39
	v_and_b32_e32 v19, 16, v41
	v_cmp_lt_u32_e64 s2, 7, v21
	v_cmp_eq_u32_e64 s6, v20, v0
	s_mov_b32 s8, -1
	s_delay_alu instid0(VALU_DEP_3)
	v_cmp_eq_u32_e64 s7, 0, v19
	s_barrier
	buffer_gl0_inv
	s_cbranch_vccz .LBB86_89
; %bb.64:
	v_mov_b32_dpp v19, v43 row_shr:1 row_mask:0xf bank_mask:0xf
	s_delay_alu instid0(VALU_DEP_1) | instskip(NEXT) | instid1(VALU_DEP_1)
	v_cndmask_b32_e64 v19, v19, 0, s4
	v_add_nc_u32_e32 v19, v19, v43
	s_delay_alu instid0(VALU_DEP_1) | instskip(NEXT) | instid1(VALU_DEP_1)
	v_mov_b32_dpp v20, v19 row_shr:2 row_mask:0xf bank_mask:0xf
	v_cndmask_b32_e64 v20, 0, v20, s5
	s_delay_alu instid0(VALU_DEP_1) | instskip(NEXT) | instid1(VALU_DEP_1)
	v_add_nc_u32_e32 v19, v19, v20
	v_mov_b32_dpp v20, v19 row_shr:4 row_mask:0xf bank_mask:0xf
	s_delay_alu instid0(VALU_DEP_1) | instskip(NEXT) | instid1(VALU_DEP_1)
	v_cndmask_b32_e64 v20, 0, v20, s3
	v_add_nc_u32_e32 v19, v19, v20
	s_delay_alu instid0(VALU_DEP_1) | instskip(NEXT) | instid1(VALU_DEP_1)
	v_mov_b32_dpp v20, v19 row_shr:8 row_mask:0xf bank_mask:0xf
	v_cndmask_b32_e64 v20, 0, v20, s2
	s_delay_alu instid0(VALU_DEP_1) | instskip(SKIP_3) | instid1(VALU_DEP_1)
	v_add_nc_u32_e32 v19, v19, v20
	ds_swizzle_b32 v20, v19 offset:swizzle(BROADCAST,32,15)
	s_waitcnt lgkmcnt(0)
	v_cndmask_b32_e64 v20, v20, 0, s7
	v_add_nc_u32_e32 v19, v19, v20
	s_and_saveexec_b32 s8, s6
	s_cbranch_execz .LBB86_66
; %bb.65:
	v_lshlrev_b32_e32 v20, 2, v42
	ds_store_b32 v20, v19
.LBB86_66:
	s_or_b32 exec_lo, exec_lo, s8
	s_delay_alu instid0(SALU_CYCLE_1)
	s_mov_b32 s8, exec_lo
	s_waitcnt lgkmcnt(0)
	s_barrier
	buffer_gl0_inv
	v_cmpx_gt_u32_e32 12, v0
	s_cbranch_execz .LBB86_68
; %bb.67:
	v_lshlrev_b32_e32 v20, 2, v0
	ds_load_b32 v21, v20
	s_waitcnt lgkmcnt(0)
	v_mov_b32_dpp v22, v21 row_shr:1 row_mask:0xf bank_mask:0xf
	s_delay_alu instid0(VALU_DEP_1) | instskip(NEXT) | instid1(VALU_DEP_1)
	v_cndmask_b32_e64 v22, v22, 0, s4
	v_add_nc_u32_e32 v21, v22, v21
	s_delay_alu instid0(VALU_DEP_1) | instskip(NEXT) | instid1(VALU_DEP_1)
	v_mov_b32_dpp v22, v21 row_shr:2 row_mask:0xf bank_mask:0xf
	v_cndmask_b32_e64 v22, 0, v22, s5
	s_delay_alu instid0(VALU_DEP_1) | instskip(NEXT) | instid1(VALU_DEP_1)
	v_add_nc_u32_e32 v21, v21, v22
	v_mov_b32_dpp v22, v21 row_shr:4 row_mask:0xf bank_mask:0xf
	s_delay_alu instid0(VALU_DEP_1) | instskip(NEXT) | instid1(VALU_DEP_1)
	v_cndmask_b32_e64 v22, 0, v22, s3
	v_add_nc_u32_e32 v21, v21, v22
	s_delay_alu instid0(VALU_DEP_1) | instskip(NEXT) | instid1(VALU_DEP_1)
	v_mov_b32_dpp v22, v21 row_shr:8 row_mask:0xf bank_mask:0xf
	v_cndmask_b32_e64 v22, 0, v22, s2
	s_delay_alu instid0(VALU_DEP_1)
	v_add_nc_u32_e32 v21, v21, v22
	ds_store_b32 v20, v21
.LBB86_68:
	s_or_b32 exec_lo, exec_lo, s8
	v_cmp_gt_u32_e32 vcc_lo, 32, v0
	s_mov_b32 s9, exec_lo
	s_waitcnt lgkmcnt(0)
	s_barrier
	buffer_gl0_inv
                                        ; implicit-def: $vgpr27
	v_cmpx_lt_u32_e32 31, v0
	s_cbranch_execz .LBB86_70
; %bb.69:
	v_lshl_add_u32 v20, v42, 2, -4
	ds_load_b32 v27, v20
	s_waitcnt lgkmcnt(0)
	v_add_nc_u32_e32 v19, v27, v19
.LBB86_70:
	s_or_b32 exec_lo, exec_lo, s9
	v_add_nc_u32_e32 v20, -1, v41
	s_delay_alu instid0(VALU_DEP_1) | instskip(NEXT) | instid1(VALU_DEP_1)
	v_cmp_gt_i32_e64 s8, 0, v20
	v_cndmask_b32_e64 v20, v20, v41, s8
	v_cmp_eq_u32_e64 s8, 0, v41
	s_delay_alu instid0(VALU_DEP_2)
	v_lshlrev_b32_e32 v20, 2, v20
	ds_bpermute_b32 v29, v20, v19
	s_and_saveexec_b32 s9, vcc_lo
	s_cbranch_execz .LBB86_88
; %bb.71:
	v_mov_b32_e32 v23, 0
	ds_load_b32 v19, v23 offset:44
	s_and_saveexec_b32 s19, s8
	s_cbranch_execz .LBB86_73
; %bb.72:
	s_add_i32 s20, s15, 32
	s_mov_b32 s21, 0
	v_mov_b32_e32 v20, 1
	s_lshl_b64 s[20:21], s[20:21], 3
	s_delay_alu instid0(SALU_CYCLE_1)
	s_add_u32 s20, s12, s20
	s_addc_u32 s21, s13, s21
	s_waitcnt lgkmcnt(0)
	global_store_b64 v23, v[19:20], s[20:21]
.LBB86_73:
	s_or_b32 exec_lo, exec_lo, s19
	v_xad_u32 v21, v41, -1, s15
	s_mov_b32 s20, 0
	s_mov_b32 s19, exec_lo
	s_delay_alu instid0(VALU_DEP_1) | instskip(NEXT) | instid1(VALU_DEP_1)
	v_add_nc_u32_e32 v22, 32, v21
	v_lshlrev_b64 v[22:23], 3, v[22:23]
	s_delay_alu instid0(VALU_DEP_1) | instskip(NEXT) | instid1(VALU_DEP_2)
	v_add_co_u32 v25, vcc_lo, s12, v22
	v_add_co_ci_u32_e32 v26, vcc_lo, s13, v23, vcc_lo
	global_load_b64 v[23:24], v[25:26], off glc
	s_waitcnt vmcnt(0)
	v_and_b32_e32 v20, 0xff, v24
	s_delay_alu instid0(VALU_DEP_1)
	v_cmpx_eq_u16_e32 0, v20
	s_cbranch_execz .LBB86_76
.LBB86_74:                              ; =>This Inner Loop Header: Depth=1
	global_load_b64 v[23:24], v[25:26], off glc
	s_waitcnt vmcnt(0)
	v_and_b32_e32 v20, 0xff, v24
	s_delay_alu instid0(VALU_DEP_1) | instskip(SKIP_1) | instid1(SALU_CYCLE_1)
	v_cmp_ne_u16_e32 vcc_lo, 0, v20
	s_or_b32 s20, vcc_lo, s20
	s_and_not1_b32 exec_lo, exec_lo, s20
	s_cbranch_execnz .LBB86_74
; %bb.75:
	s_or_b32 exec_lo, exec_lo, s20
.LBB86_76:
	s_delay_alu instid0(SALU_CYCLE_1)
	s_or_b32 exec_lo, exec_lo, s19
	v_cmp_ne_u32_e32 vcc_lo, 31, v41
	v_lshlrev_b32_e64 v33, v41, -1
	v_add_nc_u32_e32 v37, 2, v41
	v_add_nc_u32_e32 v45, 4, v41
	;; [unrolled: 1-line block ×3, first 2 shown]
	v_add_co_ci_u32_e32 v20, vcc_lo, 0, v41, vcc_lo
	v_add_nc_u32_e32 v49, 16, v41
	s_delay_alu instid0(VALU_DEP_2)
	v_lshlrev_b32_e32 v31, 2, v20
	v_and_b32_e32 v20, 0xff, v24
	ds_bpermute_b32 v22, v31, v23
	v_cmp_eq_u16_e32 vcc_lo, 2, v20
	v_and_or_b32 v20, vcc_lo, v33, 0x80000000
	v_cmp_gt_u32_e32 vcc_lo, 30, v41
	s_delay_alu instid0(VALU_DEP_2) | instskip(SKIP_1) | instid1(VALU_DEP_2)
	v_ctz_i32_b32_e32 v20, v20
	v_cndmask_b32_e64 v25, 0, 1, vcc_lo
	v_cmp_lt_u32_e32 vcc_lo, v41, v20
	s_waitcnt lgkmcnt(0)
	s_delay_alu instid0(VALU_DEP_2) | instskip(NEXT) | instid1(VALU_DEP_1)
	v_dual_cndmask_b32 v22, 0, v22 :: v_dual_lshlrev_b32 v25, 1, v25
	v_add_lshl_u32 v35, v25, v41, 2
	v_cmp_gt_u32_e32 vcc_lo, 28, v41
	s_delay_alu instid0(VALU_DEP_3) | instskip(SKIP_4) | instid1(VALU_DEP_1)
	v_add_nc_u32_e32 v22, v22, v23
	v_cndmask_b32_e64 v25, 0, 1, vcc_lo
	v_cmp_le_u32_e32 vcc_lo, v37, v20
	ds_bpermute_b32 v23, v35, v22
	v_lshlrev_b32_e32 v25, 2, v25
	v_add_lshl_u32 v44, v25, v41, 2
	s_waitcnt lgkmcnt(0)
	v_cndmask_b32_e32 v23, 0, v23, vcc_lo
	v_cmp_gt_u32_e32 vcc_lo, 24, v41
	s_delay_alu instid0(VALU_DEP_2) | instskip(SKIP_4) | instid1(VALU_DEP_1)
	v_add_nc_u32_e32 v22, v22, v23
	v_cndmask_b32_e64 v25, 0, 1, vcc_lo
	v_cmp_le_u32_e32 vcc_lo, v45, v20
	ds_bpermute_b32 v23, v44, v22
	v_lshlrev_b32_e32 v25, 3, v25
	v_add_lshl_u32 v46, v25, v41, 2
	s_waitcnt lgkmcnt(0)
	v_cndmask_b32_e32 v23, 0, v23, vcc_lo
	v_cmp_gt_u32_e32 vcc_lo, 16, v41
	s_delay_alu instid0(VALU_DEP_2) | instskip(SKIP_4) | instid1(VALU_DEP_1)
	v_add_nc_u32_e32 v22, v22, v23
	v_cndmask_b32_e64 v25, 0, 1, vcc_lo
	v_cmp_le_u32_e32 vcc_lo, v47, v20
	ds_bpermute_b32 v23, v46, v22
	v_lshlrev_b32_e32 v25, 4, v25
	v_add_lshl_u32 v48, v25, v41, 2
	s_waitcnt lgkmcnt(0)
	v_cndmask_b32_e32 v23, 0, v23, vcc_lo
	v_cmp_le_u32_e32 vcc_lo, v49, v20
	s_delay_alu instid0(VALU_DEP_2) | instskip(SKIP_3) | instid1(VALU_DEP_1)
	v_add_nc_u32_e32 v22, v22, v23
	ds_bpermute_b32 v23, v48, v22
	s_waitcnt lgkmcnt(0)
	v_cndmask_b32_e32 v20, 0, v23, vcc_lo
	v_dual_mov_b32 v22, 0 :: v_dual_add_nc_u32 v23, v22, v20
	s_branch .LBB86_78
.LBB86_77:                              ;   in Loop: Header=BB86_78 Depth=1
	s_or_b32 exec_lo, exec_lo, s19
	ds_bpermute_b32 v26, v31, v23
	v_and_b32_e32 v25, 0xff, v24
	v_subrev_nc_u32_e32 v21, 32, v21
	s_delay_alu instid0(VALU_DEP_2) | instskip(SKIP_1) | instid1(VALU_DEP_1)
	v_cmp_eq_u16_e32 vcc_lo, 2, v25
	v_and_or_b32 v25, vcc_lo, v33, 0x80000000
	v_ctz_i32_b32_e32 v25, v25
	s_delay_alu instid0(VALU_DEP_1) | instskip(SKIP_3) | instid1(VALU_DEP_2)
	v_cmp_lt_u32_e32 vcc_lo, v41, v25
	s_waitcnt lgkmcnt(0)
	v_cndmask_b32_e32 v26, 0, v26, vcc_lo
	v_cmp_le_u32_e32 vcc_lo, v37, v25
	v_add_nc_u32_e32 v23, v26, v23
	ds_bpermute_b32 v26, v35, v23
	s_waitcnt lgkmcnt(0)
	v_cndmask_b32_e32 v26, 0, v26, vcc_lo
	v_cmp_le_u32_e32 vcc_lo, v45, v25
	s_delay_alu instid0(VALU_DEP_2) | instskip(SKIP_4) | instid1(VALU_DEP_2)
	v_add_nc_u32_e32 v23, v23, v26
	ds_bpermute_b32 v26, v44, v23
	s_waitcnt lgkmcnt(0)
	v_cndmask_b32_e32 v26, 0, v26, vcc_lo
	v_cmp_le_u32_e32 vcc_lo, v47, v25
	v_add_nc_u32_e32 v23, v23, v26
	ds_bpermute_b32 v26, v46, v23
	s_waitcnt lgkmcnt(0)
	v_cndmask_b32_e32 v26, 0, v26, vcc_lo
	v_cmp_le_u32_e32 vcc_lo, v49, v25
	s_delay_alu instid0(VALU_DEP_2) | instskip(SKIP_3) | instid1(VALU_DEP_1)
	v_add_nc_u32_e32 v23, v23, v26
	ds_bpermute_b32 v26, v48, v23
	s_waitcnt lgkmcnt(0)
	v_cndmask_b32_e32 v25, 0, v26, vcc_lo
	v_add3_u32 v23, v25, v20, v23
.LBB86_78:                              ; =>This Loop Header: Depth=1
                                        ;     Child Loop BB86_81 Depth 2
	v_and_b32_e32 v20, 0xff, v24
	s_delay_alu instid0(VALU_DEP_1) | instskip(SKIP_2) | instid1(VALU_DEP_1)
	v_cmp_ne_u16_e32 vcc_lo, 2, v20
	v_cndmask_b32_e64 v20, 0, 1, vcc_lo
	;;#ASMSTART
	;;#ASMEND
	v_cmp_ne_u32_e32 vcc_lo, 0, v20
	v_mov_b32_e32 v20, v23
	s_cmp_lg_u32 vcc_lo, exec_lo
	s_cbranch_scc1 .LBB86_83
; %bb.79:                               ;   in Loop: Header=BB86_78 Depth=1
	v_lshlrev_b64 v[23:24], 3, v[21:22]
	s_mov_b32 s19, exec_lo
	s_delay_alu instid0(VALU_DEP_1) | instskip(NEXT) | instid1(VALU_DEP_2)
	v_add_co_u32 v25, vcc_lo, s12, v23
	v_add_co_ci_u32_e32 v26, vcc_lo, s13, v24, vcc_lo
	global_load_b64 v[23:24], v[25:26], off glc
	s_waitcnt vmcnt(0)
	v_and_b32_e32 v50, 0xff, v24
	s_delay_alu instid0(VALU_DEP_1)
	v_cmpx_eq_u16_e32 0, v50
	s_cbranch_execz .LBB86_77
; %bb.80:                               ;   in Loop: Header=BB86_78 Depth=1
	s_mov_b32 s20, 0
.LBB86_81:                              ;   Parent Loop BB86_78 Depth=1
                                        ; =>  This Inner Loop Header: Depth=2
	global_load_b64 v[23:24], v[25:26], off glc
	s_waitcnt vmcnt(0)
	v_and_b32_e32 v50, 0xff, v24
	s_delay_alu instid0(VALU_DEP_1) | instskip(SKIP_1) | instid1(SALU_CYCLE_1)
	v_cmp_ne_u16_e32 vcc_lo, 0, v50
	s_or_b32 s20, vcc_lo, s20
	s_and_not1_b32 exec_lo, exec_lo, s20
	s_cbranch_execnz .LBB86_81
; %bb.82:                               ;   in Loop: Header=BB86_78 Depth=1
	s_or_b32 exec_lo, exec_lo, s20
	s_branch .LBB86_77
.LBB86_83:                              ;   in Loop: Header=BB86_78 Depth=1
                                        ; implicit-def: $vgpr23
                                        ; implicit-def: $vgpr24
	s_cbranch_execz .LBB86_78
; %bb.84:
	s_and_saveexec_b32 s19, s8
	s_cbranch_execz .LBB86_86
; %bb.85:
	s_add_i32 s20, s15, 32
	s_mov_b32 s21, 0
	v_dual_mov_b32 v22, 2 :: v_dual_add_nc_u32 v21, v20, v19
	s_lshl_b64 s[20:21], s[20:21], 3
	v_mov_b32_e32 v23, 0
	s_add_u32 s20, s12, s20
	s_addc_u32 s21, s13, s21
	global_store_b64 v23, v[21:22], s[20:21]
	ds_store_b64 v23, v[19:20] offset:12672
.LBB86_86:
	s_or_b32 exec_lo, exec_lo, s19
	v_cmp_eq_u32_e32 vcc_lo, 0, v0
	s_and_b32 exec_lo, exec_lo, vcc_lo
	s_cbranch_execz .LBB86_88
; %bb.87:
	v_mov_b32_e32 v19, 0
	ds_store_b32 v19, v20 offset:44
.LBB86_88:
	s_or_b32 exec_lo, exec_lo, s9
	v_mov_b32_e32 v19, 0
	s_waitcnt lgkmcnt(0)
	s_waitcnt_vscnt null, 0x0
	s_barrier
	buffer_gl0_inv
	v_cndmask_b32_e64 v21, v29, v27, s8
	ds_load_b32 v20, v19 offset:44
	v_cmp_ne_u32_e32 vcc_lo, 0, v0
	s_waitcnt lgkmcnt(0)
	s_barrier
	buffer_gl0_inv
	v_cndmask_b32_e32 v21, 0, v21, vcc_lo
	s_delay_alu instid0(VALU_DEP_1) | instskip(SKIP_2) | instid1(VALU_DEP_1)
	v_add_nc_u32_e32 v37, v20, v21
	ds_load_b64 v[19:20], v19 offset:12672
	v_add_nc_u32_e32 v35, v37, v28
	v_add_nc_u32_e32 v33, v35, v30
	s_delay_alu instid0(VALU_DEP_1) | instskip(NEXT) | instid1(VALU_DEP_1)
	v_add_nc_u32_e32 v31, v33, v32
	v_add_nc_u32_e32 v29, v31, v34
	s_delay_alu instid0(VALU_DEP_1) | instskip(NEXT) | instid1(VALU_DEP_1)
	v_add_nc_u32_e32 v27, v29, v36
	v_add_nc_u32_e32 v25, v27, v38
	s_delay_alu instid0(VALU_DEP_1)
	v_add_nc_u32_e32 v23, v25, v40
	v_lshrrev_b64 v[21:22], 24, v[17:18]
	s_branch .LBB86_99
.LBB86_89:
                                        ; implicit-def: $vgpr23
                                        ; implicit-def: $vgpr25
                                        ; implicit-def: $vgpr27
                                        ; implicit-def: $vgpr29
                                        ; implicit-def: $vgpr31
                                        ; implicit-def: $vgpr33
                                        ; implicit-def: $vgpr35
                                        ; implicit-def: $vgpr37
                                        ; implicit-def: $vgpr20
	v_lshrrev_b64 v[21:22], 24, v[17:18]
	s_and_b32 vcc_lo, exec_lo, s8
	s_cbranch_vccz .LBB86_99
; %bb.90:
	s_waitcnt lgkmcnt(0)
	v_mov_b32_dpp v19, v43 row_shr:1 row_mask:0xf bank_mask:0xf
	s_delay_alu instid0(VALU_DEP_1) | instskip(NEXT) | instid1(VALU_DEP_1)
	v_cndmask_b32_e64 v19, v19, 0, s4
	v_add_nc_u32_e32 v19, v19, v43
	s_delay_alu instid0(VALU_DEP_1) | instskip(NEXT) | instid1(VALU_DEP_1)
	v_mov_b32_dpp v20, v19 row_shr:2 row_mask:0xf bank_mask:0xf
	v_cndmask_b32_e64 v20, 0, v20, s5
	s_delay_alu instid0(VALU_DEP_1) | instskip(NEXT) | instid1(VALU_DEP_1)
	v_add_nc_u32_e32 v19, v19, v20
	v_mov_b32_dpp v20, v19 row_shr:4 row_mask:0xf bank_mask:0xf
	s_delay_alu instid0(VALU_DEP_1) | instskip(NEXT) | instid1(VALU_DEP_1)
	v_cndmask_b32_e64 v20, 0, v20, s3
	v_add_nc_u32_e32 v19, v19, v20
	s_delay_alu instid0(VALU_DEP_1) | instskip(NEXT) | instid1(VALU_DEP_1)
	v_mov_b32_dpp v20, v19 row_shr:8 row_mask:0xf bank_mask:0xf
	v_cndmask_b32_e64 v20, 0, v20, s2
	s_delay_alu instid0(VALU_DEP_1) | instskip(SKIP_3) | instid1(VALU_DEP_1)
	v_add_nc_u32_e32 v19, v19, v20
	ds_swizzle_b32 v20, v19 offset:swizzle(BROADCAST,32,15)
	s_waitcnt lgkmcnt(0)
	v_cndmask_b32_e64 v20, v20, 0, s7
	v_add_nc_u32_e32 v19, v19, v20
	s_and_saveexec_b32 s7, s6
	s_cbranch_execz .LBB86_92
; %bb.91:
	v_lshlrev_b32_e32 v20, 2, v42
	ds_store_b32 v20, v19
.LBB86_92:
	s_or_b32 exec_lo, exec_lo, s7
	s_delay_alu instid0(SALU_CYCLE_1)
	s_mov_b32 s6, exec_lo
	s_waitcnt lgkmcnt(0)
	s_barrier
	buffer_gl0_inv
	v_cmpx_gt_u32_e32 12, v0
	s_cbranch_execz .LBB86_94
; %bb.93:
	v_lshlrev_b32_e32 v20, 2, v0
	ds_load_b32 v22, v20
	s_waitcnt lgkmcnt(0)
	v_mov_b32_dpp v23, v22 row_shr:1 row_mask:0xf bank_mask:0xf
	s_delay_alu instid0(VALU_DEP_1) | instskip(NEXT) | instid1(VALU_DEP_1)
	v_cndmask_b32_e64 v23, v23, 0, s4
	v_add_nc_u32_e32 v22, v23, v22
	s_delay_alu instid0(VALU_DEP_1) | instskip(NEXT) | instid1(VALU_DEP_1)
	v_mov_b32_dpp v23, v22 row_shr:2 row_mask:0xf bank_mask:0xf
	v_cndmask_b32_e64 v23, 0, v23, s5
	s_delay_alu instid0(VALU_DEP_1) | instskip(NEXT) | instid1(VALU_DEP_1)
	v_add_nc_u32_e32 v22, v22, v23
	v_mov_b32_dpp v23, v22 row_shr:4 row_mask:0xf bank_mask:0xf
	s_delay_alu instid0(VALU_DEP_1) | instskip(NEXT) | instid1(VALU_DEP_1)
	v_cndmask_b32_e64 v23, 0, v23, s3
	v_add_nc_u32_e32 v22, v22, v23
	s_delay_alu instid0(VALU_DEP_1) | instskip(NEXT) | instid1(VALU_DEP_1)
	v_mov_b32_dpp v23, v22 row_shr:8 row_mask:0xf bank_mask:0xf
	v_cndmask_b32_e64 v23, 0, v23, s2
	s_delay_alu instid0(VALU_DEP_1)
	v_add_nc_u32_e32 v22, v22, v23
	ds_store_b32 v20, v22
.LBB86_94:
	s_or_b32 exec_lo, exec_lo, s6
	v_mov_b32_e32 v20, 0
	v_mov_b32_e32 v22, 0
	s_mov_b32 s2, exec_lo
	s_waitcnt lgkmcnt(0)
	s_barrier
	buffer_gl0_inv
	v_cmpx_lt_u32_e32 31, v0
	s_cbranch_execz .LBB86_96
; %bb.95:
	v_lshl_add_u32 v22, v42, 2, -4
	ds_load_b32 v22, v22
.LBB86_96:
	s_or_b32 exec_lo, exec_lo, s2
	v_add_nc_u32_e32 v23, -1, v41
	s_waitcnt lgkmcnt(0)
	v_add_nc_u32_e32 v19, v22, v19
	s_delay_alu instid0(VALU_DEP_2) | instskip(SKIP_2) | instid1(VALU_DEP_2)
	v_cmp_gt_i32_e32 vcc_lo, 0, v23
	v_cndmask_b32_e32 v23, v23, v41, vcc_lo
	v_cmp_eq_u32_e32 vcc_lo, 0, v0
	v_lshlrev_b32_e32 v23, 2, v23
	ds_bpermute_b32 v23, v23, v19
	ds_load_b32 v19, v20 offset:44
	s_and_saveexec_b32 s2, vcc_lo
	s_cbranch_execz .LBB86_98
; %bb.97:
	v_mov_b32_e32 v24, 0
	v_mov_b32_e32 v20, 2
	s_waitcnt lgkmcnt(0)
	global_store_b64 v24, v[19:20], s[12:13] offset:256
.LBB86_98:
	s_or_b32 exec_lo, exec_lo, s2
	v_cmp_eq_u32_e64 s2, 0, v41
	s_waitcnt lgkmcnt(0)
	s_waitcnt_vscnt null, 0x0
	s_barrier
	buffer_gl0_inv
	v_cndmask_b32_e64 v20, v23, v22, s2
	s_delay_alu instid0(VALU_DEP_1) | instskip(NEXT) | instid1(VALU_DEP_1)
	v_cndmask_b32_e64 v37, v20, 0, vcc_lo
	v_dual_mov_b32 v20, 0 :: v_dual_add_nc_u32 v35, v37, v28
	s_delay_alu instid0(VALU_DEP_1) | instskip(NEXT) | instid1(VALU_DEP_1)
	v_add_nc_u32_e32 v33, v35, v30
	v_add_nc_u32_e32 v31, v33, v32
	s_delay_alu instid0(VALU_DEP_1) | instskip(NEXT) | instid1(VALU_DEP_1)
	v_add_nc_u32_e32 v29, v31, v34
	v_add_nc_u32_e32 v27, v29, v36
	;; [unrolled: 3-line block ×3, first 2 shown]
.LBB86_99:
	s_load_b128 s[4:7], s[0:1], 0x28
	s_waitcnt lgkmcnt(0)
	v_add_nc_u32_e32 v43, v20, v19
	v_cmp_gt_u32_e64 s0, 0x181, v19
	v_lshrrev_b32_e32 v42, 8, v17
	v_lshrrev_b32_e32 v41, 16, v17
	;; [unrolled: 1-line block ×4, first 2 shown]
	v_cmp_lt_u32_e64 s1, v37, v43
	s_and_b32 vcc_lo, exec_lo, s0
	s_mov_b32 s2, -1
	s_cbranch_vccz .LBB86_125
; %bb.100:
	s_lshl_b64 s[2:3], s[10:11], 2
	s_delay_alu instid0(SALU_CYCLE_1) | instskip(SKIP_2) | instid1(SALU_CYCLE_1)
	s_add_u32 s2, s4, s2
	s_addc_u32 s3, s5, s3
	s_or_b32 s8, s18, s1
	s_and_saveexec_b32 s1, s8
	s_cbranch_execz .LBB86_103
; %bb.101:
	v_and_b32_e32 v24, 1, v17
	s_delay_alu instid0(VALU_DEP_1)
	v_cmp_eq_u32_e32 vcc_lo, 1, v24
	s_and_b32 exec_lo, exec_lo, vcc_lo
	s_cbranch_execz .LBB86_103
; %bb.102:
	v_mov_b32_e32 v38, 0
	s_delay_alu instid0(VALU_DEP_1) | instskip(NEXT) | instid1(VALU_DEP_1)
	v_lshlrev_b64 v[44:45], 2, v[37:38]
	v_add_co_u32 v44, vcc_lo, s2, v44
	s_delay_alu instid0(VALU_DEP_2)
	v_add_co_ci_u32_e32 v45, vcc_lo, s3, v45, vcc_lo
	global_store_b32 v[44:45], v15, off
.LBB86_103:
	s_or_b32 exec_lo, exec_lo, s1
	v_cmp_lt_u32_e32 vcc_lo, v35, v43
	s_or_b32 s8, s18, vcc_lo
	s_delay_alu instid0(SALU_CYCLE_1)
	s_and_saveexec_b32 s1, s8
	s_cbranch_execz .LBB86_106
; %bb.104:
	v_and_b32_e32 v24, 1, v42
	s_delay_alu instid0(VALU_DEP_1)
	v_cmp_eq_u32_e32 vcc_lo, 1, v24
	s_and_b32 exec_lo, exec_lo, vcc_lo
	s_cbranch_execz .LBB86_106
; %bb.105:
	v_mov_b32_e32 v36, 0
	s_delay_alu instid0(VALU_DEP_1) | instskip(NEXT) | instid1(VALU_DEP_1)
	v_lshlrev_b64 v[44:45], 2, v[35:36]
	v_add_co_u32 v44, vcc_lo, s2, v44
	s_delay_alu instid0(VALU_DEP_2)
	v_add_co_ci_u32_e32 v45, vcc_lo, s3, v45, vcc_lo
	global_store_b32 v[44:45], v16, off
.LBB86_106:
	s_or_b32 exec_lo, exec_lo, s1
	v_cmp_lt_u32_e32 vcc_lo, v33, v43
	s_or_b32 s8, s18, vcc_lo
	s_delay_alu instid0(SALU_CYCLE_1)
	;; [unrolled: 21-line block ×7, first 2 shown]
	s_and_saveexec_b32 s1, s8
	s_cbranch_execz .LBB86_124
; %bb.122:
	v_and_b32_e32 v24, 1, v39
	s_delay_alu instid0(VALU_DEP_1)
	v_cmp_eq_u32_e32 vcc_lo, 1, v24
	s_and_b32 exec_lo, exec_lo, vcc_lo
	s_cbranch_execz .LBB86_124
; %bb.123:
	v_mov_b32_e32 v24, 0
	s_delay_alu instid0(VALU_DEP_1) | instskip(NEXT) | instid1(VALU_DEP_1)
	v_lshlrev_b64 v[44:45], 2, v[23:24]
	v_add_co_u32 v44, vcc_lo, s2, v44
	s_delay_alu instid0(VALU_DEP_2)
	v_add_co_ci_u32_e32 v45, vcc_lo, s3, v45, vcc_lo
	global_store_b32 v[44:45], v10, off
.LBB86_124:
	s_or_b32 exec_lo, exec_lo, s1
	s_mov_b32 s2, 0
.LBB86_125:
	v_and_b32_e32 v17, 1, v17
	s_and_b32 vcc_lo, exec_lo, s2
	s_delay_alu instid0(VALU_DEP_1)
	v_cmp_eq_u32_e64 s1, 1, v17
	s_cbranch_vccz .LBB86_146
; %bb.126:
	s_delay_alu instid0(VALU_DEP_1)
	s_and_saveexec_b32 s2, s1
	s_cbranch_execz .LBB86_128
; %bb.127:
	v_sub_nc_u32_e32 v24, v37, v20
	s_delay_alu instid0(VALU_DEP_1)
	v_lshlrev_b32_e32 v24, 2, v24
	ds_store_b32 v24, v15
.LBB86_128:
	s_or_b32 exec_lo, exec_lo, s2
	v_and_b32_e32 v15, 1, v42
	s_mov_b32 s1, exec_lo
	s_delay_alu instid0(VALU_DEP_1)
	v_cmpx_eq_u32_e32 1, v15
	s_cbranch_execz .LBB86_130
; %bb.129:
	v_sub_nc_u32_e32 v15, v35, v20
	s_delay_alu instid0(VALU_DEP_1)
	v_lshlrev_b32_e32 v15, 2, v15
	ds_store_b32 v15, v16
.LBB86_130:
	s_or_b32 exec_lo, exec_lo, s1
	v_and_b32_e32 v15, 1, v41
	s_mov_b32 s1, exec_lo
	s_delay_alu instid0(VALU_DEP_1)
	v_cmpx_eq_u32_e32 1, v15
	;; [unrolled: 12-line block ×7, first 2 shown]
	s_cbranch_execz .LBB86_142
; %bb.141:
	v_sub_nc_u32_e32 v9, v23, v20
	s_delay_alu instid0(VALU_DEP_1)
	v_lshlrev_b32_e32 v9, 2, v9
	ds_store_b32 v9, v10
.LBB86_142:
	s_or_b32 exec_lo, exec_lo, s1
	s_delay_alu instid0(SALU_CYCLE_1)
	s_mov_b32 s2, exec_lo
	s_waitcnt lgkmcnt(0)
	s_waitcnt_vscnt null, 0x0
	s_barrier
	buffer_gl0_inv
	v_cmpx_lt_u32_e64 v0, v19
	s_cbranch_execz .LBB86_145
; %bb.143:
	v_dual_mov_b32 v10, 0 :: v_dual_mov_b32 v9, v20
	s_lshl_b64 s[8:9], s[10:11], 2
	v_lshlrev_b32_e32 v11, 2, v0
	s_add_u32 s1, s4, s8
	s_addc_u32 s3, s5, s9
	v_lshlrev_b64 v[12:13], 2, v[9:10]
	v_mov_b32_e32 v9, v0
	s_delay_alu instid0(VALU_DEP_2) | instskip(NEXT) | instid1(VALU_DEP_3)
	v_add_co_u32 v12, vcc_lo, s1, v12
	v_add_co_ci_u32_e32 v13, vcc_lo, s3, v13, vcc_lo
	s_mov_b32 s3, 0
	.p2align	6
.LBB86_144:                             ; =>This Inner Loop Header: Depth=1
	ds_load_b32 v16, v11
	v_lshlrev_b64 v[14:15], 2, v[9:10]
	v_add_nc_u32_e32 v9, 0x180, v9
	v_add_nc_u32_e32 v11, 0x600, v11
	s_delay_alu instid0(VALU_DEP_2) | instskip(NEXT) | instid1(VALU_DEP_4)
	v_cmp_ge_u32_e32 vcc_lo, v9, v19
	v_add_co_u32 v14, s1, v12, v14
	s_delay_alu instid0(VALU_DEP_1)
	v_add_co_ci_u32_e64 v15, s1, v13, v15, s1
	s_or_b32 s3, vcc_lo, s3
	s_waitcnt lgkmcnt(0)
	global_store_b32 v[14:15], v16, off
	s_and_not1_b32 exec_lo, exec_lo, s3
	s_cbranch_execnz .LBB86_144
.LBB86_145:
	s_or_b32 exec_lo, exec_lo, s2
.LBB86_146:
	s_delay_alu instid0(SALU_CYCLE_1)
	s_and_b32 vcc_lo, exec_lo, s0
	s_mov_b32 s0, -1
	s_waitcnt_vscnt null, 0x0
	s_barrier
	buffer_gl0_inv
	s_cbranch_vccz .LBB86_174
; %bb.147:
	v_cmp_lt_u32_e32 vcc_lo, v37, v43
	s_lshl_b64 s[0:1], s[10:11], 2
	s_delay_alu instid0(SALU_CYCLE_1) | instskip(SKIP_2) | instid1(SALU_CYCLE_1)
	s_add_u32 s0, s6, s0
	s_addc_u32 s1, s7, s1
	s_or_b32 s3, s18, vcc_lo
	s_and_saveexec_b32 s2, s3
	s_cbranch_execz .LBB86_150
; %bb.148:
	v_cmp_eq_u32_e32 vcc_lo, 1, v17
	s_and_b32 exec_lo, exec_lo, vcc_lo
	s_cbranch_execz .LBB86_150
; %bb.149:
	v_mov_b32_e32 v38, 0
	s_delay_alu instid0(VALU_DEP_1) | instskip(NEXT) | instid1(VALU_DEP_1)
	v_lshlrev_b64 v[9:10], 2, v[37:38]
	v_add_co_u32 v9, vcc_lo, s0, v9
	s_delay_alu instid0(VALU_DEP_2)
	v_add_co_ci_u32_e32 v10, vcc_lo, s1, v10, vcc_lo
	global_store_b32 v[9:10], v7, off
.LBB86_150:
	s_or_b32 exec_lo, exec_lo, s2
	v_cmp_lt_u32_e32 vcc_lo, v35, v43
	s_or_b32 s3, s18, vcc_lo
	s_delay_alu instid0(SALU_CYCLE_1)
	s_and_saveexec_b32 s2, s3
	s_cbranch_execz .LBB86_153
; %bb.151:
	v_and_b32_e32 v9, 1, v42
	s_delay_alu instid0(VALU_DEP_1)
	v_cmp_eq_u32_e32 vcc_lo, 1, v9
	s_and_b32 exec_lo, exec_lo, vcc_lo
	s_cbranch_execz .LBB86_153
; %bb.152:
	v_mov_b32_e32 v36, 0
	s_delay_alu instid0(VALU_DEP_1) | instskip(NEXT) | instid1(VALU_DEP_1)
	v_lshlrev_b64 v[9:10], 2, v[35:36]
	v_add_co_u32 v9, vcc_lo, s0, v9
	s_delay_alu instid0(VALU_DEP_2)
	v_add_co_ci_u32_e32 v10, vcc_lo, s1, v10, vcc_lo
	global_store_b32 v[9:10], v8, off
.LBB86_153:
	s_or_b32 exec_lo, exec_lo, s2
	v_cmp_lt_u32_e32 vcc_lo, v33, v43
	s_or_b32 s3, s18, vcc_lo
	s_delay_alu instid0(SALU_CYCLE_1)
	s_and_saveexec_b32 s2, s3
	s_cbranch_execz .LBB86_156
; %bb.154:
	v_and_b32_e32 v9, 1, v41
	s_delay_alu instid0(VALU_DEP_1)
	v_cmp_eq_u32_e32 vcc_lo, 1, v9
	s_and_b32 exec_lo, exec_lo, vcc_lo
	s_cbranch_execz .LBB86_156
; %bb.155:
	v_mov_b32_e32 v34, 0
	s_delay_alu instid0(VALU_DEP_1) | instskip(NEXT) | instid1(VALU_DEP_1)
	v_lshlrev_b64 v[9:10], 2, v[33:34]
	v_add_co_u32 v9, vcc_lo, s0, v9
	s_delay_alu instid0(VALU_DEP_2)
	v_add_co_ci_u32_e32 v10, vcc_lo, s1, v10, vcc_lo
	global_store_b32 v[9:10], v5, off
.LBB86_156:
	;; [unrolled: 21-line block ×7, first 2 shown]
	s_or_b32 exec_lo, exec_lo, s2
.LBB86_172:
	v_cmp_eq_u32_e32 vcc_lo, 0, v0
	s_and_b32 s0, vcc_lo, s14
	s_delay_alu instid0(SALU_CYCLE_1)
	s_and_saveexec_b32 s1, s0
	s_cbranch_execz .LBB86_195
.LBB86_173:
	v_add_co_u32 v0, s0, s10, v19
	s_delay_alu instid0(VALU_DEP_1) | instskip(SKIP_1) | instid1(VALU_DEP_3)
	v_add_co_ci_u32_e64 v1, null, s11, 0, s0
	v_mov_b32_e32 v2, 0
	v_add_co_u32 v0, vcc_lo, v0, v20
	s_delay_alu instid0(VALU_DEP_3)
	v_add_co_ci_u32_e32 v1, vcc_lo, 0, v1, vcc_lo
	global_store_b64 v2, v[0:1], s[16:17]
	s_nop 0
	s_sendmsg sendmsg(MSG_DEALLOC_VGPRS)
	s_endpgm
.LBB86_174:
	s_and_b32 vcc_lo, exec_lo, s0
	s_cbranch_vccz .LBB86_172
; %bb.175:
	s_mov_b32 s0, exec_lo
	v_cmpx_eq_u32_e32 1, v17
	s_cbranch_execz .LBB86_177
; %bb.176:
	v_sub_nc_u32_e32 v9, v37, v20
	s_delay_alu instid0(VALU_DEP_1)
	v_lshlrev_b32_e32 v9, 2, v9
	ds_store_b32 v9, v7
.LBB86_177:
	s_or_b32 exec_lo, exec_lo, s0
	v_and_b32_e32 v7, 1, v42
	s_mov_b32 s0, exec_lo
	s_delay_alu instid0(VALU_DEP_1)
	v_cmpx_eq_u32_e32 1, v7
	s_cbranch_execz .LBB86_179
; %bb.178:
	v_sub_nc_u32_e32 v7, v35, v20
	s_delay_alu instid0(VALU_DEP_1)
	v_lshlrev_b32_e32 v7, 2, v7
	ds_store_b32 v7, v8
.LBB86_179:
	s_or_b32 exec_lo, exec_lo, s0
	v_and_b32_e32 v7, 1, v41
	s_mov_b32 s0, exec_lo
	s_delay_alu instid0(VALU_DEP_1)
	;; [unrolled: 12-line block ×7, first 2 shown]
	v_cmpx_eq_u32_e32 1, v1
	s_cbranch_execz .LBB86_191
; %bb.190:
	v_sub_nc_u32_e32 v1, v23, v20
	s_delay_alu instid0(VALU_DEP_1)
	v_lshlrev_b32_e32 v1, 2, v1
	ds_store_b32 v1, v2
.LBB86_191:
	s_or_b32 exec_lo, exec_lo, s0
	s_delay_alu instid0(SALU_CYCLE_1)
	s_mov_b32 s1, exec_lo
	s_waitcnt lgkmcnt(0)
	s_waitcnt_vscnt null, 0x0
	s_barrier
	buffer_gl0_inv
	v_cmpx_lt_u32_e64 v0, v19
	s_cbranch_execz .LBB86_194
; %bb.192:
	v_dual_mov_b32 v2, 0 :: v_dual_mov_b32 v1, v20
	s_lshl_b64 s[2:3], s[10:11], 2
	v_lshlrev_b32_e32 v3, 2, v0
	s_add_u32 s0, s6, s2
	s_addc_u32 s2, s7, s3
	v_lshlrev_b64 v[4:5], 2, v[1:2]
	v_mov_b32_e32 v1, v0
	s_delay_alu instid0(VALU_DEP_2) | instskip(NEXT) | instid1(VALU_DEP_3)
	v_add_co_u32 v4, vcc_lo, s0, v4
	v_add_co_ci_u32_e32 v5, vcc_lo, s2, v5, vcc_lo
	s_mov_b32 s2, 0
	.p2align	6
.LBB86_193:                             ; =>This Inner Loop Header: Depth=1
	ds_load_b32 v8, v3
	v_lshlrev_b64 v[6:7], 2, v[1:2]
	v_add_nc_u32_e32 v1, 0x180, v1
	v_add_nc_u32_e32 v3, 0x600, v3
	s_delay_alu instid0(VALU_DEP_2) | instskip(NEXT) | instid1(VALU_DEP_4)
	v_cmp_ge_u32_e32 vcc_lo, v1, v19
	v_add_co_u32 v6, s0, v4, v6
	s_delay_alu instid0(VALU_DEP_1)
	v_add_co_ci_u32_e64 v7, s0, v5, v7, s0
	s_or_b32 s2, vcc_lo, s2
	s_waitcnt lgkmcnt(0)
	global_store_b32 v[6:7], v8, off
	s_and_not1_b32 exec_lo, exec_lo, s2
	s_cbranch_execnz .LBB86_193
.LBB86_194:
	s_or_b32 exec_lo, exec_lo, s1
	v_cmp_eq_u32_e32 vcc_lo, 0, v0
	s_and_b32 s0, vcc_lo, s14
	s_delay_alu instid0(SALU_CYCLE_1)
	s_and_saveexec_b32 s1, s0
	s_cbranch_execnz .LBB86_173
.LBB86_195:
	s_nop 0
	s_sendmsg sendmsg(MSG_DEALLOC_VGPRS)
	s_endpgm
	.section	.rodata,"a",@progbits
	.p2align	6, 0x0
	.amdhsa_kernel _ZN7rocprim17ROCPRIM_400000_NS6detail17trampoline_kernelINS0_14default_configENS1_25partition_config_selectorILNS1_17partition_subalgoE9EffbEEZZNS1_14partition_implILS5_9ELb0ES3_jN6thrust23THRUST_200600_302600_NS6detail15normal_iteratorINS9_10device_ptrIfEEEESE_PNS0_10empty_typeENS0_5tupleIJSE_SF_EEENSH_IJSE_SG_EEENS0_18inequality_wrapperINS9_8equal_toIfEEEEPmJSF_EEE10hipError_tPvRmT3_T4_T5_T6_T7_T9_mT8_P12ihipStream_tbDpT10_ENKUlT_T0_E_clISt17integral_constantIbLb0EES18_EEDaS13_S14_EUlS13_E_NS1_11comp_targetILNS1_3genE9ELNS1_11target_archE1100ELNS1_3gpuE3ELNS1_3repE0EEENS1_30default_config_static_selectorELNS0_4arch9wavefront6targetE0EEEvT1_
		.amdhsa_group_segment_fixed_size 12680
		.amdhsa_private_segment_fixed_size 0
		.amdhsa_kernarg_size 112
		.amdhsa_user_sgpr_count 15
		.amdhsa_user_sgpr_dispatch_ptr 0
		.amdhsa_user_sgpr_queue_ptr 0
		.amdhsa_user_sgpr_kernarg_segment_ptr 1
		.amdhsa_user_sgpr_dispatch_id 0
		.amdhsa_user_sgpr_private_segment_size 0
		.amdhsa_wavefront_size32 1
		.amdhsa_uses_dynamic_stack 0
		.amdhsa_enable_private_segment 0
		.amdhsa_system_sgpr_workgroup_id_x 1
		.amdhsa_system_sgpr_workgroup_id_y 0
		.amdhsa_system_sgpr_workgroup_id_z 0
		.amdhsa_system_sgpr_workgroup_info 0
		.amdhsa_system_vgpr_workitem_id 0
		.amdhsa_next_free_vgpr 51
		.amdhsa_next_free_sgpr 25
		.amdhsa_reserve_vcc 1
		.amdhsa_float_round_mode_32 0
		.amdhsa_float_round_mode_16_64 0
		.amdhsa_float_denorm_mode_32 3
		.amdhsa_float_denorm_mode_16_64 3
		.amdhsa_dx10_clamp 1
		.amdhsa_ieee_mode 1
		.amdhsa_fp16_overflow 0
		.amdhsa_workgroup_processor_mode 1
		.amdhsa_memory_ordered 1
		.amdhsa_forward_progress 0
		.amdhsa_shared_vgpr_count 0
		.amdhsa_exception_fp_ieee_invalid_op 0
		.amdhsa_exception_fp_denorm_src 0
		.amdhsa_exception_fp_ieee_div_zero 0
		.amdhsa_exception_fp_ieee_overflow 0
		.amdhsa_exception_fp_ieee_underflow 0
		.amdhsa_exception_fp_ieee_inexact 0
		.amdhsa_exception_int_div_zero 0
	.end_amdhsa_kernel
	.section	.text._ZN7rocprim17ROCPRIM_400000_NS6detail17trampoline_kernelINS0_14default_configENS1_25partition_config_selectorILNS1_17partition_subalgoE9EffbEEZZNS1_14partition_implILS5_9ELb0ES3_jN6thrust23THRUST_200600_302600_NS6detail15normal_iteratorINS9_10device_ptrIfEEEESE_PNS0_10empty_typeENS0_5tupleIJSE_SF_EEENSH_IJSE_SG_EEENS0_18inequality_wrapperINS9_8equal_toIfEEEEPmJSF_EEE10hipError_tPvRmT3_T4_T5_T6_T7_T9_mT8_P12ihipStream_tbDpT10_ENKUlT_T0_E_clISt17integral_constantIbLb0EES18_EEDaS13_S14_EUlS13_E_NS1_11comp_targetILNS1_3genE9ELNS1_11target_archE1100ELNS1_3gpuE3ELNS1_3repE0EEENS1_30default_config_static_selectorELNS0_4arch9wavefront6targetE0EEEvT1_,"axG",@progbits,_ZN7rocprim17ROCPRIM_400000_NS6detail17trampoline_kernelINS0_14default_configENS1_25partition_config_selectorILNS1_17partition_subalgoE9EffbEEZZNS1_14partition_implILS5_9ELb0ES3_jN6thrust23THRUST_200600_302600_NS6detail15normal_iteratorINS9_10device_ptrIfEEEESE_PNS0_10empty_typeENS0_5tupleIJSE_SF_EEENSH_IJSE_SG_EEENS0_18inequality_wrapperINS9_8equal_toIfEEEEPmJSF_EEE10hipError_tPvRmT3_T4_T5_T6_T7_T9_mT8_P12ihipStream_tbDpT10_ENKUlT_T0_E_clISt17integral_constantIbLb0EES18_EEDaS13_S14_EUlS13_E_NS1_11comp_targetILNS1_3genE9ELNS1_11target_archE1100ELNS1_3gpuE3ELNS1_3repE0EEENS1_30default_config_static_selectorELNS0_4arch9wavefront6targetE0EEEvT1_,comdat
.Lfunc_end86:
	.size	_ZN7rocprim17ROCPRIM_400000_NS6detail17trampoline_kernelINS0_14default_configENS1_25partition_config_selectorILNS1_17partition_subalgoE9EffbEEZZNS1_14partition_implILS5_9ELb0ES3_jN6thrust23THRUST_200600_302600_NS6detail15normal_iteratorINS9_10device_ptrIfEEEESE_PNS0_10empty_typeENS0_5tupleIJSE_SF_EEENSH_IJSE_SG_EEENS0_18inequality_wrapperINS9_8equal_toIfEEEEPmJSF_EEE10hipError_tPvRmT3_T4_T5_T6_T7_T9_mT8_P12ihipStream_tbDpT10_ENKUlT_T0_E_clISt17integral_constantIbLb0EES18_EEDaS13_S14_EUlS13_E_NS1_11comp_targetILNS1_3genE9ELNS1_11target_archE1100ELNS1_3gpuE3ELNS1_3repE0EEENS1_30default_config_static_selectorELNS0_4arch9wavefront6targetE0EEEvT1_, .Lfunc_end86-_ZN7rocprim17ROCPRIM_400000_NS6detail17trampoline_kernelINS0_14default_configENS1_25partition_config_selectorILNS1_17partition_subalgoE9EffbEEZZNS1_14partition_implILS5_9ELb0ES3_jN6thrust23THRUST_200600_302600_NS6detail15normal_iteratorINS9_10device_ptrIfEEEESE_PNS0_10empty_typeENS0_5tupleIJSE_SF_EEENSH_IJSE_SG_EEENS0_18inequality_wrapperINS9_8equal_toIfEEEEPmJSF_EEE10hipError_tPvRmT3_T4_T5_T6_T7_T9_mT8_P12ihipStream_tbDpT10_ENKUlT_T0_E_clISt17integral_constantIbLb0EES18_EEDaS13_S14_EUlS13_E_NS1_11comp_targetILNS1_3genE9ELNS1_11target_archE1100ELNS1_3gpuE3ELNS1_3repE0EEENS1_30default_config_static_selectorELNS0_4arch9wavefront6targetE0EEEvT1_
                                        ; -- End function
	.section	.AMDGPU.csdata,"",@progbits
; Kernel info:
; codeLenInByte = 9220
; NumSgprs: 27
; NumVgprs: 51
; ScratchSize: 0
; MemoryBound: 0
; FloatMode: 240
; IeeeMode: 1
; LDSByteSize: 12680 bytes/workgroup (compile time only)
; SGPRBlocks: 3
; VGPRBlocks: 6
; NumSGPRsForWavesPerEU: 27
; NumVGPRsForWavesPerEU: 51
; Occupancy: 15
; WaveLimiterHint : 1
; COMPUTE_PGM_RSRC2:SCRATCH_EN: 0
; COMPUTE_PGM_RSRC2:USER_SGPR: 15
; COMPUTE_PGM_RSRC2:TRAP_HANDLER: 0
; COMPUTE_PGM_RSRC2:TGID_X_EN: 1
; COMPUTE_PGM_RSRC2:TGID_Y_EN: 0
; COMPUTE_PGM_RSRC2:TGID_Z_EN: 0
; COMPUTE_PGM_RSRC2:TIDIG_COMP_CNT: 0
	.section	.text._ZN7rocprim17ROCPRIM_400000_NS6detail17trampoline_kernelINS0_14default_configENS1_25partition_config_selectorILNS1_17partition_subalgoE9EffbEEZZNS1_14partition_implILS5_9ELb0ES3_jN6thrust23THRUST_200600_302600_NS6detail15normal_iteratorINS9_10device_ptrIfEEEESE_PNS0_10empty_typeENS0_5tupleIJSE_SF_EEENSH_IJSE_SG_EEENS0_18inequality_wrapperINS9_8equal_toIfEEEEPmJSF_EEE10hipError_tPvRmT3_T4_T5_T6_T7_T9_mT8_P12ihipStream_tbDpT10_ENKUlT_T0_E_clISt17integral_constantIbLb0EES18_EEDaS13_S14_EUlS13_E_NS1_11comp_targetILNS1_3genE8ELNS1_11target_archE1030ELNS1_3gpuE2ELNS1_3repE0EEENS1_30default_config_static_selectorELNS0_4arch9wavefront6targetE0EEEvT1_,"axG",@progbits,_ZN7rocprim17ROCPRIM_400000_NS6detail17trampoline_kernelINS0_14default_configENS1_25partition_config_selectorILNS1_17partition_subalgoE9EffbEEZZNS1_14partition_implILS5_9ELb0ES3_jN6thrust23THRUST_200600_302600_NS6detail15normal_iteratorINS9_10device_ptrIfEEEESE_PNS0_10empty_typeENS0_5tupleIJSE_SF_EEENSH_IJSE_SG_EEENS0_18inequality_wrapperINS9_8equal_toIfEEEEPmJSF_EEE10hipError_tPvRmT3_T4_T5_T6_T7_T9_mT8_P12ihipStream_tbDpT10_ENKUlT_T0_E_clISt17integral_constantIbLb0EES18_EEDaS13_S14_EUlS13_E_NS1_11comp_targetILNS1_3genE8ELNS1_11target_archE1030ELNS1_3gpuE2ELNS1_3repE0EEENS1_30default_config_static_selectorELNS0_4arch9wavefront6targetE0EEEvT1_,comdat
	.protected	_ZN7rocprim17ROCPRIM_400000_NS6detail17trampoline_kernelINS0_14default_configENS1_25partition_config_selectorILNS1_17partition_subalgoE9EffbEEZZNS1_14partition_implILS5_9ELb0ES3_jN6thrust23THRUST_200600_302600_NS6detail15normal_iteratorINS9_10device_ptrIfEEEESE_PNS0_10empty_typeENS0_5tupleIJSE_SF_EEENSH_IJSE_SG_EEENS0_18inequality_wrapperINS9_8equal_toIfEEEEPmJSF_EEE10hipError_tPvRmT3_T4_T5_T6_T7_T9_mT8_P12ihipStream_tbDpT10_ENKUlT_T0_E_clISt17integral_constantIbLb0EES18_EEDaS13_S14_EUlS13_E_NS1_11comp_targetILNS1_3genE8ELNS1_11target_archE1030ELNS1_3gpuE2ELNS1_3repE0EEENS1_30default_config_static_selectorELNS0_4arch9wavefront6targetE0EEEvT1_ ; -- Begin function _ZN7rocprim17ROCPRIM_400000_NS6detail17trampoline_kernelINS0_14default_configENS1_25partition_config_selectorILNS1_17partition_subalgoE9EffbEEZZNS1_14partition_implILS5_9ELb0ES3_jN6thrust23THRUST_200600_302600_NS6detail15normal_iteratorINS9_10device_ptrIfEEEESE_PNS0_10empty_typeENS0_5tupleIJSE_SF_EEENSH_IJSE_SG_EEENS0_18inequality_wrapperINS9_8equal_toIfEEEEPmJSF_EEE10hipError_tPvRmT3_T4_T5_T6_T7_T9_mT8_P12ihipStream_tbDpT10_ENKUlT_T0_E_clISt17integral_constantIbLb0EES18_EEDaS13_S14_EUlS13_E_NS1_11comp_targetILNS1_3genE8ELNS1_11target_archE1030ELNS1_3gpuE2ELNS1_3repE0EEENS1_30default_config_static_selectorELNS0_4arch9wavefront6targetE0EEEvT1_
	.globl	_ZN7rocprim17ROCPRIM_400000_NS6detail17trampoline_kernelINS0_14default_configENS1_25partition_config_selectorILNS1_17partition_subalgoE9EffbEEZZNS1_14partition_implILS5_9ELb0ES3_jN6thrust23THRUST_200600_302600_NS6detail15normal_iteratorINS9_10device_ptrIfEEEESE_PNS0_10empty_typeENS0_5tupleIJSE_SF_EEENSH_IJSE_SG_EEENS0_18inequality_wrapperINS9_8equal_toIfEEEEPmJSF_EEE10hipError_tPvRmT3_T4_T5_T6_T7_T9_mT8_P12ihipStream_tbDpT10_ENKUlT_T0_E_clISt17integral_constantIbLb0EES18_EEDaS13_S14_EUlS13_E_NS1_11comp_targetILNS1_3genE8ELNS1_11target_archE1030ELNS1_3gpuE2ELNS1_3repE0EEENS1_30default_config_static_selectorELNS0_4arch9wavefront6targetE0EEEvT1_
	.p2align	8
	.type	_ZN7rocprim17ROCPRIM_400000_NS6detail17trampoline_kernelINS0_14default_configENS1_25partition_config_selectorILNS1_17partition_subalgoE9EffbEEZZNS1_14partition_implILS5_9ELb0ES3_jN6thrust23THRUST_200600_302600_NS6detail15normal_iteratorINS9_10device_ptrIfEEEESE_PNS0_10empty_typeENS0_5tupleIJSE_SF_EEENSH_IJSE_SG_EEENS0_18inequality_wrapperINS9_8equal_toIfEEEEPmJSF_EEE10hipError_tPvRmT3_T4_T5_T6_T7_T9_mT8_P12ihipStream_tbDpT10_ENKUlT_T0_E_clISt17integral_constantIbLb0EES18_EEDaS13_S14_EUlS13_E_NS1_11comp_targetILNS1_3genE8ELNS1_11target_archE1030ELNS1_3gpuE2ELNS1_3repE0EEENS1_30default_config_static_selectorELNS0_4arch9wavefront6targetE0EEEvT1_,@function
_ZN7rocprim17ROCPRIM_400000_NS6detail17trampoline_kernelINS0_14default_configENS1_25partition_config_selectorILNS1_17partition_subalgoE9EffbEEZZNS1_14partition_implILS5_9ELb0ES3_jN6thrust23THRUST_200600_302600_NS6detail15normal_iteratorINS9_10device_ptrIfEEEESE_PNS0_10empty_typeENS0_5tupleIJSE_SF_EEENSH_IJSE_SG_EEENS0_18inequality_wrapperINS9_8equal_toIfEEEEPmJSF_EEE10hipError_tPvRmT3_T4_T5_T6_T7_T9_mT8_P12ihipStream_tbDpT10_ENKUlT_T0_E_clISt17integral_constantIbLb0EES18_EEDaS13_S14_EUlS13_E_NS1_11comp_targetILNS1_3genE8ELNS1_11target_archE1030ELNS1_3gpuE2ELNS1_3repE0EEENS1_30default_config_static_selectorELNS0_4arch9wavefront6targetE0EEEvT1_: ; @_ZN7rocprim17ROCPRIM_400000_NS6detail17trampoline_kernelINS0_14default_configENS1_25partition_config_selectorILNS1_17partition_subalgoE9EffbEEZZNS1_14partition_implILS5_9ELb0ES3_jN6thrust23THRUST_200600_302600_NS6detail15normal_iteratorINS9_10device_ptrIfEEEESE_PNS0_10empty_typeENS0_5tupleIJSE_SF_EEENSH_IJSE_SG_EEENS0_18inequality_wrapperINS9_8equal_toIfEEEEPmJSF_EEE10hipError_tPvRmT3_T4_T5_T6_T7_T9_mT8_P12ihipStream_tbDpT10_ENKUlT_T0_E_clISt17integral_constantIbLb0EES18_EEDaS13_S14_EUlS13_E_NS1_11comp_targetILNS1_3genE8ELNS1_11target_archE1030ELNS1_3gpuE2ELNS1_3repE0EEENS1_30default_config_static_selectorELNS0_4arch9wavefront6targetE0EEEvT1_
; %bb.0:
	.section	.rodata,"a",@progbits
	.p2align	6, 0x0
	.amdhsa_kernel _ZN7rocprim17ROCPRIM_400000_NS6detail17trampoline_kernelINS0_14default_configENS1_25partition_config_selectorILNS1_17partition_subalgoE9EffbEEZZNS1_14partition_implILS5_9ELb0ES3_jN6thrust23THRUST_200600_302600_NS6detail15normal_iteratorINS9_10device_ptrIfEEEESE_PNS0_10empty_typeENS0_5tupleIJSE_SF_EEENSH_IJSE_SG_EEENS0_18inequality_wrapperINS9_8equal_toIfEEEEPmJSF_EEE10hipError_tPvRmT3_T4_T5_T6_T7_T9_mT8_P12ihipStream_tbDpT10_ENKUlT_T0_E_clISt17integral_constantIbLb0EES18_EEDaS13_S14_EUlS13_E_NS1_11comp_targetILNS1_3genE8ELNS1_11target_archE1030ELNS1_3gpuE2ELNS1_3repE0EEENS1_30default_config_static_selectorELNS0_4arch9wavefront6targetE0EEEvT1_
		.amdhsa_group_segment_fixed_size 0
		.amdhsa_private_segment_fixed_size 0
		.amdhsa_kernarg_size 112
		.amdhsa_user_sgpr_count 15
		.amdhsa_user_sgpr_dispatch_ptr 0
		.amdhsa_user_sgpr_queue_ptr 0
		.amdhsa_user_sgpr_kernarg_segment_ptr 1
		.amdhsa_user_sgpr_dispatch_id 0
		.amdhsa_user_sgpr_private_segment_size 0
		.amdhsa_wavefront_size32 1
		.amdhsa_uses_dynamic_stack 0
		.amdhsa_enable_private_segment 0
		.amdhsa_system_sgpr_workgroup_id_x 1
		.amdhsa_system_sgpr_workgroup_id_y 0
		.amdhsa_system_sgpr_workgroup_id_z 0
		.amdhsa_system_sgpr_workgroup_info 0
		.amdhsa_system_vgpr_workitem_id 0
		.amdhsa_next_free_vgpr 1
		.amdhsa_next_free_sgpr 1
		.amdhsa_reserve_vcc 0
		.amdhsa_float_round_mode_32 0
		.amdhsa_float_round_mode_16_64 0
		.amdhsa_float_denorm_mode_32 3
		.amdhsa_float_denorm_mode_16_64 3
		.amdhsa_dx10_clamp 1
		.amdhsa_ieee_mode 1
		.amdhsa_fp16_overflow 0
		.amdhsa_workgroup_processor_mode 1
		.amdhsa_memory_ordered 1
		.amdhsa_forward_progress 0
		.amdhsa_shared_vgpr_count 0
		.amdhsa_exception_fp_ieee_invalid_op 0
		.amdhsa_exception_fp_denorm_src 0
		.amdhsa_exception_fp_ieee_div_zero 0
		.amdhsa_exception_fp_ieee_overflow 0
		.amdhsa_exception_fp_ieee_underflow 0
		.amdhsa_exception_fp_ieee_inexact 0
		.amdhsa_exception_int_div_zero 0
	.end_amdhsa_kernel
	.section	.text._ZN7rocprim17ROCPRIM_400000_NS6detail17trampoline_kernelINS0_14default_configENS1_25partition_config_selectorILNS1_17partition_subalgoE9EffbEEZZNS1_14partition_implILS5_9ELb0ES3_jN6thrust23THRUST_200600_302600_NS6detail15normal_iteratorINS9_10device_ptrIfEEEESE_PNS0_10empty_typeENS0_5tupleIJSE_SF_EEENSH_IJSE_SG_EEENS0_18inequality_wrapperINS9_8equal_toIfEEEEPmJSF_EEE10hipError_tPvRmT3_T4_T5_T6_T7_T9_mT8_P12ihipStream_tbDpT10_ENKUlT_T0_E_clISt17integral_constantIbLb0EES18_EEDaS13_S14_EUlS13_E_NS1_11comp_targetILNS1_3genE8ELNS1_11target_archE1030ELNS1_3gpuE2ELNS1_3repE0EEENS1_30default_config_static_selectorELNS0_4arch9wavefront6targetE0EEEvT1_,"axG",@progbits,_ZN7rocprim17ROCPRIM_400000_NS6detail17trampoline_kernelINS0_14default_configENS1_25partition_config_selectorILNS1_17partition_subalgoE9EffbEEZZNS1_14partition_implILS5_9ELb0ES3_jN6thrust23THRUST_200600_302600_NS6detail15normal_iteratorINS9_10device_ptrIfEEEESE_PNS0_10empty_typeENS0_5tupleIJSE_SF_EEENSH_IJSE_SG_EEENS0_18inequality_wrapperINS9_8equal_toIfEEEEPmJSF_EEE10hipError_tPvRmT3_T4_T5_T6_T7_T9_mT8_P12ihipStream_tbDpT10_ENKUlT_T0_E_clISt17integral_constantIbLb0EES18_EEDaS13_S14_EUlS13_E_NS1_11comp_targetILNS1_3genE8ELNS1_11target_archE1030ELNS1_3gpuE2ELNS1_3repE0EEENS1_30default_config_static_selectorELNS0_4arch9wavefront6targetE0EEEvT1_,comdat
.Lfunc_end87:
	.size	_ZN7rocprim17ROCPRIM_400000_NS6detail17trampoline_kernelINS0_14default_configENS1_25partition_config_selectorILNS1_17partition_subalgoE9EffbEEZZNS1_14partition_implILS5_9ELb0ES3_jN6thrust23THRUST_200600_302600_NS6detail15normal_iteratorINS9_10device_ptrIfEEEESE_PNS0_10empty_typeENS0_5tupleIJSE_SF_EEENSH_IJSE_SG_EEENS0_18inequality_wrapperINS9_8equal_toIfEEEEPmJSF_EEE10hipError_tPvRmT3_T4_T5_T6_T7_T9_mT8_P12ihipStream_tbDpT10_ENKUlT_T0_E_clISt17integral_constantIbLb0EES18_EEDaS13_S14_EUlS13_E_NS1_11comp_targetILNS1_3genE8ELNS1_11target_archE1030ELNS1_3gpuE2ELNS1_3repE0EEENS1_30default_config_static_selectorELNS0_4arch9wavefront6targetE0EEEvT1_, .Lfunc_end87-_ZN7rocprim17ROCPRIM_400000_NS6detail17trampoline_kernelINS0_14default_configENS1_25partition_config_selectorILNS1_17partition_subalgoE9EffbEEZZNS1_14partition_implILS5_9ELb0ES3_jN6thrust23THRUST_200600_302600_NS6detail15normal_iteratorINS9_10device_ptrIfEEEESE_PNS0_10empty_typeENS0_5tupleIJSE_SF_EEENSH_IJSE_SG_EEENS0_18inequality_wrapperINS9_8equal_toIfEEEEPmJSF_EEE10hipError_tPvRmT3_T4_T5_T6_T7_T9_mT8_P12ihipStream_tbDpT10_ENKUlT_T0_E_clISt17integral_constantIbLb0EES18_EEDaS13_S14_EUlS13_E_NS1_11comp_targetILNS1_3genE8ELNS1_11target_archE1030ELNS1_3gpuE2ELNS1_3repE0EEENS1_30default_config_static_selectorELNS0_4arch9wavefront6targetE0EEEvT1_
                                        ; -- End function
	.section	.AMDGPU.csdata,"",@progbits
; Kernel info:
; codeLenInByte = 0
; NumSgprs: 0
; NumVgprs: 0
; ScratchSize: 0
; MemoryBound: 0
; FloatMode: 240
; IeeeMode: 1
; LDSByteSize: 0 bytes/workgroup (compile time only)
; SGPRBlocks: 0
; VGPRBlocks: 0
; NumSGPRsForWavesPerEU: 1
; NumVGPRsForWavesPerEU: 1
; Occupancy: 16
; WaveLimiterHint : 0
; COMPUTE_PGM_RSRC2:SCRATCH_EN: 0
; COMPUTE_PGM_RSRC2:USER_SGPR: 15
; COMPUTE_PGM_RSRC2:TRAP_HANDLER: 0
; COMPUTE_PGM_RSRC2:TGID_X_EN: 1
; COMPUTE_PGM_RSRC2:TGID_Y_EN: 0
; COMPUTE_PGM_RSRC2:TGID_Z_EN: 0
; COMPUTE_PGM_RSRC2:TIDIG_COMP_CNT: 0
	.section	.text._ZN7rocprim17ROCPRIM_400000_NS6detail17trampoline_kernelINS0_14default_configENS1_25partition_config_selectorILNS1_17partition_subalgoE9EffbEEZZNS1_14partition_implILS5_9ELb0ES3_jN6thrust23THRUST_200600_302600_NS6detail15normal_iteratorINS9_10device_ptrIfEEEESE_PNS0_10empty_typeENS0_5tupleIJSE_SF_EEENSH_IJSE_SG_EEENS0_18inequality_wrapperINS9_8equal_toIfEEEEPmJSF_EEE10hipError_tPvRmT3_T4_T5_T6_T7_T9_mT8_P12ihipStream_tbDpT10_ENKUlT_T0_E_clISt17integral_constantIbLb1EES18_EEDaS13_S14_EUlS13_E_NS1_11comp_targetILNS1_3genE0ELNS1_11target_archE4294967295ELNS1_3gpuE0ELNS1_3repE0EEENS1_30default_config_static_selectorELNS0_4arch9wavefront6targetE0EEEvT1_,"axG",@progbits,_ZN7rocprim17ROCPRIM_400000_NS6detail17trampoline_kernelINS0_14default_configENS1_25partition_config_selectorILNS1_17partition_subalgoE9EffbEEZZNS1_14partition_implILS5_9ELb0ES3_jN6thrust23THRUST_200600_302600_NS6detail15normal_iteratorINS9_10device_ptrIfEEEESE_PNS0_10empty_typeENS0_5tupleIJSE_SF_EEENSH_IJSE_SG_EEENS0_18inequality_wrapperINS9_8equal_toIfEEEEPmJSF_EEE10hipError_tPvRmT3_T4_T5_T6_T7_T9_mT8_P12ihipStream_tbDpT10_ENKUlT_T0_E_clISt17integral_constantIbLb1EES18_EEDaS13_S14_EUlS13_E_NS1_11comp_targetILNS1_3genE0ELNS1_11target_archE4294967295ELNS1_3gpuE0ELNS1_3repE0EEENS1_30default_config_static_selectorELNS0_4arch9wavefront6targetE0EEEvT1_,comdat
	.protected	_ZN7rocprim17ROCPRIM_400000_NS6detail17trampoline_kernelINS0_14default_configENS1_25partition_config_selectorILNS1_17partition_subalgoE9EffbEEZZNS1_14partition_implILS5_9ELb0ES3_jN6thrust23THRUST_200600_302600_NS6detail15normal_iteratorINS9_10device_ptrIfEEEESE_PNS0_10empty_typeENS0_5tupleIJSE_SF_EEENSH_IJSE_SG_EEENS0_18inequality_wrapperINS9_8equal_toIfEEEEPmJSF_EEE10hipError_tPvRmT3_T4_T5_T6_T7_T9_mT8_P12ihipStream_tbDpT10_ENKUlT_T0_E_clISt17integral_constantIbLb1EES18_EEDaS13_S14_EUlS13_E_NS1_11comp_targetILNS1_3genE0ELNS1_11target_archE4294967295ELNS1_3gpuE0ELNS1_3repE0EEENS1_30default_config_static_selectorELNS0_4arch9wavefront6targetE0EEEvT1_ ; -- Begin function _ZN7rocprim17ROCPRIM_400000_NS6detail17trampoline_kernelINS0_14default_configENS1_25partition_config_selectorILNS1_17partition_subalgoE9EffbEEZZNS1_14partition_implILS5_9ELb0ES3_jN6thrust23THRUST_200600_302600_NS6detail15normal_iteratorINS9_10device_ptrIfEEEESE_PNS0_10empty_typeENS0_5tupleIJSE_SF_EEENSH_IJSE_SG_EEENS0_18inequality_wrapperINS9_8equal_toIfEEEEPmJSF_EEE10hipError_tPvRmT3_T4_T5_T6_T7_T9_mT8_P12ihipStream_tbDpT10_ENKUlT_T0_E_clISt17integral_constantIbLb1EES18_EEDaS13_S14_EUlS13_E_NS1_11comp_targetILNS1_3genE0ELNS1_11target_archE4294967295ELNS1_3gpuE0ELNS1_3repE0EEENS1_30default_config_static_selectorELNS0_4arch9wavefront6targetE0EEEvT1_
	.globl	_ZN7rocprim17ROCPRIM_400000_NS6detail17trampoline_kernelINS0_14default_configENS1_25partition_config_selectorILNS1_17partition_subalgoE9EffbEEZZNS1_14partition_implILS5_9ELb0ES3_jN6thrust23THRUST_200600_302600_NS6detail15normal_iteratorINS9_10device_ptrIfEEEESE_PNS0_10empty_typeENS0_5tupleIJSE_SF_EEENSH_IJSE_SG_EEENS0_18inequality_wrapperINS9_8equal_toIfEEEEPmJSF_EEE10hipError_tPvRmT3_T4_T5_T6_T7_T9_mT8_P12ihipStream_tbDpT10_ENKUlT_T0_E_clISt17integral_constantIbLb1EES18_EEDaS13_S14_EUlS13_E_NS1_11comp_targetILNS1_3genE0ELNS1_11target_archE4294967295ELNS1_3gpuE0ELNS1_3repE0EEENS1_30default_config_static_selectorELNS0_4arch9wavefront6targetE0EEEvT1_
	.p2align	8
	.type	_ZN7rocprim17ROCPRIM_400000_NS6detail17trampoline_kernelINS0_14default_configENS1_25partition_config_selectorILNS1_17partition_subalgoE9EffbEEZZNS1_14partition_implILS5_9ELb0ES3_jN6thrust23THRUST_200600_302600_NS6detail15normal_iteratorINS9_10device_ptrIfEEEESE_PNS0_10empty_typeENS0_5tupleIJSE_SF_EEENSH_IJSE_SG_EEENS0_18inequality_wrapperINS9_8equal_toIfEEEEPmJSF_EEE10hipError_tPvRmT3_T4_T5_T6_T7_T9_mT8_P12ihipStream_tbDpT10_ENKUlT_T0_E_clISt17integral_constantIbLb1EES18_EEDaS13_S14_EUlS13_E_NS1_11comp_targetILNS1_3genE0ELNS1_11target_archE4294967295ELNS1_3gpuE0ELNS1_3repE0EEENS1_30default_config_static_selectorELNS0_4arch9wavefront6targetE0EEEvT1_,@function
_ZN7rocprim17ROCPRIM_400000_NS6detail17trampoline_kernelINS0_14default_configENS1_25partition_config_selectorILNS1_17partition_subalgoE9EffbEEZZNS1_14partition_implILS5_9ELb0ES3_jN6thrust23THRUST_200600_302600_NS6detail15normal_iteratorINS9_10device_ptrIfEEEESE_PNS0_10empty_typeENS0_5tupleIJSE_SF_EEENSH_IJSE_SG_EEENS0_18inequality_wrapperINS9_8equal_toIfEEEEPmJSF_EEE10hipError_tPvRmT3_T4_T5_T6_T7_T9_mT8_P12ihipStream_tbDpT10_ENKUlT_T0_E_clISt17integral_constantIbLb1EES18_EEDaS13_S14_EUlS13_E_NS1_11comp_targetILNS1_3genE0ELNS1_11target_archE4294967295ELNS1_3gpuE0ELNS1_3repE0EEENS1_30default_config_static_selectorELNS0_4arch9wavefront6targetE0EEEvT1_: ; @_ZN7rocprim17ROCPRIM_400000_NS6detail17trampoline_kernelINS0_14default_configENS1_25partition_config_selectorILNS1_17partition_subalgoE9EffbEEZZNS1_14partition_implILS5_9ELb0ES3_jN6thrust23THRUST_200600_302600_NS6detail15normal_iteratorINS9_10device_ptrIfEEEESE_PNS0_10empty_typeENS0_5tupleIJSE_SF_EEENSH_IJSE_SG_EEENS0_18inequality_wrapperINS9_8equal_toIfEEEEPmJSF_EEE10hipError_tPvRmT3_T4_T5_T6_T7_T9_mT8_P12ihipStream_tbDpT10_ENKUlT_T0_E_clISt17integral_constantIbLb1EES18_EEDaS13_S14_EUlS13_E_NS1_11comp_targetILNS1_3genE0ELNS1_11target_archE4294967295ELNS1_3gpuE0ELNS1_3repE0EEENS1_30default_config_static_selectorELNS0_4arch9wavefront6targetE0EEEvT1_
; %bb.0:
	.section	.rodata,"a",@progbits
	.p2align	6, 0x0
	.amdhsa_kernel _ZN7rocprim17ROCPRIM_400000_NS6detail17trampoline_kernelINS0_14default_configENS1_25partition_config_selectorILNS1_17partition_subalgoE9EffbEEZZNS1_14partition_implILS5_9ELb0ES3_jN6thrust23THRUST_200600_302600_NS6detail15normal_iteratorINS9_10device_ptrIfEEEESE_PNS0_10empty_typeENS0_5tupleIJSE_SF_EEENSH_IJSE_SG_EEENS0_18inequality_wrapperINS9_8equal_toIfEEEEPmJSF_EEE10hipError_tPvRmT3_T4_T5_T6_T7_T9_mT8_P12ihipStream_tbDpT10_ENKUlT_T0_E_clISt17integral_constantIbLb1EES18_EEDaS13_S14_EUlS13_E_NS1_11comp_targetILNS1_3genE0ELNS1_11target_archE4294967295ELNS1_3gpuE0ELNS1_3repE0EEENS1_30default_config_static_selectorELNS0_4arch9wavefront6targetE0EEEvT1_
		.amdhsa_group_segment_fixed_size 0
		.amdhsa_private_segment_fixed_size 0
		.amdhsa_kernarg_size 128
		.amdhsa_user_sgpr_count 15
		.amdhsa_user_sgpr_dispatch_ptr 0
		.amdhsa_user_sgpr_queue_ptr 0
		.amdhsa_user_sgpr_kernarg_segment_ptr 1
		.amdhsa_user_sgpr_dispatch_id 0
		.amdhsa_user_sgpr_private_segment_size 0
		.amdhsa_wavefront_size32 1
		.amdhsa_uses_dynamic_stack 0
		.amdhsa_enable_private_segment 0
		.amdhsa_system_sgpr_workgroup_id_x 1
		.amdhsa_system_sgpr_workgroup_id_y 0
		.amdhsa_system_sgpr_workgroup_id_z 0
		.amdhsa_system_sgpr_workgroup_info 0
		.amdhsa_system_vgpr_workitem_id 0
		.amdhsa_next_free_vgpr 1
		.amdhsa_next_free_sgpr 1
		.amdhsa_reserve_vcc 0
		.amdhsa_float_round_mode_32 0
		.amdhsa_float_round_mode_16_64 0
		.amdhsa_float_denorm_mode_32 3
		.amdhsa_float_denorm_mode_16_64 3
		.amdhsa_dx10_clamp 1
		.amdhsa_ieee_mode 1
		.amdhsa_fp16_overflow 0
		.amdhsa_workgroup_processor_mode 1
		.amdhsa_memory_ordered 1
		.amdhsa_forward_progress 0
		.amdhsa_shared_vgpr_count 0
		.amdhsa_exception_fp_ieee_invalid_op 0
		.amdhsa_exception_fp_denorm_src 0
		.amdhsa_exception_fp_ieee_div_zero 0
		.amdhsa_exception_fp_ieee_overflow 0
		.amdhsa_exception_fp_ieee_underflow 0
		.amdhsa_exception_fp_ieee_inexact 0
		.amdhsa_exception_int_div_zero 0
	.end_amdhsa_kernel
	.section	.text._ZN7rocprim17ROCPRIM_400000_NS6detail17trampoline_kernelINS0_14default_configENS1_25partition_config_selectorILNS1_17partition_subalgoE9EffbEEZZNS1_14partition_implILS5_9ELb0ES3_jN6thrust23THRUST_200600_302600_NS6detail15normal_iteratorINS9_10device_ptrIfEEEESE_PNS0_10empty_typeENS0_5tupleIJSE_SF_EEENSH_IJSE_SG_EEENS0_18inequality_wrapperINS9_8equal_toIfEEEEPmJSF_EEE10hipError_tPvRmT3_T4_T5_T6_T7_T9_mT8_P12ihipStream_tbDpT10_ENKUlT_T0_E_clISt17integral_constantIbLb1EES18_EEDaS13_S14_EUlS13_E_NS1_11comp_targetILNS1_3genE0ELNS1_11target_archE4294967295ELNS1_3gpuE0ELNS1_3repE0EEENS1_30default_config_static_selectorELNS0_4arch9wavefront6targetE0EEEvT1_,"axG",@progbits,_ZN7rocprim17ROCPRIM_400000_NS6detail17trampoline_kernelINS0_14default_configENS1_25partition_config_selectorILNS1_17partition_subalgoE9EffbEEZZNS1_14partition_implILS5_9ELb0ES3_jN6thrust23THRUST_200600_302600_NS6detail15normal_iteratorINS9_10device_ptrIfEEEESE_PNS0_10empty_typeENS0_5tupleIJSE_SF_EEENSH_IJSE_SG_EEENS0_18inequality_wrapperINS9_8equal_toIfEEEEPmJSF_EEE10hipError_tPvRmT3_T4_T5_T6_T7_T9_mT8_P12ihipStream_tbDpT10_ENKUlT_T0_E_clISt17integral_constantIbLb1EES18_EEDaS13_S14_EUlS13_E_NS1_11comp_targetILNS1_3genE0ELNS1_11target_archE4294967295ELNS1_3gpuE0ELNS1_3repE0EEENS1_30default_config_static_selectorELNS0_4arch9wavefront6targetE0EEEvT1_,comdat
.Lfunc_end88:
	.size	_ZN7rocprim17ROCPRIM_400000_NS6detail17trampoline_kernelINS0_14default_configENS1_25partition_config_selectorILNS1_17partition_subalgoE9EffbEEZZNS1_14partition_implILS5_9ELb0ES3_jN6thrust23THRUST_200600_302600_NS6detail15normal_iteratorINS9_10device_ptrIfEEEESE_PNS0_10empty_typeENS0_5tupleIJSE_SF_EEENSH_IJSE_SG_EEENS0_18inequality_wrapperINS9_8equal_toIfEEEEPmJSF_EEE10hipError_tPvRmT3_T4_T5_T6_T7_T9_mT8_P12ihipStream_tbDpT10_ENKUlT_T0_E_clISt17integral_constantIbLb1EES18_EEDaS13_S14_EUlS13_E_NS1_11comp_targetILNS1_3genE0ELNS1_11target_archE4294967295ELNS1_3gpuE0ELNS1_3repE0EEENS1_30default_config_static_selectorELNS0_4arch9wavefront6targetE0EEEvT1_, .Lfunc_end88-_ZN7rocprim17ROCPRIM_400000_NS6detail17trampoline_kernelINS0_14default_configENS1_25partition_config_selectorILNS1_17partition_subalgoE9EffbEEZZNS1_14partition_implILS5_9ELb0ES3_jN6thrust23THRUST_200600_302600_NS6detail15normal_iteratorINS9_10device_ptrIfEEEESE_PNS0_10empty_typeENS0_5tupleIJSE_SF_EEENSH_IJSE_SG_EEENS0_18inequality_wrapperINS9_8equal_toIfEEEEPmJSF_EEE10hipError_tPvRmT3_T4_T5_T6_T7_T9_mT8_P12ihipStream_tbDpT10_ENKUlT_T0_E_clISt17integral_constantIbLb1EES18_EEDaS13_S14_EUlS13_E_NS1_11comp_targetILNS1_3genE0ELNS1_11target_archE4294967295ELNS1_3gpuE0ELNS1_3repE0EEENS1_30default_config_static_selectorELNS0_4arch9wavefront6targetE0EEEvT1_
                                        ; -- End function
	.section	.AMDGPU.csdata,"",@progbits
; Kernel info:
; codeLenInByte = 0
; NumSgprs: 0
; NumVgprs: 0
; ScratchSize: 0
; MemoryBound: 0
; FloatMode: 240
; IeeeMode: 1
; LDSByteSize: 0 bytes/workgroup (compile time only)
; SGPRBlocks: 0
; VGPRBlocks: 0
; NumSGPRsForWavesPerEU: 1
; NumVGPRsForWavesPerEU: 1
; Occupancy: 16
; WaveLimiterHint : 0
; COMPUTE_PGM_RSRC2:SCRATCH_EN: 0
; COMPUTE_PGM_RSRC2:USER_SGPR: 15
; COMPUTE_PGM_RSRC2:TRAP_HANDLER: 0
; COMPUTE_PGM_RSRC2:TGID_X_EN: 1
; COMPUTE_PGM_RSRC2:TGID_Y_EN: 0
; COMPUTE_PGM_RSRC2:TGID_Z_EN: 0
; COMPUTE_PGM_RSRC2:TIDIG_COMP_CNT: 0
	.section	.text._ZN7rocprim17ROCPRIM_400000_NS6detail17trampoline_kernelINS0_14default_configENS1_25partition_config_selectorILNS1_17partition_subalgoE9EffbEEZZNS1_14partition_implILS5_9ELb0ES3_jN6thrust23THRUST_200600_302600_NS6detail15normal_iteratorINS9_10device_ptrIfEEEESE_PNS0_10empty_typeENS0_5tupleIJSE_SF_EEENSH_IJSE_SG_EEENS0_18inequality_wrapperINS9_8equal_toIfEEEEPmJSF_EEE10hipError_tPvRmT3_T4_T5_T6_T7_T9_mT8_P12ihipStream_tbDpT10_ENKUlT_T0_E_clISt17integral_constantIbLb1EES18_EEDaS13_S14_EUlS13_E_NS1_11comp_targetILNS1_3genE5ELNS1_11target_archE942ELNS1_3gpuE9ELNS1_3repE0EEENS1_30default_config_static_selectorELNS0_4arch9wavefront6targetE0EEEvT1_,"axG",@progbits,_ZN7rocprim17ROCPRIM_400000_NS6detail17trampoline_kernelINS0_14default_configENS1_25partition_config_selectorILNS1_17partition_subalgoE9EffbEEZZNS1_14partition_implILS5_9ELb0ES3_jN6thrust23THRUST_200600_302600_NS6detail15normal_iteratorINS9_10device_ptrIfEEEESE_PNS0_10empty_typeENS0_5tupleIJSE_SF_EEENSH_IJSE_SG_EEENS0_18inequality_wrapperINS9_8equal_toIfEEEEPmJSF_EEE10hipError_tPvRmT3_T4_T5_T6_T7_T9_mT8_P12ihipStream_tbDpT10_ENKUlT_T0_E_clISt17integral_constantIbLb1EES18_EEDaS13_S14_EUlS13_E_NS1_11comp_targetILNS1_3genE5ELNS1_11target_archE942ELNS1_3gpuE9ELNS1_3repE0EEENS1_30default_config_static_selectorELNS0_4arch9wavefront6targetE0EEEvT1_,comdat
	.protected	_ZN7rocprim17ROCPRIM_400000_NS6detail17trampoline_kernelINS0_14default_configENS1_25partition_config_selectorILNS1_17partition_subalgoE9EffbEEZZNS1_14partition_implILS5_9ELb0ES3_jN6thrust23THRUST_200600_302600_NS6detail15normal_iteratorINS9_10device_ptrIfEEEESE_PNS0_10empty_typeENS0_5tupleIJSE_SF_EEENSH_IJSE_SG_EEENS0_18inequality_wrapperINS9_8equal_toIfEEEEPmJSF_EEE10hipError_tPvRmT3_T4_T5_T6_T7_T9_mT8_P12ihipStream_tbDpT10_ENKUlT_T0_E_clISt17integral_constantIbLb1EES18_EEDaS13_S14_EUlS13_E_NS1_11comp_targetILNS1_3genE5ELNS1_11target_archE942ELNS1_3gpuE9ELNS1_3repE0EEENS1_30default_config_static_selectorELNS0_4arch9wavefront6targetE0EEEvT1_ ; -- Begin function _ZN7rocprim17ROCPRIM_400000_NS6detail17trampoline_kernelINS0_14default_configENS1_25partition_config_selectorILNS1_17partition_subalgoE9EffbEEZZNS1_14partition_implILS5_9ELb0ES3_jN6thrust23THRUST_200600_302600_NS6detail15normal_iteratorINS9_10device_ptrIfEEEESE_PNS0_10empty_typeENS0_5tupleIJSE_SF_EEENSH_IJSE_SG_EEENS0_18inequality_wrapperINS9_8equal_toIfEEEEPmJSF_EEE10hipError_tPvRmT3_T4_T5_T6_T7_T9_mT8_P12ihipStream_tbDpT10_ENKUlT_T0_E_clISt17integral_constantIbLb1EES18_EEDaS13_S14_EUlS13_E_NS1_11comp_targetILNS1_3genE5ELNS1_11target_archE942ELNS1_3gpuE9ELNS1_3repE0EEENS1_30default_config_static_selectorELNS0_4arch9wavefront6targetE0EEEvT1_
	.globl	_ZN7rocprim17ROCPRIM_400000_NS6detail17trampoline_kernelINS0_14default_configENS1_25partition_config_selectorILNS1_17partition_subalgoE9EffbEEZZNS1_14partition_implILS5_9ELb0ES3_jN6thrust23THRUST_200600_302600_NS6detail15normal_iteratorINS9_10device_ptrIfEEEESE_PNS0_10empty_typeENS0_5tupleIJSE_SF_EEENSH_IJSE_SG_EEENS0_18inequality_wrapperINS9_8equal_toIfEEEEPmJSF_EEE10hipError_tPvRmT3_T4_T5_T6_T7_T9_mT8_P12ihipStream_tbDpT10_ENKUlT_T0_E_clISt17integral_constantIbLb1EES18_EEDaS13_S14_EUlS13_E_NS1_11comp_targetILNS1_3genE5ELNS1_11target_archE942ELNS1_3gpuE9ELNS1_3repE0EEENS1_30default_config_static_selectorELNS0_4arch9wavefront6targetE0EEEvT1_
	.p2align	8
	.type	_ZN7rocprim17ROCPRIM_400000_NS6detail17trampoline_kernelINS0_14default_configENS1_25partition_config_selectorILNS1_17partition_subalgoE9EffbEEZZNS1_14partition_implILS5_9ELb0ES3_jN6thrust23THRUST_200600_302600_NS6detail15normal_iteratorINS9_10device_ptrIfEEEESE_PNS0_10empty_typeENS0_5tupleIJSE_SF_EEENSH_IJSE_SG_EEENS0_18inequality_wrapperINS9_8equal_toIfEEEEPmJSF_EEE10hipError_tPvRmT3_T4_T5_T6_T7_T9_mT8_P12ihipStream_tbDpT10_ENKUlT_T0_E_clISt17integral_constantIbLb1EES18_EEDaS13_S14_EUlS13_E_NS1_11comp_targetILNS1_3genE5ELNS1_11target_archE942ELNS1_3gpuE9ELNS1_3repE0EEENS1_30default_config_static_selectorELNS0_4arch9wavefront6targetE0EEEvT1_,@function
_ZN7rocprim17ROCPRIM_400000_NS6detail17trampoline_kernelINS0_14default_configENS1_25partition_config_selectorILNS1_17partition_subalgoE9EffbEEZZNS1_14partition_implILS5_9ELb0ES3_jN6thrust23THRUST_200600_302600_NS6detail15normal_iteratorINS9_10device_ptrIfEEEESE_PNS0_10empty_typeENS0_5tupleIJSE_SF_EEENSH_IJSE_SG_EEENS0_18inequality_wrapperINS9_8equal_toIfEEEEPmJSF_EEE10hipError_tPvRmT3_T4_T5_T6_T7_T9_mT8_P12ihipStream_tbDpT10_ENKUlT_T0_E_clISt17integral_constantIbLb1EES18_EEDaS13_S14_EUlS13_E_NS1_11comp_targetILNS1_3genE5ELNS1_11target_archE942ELNS1_3gpuE9ELNS1_3repE0EEENS1_30default_config_static_selectorELNS0_4arch9wavefront6targetE0EEEvT1_: ; @_ZN7rocprim17ROCPRIM_400000_NS6detail17trampoline_kernelINS0_14default_configENS1_25partition_config_selectorILNS1_17partition_subalgoE9EffbEEZZNS1_14partition_implILS5_9ELb0ES3_jN6thrust23THRUST_200600_302600_NS6detail15normal_iteratorINS9_10device_ptrIfEEEESE_PNS0_10empty_typeENS0_5tupleIJSE_SF_EEENSH_IJSE_SG_EEENS0_18inequality_wrapperINS9_8equal_toIfEEEEPmJSF_EEE10hipError_tPvRmT3_T4_T5_T6_T7_T9_mT8_P12ihipStream_tbDpT10_ENKUlT_T0_E_clISt17integral_constantIbLb1EES18_EEDaS13_S14_EUlS13_E_NS1_11comp_targetILNS1_3genE5ELNS1_11target_archE942ELNS1_3gpuE9ELNS1_3repE0EEENS1_30default_config_static_selectorELNS0_4arch9wavefront6targetE0EEEvT1_
; %bb.0:
	.section	.rodata,"a",@progbits
	.p2align	6, 0x0
	.amdhsa_kernel _ZN7rocprim17ROCPRIM_400000_NS6detail17trampoline_kernelINS0_14default_configENS1_25partition_config_selectorILNS1_17partition_subalgoE9EffbEEZZNS1_14partition_implILS5_9ELb0ES3_jN6thrust23THRUST_200600_302600_NS6detail15normal_iteratorINS9_10device_ptrIfEEEESE_PNS0_10empty_typeENS0_5tupleIJSE_SF_EEENSH_IJSE_SG_EEENS0_18inequality_wrapperINS9_8equal_toIfEEEEPmJSF_EEE10hipError_tPvRmT3_T4_T5_T6_T7_T9_mT8_P12ihipStream_tbDpT10_ENKUlT_T0_E_clISt17integral_constantIbLb1EES18_EEDaS13_S14_EUlS13_E_NS1_11comp_targetILNS1_3genE5ELNS1_11target_archE942ELNS1_3gpuE9ELNS1_3repE0EEENS1_30default_config_static_selectorELNS0_4arch9wavefront6targetE0EEEvT1_
		.amdhsa_group_segment_fixed_size 0
		.amdhsa_private_segment_fixed_size 0
		.amdhsa_kernarg_size 128
		.amdhsa_user_sgpr_count 15
		.amdhsa_user_sgpr_dispatch_ptr 0
		.amdhsa_user_sgpr_queue_ptr 0
		.amdhsa_user_sgpr_kernarg_segment_ptr 1
		.amdhsa_user_sgpr_dispatch_id 0
		.amdhsa_user_sgpr_private_segment_size 0
		.amdhsa_wavefront_size32 1
		.amdhsa_uses_dynamic_stack 0
		.amdhsa_enable_private_segment 0
		.amdhsa_system_sgpr_workgroup_id_x 1
		.amdhsa_system_sgpr_workgroup_id_y 0
		.amdhsa_system_sgpr_workgroup_id_z 0
		.amdhsa_system_sgpr_workgroup_info 0
		.amdhsa_system_vgpr_workitem_id 0
		.amdhsa_next_free_vgpr 1
		.amdhsa_next_free_sgpr 1
		.amdhsa_reserve_vcc 0
		.amdhsa_float_round_mode_32 0
		.amdhsa_float_round_mode_16_64 0
		.amdhsa_float_denorm_mode_32 3
		.amdhsa_float_denorm_mode_16_64 3
		.amdhsa_dx10_clamp 1
		.amdhsa_ieee_mode 1
		.amdhsa_fp16_overflow 0
		.amdhsa_workgroup_processor_mode 1
		.amdhsa_memory_ordered 1
		.amdhsa_forward_progress 0
		.amdhsa_shared_vgpr_count 0
		.amdhsa_exception_fp_ieee_invalid_op 0
		.amdhsa_exception_fp_denorm_src 0
		.amdhsa_exception_fp_ieee_div_zero 0
		.amdhsa_exception_fp_ieee_overflow 0
		.amdhsa_exception_fp_ieee_underflow 0
		.amdhsa_exception_fp_ieee_inexact 0
		.amdhsa_exception_int_div_zero 0
	.end_amdhsa_kernel
	.section	.text._ZN7rocprim17ROCPRIM_400000_NS6detail17trampoline_kernelINS0_14default_configENS1_25partition_config_selectorILNS1_17partition_subalgoE9EffbEEZZNS1_14partition_implILS5_9ELb0ES3_jN6thrust23THRUST_200600_302600_NS6detail15normal_iteratorINS9_10device_ptrIfEEEESE_PNS0_10empty_typeENS0_5tupleIJSE_SF_EEENSH_IJSE_SG_EEENS0_18inequality_wrapperINS9_8equal_toIfEEEEPmJSF_EEE10hipError_tPvRmT3_T4_T5_T6_T7_T9_mT8_P12ihipStream_tbDpT10_ENKUlT_T0_E_clISt17integral_constantIbLb1EES18_EEDaS13_S14_EUlS13_E_NS1_11comp_targetILNS1_3genE5ELNS1_11target_archE942ELNS1_3gpuE9ELNS1_3repE0EEENS1_30default_config_static_selectorELNS0_4arch9wavefront6targetE0EEEvT1_,"axG",@progbits,_ZN7rocprim17ROCPRIM_400000_NS6detail17trampoline_kernelINS0_14default_configENS1_25partition_config_selectorILNS1_17partition_subalgoE9EffbEEZZNS1_14partition_implILS5_9ELb0ES3_jN6thrust23THRUST_200600_302600_NS6detail15normal_iteratorINS9_10device_ptrIfEEEESE_PNS0_10empty_typeENS0_5tupleIJSE_SF_EEENSH_IJSE_SG_EEENS0_18inequality_wrapperINS9_8equal_toIfEEEEPmJSF_EEE10hipError_tPvRmT3_T4_T5_T6_T7_T9_mT8_P12ihipStream_tbDpT10_ENKUlT_T0_E_clISt17integral_constantIbLb1EES18_EEDaS13_S14_EUlS13_E_NS1_11comp_targetILNS1_3genE5ELNS1_11target_archE942ELNS1_3gpuE9ELNS1_3repE0EEENS1_30default_config_static_selectorELNS0_4arch9wavefront6targetE0EEEvT1_,comdat
.Lfunc_end89:
	.size	_ZN7rocprim17ROCPRIM_400000_NS6detail17trampoline_kernelINS0_14default_configENS1_25partition_config_selectorILNS1_17partition_subalgoE9EffbEEZZNS1_14partition_implILS5_9ELb0ES3_jN6thrust23THRUST_200600_302600_NS6detail15normal_iteratorINS9_10device_ptrIfEEEESE_PNS0_10empty_typeENS0_5tupleIJSE_SF_EEENSH_IJSE_SG_EEENS0_18inequality_wrapperINS9_8equal_toIfEEEEPmJSF_EEE10hipError_tPvRmT3_T4_T5_T6_T7_T9_mT8_P12ihipStream_tbDpT10_ENKUlT_T0_E_clISt17integral_constantIbLb1EES18_EEDaS13_S14_EUlS13_E_NS1_11comp_targetILNS1_3genE5ELNS1_11target_archE942ELNS1_3gpuE9ELNS1_3repE0EEENS1_30default_config_static_selectorELNS0_4arch9wavefront6targetE0EEEvT1_, .Lfunc_end89-_ZN7rocprim17ROCPRIM_400000_NS6detail17trampoline_kernelINS0_14default_configENS1_25partition_config_selectorILNS1_17partition_subalgoE9EffbEEZZNS1_14partition_implILS5_9ELb0ES3_jN6thrust23THRUST_200600_302600_NS6detail15normal_iteratorINS9_10device_ptrIfEEEESE_PNS0_10empty_typeENS0_5tupleIJSE_SF_EEENSH_IJSE_SG_EEENS0_18inequality_wrapperINS9_8equal_toIfEEEEPmJSF_EEE10hipError_tPvRmT3_T4_T5_T6_T7_T9_mT8_P12ihipStream_tbDpT10_ENKUlT_T0_E_clISt17integral_constantIbLb1EES18_EEDaS13_S14_EUlS13_E_NS1_11comp_targetILNS1_3genE5ELNS1_11target_archE942ELNS1_3gpuE9ELNS1_3repE0EEENS1_30default_config_static_selectorELNS0_4arch9wavefront6targetE0EEEvT1_
                                        ; -- End function
	.section	.AMDGPU.csdata,"",@progbits
; Kernel info:
; codeLenInByte = 0
; NumSgprs: 0
; NumVgprs: 0
; ScratchSize: 0
; MemoryBound: 0
; FloatMode: 240
; IeeeMode: 1
; LDSByteSize: 0 bytes/workgroup (compile time only)
; SGPRBlocks: 0
; VGPRBlocks: 0
; NumSGPRsForWavesPerEU: 1
; NumVGPRsForWavesPerEU: 1
; Occupancy: 16
; WaveLimiterHint : 0
; COMPUTE_PGM_RSRC2:SCRATCH_EN: 0
; COMPUTE_PGM_RSRC2:USER_SGPR: 15
; COMPUTE_PGM_RSRC2:TRAP_HANDLER: 0
; COMPUTE_PGM_RSRC2:TGID_X_EN: 1
; COMPUTE_PGM_RSRC2:TGID_Y_EN: 0
; COMPUTE_PGM_RSRC2:TGID_Z_EN: 0
; COMPUTE_PGM_RSRC2:TIDIG_COMP_CNT: 0
	.section	.text._ZN7rocprim17ROCPRIM_400000_NS6detail17trampoline_kernelINS0_14default_configENS1_25partition_config_selectorILNS1_17partition_subalgoE9EffbEEZZNS1_14partition_implILS5_9ELb0ES3_jN6thrust23THRUST_200600_302600_NS6detail15normal_iteratorINS9_10device_ptrIfEEEESE_PNS0_10empty_typeENS0_5tupleIJSE_SF_EEENSH_IJSE_SG_EEENS0_18inequality_wrapperINS9_8equal_toIfEEEEPmJSF_EEE10hipError_tPvRmT3_T4_T5_T6_T7_T9_mT8_P12ihipStream_tbDpT10_ENKUlT_T0_E_clISt17integral_constantIbLb1EES18_EEDaS13_S14_EUlS13_E_NS1_11comp_targetILNS1_3genE4ELNS1_11target_archE910ELNS1_3gpuE8ELNS1_3repE0EEENS1_30default_config_static_selectorELNS0_4arch9wavefront6targetE0EEEvT1_,"axG",@progbits,_ZN7rocprim17ROCPRIM_400000_NS6detail17trampoline_kernelINS0_14default_configENS1_25partition_config_selectorILNS1_17partition_subalgoE9EffbEEZZNS1_14partition_implILS5_9ELb0ES3_jN6thrust23THRUST_200600_302600_NS6detail15normal_iteratorINS9_10device_ptrIfEEEESE_PNS0_10empty_typeENS0_5tupleIJSE_SF_EEENSH_IJSE_SG_EEENS0_18inequality_wrapperINS9_8equal_toIfEEEEPmJSF_EEE10hipError_tPvRmT3_T4_T5_T6_T7_T9_mT8_P12ihipStream_tbDpT10_ENKUlT_T0_E_clISt17integral_constantIbLb1EES18_EEDaS13_S14_EUlS13_E_NS1_11comp_targetILNS1_3genE4ELNS1_11target_archE910ELNS1_3gpuE8ELNS1_3repE0EEENS1_30default_config_static_selectorELNS0_4arch9wavefront6targetE0EEEvT1_,comdat
	.protected	_ZN7rocprim17ROCPRIM_400000_NS6detail17trampoline_kernelINS0_14default_configENS1_25partition_config_selectorILNS1_17partition_subalgoE9EffbEEZZNS1_14partition_implILS5_9ELb0ES3_jN6thrust23THRUST_200600_302600_NS6detail15normal_iteratorINS9_10device_ptrIfEEEESE_PNS0_10empty_typeENS0_5tupleIJSE_SF_EEENSH_IJSE_SG_EEENS0_18inequality_wrapperINS9_8equal_toIfEEEEPmJSF_EEE10hipError_tPvRmT3_T4_T5_T6_T7_T9_mT8_P12ihipStream_tbDpT10_ENKUlT_T0_E_clISt17integral_constantIbLb1EES18_EEDaS13_S14_EUlS13_E_NS1_11comp_targetILNS1_3genE4ELNS1_11target_archE910ELNS1_3gpuE8ELNS1_3repE0EEENS1_30default_config_static_selectorELNS0_4arch9wavefront6targetE0EEEvT1_ ; -- Begin function _ZN7rocprim17ROCPRIM_400000_NS6detail17trampoline_kernelINS0_14default_configENS1_25partition_config_selectorILNS1_17partition_subalgoE9EffbEEZZNS1_14partition_implILS5_9ELb0ES3_jN6thrust23THRUST_200600_302600_NS6detail15normal_iteratorINS9_10device_ptrIfEEEESE_PNS0_10empty_typeENS0_5tupleIJSE_SF_EEENSH_IJSE_SG_EEENS0_18inequality_wrapperINS9_8equal_toIfEEEEPmJSF_EEE10hipError_tPvRmT3_T4_T5_T6_T7_T9_mT8_P12ihipStream_tbDpT10_ENKUlT_T0_E_clISt17integral_constantIbLb1EES18_EEDaS13_S14_EUlS13_E_NS1_11comp_targetILNS1_3genE4ELNS1_11target_archE910ELNS1_3gpuE8ELNS1_3repE0EEENS1_30default_config_static_selectorELNS0_4arch9wavefront6targetE0EEEvT1_
	.globl	_ZN7rocprim17ROCPRIM_400000_NS6detail17trampoline_kernelINS0_14default_configENS1_25partition_config_selectorILNS1_17partition_subalgoE9EffbEEZZNS1_14partition_implILS5_9ELb0ES3_jN6thrust23THRUST_200600_302600_NS6detail15normal_iteratorINS9_10device_ptrIfEEEESE_PNS0_10empty_typeENS0_5tupleIJSE_SF_EEENSH_IJSE_SG_EEENS0_18inequality_wrapperINS9_8equal_toIfEEEEPmJSF_EEE10hipError_tPvRmT3_T4_T5_T6_T7_T9_mT8_P12ihipStream_tbDpT10_ENKUlT_T0_E_clISt17integral_constantIbLb1EES18_EEDaS13_S14_EUlS13_E_NS1_11comp_targetILNS1_3genE4ELNS1_11target_archE910ELNS1_3gpuE8ELNS1_3repE0EEENS1_30default_config_static_selectorELNS0_4arch9wavefront6targetE0EEEvT1_
	.p2align	8
	.type	_ZN7rocprim17ROCPRIM_400000_NS6detail17trampoline_kernelINS0_14default_configENS1_25partition_config_selectorILNS1_17partition_subalgoE9EffbEEZZNS1_14partition_implILS5_9ELb0ES3_jN6thrust23THRUST_200600_302600_NS6detail15normal_iteratorINS9_10device_ptrIfEEEESE_PNS0_10empty_typeENS0_5tupleIJSE_SF_EEENSH_IJSE_SG_EEENS0_18inequality_wrapperINS9_8equal_toIfEEEEPmJSF_EEE10hipError_tPvRmT3_T4_T5_T6_T7_T9_mT8_P12ihipStream_tbDpT10_ENKUlT_T0_E_clISt17integral_constantIbLb1EES18_EEDaS13_S14_EUlS13_E_NS1_11comp_targetILNS1_3genE4ELNS1_11target_archE910ELNS1_3gpuE8ELNS1_3repE0EEENS1_30default_config_static_selectorELNS0_4arch9wavefront6targetE0EEEvT1_,@function
_ZN7rocprim17ROCPRIM_400000_NS6detail17trampoline_kernelINS0_14default_configENS1_25partition_config_selectorILNS1_17partition_subalgoE9EffbEEZZNS1_14partition_implILS5_9ELb0ES3_jN6thrust23THRUST_200600_302600_NS6detail15normal_iteratorINS9_10device_ptrIfEEEESE_PNS0_10empty_typeENS0_5tupleIJSE_SF_EEENSH_IJSE_SG_EEENS0_18inequality_wrapperINS9_8equal_toIfEEEEPmJSF_EEE10hipError_tPvRmT3_T4_T5_T6_T7_T9_mT8_P12ihipStream_tbDpT10_ENKUlT_T0_E_clISt17integral_constantIbLb1EES18_EEDaS13_S14_EUlS13_E_NS1_11comp_targetILNS1_3genE4ELNS1_11target_archE910ELNS1_3gpuE8ELNS1_3repE0EEENS1_30default_config_static_selectorELNS0_4arch9wavefront6targetE0EEEvT1_: ; @_ZN7rocprim17ROCPRIM_400000_NS6detail17trampoline_kernelINS0_14default_configENS1_25partition_config_selectorILNS1_17partition_subalgoE9EffbEEZZNS1_14partition_implILS5_9ELb0ES3_jN6thrust23THRUST_200600_302600_NS6detail15normal_iteratorINS9_10device_ptrIfEEEESE_PNS0_10empty_typeENS0_5tupleIJSE_SF_EEENSH_IJSE_SG_EEENS0_18inequality_wrapperINS9_8equal_toIfEEEEPmJSF_EEE10hipError_tPvRmT3_T4_T5_T6_T7_T9_mT8_P12ihipStream_tbDpT10_ENKUlT_T0_E_clISt17integral_constantIbLb1EES18_EEDaS13_S14_EUlS13_E_NS1_11comp_targetILNS1_3genE4ELNS1_11target_archE910ELNS1_3gpuE8ELNS1_3repE0EEENS1_30default_config_static_selectorELNS0_4arch9wavefront6targetE0EEEvT1_
; %bb.0:
	.section	.rodata,"a",@progbits
	.p2align	6, 0x0
	.amdhsa_kernel _ZN7rocprim17ROCPRIM_400000_NS6detail17trampoline_kernelINS0_14default_configENS1_25partition_config_selectorILNS1_17partition_subalgoE9EffbEEZZNS1_14partition_implILS5_9ELb0ES3_jN6thrust23THRUST_200600_302600_NS6detail15normal_iteratorINS9_10device_ptrIfEEEESE_PNS0_10empty_typeENS0_5tupleIJSE_SF_EEENSH_IJSE_SG_EEENS0_18inequality_wrapperINS9_8equal_toIfEEEEPmJSF_EEE10hipError_tPvRmT3_T4_T5_T6_T7_T9_mT8_P12ihipStream_tbDpT10_ENKUlT_T0_E_clISt17integral_constantIbLb1EES18_EEDaS13_S14_EUlS13_E_NS1_11comp_targetILNS1_3genE4ELNS1_11target_archE910ELNS1_3gpuE8ELNS1_3repE0EEENS1_30default_config_static_selectorELNS0_4arch9wavefront6targetE0EEEvT1_
		.amdhsa_group_segment_fixed_size 0
		.amdhsa_private_segment_fixed_size 0
		.amdhsa_kernarg_size 128
		.amdhsa_user_sgpr_count 15
		.amdhsa_user_sgpr_dispatch_ptr 0
		.amdhsa_user_sgpr_queue_ptr 0
		.amdhsa_user_sgpr_kernarg_segment_ptr 1
		.amdhsa_user_sgpr_dispatch_id 0
		.amdhsa_user_sgpr_private_segment_size 0
		.amdhsa_wavefront_size32 1
		.amdhsa_uses_dynamic_stack 0
		.amdhsa_enable_private_segment 0
		.amdhsa_system_sgpr_workgroup_id_x 1
		.amdhsa_system_sgpr_workgroup_id_y 0
		.amdhsa_system_sgpr_workgroup_id_z 0
		.amdhsa_system_sgpr_workgroup_info 0
		.amdhsa_system_vgpr_workitem_id 0
		.amdhsa_next_free_vgpr 1
		.amdhsa_next_free_sgpr 1
		.amdhsa_reserve_vcc 0
		.amdhsa_float_round_mode_32 0
		.amdhsa_float_round_mode_16_64 0
		.amdhsa_float_denorm_mode_32 3
		.amdhsa_float_denorm_mode_16_64 3
		.amdhsa_dx10_clamp 1
		.amdhsa_ieee_mode 1
		.amdhsa_fp16_overflow 0
		.amdhsa_workgroup_processor_mode 1
		.amdhsa_memory_ordered 1
		.amdhsa_forward_progress 0
		.amdhsa_shared_vgpr_count 0
		.amdhsa_exception_fp_ieee_invalid_op 0
		.amdhsa_exception_fp_denorm_src 0
		.amdhsa_exception_fp_ieee_div_zero 0
		.amdhsa_exception_fp_ieee_overflow 0
		.amdhsa_exception_fp_ieee_underflow 0
		.amdhsa_exception_fp_ieee_inexact 0
		.amdhsa_exception_int_div_zero 0
	.end_amdhsa_kernel
	.section	.text._ZN7rocprim17ROCPRIM_400000_NS6detail17trampoline_kernelINS0_14default_configENS1_25partition_config_selectorILNS1_17partition_subalgoE9EffbEEZZNS1_14partition_implILS5_9ELb0ES3_jN6thrust23THRUST_200600_302600_NS6detail15normal_iteratorINS9_10device_ptrIfEEEESE_PNS0_10empty_typeENS0_5tupleIJSE_SF_EEENSH_IJSE_SG_EEENS0_18inequality_wrapperINS9_8equal_toIfEEEEPmJSF_EEE10hipError_tPvRmT3_T4_T5_T6_T7_T9_mT8_P12ihipStream_tbDpT10_ENKUlT_T0_E_clISt17integral_constantIbLb1EES18_EEDaS13_S14_EUlS13_E_NS1_11comp_targetILNS1_3genE4ELNS1_11target_archE910ELNS1_3gpuE8ELNS1_3repE0EEENS1_30default_config_static_selectorELNS0_4arch9wavefront6targetE0EEEvT1_,"axG",@progbits,_ZN7rocprim17ROCPRIM_400000_NS6detail17trampoline_kernelINS0_14default_configENS1_25partition_config_selectorILNS1_17partition_subalgoE9EffbEEZZNS1_14partition_implILS5_9ELb0ES3_jN6thrust23THRUST_200600_302600_NS6detail15normal_iteratorINS9_10device_ptrIfEEEESE_PNS0_10empty_typeENS0_5tupleIJSE_SF_EEENSH_IJSE_SG_EEENS0_18inequality_wrapperINS9_8equal_toIfEEEEPmJSF_EEE10hipError_tPvRmT3_T4_T5_T6_T7_T9_mT8_P12ihipStream_tbDpT10_ENKUlT_T0_E_clISt17integral_constantIbLb1EES18_EEDaS13_S14_EUlS13_E_NS1_11comp_targetILNS1_3genE4ELNS1_11target_archE910ELNS1_3gpuE8ELNS1_3repE0EEENS1_30default_config_static_selectorELNS0_4arch9wavefront6targetE0EEEvT1_,comdat
.Lfunc_end90:
	.size	_ZN7rocprim17ROCPRIM_400000_NS6detail17trampoline_kernelINS0_14default_configENS1_25partition_config_selectorILNS1_17partition_subalgoE9EffbEEZZNS1_14partition_implILS5_9ELb0ES3_jN6thrust23THRUST_200600_302600_NS6detail15normal_iteratorINS9_10device_ptrIfEEEESE_PNS0_10empty_typeENS0_5tupleIJSE_SF_EEENSH_IJSE_SG_EEENS0_18inequality_wrapperINS9_8equal_toIfEEEEPmJSF_EEE10hipError_tPvRmT3_T4_T5_T6_T7_T9_mT8_P12ihipStream_tbDpT10_ENKUlT_T0_E_clISt17integral_constantIbLb1EES18_EEDaS13_S14_EUlS13_E_NS1_11comp_targetILNS1_3genE4ELNS1_11target_archE910ELNS1_3gpuE8ELNS1_3repE0EEENS1_30default_config_static_selectorELNS0_4arch9wavefront6targetE0EEEvT1_, .Lfunc_end90-_ZN7rocprim17ROCPRIM_400000_NS6detail17trampoline_kernelINS0_14default_configENS1_25partition_config_selectorILNS1_17partition_subalgoE9EffbEEZZNS1_14partition_implILS5_9ELb0ES3_jN6thrust23THRUST_200600_302600_NS6detail15normal_iteratorINS9_10device_ptrIfEEEESE_PNS0_10empty_typeENS0_5tupleIJSE_SF_EEENSH_IJSE_SG_EEENS0_18inequality_wrapperINS9_8equal_toIfEEEEPmJSF_EEE10hipError_tPvRmT3_T4_T5_T6_T7_T9_mT8_P12ihipStream_tbDpT10_ENKUlT_T0_E_clISt17integral_constantIbLb1EES18_EEDaS13_S14_EUlS13_E_NS1_11comp_targetILNS1_3genE4ELNS1_11target_archE910ELNS1_3gpuE8ELNS1_3repE0EEENS1_30default_config_static_selectorELNS0_4arch9wavefront6targetE0EEEvT1_
                                        ; -- End function
	.section	.AMDGPU.csdata,"",@progbits
; Kernel info:
; codeLenInByte = 0
; NumSgprs: 0
; NumVgprs: 0
; ScratchSize: 0
; MemoryBound: 0
; FloatMode: 240
; IeeeMode: 1
; LDSByteSize: 0 bytes/workgroup (compile time only)
; SGPRBlocks: 0
; VGPRBlocks: 0
; NumSGPRsForWavesPerEU: 1
; NumVGPRsForWavesPerEU: 1
; Occupancy: 15
; WaveLimiterHint : 0
; COMPUTE_PGM_RSRC2:SCRATCH_EN: 0
; COMPUTE_PGM_RSRC2:USER_SGPR: 15
; COMPUTE_PGM_RSRC2:TRAP_HANDLER: 0
; COMPUTE_PGM_RSRC2:TGID_X_EN: 1
; COMPUTE_PGM_RSRC2:TGID_Y_EN: 0
; COMPUTE_PGM_RSRC2:TGID_Z_EN: 0
; COMPUTE_PGM_RSRC2:TIDIG_COMP_CNT: 0
	.section	.text._ZN7rocprim17ROCPRIM_400000_NS6detail17trampoline_kernelINS0_14default_configENS1_25partition_config_selectorILNS1_17partition_subalgoE9EffbEEZZNS1_14partition_implILS5_9ELb0ES3_jN6thrust23THRUST_200600_302600_NS6detail15normal_iteratorINS9_10device_ptrIfEEEESE_PNS0_10empty_typeENS0_5tupleIJSE_SF_EEENSH_IJSE_SG_EEENS0_18inequality_wrapperINS9_8equal_toIfEEEEPmJSF_EEE10hipError_tPvRmT3_T4_T5_T6_T7_T9_mT8_P12ihipStream_tbDpT10_ENKUlT_T0_E_clISt17integral_constantIbLb1EES18_EEDaS13_S14_EUlS13_E_NS1_11comp_targetILNS1_3genE3ELNS1_11target_archE908ELNS1_3gpuE7ELNS1_3repE0EEENS1_30default_config_static_selectorELNS0_4arch9wavefront6targetE0EEEvT1_,"axG",@progbits,_ZN7rocprim17ROCPRIM_400000_NS6detail17trampoline_kernelINS0_14default_configENS1_25partition_config_selectorILNS1_17partition_subalgoE9EffbEEZZNS1_14partition_implILS5_9ELb0ES3_jN6thrust23THRUST_200600_302600_NS6detail15normal_iteratorINS9_10device_ptrIfEEEESE_PNS0_10empty_typeENS0_5tupleIJSE_SF_EEENSH_IJSE_SG_EEENS0_18inequality_wrapperINS9_8equal_toIfEEEEPmJSF_EEE10hipError_tPvRmT3_T4_T5_T6_T7_T9_mT8_P12ihipStream_tbDpT10_ENKUlT_T0_E_clISt17integral_constantIbLb1EES18_EEDaS13_S14_EUlS13_E_NS1_11comp_targetILNS1_3genE3ELNS1_11target_archE908ELNS1_3gpuE7ELNS1_3repE0EEENS1_30default_config_static_selectorELNS0_4arch9wavefront6targetE0EEEvT1_,comdat
	.protected	_ZN7rocprim17ROCPRIM_400000_NS6detail17trampoline_kernelINS0_14default_configENS1_25partition_config_selectorILNS1_17partition_subalgoE9EffbEEZZNS1_14partition_implILS5_9ELb0ES3_jN6thrust23THRUST_200600_302600_NS6detail15normal_iteratorINS9_10device_ptrIfEEEESE_PNS0_10empty_typeENS0_5tupleIJSE_SF_EEENSH_IJSE_SG_EEENS0_18inequality_wrapperINS9_8equal_toIfEEEEPmJSF_EEE10hipError_tPvRmT3_T4_T5_T6_T7_T9_mT8_P12ihipStream_tbDpT10_ENKUlT_T0_E_clISt17integral_constantIbLb1EES18_EEDaS13_S14_EUlS13_E_NS1_11comp_targetILNS1_3genE3ELNS1_11target_archE908ELNS1_3gpuE7ELNS1_3repE0EEENS1_30default_config_static_selectorELNS0_4arch9wavefront6targetE0EEEvT1_ ; -- Begin function _ZN7rocprim17ROCPRIM_400000_NS6detail17trampoline_kernelINS0_14default_configENS1_25partition_config_selectorILNS1_17partition_subalgoE9EffbEEZZNS1_14partition_implILS5_9ELb0ES3_jN6thrust23THRUST_200600_302600_NS6detail15normal_iteratorINS9_10device_ptrIfEEEESE_PNS0_10empty_typeENS0_5tupleIJSE_SF_EEENSH_IJSE_SG_EEENS0_18inequality_wrapperINS9_8equal_toIfEEEEPmJSF_EEE10hipError_tPvRmT3_T4_T5_T6_T7_T9_mT8_P12ihipStream_tbDpT10_ENKUlT_T0_E_clISt17integral_constantIbLb1EES18_EEDaS13_S14_EUlS13_E_NS1_11comp_targetILNS1_3genE3ELNS1_11target_archE908ELNS1_3gpuE7ELNS1_3repE0EEENS1_30default_config_static_selectorELNS0_4arch9wavefront6targetE0EEEvT1_
	.globl	_ZN7rocprim17ROCPRIM_400000_NS6detail17trampoline_kernelINS0_14default_configENS1_25partition_config_selectorILNS1_17partition_subalgoE9EffbEEZZNS1_14partition_implILS5_9ELb0ES3_jN6thrust23THRUST_200600_302600_NS6detail15normal_iteratorINS9_10device_ptrIfEEEESE_PNS0_10empty_typeENS0_5tupleIJSE_SF_EEENSH_IJSE_SG_EEENS0_18inequality_wrapperINS9_8equal_toIfEEEEPmJSF_EEE10hipError_tPvRmT3_T4_T5_T6_T7_T9_mT8_P12ihipStream_tbDpT10_ENKUlT_T0_E_clISt17integral_constantIbLb1EES18_EEDaS13_S14_EUlS13_E_NS1_11comp_targetILNS1_3genE3ELNS1_11target_archE908ELNS1_3gpuE7ELNS1_3repE0EEENS1_30default_config_static_selectorELNS0_4arch9wavefront6targetE0EEEvT1_
	.p2align	8
	.type	_ZN7rocprim17ROCPRIM_400000_NS6detail17trampoline_kernelINS0_14default_configENS1_25partition_config_selectorILNS1_17partition_subalgoE9EffbEEZZNS1_14partition_implILS5_9ELb0ES3_jN6thrust23THRUST_200600_302600_NS6detail15normal_iteratorINS9_10device_ptrIfEEEESE_PNS0_10empty_typeENS0_5tupleIJSE_SF_EEENSH_IJSE_SG_EEENS0_18inequality_wrapperINS9_8equal_toIfEEEEPmJSF_EEE10hipError_tPvRmT3_T4_T5_T6_T7_T9_mT8_P12ihipStream_tbDpT10_ENKUlT_T0_E_clISt17integral_constantIbLb1EES18_EEDaS13_S14_EUlS13_E_NS1_11comp_targetILNS1_3genE3ELNS1_11target_archE908ELNS1_3gpuE7ELNS1_3repE0EEENS1_30default_config_static_selectorELNS0_4arch9wavefront6targetE0EEEvT1_,@function
_ZN7rocprim17ROCPRIM_400000_NS6detail17trampoline_kernelINS0_14default_configENS1_25partition_config_selectorILNS1_17partition_subalgoE9EffbEEZZNS1_14partition_implILS5_9ELb0ES3_jN6thrust23THRUST_200600_302600_NS6detail15normal_iteratorINS9_10device_ptrIfEEEESE_PNS0_10empty_typeENS0_5tupleIJSE_SF_EEENSH_IJSE_SG_EEENS0_18inequality_wrapperINS9_8equal_toIfEEEEPmJSF_EEE10hipError_tPvRmT3_T4_T5_T6_T7_T9_mT8_P12ihipStream_tbDpT10_ENKUlT_T0_E_clISt17integral_constantIbLb1EES18_EEDaS13_S14_EUlS13_E_NS1_11comp_targetILNS1_3genE3ELNS1_11target_archE908ELNS1_3gpuE7ELNS1_3repE0EEENS1_30default_config_static_selectorELNS0_4arch9wavefront6targetE0EEEvT1_: ; @_ZN7rocprim17ROCPRIM_400000_NS6detail17trampoline_kernelINS0_14default_configENS1_25partition_config_selectorILNS1_17partition_subalgoE9EffbEEZZNS1_14partition_implILS5_9ELb0ES3_jN6thrust23THRUST_200600_302600_NS6detail15normal_iteratorINS9_10device_ptrIfEEEESE_PNS0_10empty_typeENS0_5tupleIJSE_SF_EEENSH_IJSE_SG_EEENS0_18inequality_wrapperINS9_8equal_toIfEEEEPmJSF_EEE10hipError_tPvRmT3_T4_T5_T6_T7_T9_mT8_P12ihipStream_tbDpT10_ENKUlT_T0_E_clISt17integral_constantIbLb1EES18_EEDaS13_S14_EUlS13_E_NS1_11comp_targetILNS1_3genE3ELNS1_11target_archE908ELNS1_3gpuE7ELNS1_3repE0EEENS1_30default_config_static_selectorELNS0_4arch9wavefront6targetE0EEEvT1_
; %bb.0:
	.section	.rodata,"a",@progbits
	.p2align	6, 0x0
	.amdhsa_kernel _ZN7rocprim17ROCPRIM_400000_NS6detail17trampoline_kernelINS0_14default_configENS1_25partition_config_selectorILNS1_17partition_subalgoE9EffbEEZZNS1_14partition_implILS5_9ELb0ES3_jN6thrust23THRUST_200600_302600_NS6detail15normal_iteratorINS9_10device_ptrIfEEEESE_PNS0_10empty_typeENS0_5tupleIJSE_SF_EEENSH_IJSE_SG_EEENS0_18inequality_wrapperINS9_8equal_toIfEEEEPmJSF_EEE10hipError_tPvRmT3_T4_T5_T6_T7_T9_mT8_P12ihipStream_tbDpT10_ENKUlT_T0_E_clISt17integral_constantIbLb1EES18_EEDaS13_S14_EUlS13_E_NS1_11comp_targetILNS1_3genE3ELNS1_11target_archE908ELNS1_3gpuE7ELNS1_3repE0EEENS1_30default_config_static_selectorELNS0_4arch9wavefront6targetE0EEEvT1_
		.amdhsa_group_segment_fixed_size 0
		.amdhsa_private_segment_fixed_size 0
		.amdhsa_kernarg_size 128
		.amdhsa_user_sgpr_count 15
		.amdhsa_user_sgpr_dispatch_ptr 0
		.amdhsa_user_sgpr_queue_ptr 0
		.amdhsa_user_sgpr_kernarg_segment_ptr 1
		.amdhsa_user_sgpr_dispatch_id 0
		.amdhsa_user_sgpr_private_segment_size 0
		.amdhsa_wavefront_size32 1
		.amdhsa_uses_dynamic_stack 0
		.amdhsa_enable_private_segment 0
		.amdhsa_system_sgpr_workgroup_id_x 1
		.amdhsa_system_sgpr_workgroup_id_y 0
		.amdhsa_system_sgpr_workgroup_id_z 0
		.amdhsa_system_sgpr_workgroup_info 0
		.amdhsa_system_vgpr_workitem_id 0
		.amdhsa_next_free_vgpr 1
		.amdhsa_next_free_sgpr 1
		.amdhsa_reserve_vcc 0
		.amdhsa_float_round_mode_32 0
		.amdhsa_float_round_mode_16_64 0
		.amdhsa_float_denorm_mode_32 3
		.amdhsa_float_denorm_mode_16_64 3
		.amdhsa_dx10_clamp 1
		.amdhsa_ieee_mode 1
		.amdhsa_fp16_overflow 0
		.amdhsa_workgroup_processor_mode 1
		.amdhsa_memory_ordered 1
		.amdhsa_forward_progress 0
		.amdhsa_shared_vgpr_count 0
		.amdhsa_exception_fp_ieee_invalid_op 0
		.amdhsa_exception_fp_denorm_src 0
		.amdhsa_exception_fp_ieee_div_zero 0
		.amdhsa_exception_fp_ieee_overflow 0
		.amdhsa_exception_fp_ieee_underflow 0
		.amdhsa_exception_fp_ieee_inexact 0
		.amdhsa_exception_int_div_zero 0
	.end_amdhsa_kernel
	.section	.text._ZN7rocprim17ROCPRIM_400000_NS6detail17trampoline_kernelINS0_14default_configENS1_25partition_config_selectorILNS1_17partition_subalgoE9EffbEEZZNS1_14partition_implILS5_9ELb0ES3_jN6thrust23THRUST_200600_302600_NS6detail15normal_iteratorINS9_10device_ptrIfEEEESE_PNS0_10empty_typeENS0_5tupleIJSE_SF_EEENSH_IJSE_SG_EEENS0_18inequality_wrapperINS9_8equal_toIfEEEEPmJSF_EEE10hipError_tPvRmT3_T4_T5_T6_T7_T9_mT8_P12ihipStream_tbDpT10_ENKUlT_T0_E_clISt17integral_constantIbLb1EES18_EEDaS13_S14_EUlS13_E_NS1_11comp_targetILNS1_3genE3ELNS1_11target_archE908ELNS1_3gpuE7ELNS1_3repE0EEENS1_30default_config_static_selectorELNS0_4arch9wavefront6targetE0EEEvT1_,"axG",@progbits,_ZN7rocprim17ROCPRIM_400000_NS6detail17trampoline_kernelINS0_14default_configENS1_25partition_config_selectorILNS1_17partition_subalgoE9EffbEEZZNS1_14partition_implILS5_9ELb0ES3_jN6thrust23THRUST_200600_302600_NS6detail15normal_iteratorINS9_10device_ptrIfEEEESE_PNS0_10empty_typeENS0_5tupleIJSE_SF_EEENSH_IJSE_SG_EEENS0_18inequality_wrapperINS9_8equal_toIfEEEEPmJSF_EEE10hipError_tPvRmT3_T4_T5_T6_T7_T9_mT8_P12ihipStream_tbDpT10_ENKUlT_T0_E_clISt17integral_constantIbLb1EES18_EEDaS13_S14_EUlS13_E_NS1_11comp_targetILNS1_3genE3ELNS1_11target_archE908ELNS1_3gpuE7ELNS1_3repE0EEENS1_30default_config_static_selectorELNS0_4arch9wavefront6targetE0EEEvT1_,comdat
.Lfunc_end91:
	.size	_ZN7rocprim17ROCPRIM_400000_NS6detail17trampoline_kernelINS0_14default_configENS1_25partition_config_selectorILNS1_17partition_subalgoE9EffbEEZZNS1_14partition_implILS5_9ELb0ES3_jN6thrust23THRUST_200600_302600_NS6detail15normal_iteratorINS9_10device_ptrIfEEEESE_PNS0_10empty_typeENS0_5tupleIJSE_SF_EEENSH_IJSE_SG_EEENS0_18inequality_wrapperINS9_8equal_toIfEEEEPmJSF_EEE10hipError_tPvRmT3_T4_T5_T6_T7_T9_mT8_P12ihipStream_tbDpT10_ENKUlT_T0_E_clISt17integral_constantIbLb1EES18_EEDaS13_S14_EUlS13_E_NS1_11comp_targetILNS1_3genE3ELNS1_11target_archE908ELNS1_3gpuE7ELNS1_3repE0EEENS1_30default_config_static_selectorELNS0_4arch9wavefront6targetE0EEEvT1_, .Lfunc_end91-_ZN7rocprim17ROCPRIM_400000_NS6detail17trampoline_kernelINS0_14default_configENS1_25partition_config_selectorILNS1_17partition_subalgoE9EffbEEZZNS1_14partition_implILS5_9ELb0ES3_jN6thrust23THRUST_200600_302600_NS6detail15normal_iteratorINS9_10device_ptrIfEEEESE_PNS0_10empty_typeENS0_5tupleIJSE_SF_EEENSH_IJSE_SG_EEENS0_18inequality_wrapperINS9_8equal_toIfEEEEPmJSF_EEE10hipError_tPvRmT3_T4_T5_T6_T7_T9_mT8_P12ihipStream_tbDpT10_ENKUlT_T0_E_clISt17integral_constantIbLb1EES18_EEDaS13_S14_EUlS13_E_NS1_11comp_targetILNS1_3genE3ELNS1_11target_archE908ELNS1_3gpuE7ELNS1_3repE0EEENS1_30default_config_static_selectorELNS0_4arch9wavefront6targetE0EEEvT1_
                                        ; -- End function
	.section	.AMDGPU.csdata,"",@progbits
; Kernel info:
; codeLenInByte = 0
; NumSgprs: 0
; NumVgprs: 0
; ScratchSize: 0
; MemoryBound: 0
; FloatMode: 240
; IeeeMode: 1
; LDSByteSize: 0 bytes/workgroup (compile time only)
; SGPRBlocks: 0
; VGPRBlocks: 0
; NumSGPRsForWavesPerEU: 1
; NumVGPRsForWavesPerEU: 1
; Occupancy: 16
; WaveLimiterHint : 0
; COMPUTE_PGM_RSRC2:SCRATCH_EN: 0
; COMPUTE_PGM_RSRC2:USER_SGPR: 15
; COMPUTE_PGM_RSRC2:TRAP_HANDLER: 0
; COMPUTE_PGM_RSRC2:TGID_X_EN: 1
; COMPUTE_PGM_RSRC2:TGID_Y_EN: 0
; COMPUTE_PGM_RSRC2:TGID_Z_EN: 0
; COMPUTE_PGM_RSRC2:TIDIG_COMP_CNT: 0
	.section	.text._ZN7rocprim17ROCPRIM_400000_NS6detail17trampoline_kernelINS0_14default_configENS1_25partition_config_selectorILNS1_17partition_subalgoE9EffbEEZZNS1_14partition_implILS5_9ELb0ES3_jN6thrust23THRUST_200600_302600_NS6detail15normal_iteratorINS9_10device_ptrIfEEEESE_PNS0_10empty_typeENS0_5tupleIJSE_SF_EEENSH_IJSE_SG_EEENS0_18inequality_wrapperINS9_8equal_toIfEEEEPmJSF_EEE10hipError_tPvRmT3_T4_T5_T6_T7_T9_mT8_P12ihipStream_tbDpT10_ENKUlT_T0_E_clISt17integral_constantIbLb1EES18_EEDaS13_S14_EUlS13_E_NS1_11comp_targetILNS1_3genE2ELNS1_11target_archE906ELNS1_3gpuE6ELNS1_3repE0EEENS1_30default_config_static_selectorELNS0_4arch9wavefront6targetE0EEEvT1_,"axG",@progbits,_ZN7rocprim17ROCPRIM_400000_NS6detail17trampoline_kernelINS0_14default_configENS1_25partition_config_selectorILNS1_17partition_subalgoE9EffbEEZZNS1_14partition_implILS5_9ELb0ES3_jN6thrust23THRUST_200600_302600_NS6detail15normal_iteratorINS9_10device_ptrIfEEEESE_PNS0_10empty_typeENS0_5tupleIJSE_SF_EEENSH_IJSE_SG_EEENS0_18inequality_wrapperINS9_8equal_toIfEEEEPmJSF_EEE10hipError_tPvRmT3_T4_T5_T6_T7_T9_mT8_P12ihipStream_tbDpT10_ENKUlT_T0_E_clISt17integral_constantIbLb1EES18_EEDaS13_S14_EUlS13_E_NS1_11comp_targetILNS1_3genE2ELNS1_11target_archE906ELNS1_3gpuE6ELNS1_3repE0EEENS1_30default_config_static_selectorELNS0_4arch9wavefront6targetE0EEEvT1_,comdat
	.protected	_ZN7rocprim17ROCPRIM_400000_NS6detail17trampoline_kernelINS0_14default_configENS1_25partition_config_selectorILNS1_17partition_subalgoE9EffbEEZZNS1_14partition_implILS5_9ELb0ES3_jN6thrust23THRUST_200600_302600_NS6detail15normal_iteratorINS9_10device_ptrIfEEEESE_PNS0_10empty_typeENS0_5tupleIJSE_SF_EEENSH_IJSE_SG_EEENS0_18inequality_wrapperINS9_8equal_toIfEEEEPmJSF_EEE10hipError_tPvRmT3_T4_T5_T6_T7_T9_mT8_P12ihipStream_tbDpT10_ENKUlT_T0_E_clISt17integral_constantIbLb1EES18_EEDaS13_S14_EUlS13_E_NS1_11comp_targetILNS1_3genE2ELNS1_11target_archE906ELNS1_3gpuE6ELNS1_3repE0EEENS1_30default_config_static_selectorELNS0_4arch9wavefront6targetE0EEEvT1_ ; -- Begin function _ZN7rocprim17ROCPRIM_400000_NS6detail17trampoline_kernelINS0_14default_configENS1_25partition_config_selectorILNS1_17partition_subalgoE9EffbEEZZNS1_14partition_implILS5_9ELb0ES3_jN6thrust23THRUST_200600_302600_NS6detail15normal_iteratorINS9_10device_ptrIfEEEESE_PNS0_10empty_typeENS0_5tupleIJSE_SF_EEENSH_IJSE_SG_EEENS0_18inequality_wrapperINS9_8equal_toIfEEEEPmJSF_EEE10hipError_tPvRmT3_T4_T5_T6_T7_T9_mT8_P12ihipStream_tbDpT10_ENKUlT_T0_E_clISt17integral_constantIbLb1EES18_EEDaS13_S14_EUlS13_E_NS1_11comp_targetILNS1_3genE2ELNS1_11target_archE906ELNS1_3gpuE6ELNS1_3repE0EEENS1_30default_config_static_selectorELNS0_4arch9wavefront6targetE0EEEvT1_
	.globl	_ZN7rocprim17ROCPRIM_400000_NS6detail17trampoline_kernelINS0_14default_configENS1_25partition_config_selectorILNS1_17partition_subalgoE9EffbEEZZNS1_14partition_implILS5_9ELb0ES3_jN6thrust23THRUST_200600_302600_NS6detail15normal_iteratorINS9_10device_ptrIfEEEESE_PNS0_10empty_typeENS0_5tupleIJSE_SF_EEENSH_IJSE_SG_EEENS0_18inequality_wrapperINS9_8equal_toIfEEEEPmJSF_EEE10hipError_tPvRmT3_T4_T5_T6_T7_T9_mT8_P12ihipStream_tbDpT10_ENKUlT_T0_E_clISt17integral_constantIbLb1EES18_EEDaS13_S14_EUlS13_E_NS1_11comp_targetILNS1_3genE2ELNS1_11target_archE906ELNS1_3gpuE6ELNS1_3repE0EEENS1_30default_config_static_selectorELNS0_4arch9wavefront6targetE0EEEvT1_
	.p2align	8
	.type	_ZN7rocprim17ROCPRIM_400000_NS6detail17trampoline_kernelINS0_14default_configENS1_25partition_config_selectorILNS1_17partition_subalgoE9EffbEEZZNS1_14partition_implILS5_9ELb0ES3_jN6thrust23THRUST_200600_302600_NS6detail15normal_iteratorINS9_10device_ptrIfEEEESE_PNS0_10empty_typeENS0_5tupleIJSE_SF_EEENSH_IJSE_SG_EEENS0_18inequality_wrapperINS9_8equal_toIfEEEEPmJSF_EEE10hipError_tPvRmT3_T4_T5_T6_T7_T9_mT8_P12ihipStream_tbDpT10_ENKUlT_T0_E_clISt17integral_constantIbLb1EES18_EEDaS13_S14_EUlS13_E_NS1_11comp_targetILNS1_3genE2ELNS1_11target_archE906ELNS1_3gpuE6ELNS1_3repE0EEENS1_30default_config_static_selectorELNS0_4arch9wavefront6targetE0EEEvT1_,@function
_ZN7rocprim17ROCPRIM_400000_NS6detail17trampoline_kernelINS0_14default_configENS1_25partition_config_selectorILNS1_17partition_subalgoE9EffbEEZZNS1_14partition_implILS5_9ELb0ES3_jN6thrust23THRUST_200600_302600_NS6detail15normal_iteratorINS9_10device_ptrIfEEEESE_PNS0_10empty_typeENS0_5tupleIJSE_SF_EEENSH_IJSE_SG_EEENS0_18inequality_wrapperINS9_8equal_toIfEEEEPmJSF_EEE10hipError_tPvRmT3_T4_T5_T6_T7_T9_mT8_P12ihipStream_tbDpT10_ENKUlT_T0_E_clISt17integral_constantIbLb1EES18_EEDaS13_S14_EUlS13_E_NS1_11comp_targetILNS1_3genE2ELNS1_11target_archE906ELNS1_3gpuE6ELNS1_3repE0EEENS1_30default_config_static_selectorELNS0_4arch9wavefront6targetE0EEEvT1_: ; @_ZN7rocprim17ROCPRIM_400000_NS6detail17trampoline_kernelINS0_14default_configENS1_25partition_config_selectorILNS1_17partition_subalgoE9EffbEEZZNS1_14partition_implILS5_9ELb0ES3_jN6thrust23THRUST_200600_302600_NS6detail15normal_iteratorINS9_10device_ptrIfEEEESE_PNS0_10empty_typeENS0_5tupleIJSE_SF_EEENSH_IJSE_SG_EEENS0_18inequality_wrapperINS9_8equal_toIfEEEEPmJSF_EEE10hipError_tPvRmT3_T4_T5_T6_T7_T9_mT8_P12ihipStream_tbDpT10_ENKUlT_T0_E_clISt17integral_constantIbLb1EES18_EEDaS13_S14_EUlS13_E_NS1_11comp_targetILNS1_3genE2ELNS1_11target_archE906ELNS1_3gpuE6ELNS1_3repE0EEENS1_30default_config_static_selectorELNS0_4arch9wavefront6targetE0EEEvT1_
; %bb.0:
	.section	.rodata,"a",@progbits
	.p2align	6, 0x0
	.amdhsa_kernel _ZN7rocprim17ROCPRIM_400000_NS6detail17trampoline_kernelINS0_14default_configENS1_25partition_config_selectorILNS1_17partition_subalgoE9EffbEEZZNS1_14partition_implILS5_9ELb0ES3_jN6thrust23THRUST_200600_302600_NS6detail15normal_iteratorINS9_10device_ptrIfEEEESE_PNS0_10empty_typeENS0_5tupleIJSE_SF_EEENSH_IJSE_SG_EEENS0_18inequality_wrapperINS9_8equal_toIfEEEEPmJSF_EEE10hipError_tPvRmT3_T4_T5_T6_T7_T9_mT8_P12ihipStream_tbDpT10_ENKUlT_T0_E_clISt17integral_constantIbLb1EES18_EEDaS13_S14_EUlS13_E_NS1_11comp_targetILNS1_3genE2ELNS1_11target_archE906ELNS1_3gpuE6ELNS1_3repE0EEENS1_30default_config_static_selectorELNS0_4arch9wavefront6targetE0EEEvT1_
		.amdhsa_group_segment_fixed_size 0
		.amdhsa_private_segment_fixed_size 0
		.amdhsa_kernarg_size 128
		.amdhsa_user_sgpr_count 15
		.amdhsa_user_sgpr_dispatch_ptr 0
		.amdhsa_user_sgpr_queue_ptr 0
		.amdhsa_user_sgpr_kernarg_segment_ptr 1
		.amdhsa_user_sgpr_dispatch_id 0
		.amdhsa_user_sgpr_private_segment_size 0
		.amdhsa_wavefront_size32 1
		.amdhsa_uses_dynamic_stack 0
		.amdhsa_enable_private_segment 0
		.amdhsa_system_sgpr_workgroup_id_x 1
		.amdhsa_system_sgpr_workgroup_id_y 0
		.amdhsa_system_sgpr_workgroup_id_z 0
		.amdhsa_system_sgpr_workgroup_info 0
		.amdhsa_system_vgpr_workitem_id 0
		.amdhsa_next_free_vgpr 1
		.amdhsa_next_free_sgpr 1
		.amdhsa_reserve_vcc 0
		.amdhsa_float_round_mode_32 0
		.amdhsa_float_round_mode_16_64 0
		.amdhsa_float_denorm_mode_32 3
		.amdhsa_float_denorm_mode_16_64 3
		.amdhsa_dx10_clamp 1
		.amdhsa_ieee_mode 1
		.amdhsa_fp16_overflow 0
		.amdhsa_workgroup_processor_mode 1
		.amdhsa_memory_ordered 1
		.amdhsa_forward_progress 0
		.amdhsa_shared_vgpr_count 0
		.amdhsa_exception_fp_ieee_invalid_op 0
		.amdhsa_exception_fp_denorm_src 0
		.amdhsa_exception_fp_ieee_div_zero 0
		.amdhsa_exception_fp_ieee_overflow 0
		.amdhsa_exception_fp_ieee_underflow 0
		.amdhsa_exception_fp_ieee_inexact 0
		.amdhsa_exception_int_div_zero 0
	.end_amdhsa_kernel
	.section	.text._ZN7rocprim17ROCPRIM_400000_NS6detail17trampoline_kernelINS0_14default_configENS1_25partition_config_selectorILNS1_17partition_subalgoE9EffbEEZZNS1_14partition_implILS5_9ELb0ES3_jN6thrust23THRUST_200600_302600_NS6detail15normal_iteratorINS9_10device_ptrIfEEEESE_PNS0_10empty_typeENS0_5tupleIJSE_SF_EEENSH_IJSE_SG_EEENS0_18inequality_wrapperINS9_8equal_toIfEEEEPmJSF_EEE10hipError_tPvRmT3_T4_T5_T6_T7_T9_mT8_P12ihipStream_tbDpT10_ENKUlT_T0_E_clISt17integral_constantIbLb1EES18_EEDaS13_S14_EUlS13_E_NS1_11comp_targetILNS1_3genE2ELNS1_11target_archE906ELNS1_3gpuE6ELNS1_3repE0EEENS1_30default_config_static_selectorELNS0_4arch9wavefront6targetE0EEEvT1_,"axG",@progbits,_ZN7rocprim17ROCPRIM_400000_NS6detail17trampoline_kernelINS0_14default_configENS1_25partition_config_selectorILNS1_17partition_subalgoE9EffbEEZZNS1_14partition_implILS5_9ELb0ES3_jN6thrust23THRUST_200600_302600_NS6detail15normal_iteratorINS9_10device_ptrIfEEEESE_PNS0_10empty_typeENS0_5tupleIJSE_SF_EEENSH_IJSE_SG_EEENS0_18inequality_wrapperINS9_8equal_toIfEEEEPmJSF_EEE10hipError_tPvRmT3_T4_T5_T6_T7_T9_mT8_P12ihipStream_tbDpT10_ENKUlT_T0_E_clISt17integral_constantIbLb1EES18_EEDaS13_S14_EUlS13_E_NS1_11comp_targetILNS1_3genE2ELNS1_11target_archE906ELNS1_3gpuE6ELNS1_3repE0EEENS1_30default_config_static_selectorELNS0_4arch9wavefront6targetE0EEEvT1_,comdat
.Lfunc_end92:
	.size	_ZN7rocprim17ROCPRIM_400000_NS6detail17trampoline_kernelINS0_14default_configENS1_25partition_config_selectorILNS1_17partition_subalgoE9EffbEEZZNS1_14partition_implILS5_9ELb0ES3_jN6thrust23THRUST_200600_302600_NS6detail15normal_iteratorINS9_10device_ptrIfEEEESE_PNS0_10empty_typeENS0_5tupleIJSE_SF_EEENSH_IJSE_SG_EEENS0_18inequality_wrapperINS9_8equal_toIfEEEEPmJSF_EEE10hipError_tPvRmT3_T4_T5_T6_T7_T9_mT8_P12ihipStream_tbDpT10_ENKUlT_T0_E_clISt17integral_constantIbLb1EES18_EEDaS13_S14_EUlS13_E_NS1_11comp_targetILNS1_3genE2ELNS1_11target_archE906ELNS1_3gpuE6ELNS1_3repE0EEENS1_30default_config_static_selectorELNS0_4arch9wavefront6targetE0EEEvT1_, .Lfunc_end92-_ZN7rocprim17ROCPRIM_400000_NS6detail17trampoline_kernelINS0_14default_configENS1_25partition_config_selectorILNS1_17partition_subalgoE9EffbEEZZNS1_14partition_implILS5_9ELb0ES3_jN6thrust23THRUST_200600_302600_NS6detail15normal_iteratorINS9_10device_ptrIfEEEESE_PNS0_10empty_typeENS0_5tupleIJSE_SF_EEENSH_IJSE_SG_EEENS0_18inequality_wrapperINS9_8equal_toIfEEEEPmJSF_EEE10hipError_tPvRmT3_T4_T5_T6_T7_T9_mT8_P12ihipStream_tbDpT10_ENKUlT_T0_E_clISt17integral_constantIbLb1EES18_EEDaS13_S14_EUlS13_E_NS1_11comp_targetILNS1_3genE2ELNS1_11target_archE906ELNS1_3gpuE6ELNS1_3repE0EEENS1_30default_config_static_selectorELNS0_4arch9wavefront6targetE0EEEvT1_
                                        ; -- End function
	.section	.AMDGPU.csdata,"",@progbits
; Kernel info:
; codeLenInByte = 0
; NumSgprs: 0
; NumVgprs: 0
; ScratchSize: 0
; MemoryBound: 0
; FloatMode: 240
; IeeeMode: 1
; LDSByteSize: 0 bytes/workgroup (compile time only)
; SGPRBlocks: 0
; VGPRBlocks: 0
; NumSGPRsForWavesPerEU: 1
; NumVGPRsForWavesPerEU: 1
; Occupancy: 16
; WaveLimiterHint : 0
; COMPUTE_PGM_RSRC2:SCRATCH_EN: 0
; COMPUTE_PGM_RSRC2:USER_SGPR: 15
; COMPUTE_PGM_RSRC2:TRAP_HANDLER: 0
; COMPUTE_PGM_RSRC2:TGID_X_EN: 1
; COMPUTE_PGM_RSRC2:TGID_Y_EN: 0
; COMPUTE_PGM_RSRC2:TGID_Z_EN: 0
; COMPUTE_PGM_RSRC2:TIDIG_COMP_CNT: 0
	.section	.text._ZN7rocprim17ROCPRIM_400000_NS6detail17trampoline_kernelINS0_14default_configENS1_25partition_config_selectorILNS1_17partition_subalgoE9EffbEEZZNS1_14partition_implILS5_9ELb0ES3_jN6thrust23THRUST_200600_302600_NS6detail15normal_iteratorINS9_10device_ptrIfEEEESE_PNS0_10empty_typeENS0_5tupleIJSE_SF_EEENSH_IJSE_SG_EEENS0_18inequality_wrapperINS9_8equal_toIfEEEEPmJSF_EEE10hipError_tPvRmT3_T4_T5_T6_T7_T9_mT8_P12ihipStream_tbDpT10_ENKUlT_T0_E_clISt17integral_constantIbLb1EES18_EEDaS13_S14_EUlS13_E_NS1_11comp_targetILNS1_3genE10ELNS1_11target_archE1200ELNS1_3gpuE4ELNS1_3repE0EEENS1_30default_config_static_selectorELNS0_4arch9wavefront6targetE0EEEvT1_,"axG",@progbits,_ZN7rocprim17ROCPRIM_400000_NS6detail17trampoline_kernelINS0_14default_configENS1_25partition_config_selectorILNS1_17partition_subalgoE9EffbEEZZNS1_14partition_implILS5_9ELb0ES3_jN6thrust23THRUST_200600_302600_NS6detail15normal_iteratorINS9_10device_ptrIfEEEESE_PNS0_10empty_typeENS0_5tupleIJSE_SF_EEENSH_IJSE_SG_EEENS0_18inequality_wrapperINS9_8equal_toIfEEEEPmJSF_EEE10hipError_tPvRmT3_T4_T5_T6_T7_T9_mT8_P12ihipStream_tbDpT10_ENKUlT_T0_E_clISt17integral_constantIbLb1EES18_EEDaS13_S14_EUlS13_E_NS1_11comp_targetILNS1_3genE10ELNS1_11target_archE1200ELNS1_3gpuE4ELNS1_3repE0EEENS1_30default_config_static_selectorELNS0_4arch9wavefront6targetE0EEEvT1_,comdat
	.protected	_ZN7rocprim17ROCPRIM_400000_NS6detail17trampoline_kernelINS0_14default_configENS1_25partition_config_selectorILNS1_17partition_subalgoE9EffbEEZZNS1_14partition_implILS5_9ELb0ES3_jN6thrust23THRUST_200600_302600_NS6detail15normal_iteratorINS9_10device_ptrIfEEEESE_PNS0_10empty_typeENS0_5tupleIJSE_SF_EEENSH_IJSE_SG_EEENS0_18inequality_wrapperINS9_8equal_toIfEEEEPmJSF_EEE10hipError_tPvRmT3_T4_T5_T6_T7_T9_mT8_P12ihipStream_tbDpT10_ENKUlT_T0_E_clISt17integral_constantIbLb1EES18_EEDaS13_S14_EUlS13_E_NS1_11comp_targetILNS1_3genE10ELNS1_11target_archE1200ELNS1_3gpuE4ELNS1_3repE0EEENS1_30default_config_static_selectorELNS0_4arch9wavefront6targetE0EEEvT1_ ; -- Begin function _ZN7rocprim17ROCPRIM_400000_NS6detail17trampoline_kernelINS0_14default_configENS1_25partition_config_selectorILNS1_17partition_subalgoE9EffbEEZZNS1_14partition_implILS5_9ELb0ES3_jN6thrust23THRUST_200600_302600_NS6detail15normal_iteratorINS9_10device_ptrIfEEEESE_PNS0_10empty_typeENS0_5tupleIJSE_SF_EEENSH_IJSE_SG_EEENS0_18inequality_wrapperINS9_8equal_toIfEEEEPmJSF_EEE10hipError_tPvRmT3_T4_T5_T6_T7_T9_mT8_P12ihipStream_tbDpT10_ENKUlT_T0_E_clISt17integral_constantIbLb1EES18_EEDaS13_S14_EUlS13_E_NS1_11comp_targetILNS1_3genE10ELNS1_11target_archE1200ELNS1_3gpuE4ELNS1_3repE0EEENS1_30default_config_static_selectorELNS0_4arch9wavefront6targetE0EEEvT1_
	.globl	_ZN7rocprim17ROCPRIM_400000_NS6detail17trampoline_kernelINS0_14default_configENS1_25partition_config_selectorILNS1_17partition_subalgoE9EffbEEZZNS1_14partition_implILS5_9ELb0ES3_jN6thrust23THRUST_200600_302600_NS6detail15normal_iteratorINS9_10device_ptrIfEEEESE_PNS0_10empty_typeENS0_5tupleIJSE_SF_EEENSH_IJSE_SG_EEENS0_18inequality_wrapperINS9_8equal_toIfEEEEPmJSF_EEE10hipError_tPvRmT3_T4_T5_T6_T7_T9_mT8_P12ihipStream_tbDpT10_ENKUlT_T0_E_clISt17integral_constantIbLb1EES18_EEDaS13_S14_EUlS13_E_NS1_11comp_targetILNS1_3genE10ELNS1_11target_archE1200ELNS1_3gpuE4ELNS1_3repE0EEENS1_30default_config_static_selectorELNS0_4arch9wavefront6targetE0EEEvT1_
	.p2align	8
	.type	_ZN7rocprim17ROCPRIM_400000_NS6detail17trampoline_kernelINS0_14default_configENS1_25partition_config_selectorILNS1_17partition_subalgoE9EffbEEZZNS1_14partition_implILS5_9ELb0ES3_jN6thrust23THRUST_200600_302600_NS6detail15normal_iteratorINS9_10device_ptrIfEEEESE_PNS0_10empty_typeENS0_5tupleIJSE_SF_EEENSH_IJSE_SG_EEENS0_18inequality_wrapperINS9_8equal_toIfEEEEPmJSF_EEE10hipError_tPvRmT3_T4_T5_T6_T7_T9_mT8_P12ihipStream_tbDpT10_ENKUlT_T0_E_clISt17integral_constantIbLb1EES18_EEDaS13_S14_EUlS13_E_NS1_11comp_targetILNS1_3genE10ELNS1_11target_archE1200ELNS1_3gpuE4ELNS1_3repE0EEENS1_30default_config_static_selectorELNS0_4arch9wavefront6targetE0EEEvT1_,@function
_ZN7rocprim17ROCPRIM_400000_NS6detail17trampoline_kernelINS0_14default_configENS1_25partition_config_selectorILNS1_17partition_subalgoE9EffbEEZZNS1_14partition_implILS5_9ELb0ES3_jN6thrust23THRUST_200600_302600_NS6detail15normal_iteratorINS9_10device_ptrIfEEEESE_PNS0_10empty_typeENS0_5tupleIJSE_SF_EEENSH_IJSE_SG_EEENS0_18inequality_wrapperINS9_8equal_toIfEEEEPmJSF_EEE10hipError_tPvRmT3_T4_T5_T6_T7_T9_mT8_P12ihipStream_tbDpT10_ENKUlT_T0_E_clISt17integral_constantIbLb1EES18_EEDaS13_S14_EUlS13_E_NS1_11comp_targetILNS1_3genE10ELNS1_11target_archE1200ELNS1_3gpuE4ELNS1_3repE0EEENS1_30default_config_static_selectorELNS0_4arch9wavefront6targetE0EEEvT1_: ; @_ZN7rocprim17ROCPRIM_400000_NS6detail17trampoline_kernelINS0_14default_configENS1_25partition_config_selectorILNS1_17partition_subalgoE9EffbEEZZNS1_14partition_implILS5_9ELb0ES3_jN6thrust23THRUST_200600_302600_NS6detail15normal_iteratorINS9_10device_ptrIfEEEESE_PNS0_10empty_typeENS0_5tupleIJSE_SF_EEENSH_IJSE_SG_EEENS0_18inequality_wrapperINS9_8equal_toIfEEEEPmJSF_EEE10hipError_tPvRmT3_T4_T5_T6_T7_T9_mT8_P12ihipStream_tbDpT10_ENKUlT_T0_E_clISt17integral_constantIbLb1EES18_EEDaS13_S14_EUlS13_E_NS1_11comp_targetILNS1_3genE10ELNS1_11target_archE1200ELNS1_3gpuE4ELNS1_3repE0EEENS1_30default_config_static_selectorELNS0_4arch9wavefront6targetE0EEEvT1_
; %bb.0:
	.section	.rodata,"a",@progbits
	.p2align	6, 0x0
	.amdhsa_kernel _ZN7rocprim17ROCPRIM_400000_NS6detail17trampoline_kernelINS0_14default_configENS1_25partition_config_selectorILNS1_17partition_subalgoE9EffbEEZZNS1_14partition_implILS5_9ELb0ES3_jN6thrust23THRUST_200600_302600_NS6detail15normal_iteratorINS9_10device_ptrIfEEEESE_PNS0_10empty_typeENS0_5tupleIJSE_SF_EEENSH_IJSE_SG_EEENS0_18inequality_wrapperINS9_8equal_toIfEEEEPmJSF_EEE10hipError_tPvRmT3_T4_T5_T6_T7_T9_mT8_P12ihipStream_tbDpT10_ENKUlT_T0_E_clISt17integral_constantIbLb1EES18_EEDaS13_S14_EUlS13_E_NS1_11comp_targetILNS1_3genE10ELNS1_11target_archE1200ELNS1_3gpuE4ELNS1_3repE0EEENS1_30default_config_static_selectorELNS0_4arch9wavefront6targetE0EEEvT1_
		.amdhsa_group_segment_fixed_size 0
		.amdhsa_private_segment_fixed_size 0
		.amdhsa_kernarg_size 128
		.amdhsa_user_sgpr_count 15
		.amdhsa_user_sgpr_dispatch_ptr 0
		.amdhsa_user_sgpr_queue_ptr 0
		.amdhsa_user_sgpr_kernarg_segment_ptr 1
		.amdhsa_user_sgpr_dispatch_id 0
		.amdhsa_user_sgpr_private_segment_size 0
		.amdhsa_wavefront_size32 1
		.amdhsa_uses_dynamic_stack 0
		.amdhsa_enable_private_segment 0
		.amdhsa_system_sgpr_workgroup_id_x 1
		.amdhsa_system_sgpr_workgroup_id_y 0
		.amdhsa_system_sgpr_workgroup_id_z 0
		.amdhsa_system_sgpr_workgroup_info 0
		.amdhsa_system_vgpr_workitem_id 0
		.amdhsa_next_free_vgpr 1
		.amdhsa_next_free_sgpr 1
		.amdhsa_reserve_vcc 0
		.amdhsa_float_round_mode_32 0
		.amdhsa_float_round_mode_16_64 0
		.amdhsa_float_denorm_mode_32 3
		.amdhsa_float_denorm_mode_16_64 3
		.amdhsa_dx10_clamp 1
		.amdhsa_ieee_mode 1
		.amdhsa_fp16_overflow 0
		.amdhsa_workgroup_processor_mode 1
		.amdhsa_memory_ordered 1
		.amdhsa_forward_progress 0
		.amdhsa_shared_vgpr_count 0
		.amdhsa_exception_fp_ieee_invalid_op 0
		.amdhsa_exception_fp_denorm_src 0
		.amdhsa_exception_fp_ieee_div_zero 0
		.amdhsa_exception_fp_ieee_overflow 0
		.amdhsa_exception_fp_ieee_underflow 0
		.amdhsa_exception_fp_ieee_inexact 0
		.amdhsa_exception_int_div_zero 0
	.end_amdhsa_kernel
	.section	.text._ZN7rocprim17ROCPRIM_400000_NS6detail17trampoline_kernelINS0_14default_configENS1_25partition_config_selectorILNS1_17partition_subalgoE9EffbEEZZNS1_14partition_implILS5_9ELb0ES3_jN6thrust23THRUST_200600_302600_NS6detail15normal_iteratorINS9_10device_ptrIfEEEESE_PNS0_10empty_typeENS0_5tupleIJSE_SF_EEENSH_IJSE_SG_EEENS0_18inequality_wrapperINS9_8equal_toIfEEEEPmJSF_EEE10hipError_tPvRmT3_T4_T5_T6_T7_T9_mT8_P12ihipStream_tbDpT10_ENKUlT_T0_E_clISt17integral_constantIbLb1EES18_EEDaS13_S14_EUlS13_E_NS1_11comp_targetILNS1_3genE10ELNS1_11target_archE1200ELNS1_3gpuE4ELNS1_3repE0EEENS1_30default_config_static_selectorELNS0_4arch9wavefront6targetE0EEEvT1_,"axG",@progbits,_ZN7rocprim17ROCPRIM_400000_NS6detail17trampoline_kernelINS0_14default_configENS1_25partition_config_selectorILNS1_17partition_subalgoE9EffbEEZZNS1_14partition_implILS5_9ELb0ES3_jN6thrust23THRUST_200600_302600_NS6detail15normal_iteratorINS9_10device_ptrIfEEEESE_PNS0_10empty_typeENS0_5tupleIJSE_SF_EEENSH_IJSE_SG_EEENS0_18inequality_wrapperINS9_8equal_toIfEEEEPmJSF_EEE10hipError_tPvRmT3_T4_T5_T6_T7_T9_mT8_P12ihipStream_tbDpT10_ENKUlT_T0_E_clISt17integral_constantIbLb1EES18_EEDaS13_S14_EUlS13_E_NS1_11comp_targetILNS1_3genE10ELNS1_11target_archE1200ELNS1_3gpuE4ELNS1_3repE0EEENS1_30default_config_static_selectorELNS0_4arch9wavefront6targetE0EEEvT1_,comdat
.Lfunc_end93:
	.size	_ZN7rocprim17ROCPRIM_400000_NS6detail17trampoline_kernelINS0_14default_configENS1_25partition_config_selectorILNS1_17partition_subalgoE9EffbEEZZNS1_14partition_implILS5_9ELb0ES3_jN6thrust23THRUST_200600_302600_NS6detail15normal_iteratorINS9_10device_ptrIfEEEESE_PNS0_10empty_typeENS0_5tupleIJSE_SF_EEENSH_IJSE_SG_EEENS0_18inequality_wrapperINS9_8equal_toIfEEEEPmJSF_EEE10hipError_tPvRmT3_T4_T5_T6_T7_T9_mT8_P12ihipStream_tbDpT10_ENKUlT_T0_E_clISt17integral_constantIbLb1EES18_EEDaS13_S14_EUlS13_E_NS1_11comp_targetILNS1_3genE10ELNS1_11target_archE1200ELNS1_3gpuE4ELNS1_3repE0EEENS1_30default_config_static_selectorELNS0_4arch9wavefront6targetE0EEEvT1_, .Lfunc_end93-_ZN7rocprim17ROCPRIM_400000_NS6detail17trampoline_kernelINS0_14default_configENS1_25partition_config_selectorILNS1_17partition_subalgoE9EffbEEZZNS1_14partition_implILS5_9ELb0ES3_jN6thrust23THRUST_200600_302600_NS6detail15normal_iteratorINS9_10device_ptrIfEEEESE_PNS0_10empty_typeENS0_5tupleIJSE_SF_EEENSH_IJSE_SG_EEENS0_18inequality_wrapperINS9_8equal_toIfEEEEPmJSF_EEE10hipError_tPvRmT3_T4_T5_T6_T7_T9_mT8_P12ihipStream_tbDpT10_ENKUlT_T0_E_clISt17integral_constantIbLb1EES18_EEDaS13_S14_EUlS13_E_NS1_11comp_targetILNS1_3genE10ELNS1_11target_archE1200ELNS1_3gpuE4ELNS1_3repE0EEENS1_30default_config_static_selectorELNS0_4arch9wavefront6targetE0EEEvT1_
                                        ; -- End function
	.section	.AMDGPU.csdata,"",@progbits
; Kernel info:
; codeLenInByte = 0
; NumSgprs: 0
; NumVgprs: 0
; ScratchSize: 0
; MemoryBound: 0
; FloatMode: 240
; IeeeMode: 1
; LDSByteSize: 0 bytes/workgroup (compile time only)
; SGPRBlocks: 0
; VGPRBlocks: 0
; NumSGPRsForWavesPerEU: 1
; NumVGPRsForWavesPerEU: 1
; Occupancy: 15
; WaveLimiterHint : 0
; COMPUTE_PGM_RSRC2:SCRATCH_EN: 0
; COMPUTE_PGM_RSRC2:USER_SGPR: 15
; COMPUTE_PGM_RSRC2:TRAP_HANDLER: 0
; COMPUTE_PGM_RSRC2:TGID_X_EN: 1
; COMPUTE_PGM_RSRC2:TGID_Y_EN: 0
; COMPUTE_PGM_RSRC2:TGID_Z_EN: 0
; COMPUTE_PGM_RSRC2:TIDIG_COMP_CNT: 0
	.section	.text._ZN7rocprim17ROCPRIM_400000_NS6detail17trampoline_kernelINS0_14default_configENS1_25partition_config_selectorILNS1_17partition_subalgoE9EffbEEZZNS1_14partition_implILS5_9ELb0ES3_jN6thrust23THRUST_200600_302600_NS6detail15normal_iteratorINS9_10device_ptrIfEEEESE_PNS0_10empty_typeENS0_5tupleIJSE_SF_EEENSH_IJSE_SG_EEENS0_18inequality_wrapperINS9_8equal_toIfEEEEPmJSF_EEE10hipError_tPvRmT3_T4_T5_T6_T7_T9_mT8_P12ihipStream_tbDpT10_ENKUlT_T0_E_clISt17integral_constantIbLb1EES18_EEDaS13_S14_EUlS13_E_NS1_11comp_targetILNS1_3genE9ELNS1_11target_archE1100ELNS1_3gpuE3ELNS1_3repE0EEENS1_30default_config_static_selectorELNS0_4arch9wavefront6targetE0EEEvT1_,"axG",@progbits,_ZN7rocprim17ROCPRIM_400000_NS6detail17trampoline_kernelINS0_14default_configENS1_25partition_config_selectorILNS1_17partition_subalgoE9EffbEEZZNS1_14partition_implILS5_9ELb0ES3_jN6thrust23THRUST_200600_302600_NS6detail15normal_iteratorINS9_10device_ptrIfEEEESE_PNS0_10empty_typeENS0_5tupleIJSE_SF_EEENSH_IJSE_SG_EEENS0_18inequality_wrapperINS9_8equal_toIfEEEEPmJSF_EEE10hipError_tPvRmT3_T4_T5_T6_T7_T9_mT8_P12ihipStream_tbDpT10_ENKUlT_T0_E_clISt17integral_constantIbLb1EES18_EEDaS13_S14_EUlS13_E_NS1_11comp_targetILNS1_3genE9ELNS1_11target_archE1100ELNS1_3gpuE3ELNS1_3repE0EEENS1_30default_config_static_selectorELNS0_4arch9wavefront6targetE0EEEvT1_,comdat
	.protected	_ZN7rocprim17ROCPRIM_400000_NS6detail17trampoline_kernelINS0_14default_configENS1_25partition_config_selectorILNS1_17partition_subalgoE9EffbEEZZNS1_14partition_implILS5_9ELb0ES3_jN6thrust23THRUST_200600_302600_NS6detail15normal_iteratorINS9_10device_ptrIfEEEESE_PNS0_10empty_typeENS0_5tupleIJSE_SF_EEENSH_IJSE_SG_EEENS0_18inequality_wrapperINS9_8equal_toIfEEEEPmJSF_EEE10hipError_tPvRmT3_T4_T5_T6_T7_T9_mT8_P12ihipStream_tbDpT10_ENKUlT_T0_E_clISt17integral_constantIbLb1EES18_EEDaS13_S14_EUlS13_E_NS1_11comp_targetILNS1_3genE9ELNS1_11target_archE1100ELNS1_3gpuE3ELNS1_3repE0EEENS1_30default_config_static_selectorELNS0_4arch9wavefront6targetE0EEEvT1_ ; -- Begin function _ZN7rocprim17ROCPRIM_400000_NS6detail17trampoline_kernelINS0_14default_configENS1_25partition_config_selectorILNS1_17partition_subalgoE9EffbEEZZNS1_14partition_implILS5_9ELb0ES3_jN6thrust23THRUST_200600_302600_NS6detail15normal_iteratorINS9_10device_ptrIfEEEESE_PNS0_10empty_typeENS0_5tupleIJSE_SF_EEENSH_IJSE_SG_EEENS0_18inequality_wrapperINS9_8equal_toIfEEEEPmJSF_EEE10hipError_tPvRmT3_T4_T5_T6_T7_T9_mT8_P12ihipStream_tbDpT10_ENKUlT_T0_E_clISt17integral_constantIbLb1EES18_EEDaS13_S14_EUlS13_E_NS1_11comp_targetILNS1_3genE9ELNS1_11target_archE1100ELNS1_3gpuE3ELNS1_3repE0EEENS1_30default_config_static_selectorELNS0_4arch9wavefront6targetE0EEEvT1_
	.globl	_ZN7rocprim17ROCPRIM_400000_NS6detail17trampoline_kernelINS0_14default_configENS1_25partition_config_selectorILNS1_17partition_subalgoE9EffbEEZZNS1_14partition_implILS5_9ELb0ES3_jN6thrust23THRUST_200600_302600_NS6detail15normal_iteratorINS9_10device_ptrIfEEEESE_PNS0_10empty_typeENS0_5tupleIJSE_SF_EEENSH_IJSE_SG_EEENS0_18inequality_wrapperINS9_8equal_toIfEEEEPmJSF_EEE10hipError_tPvRmT3_T4_T5_T6_T7_T9_mT8_P12ihipStream_tbDpT10_ENKUlT_T0_E_clISt17integral_constantIbLb1EES18_EEDaS13_S14_EUlS13_E_NS1_11comp_targetILNS1_3genE9ELNS1_11target_archE1100ELNS1_3gpuE3ELNS1_3repE0EEENS1_30default_config_static_selectorELNS0_4arch9wavefront6targetE0EEEvT1_
	.p2align	8
	.type	_ZN7rocprim17ROCPRIM_400000_NS6detail17trampoline_kernelINS0_14default_configENS1_25partition_config_selectorILNS1_17partition_subalgoE9EffbEEZZNS1_14partition_implILS5_9ELb0ES3_jN6thrust23THRUST_200600_302600_NS6detail15normal_iteratorINS9_10device_ptrIfEEEESE_PNS0_10empty_typeENS0_5tupleIJSE_SF_EEENSH_IJSE_SG_EEENS0_18inequality_wrapperINS9_8equal_toIfEEEEPmJSF_EEE10hipError_tPvRmT3_T4_T5_T6_T7_T9_mT8_P12ihipStream_tbDpT10_ENKUlT_T0_E_clISt17integral_constantIbLb1EES18_EEDaS13_S14_EUlS13_E_NS1_11comp_targetILNS1_3genE9ELNS1_11target_archE1100ELNS1_3gpuE3ELNS1_3repE0EEENS1_30default_config_static_selectorELNS0_4arch9wavefront6targetE0EEEvT1_,@function
_ZN7rocprim17ROCPRIM_400000_NS6detail17trampoline_kernelINS0_14default_configENS1_25partition_config_selectorILNS1_17partition_subalgoE9EffbEEZZNS1_14partition_implILS5_9ELb0ES3_jN6thrust23THRUST_200600_302600_NS6detail15normal_iteratorINS9_10device_ptrIfEEEESE_PNS0_10empty_typeENS0_5tupleIJSE_SF_EEENSH_IJSE_SG_EEENS0_18inequality_wrapperINS9_8equal_toIfEEEEPmJSF_EEE10hipError_tPvRmT3_T4_T5_T6_T7_T9_mT8_P12ihipStream_tbDpT10_ENKUlT_T0_E_clISt17integral_constantIbLb1EES18_EEDaS13_S14_EUlS13_E_NS1_11comp_targetILNS1_3genE9ELNS1_11target_archE1100ELNS1_3gpuE3ELNS1_3repE0EEENS1_30default_config_static_selectorELNS0_4arch9wavefront6targetE0EEEvT1_: ; @_ZN7rocprim17ROCPRIM_400000_NS6detail17trampoline_kernelINS0_14default_configENS1_25partition_config_selectorILNS1_17partition_subalgoE9EffbEEZZNS1_14partition_implILS5_9ELb0ES3_jN6thrust23THRUST_200600_302600_NS6detail15normal_iteratorINS9_10device_ptrIfEEEESE_PNS0_10empty_typeENS0_5tupleIJSE_SF_EEENSH_IJSE_SG_EEENS0_18inequality_wrapperINS9_8equal_toIfEEEEPmJSF_EEE10hipError_tPvRmT3_T4_T5_T6_T7_T9_mT8_P12ihipStream_tbDpT10_ENKUlT_T0_E_clISt17integral_constantIbLb1EES18_EEDaS13_S14_EUlS13_E_NS1_11comp_targetILNS1_3genE9ELNS1_11target_archE1100ELNS1_3gpuE3ELNS1_3repE0EEENS1_30default_config_static_selectorELNS0_4arch9wavefront6targetE0EEEvT1_
; %bb.0:
	s_clause 0x4
	s_load_b128 s[4:7], s[0:1], 0x8
	s_load_b64 s[8:9], s[0:1], 0x18
	s_load_b128 s[12:15], s[0:1], 0x40
	s_load_b64 s[10:11], s[0:1], 0x50
	s_load_b64 s[20:21], s[0:1], 0x60
	v_cmp_ne_u32_e64 s3, 0, v0
	v_cmp_eq_u32_e64 s2, 0, v0
	s_delay_alu instid0(VALU_DEP_1)
	s_and_saveexec_b32 s16, s2
	s_cbranch_execz .LBB94_4
; %bb.1:
	s_mov_b32 s18, exec_lo
	s_mov_b32 s17, exec_lo
	v_mbcnt_lo_u32_b32 v1, s18, 0
                                        ; implicit-def: $vgpr2
	s_delay_alu instid0(VALU_DEP_1)
	v_cmpx_eq_u32_e32 0, v1
	s_cbranch_execz .LBB94_3
; %bb.2:
	s_load_b64 s[22:23], s[0:1], 0x70
	s_bcnt1_i32_b32 s18, s18
	s_delay_alu instid0(SALU_CYCLE_1)
	v_dual_mov_b32 v2, 0 :: v_dual_mov_b32 v3, s18
	s_waitcnt lgkmcnt(0)
	global_atomic_add_u32 v2, v2, v3, s[22:23] glc
.LBB94_3:
	s_or_b32 exec_lo, exec_lo, s17
	s_waitcnt vmcnt(0)
	v_readfirstlane_b32 s17, v2
	s_delay_alu instid0(VALU_DEP_1)
	v_dual_mov_b32 v2, 0 :: v_dual_add_nc_u32 v1, s17, v1
	ds_store_b32 v2, v1
.LBB94_4:
	s_or_b32 exec_lo, exec_lo, s16
	v_dual_mov_b32 v1, 0 :: v_dual_add_nc_u32 v22, 0x300, v0
	s_clause 0x1
	s_load_b128 s[16:19], s[0:1], 0x28
	s_load_b32 s0, s[0:1], 0x68
	s_waitcnt lgkmcnt(0)
	s_barrier
	buffer_gl0_inv
	ds_load_b32 v3, v1
	s_waitcnt lgkmcnt(0)
	s_barrier
	buffer_gl0_inv
	global_load_b64 v[1:2], v1, s[14:15]
	s_lshl_b64 s[14:15], s[6:7], 2
	s_mov_b32 s1, 0
	s_add_u32 s27, s4, s14
	s_addc_u32 s28, s5, s15
	v_lshrrev_b32_e32 v20, 3, v0
	v_add_nc_u32_e32 v25, 0x180, v0
	v_add_nc_u32_e32 v21, 0x480, v0
	v_or_b32_e32 v23, 0x600, v0
	v_add_nc_u32_e32 v18, 0x780, v0
	v_add_nc_u32_e32 v17, 0x900, v0
	;; [unrolled: 1-line block ×3, first 2 shown]
	s_mul_i32 s22, s0, 0xc00
	s_add_i32 s0, s0, -1
	s_add_i32 s4, s22, s6
	s_delay_alu instid0(SALU_CYCLE_1) | instskip(SKIP_4) | instid1(SALU_CYCLE_1)
	s_sub_i32 s25, s10, s4
	v_readfirstlane_b32 s24, v3
	s_addk_i32 s25, 0xc00
	s_add_u32 s4, s6, s22
	s_addc_u32 s5, s7, 0
	v_cmp_ge_u64_e64 s4, s[4:5], s[10:11]
	s_cmp_eq_u32 s24, s0
	s_mul_i32 s0, s24, 0xc00
	s_cselect_b32 s22, -1, 0
	s_delay_alu instid0(VALU_DEP_1) | instid1(SALU_CYCLE_1)
	s_and_b32 s26, s4, s22
	s_lshl_b64 s[4:5], s[0:1], 2
	s_xor_b32 s23, s26, -1
	s_add_u32 s27, s27, s4
	s_addc_u32 s1, s28, s5
	s_and_b32 vcc_lo, exec_lo, s23
	s_mov_b32 s28, -1
	s_waitcnt vmcnt(0)
	v_readfirstlane_b32 s10, v1
	v_readfirstlane_b32 s11, v2
	s_cbranch_vccz .LBB94_6
; %bb.5:
	v_lshlrev_b32_e32 v7, 2, v0
	v_lshrrev_b32_e32 v11, 3, v25
	v_lshrrev_b32_e32 v12, 3, v22
	;; [unrolled: 1-line block ×4, first 2 shown]
	v_add_co_u32 v1, s0, s27, v7
	s_delay_alu instid0(VALU_DEP_1) | instskip(SKIP_1) | instid1(VALU_DEP_3)
	v_add_co_ci_u32_e64 v2, null, s1, 0, s0
	v_lshrrev_b32_e32 v15, 3, v18
	v_add_co_u32 v3, vcc_lo, 0x1000, v1
	s_delay_alu instid0(VALU_DEP_3)
	v_add_co_ci_u32_e32 v4, vcc_lo, 0, v2, vcc_lo
	v_add_co_u32 v5, vcc_lo, 0x2000, v1
	v_add_co_ci_u32_e32 v6, vcc_lo, 0, v2, vcc_lo
	s_clause 0x7
	flat_load_b32 v8, v[1:2]
	flat_load_b32 v9, v[1:2] offset:1536
	flat_load_b32 v1, v[1:2] offset:3072
	;; [unrolled: 1-line block ×7, first 2 shown]
	v_and_b32_e32 v6, 60, v20
	v_lshrrev_b32_e32 v16, 3, v17
	v_lshrrev_b32_e32 v19, 3, v24
	v_and_b32_e32 v11, 0x7c, v11
	v_and_b32_e32 v12, 0xfc, v12
	;; [unrolled: 1-line block ×4, first 2 shown]
	v_add_nc_u32_e32 v6, v6, v7
	v_and_b32_e32 v15, 0x1fc, v15
	v_and_b32_e32 v16, 0x17c, v16
	;; [unrolled: 1-line block ×3, first 2 shown]
	v_add_nc_u32_e32 v11, v11, v7
	v_add_nc_u32_e32 v12, v12, v7
	;; [unrolled: 1-line block ×4, first 2 shown]
	s_mov_b32 s28, 0
	v_add_nc_u32_e32 v15, v15, v7
	v_add_nc_u32_e32 v16, v16, v7
	;; [unrolled: 1-line block ×3, first 2 shown]
	s_waitcnt vmcnt(7) lgkmcnt(7)
	ds_store_b32 v6, v8
	s_waitcnt vmcnt(6) lgkmcnt(7)
	ds_store_b32 v11, v9 offset:1536
	s_waitcnt vmcnt(5) lgkmcnt(7)
	ds_store_b32 v12, v1 offset:3072
	;; [unrolled: 2-line block ×7, first 2 shown]
	s_waitcnt lgkmcnt(0)
	s_barrier
.LBB94_6:
	v_cmp_gt_u32_e64 s0, s25, v0
	s_and_not1_b32 vcc_lo, exec_lo, s28
	s_cbranch_vccnz .LBB94_24
; %bb.7:
                                        ; implicit-def: $vgpr1_vgpr2_vgpr3_vgpr4_vgpr5_vgpr6_vgpr7_vgpr8
	s_delay_alu instid0(VALU_DEP_1)
	s_and_saveexec_b32 s28, s0
	s_cbranch_execz .LBB94_15
; %bb.8:
	v_lshlrev_b32_e32 v1, 2, v0
	s_delay_alu instid0(VALU_DEP_1) | instskip(NEXT) | instid1(VALU_DEP_1)
	v_add_co_u32 v1, s0, s27, v1
	v_add_co_ci_u32_e64 v2, null, s1, 0, s0
	flat_load_b32 v1, v[1:2]
	s_or_b32 exec_lo, exec_lo, s28
	s_delay_alu instid0(SALU_CYCLE_1)
	s_mov_b32 s0, exec_lo
	v_cmpx_gt_u32_e64 s25, v25
	s_cbranch_execnz .LBB94_16
.LBB94_9:
	s_or_b32 exec_lo, exec_lo, s0
	s_delay_alu instid0(SALU_CYCLE_1)
	s_mov_b32 s0, exec_lo
	v_cmpx_gt_u32_e64 s25, v22
	s_cbranch_execz .LBB94_17
.LBB94_10:
	v_lshlrev_b32_e32 v3, 2, v0
	s_delay_alu instid0(VALU_DEP_1) | instskip(NEXT) | instid1(VALU_DEP_1)
	v_add_co_u32 v9, s28, s27, v3
	v_add_co_ci_u32_e64 v10, null, s1, 0, s28
	flat_load_b32 v3, v[9:10] offset:3072
	s_or_b32 exec_lo, exec_lo, s0
	s_delay_alu instid0(SALU_CYCLE_1)
	s_mov_b32 s0, exec_lo
	v_cmpx_gt_u32_e64 s25, v21
	s_cbranch_execnz .LBB94_18
.LBB94_11:
	s_or_b32 exec_lo, exec_lo, s0
	s_delay_alu instid0(SALU_CYCLE_1)
	s_mov_b32 s0, exec_lo
	v_cmpx_gt_u32_e64 s25, v23
	s_cbranch_execz .LBB94_19
.LBB94_12:
	v_lshlrev_b32_e32 v5, 2, v23
	s_delay_alu instid0(VALU_DEP_1) | instskip(NEXT) | instid1(VALU_DEP_1)
	v_add_co_u32 v9, s28, s27, v5
	v_add_co_ci_u32_e64 v10, null, s1, 0, s28
	flat_load_b32 v5, v[9:10]
	s_or_b32 exec_lo, exec_lo, s0
	s_delay_alu instid0(SALU_CYCLE_1)
	s_mov_b32 s0, exec_lo
	v_cmpx_gt_u32_e64 s25, v18
	s_cbranch_execnz .LBB94_20
.LBB94_13:
	s_or_b32 exec_lo, exec_lo, s0
	s_delay_alu instid0(SALU_CYCLE_1)
	s_mov_b32 s0, exec_lo
	v_cmpx_gt_u32_e64 s25, v17
	s_cbranch_execz .LBB94_21
.LBB94_14:
	v_lshlrev_b32_e32 v7, 2, v17
	s_delay_alu instid0(VALU_DEP_1) | instskip(NEXT) | instid1(VALU_DEP_1)
	v_add_co_u32 v9, s28, s27, v7
	v_add_co_ci_u32_e64 v10, null, s1, 0, s28
	flat_load_b32 v7, v[9:10]
	s_or_b32 exec_lo, exec_lo, s0
	s_delay_alu instid0(SALU_CYCLE_1)
	s_mov_b32 s0, exec_lo
	v_cmpx_gt_u32_e64 s25, v24
	s_cbranch_execnz .LBB94_22
	s_branch .LBB94_23
.LBB94_15:
	s_or_b32 exec_lo, exec_lo, s28
	s_delay_alu instid0(SALU_CYCLE_1)
	s_mov_b32 s0, exec_lo
	v_cmpx_gt_u32_e64 s25, v25
	s_cbranch_execz .LBB94_9
.LBB94_16:
	v_lshlrev_b32_e32 v2, 2, v0
	s_delay_alu instid0(VALU_DEP_1) | instskip(NEXT) | instid1(VALU_DEP_1)
	v_add_co_u32 v9, s28, s27, v2
	v_add_co_ci_u32_e64 v10, null, s1, 0, s28
	flat_load_b32 v2, v[9:10] offset:1536
	s_or_b32 exec_lo, exec_lo, s0
	s_delay_alu instid0(SALU_CYCLE_1)
	s_mov_b32 s0, exec_lo
	v_cmpx_gt_u32_e64 s25, v22
	s_cbranch_execnz .LBB94_10
.LBB94_17:
	s_or_b32 exec_lo, exec_lo, s0
	s_delay_alu instid0(SALU_CYCLE_1)
	s_mov_b32 s0, exec_lo
	v_cmpx_gt_u32_e64 s25, v21
	s_cbranch_execz .LBB94_11
.LBB94_18:
	v_lshlrev_b32_e32 v4, 2, v21
	s_delay_alu instid0(VALU_DEP_1) | instskip(NEXT) | instid1(VALU_DEP_1)
	v_add_co_u32 v9, s28, s27, v4
	v_add_co_ci_u32_e64 v10, null, s1, 0, s28
	flat_load_b32 v4, v[9:10]
	s_or_b32 exec_lo, exec_lo, s0
	s_delay_alu instid0(SALU_CYCLE_1)
	s_mov_b32 s0, exec_lo
	v_cmpx_gt_u32_e64 s25, v23
	s_cbranch_execnz .LBB94_12
.LBB94_19:
	s_or_b32 exec_lo, exec_lo, s0
	s_delay_alu instid0(SALU_CYCLE_1)
	s_mov_b32 s0, exec_lo
	v_cmpx_gt_u32_e64 s25, v18
	s_cbranch_execz .LBB94_13
.LBB94_20:
	v_lshlrev_b32_e32 v6, 2, v18
	s_delay_alu instid0(VALU_DEP_1) | instskip(NEXT) | instid1(VALU_DEP_1)
	v_add_co_u32 v9, s28, s27, v6
	v_add_co_ci_u32_e64 v10, null, s1, 0, s28
	flat_load_b32 v6, v[9:10]
	s_or_b32 exec_lo, exec_lo, s0
	s_delay_alu instid0(SALU_CYCLE_1)
	s_mov_b32 s0, exec_lo
	v_cmpx_gt_u32_e64 s25, v17
	s_cbranch_execnz .LBB94_14
.LBB94_21:
	s_or_b32 exec_lo, exec_lo, s0
	s_delay_alu instid0(SALU_CYCLE_1)
	s_mov_b32 s0, exec_lo
	v_cmpx_gt_u32_e64 s25, v24
	s_cbranch_execz .LBB94_23
.LBB94_22:
	v_lshlrev_b32_e32 v8, 2, v24
	s_delay_alu instid0(VALU_DEP_1) | instskip(NEXT) | instid1(VALU_DEP_1)
	v_add_co_u32 v8, s28, s27, v8
	v_add_co_ci_u32_e64 v9, null, s1, 0, s28
	flat_load_b32 v8, v[8:9]
.LBB94_23:
	s_or_b32 exec_lo, exec_lo, s0
	v_lshrrev_b32_e32 v9, 3, v25
	v_lshrrev_b32_e32 v10, 3, v22
	;; [unrolled: 1-line block ×4, first 2 shown]
	v_and_b32_e32 v11, 60, v20
	v_lshlrev_b32_e32 v12, 2, v0
	v_lshrrev_b32_e32 v15, 3, v18
	v_lshrrev_b32_e32 v16, 3, v17
	;; [unrolled: 1-line block ×3, first 2 shown]
	v_and_b32_e32 v9, 0x7c, v9
	v_and_b32_e32 v10, 0xfc, v10
	;; [unrolled: 1-line block ×4, first 2 shown]
	v_add_nc_u32_e32 v11, v11, v12
	v_and_b32_e32 v15, 0x1fc, v15
	v_and_b32_e32 v16, 0x1fc, v16
	v_and_b32_e32 v19, 0x1fc, v19
	v_add_nc_u32_e32 v9, v9, v12
	v_add_nc_u32_e32 v10, v10, v12
	;; [unrolled: 1-line block ×7, first 2 shown]
	s_waitcnt vmcnt(0) lgkmcnt(0)
	ds_store_b32 v11, v1
	ds_store_b32 v9, v2 offset:1536
	ds_store_b32 v10, v3 offset:3072
	;; [unrolled: 1-line block ×7, first 2 shown]
	s_waitcnt lgkmcnt(0)
	s_barrier
.LBB94_24:
	v_lshlrev_b32_e32 v19, 3, v0
	v_lshrrev_b32_e32 v1, 2, v0
	buffer_gl0_inv
	s_add_u32 s0, s8, s14
	s_addc_u32 s8, s9, s15
	s_add_u32 s0, s0, s4
	v_add_lshl_u32 v1, v1, v19, 2
	s_addc_u32 s4, s8, s5
	s_and_b32 vcc_lo, exec_lo, s23
	s_mov_b32 s5, -1
	ds_load_2addr_b32 v[15:16], v1 offset1:1
	ds_load_2addr_b32 v[13:14], v1 offset0:2 offset1:3
	ds_load_2addr_b32 v[11:12], v1 offset0:4 offset1:5
	;; [unrolled: 1-line block ×3, first 2 shown]
	s_waitcnt lgkmcnt(0)
	s_barrier
	buffer_gl0_inv
	s_cbranch_vccz .LBB94_26
; %bb.25:
	v_lshlrev_b32_e32 v8, 2, v0
	v_lshrrev_b32_e32 v29, 3, v25
	v_lshrrev_b32_e32 v30, 3, v22
	;; [unrolled: 1-line block ×4, first 2 shown]
	v_add_co_u32 v2, s5, s0, v8
	s_delay_alu instid0(VALU_DEP_1) | instskip(SKIP_1) | instid1(VALU_DEP_3)
	v_add_co_ci_u32_e64 v3, null, s4, 0, s5
	v_lshrrev_b32_e32 v33, 3, v18
	v_add_co_u32 v4, vcc_lo, 0x1000, v2
	s_delay_alu instid0(VALU_DEP_3)
	v_add_co_ci_u32_e32 v5, vcc_lo, 0, v3, vcc_lo
	v_add_co_u32 v6, vcc_lo, 0x2000, v2
	v_add_co_ci_u32_e32 v7, vcc_lo, 0, v3, vcc_lo
	s_clause 0x7
	flat_load_b32 v26, v[2:3]
	flat_load_b32 v27, v[2:3] offset:1536
	flat_load_b32 v2, v[2:3] offset:3072
	;; [unrolled: 1-line block ×7, first 2 shown]
	v_and_b32_e32 v7, 60, v20
	v_lshrrev_b32_e32 v34, 3, v17
	v_lshrrev_b32_e32 v35, 3, v24
	v_and_b32_e32 v29, 0x7c, v29
	v_and_b32_e32 v30, 0xfc, v30
	;; [unrolled: 1-line block ×4, first 2 shown]
	v_add_nc_u32_e32 v7, v7, v8
	v_and_b32_e32 v33, 0x1fc, v33
	v_and_b32_e32 v34, 0x17c, v34
	;; [unrolled: 1-line block ×3, first 2 shown]
	v_add_nc_u32_e32 v29, v29, v8
	v_add_nc_u32_e32 v30, v30, v8
	;; [unrolled: 1-line block ×4, first 2 shown]
	s_mov_b32 s5, 0
	v_add_nc_u32_e32 v33, v33, v8
	v_add_nc_u32_e32 v34, v34, v8
	;; [unrolled: 1-line block ×3, first 2 shown]
	s_waitcnt vmcnt(7) lgkmcnt(7)
	ds_store_b32 v7, v26
	s_waitcnt vmcnt(6) lgkmcnt(7)
	ds_store_b32 v29, v27 offset:1536
	s_waitcnt vmcnt(5) lgkmcnt(7)
	ds_store_b32 v30, v2 offset:3072
	;; [unrolled: 2-line block ×7, first 2 shown]
	s_waitcnt lgkmcnt(0)
	s_barrier
.LBB94_26:
	s_and_not1_b32 vcc_lo, exec_lo, s5
	s_cbranch_vccnz .LBB94_44
; %bb.27:
	s_mov_b32 s5, exec_lo
                                        ; implicit-def: $vgpr2
	v_cmpx_gt_u32_e64 s25, v0
	s_cbranch_execz .LBB94_29
; %bb.28:
	v_lshlrev_b32_e32 v2, 2, v0
	s_delay_alu instid0(VALU_DEP_1) | instskip(NEXT) | instid1(VALU_DEP_1)
	v_add_co_u32 v2, s8, s0, v2
	v_add_co_ci_u32_e64 v3, null, s4, 0, s8
	flat_load_b32 v2, v[2:3]
.LBB94_29:
	s_or_b32 exec_lo, exec_lo, s5
	s_delay_alu instid0(SALU_CYCLE_1)
	s_mov_b32 s5, exec_lo
                                        ; implicit-def: $vgpr3
	v_cmpx_gt_u32_e64 s25, v25
	s_cbranch_execz .LBB94_31
; %bb.30:
	v_lshlrev_b32_e32 v3, 2, v0
	s_delay_alu instid0(VALU_DEP_1) | instskip(NEXT) | instid1(VALU_DEP_1)
	v_add_co_u32 v3, s8, s0, v3
	v_add_co_ci_u32_e64 v4, null, s4, 0, s8
	flat_load_b32 v3, v[3:4] offset:1536
.LBB94_31:
	s_or_b32 exec_lo, exec_lo, s5
	s_delay_alu instid0(SALU_CYCLE_1)
	s_mov_b32 s5, exec_lo
                                        ; implicit-def: $vgpr4
	v_cmpx_gt_u32_e64 s25, v22
	s_cbranch_execz .LBB94_33
; %bb.32:
	v_lshlrev_b32_e32 v4, 2, v0
	s_delay_alu instid0(VALU_DEP_1) | instskip(NEXT) | instid1(VALU_DEP_1)
	v_add_co_u32 v4, s8, s0, v4
	v_add_co_ci_u32_e64 v5, null, s4, 0, s8
	flat_load_b32 v4, v[4:5] offset:3072
.LBB94_33:
	s_or_b32 exec_lo, exec_lo, s5
	s_delay_alu instid0(SALU_CYCLE_1)
	s_mov_b32 s5, exec_lo
                                        ; implicit-def: $vgpr5
	v_cmpx_gt_u32_e64 s25, v21
	s_cbranch_execz .LBB94_35
; %bb.34:
	v_lshlrev_b32_e32 v5, 2, v21
	s_delay_alu instid0(VALU_DEP_1) | instskip(NEXT) | instid1(VALU_DEP_1)
	v_add_co_u32 v5, s8, s0, v5
	v_add_co_ci_u32_e64 v6, null, s4, 0, s8
	flat_load_b32 v5, v[5:6]
.LBB94_35:
	s_or_b32 exec_lo, exec_lo, s5
	s_delay_alu instid0(SALU_CYCLE_1)
	s_mov_b32 s5, exec_lo
                                        ; implicit-def: $vgpr6
	v_cmpx_gt_u32_e64 s25, v23
	s_cbranch_execz .LBB94_37
; %bb.36:
	v_lshlrev_b32_e32 v6, 2, v23
	s_delay_alu instid0(VALU_DEP_1) | instskip(NEXT) | instid1(VALU_DEP_1)
	v_add_co_u32 v6, s8, s0, v6
	v_add_co_ci_u32_e64 v7, null, s4, 0, s8
	flat_load_b32 v6, v[6:7]
.LBB94_37:
	s_or_b32 exec_lo, exec_lo, s5
	s_delay_alu instid0(SALU_CYCLE_1)
	s_mov_b32 s5, exec_lo
                                        ; implicit-def: $vgpr7
	v_cmpx_gt_u32_e64 s25, v18
	s_cbranch_execz .LBB94_39
; %bb.38:
	v_lshlrev_b32_e32 v7, 2, v18
	s_delay_alu instid0(VALU_DEP_1) | instskip(NEXT) | instid1(VALU_DEP_1)
	v_add_co_u32 v7, s8, s0, v7
	v_add_co_ci_u32_e64 v8, null, s4, 0, s8
	flat_load_b32 v7, v[7:8]
.LBB94_39:
	s_or_b32 exec_lo, exec_lo, s5
	s_delay_alu instid0(SALU_CYCLE_1)
	s_mov_b32 s5, exec_lo
                                        ; implicit-def: $vgpr8
	v_cmpx_gt_u32_e64 s25, v17
	s_cbranch_execz .LBB94_41
; %bb.40:
	v_lshlrev_b32_e32 v8, 2, v17
	s_delay_alu instid0(VALU_DEP_1) | instskip(NEXT) | instid1(VALU_DEP_1)
	v_add_co_u32 v26, s8, s0, v8
	v_add_co_ci_u32_e64 v27, null, s4, 0, s8
	flat_load_b32 v8, v[26:27]
.LBB94_41:
	s_or_b32 exec_lo, exec_lo, s5
	s_delay_alu instid0(SALU_CYCLE_1)
	s_mov_b32 s5, exec_lo
                                        ; implicit-def: $vgpr26
	v_cmpx_gt_u32_e64 s25, v24
	s_cbranch_execz .LBB94_43
; %bb.42:
	v_lshlrev_b32_e32 v26, 2, v24
	s_delay_alu instid0(VALU_DEP_1) | instskip(NEXT) | instid1(VALU_DEP_1)
	v_add_co_u32 v26, s0, s0, v26
	v_add_co_ci_u32_e64 v27, null, s4, 0, s0
	flat_load_b32 v26, v[26:27]
.LBB94_43:
	s_or_b32 exec_lo, exec_lo, s5
	v_lshrrev_b32_e32 v25, 3, v25
	v_lshrrev_b32_e32 v22, 3, v22
	;; [unrolled: 1-line block ×4, first 2 shown]
	v_and_b32_e32 v20, 60, v20
	v_lshlrev_b32_e32 v27, 2, v0
	v_lshrrev_b32_e32 v18, 3, v18
	v_lshrrev_b32_e32 v17, 3, v17
	;; [unrolled: 1-line block ×3, first 2 shown]
	v_and_b32_e32 v25, 0x7c, v25
	v_and_b32_e32 v22, 0xfc, v22
	;; [unrolled: 1-line block ×4, first 2 shown]
	v_add_nc_u32_e32 v20, v20, v27
	v_and_b32_e32 v18, 0x1fc, v18
	v_and_b32_e32 v17, 0x1fc, v17
	;; [unrolled: 1-line block ×3, first 2 shown]
	v_add_nc_u32_e32 v25, v25, v27
	v_add_nc_u32_e32 v22, v22, v27
	;; [unrolled: 1-line block ×7, first 2 shown]
	s_waitcnt vmcnt(0) lgkmcnt(0)
	ds_store_b32 v20, v2
	ds_store_b32 v25, v3 offset:1536
	ds_store_b32 v22, v4 offset:3072
	;; [unrolled: 1-line block ×7, first 2 shown]
	s_waitcnt lgkmcnt(0)
	s_barrier
.LBB94_44:
	buffer_gl0_inv
	ds_load_2addr_b32 v[7:8], v1 offset1:1
	ds_load_2addr_b32 v[5:6], v1 offset0:2 offset1:3
	ds_load_2addr_b32 v[3:4], v1 offset0:4 offset1:5
	ds_load_2addr_b32 v[1:2], v1 offset0:6 offset1:7
	s_cmp_lg_u32 s24, 0
	s_mov_b32 s14, 0
	s_cselect_b32 s9, -1, 0
	s_cmp_lg_u64 s[6:7], 0
	s_waitcnt lgkmcnt(0)
	s_cselect_b32 s0, -1, 0
	s_barrier
	s_or_b32 s0, s0, s9
	buffer_gl0_inv
	s_and_b32 vcc_lo, exec_lo, s0
	s_cbranch_vccz .LBB94_49
; %bb.45:
	v_add_co_u32 v17, s0, -4, s27
	s_delay_alu instid0(VALU_DEP_1)
	v_add_co_ci_u32_e64 v18, null, -1, s1, s0
	v_lshlrev_b32_e32 v21, 2, v0
	s_mov_b32 s1, -1
	s_and_b32 vcc_lo, exec_lo, s23
	flat_load_b32 v20, v[17:18]
	ds_store_b32 v21, v10
	s_cbranch_vccz .LBB94_50
; %bb.46:
	s_waitcnt vmcnt(0) lgkmcnt(1)
	v_mov_b32_e32 v17, v20
	s_waitcnt lgkmcnt(0)
	s_barrier
	buffer_gl0_inv
	s_and_saveexec_b32 s0, s3
	s_cbranch_execz .LBB94_48
; %bb.47:
	v_add_nc_u32_e32 v17, -4, v21
	ds_load_b32 v17, v17
.LBB94_48:
	s_or_b32 exec_lo, exec_lo, s0
	v_cmp_neq_f32_e32 vcc_lo, v9, v10
	s_waitcnt lgkmcnt(0)
	v_cmp_neq_f32_e64 s0, v17, v15
	v_cndmask_b32_e64 v18, 0, 1, vcc_lo
	v_cmp_neq_f32_e32 vcc_lo, v12, v9
	s_delay_alu instid0(VALU_DEP_2) | instskip(SKIP_2) | instid1(VALU_DEP_2)
	v_lshlrev_b16 v18, 8, v18
	v_cndmask_b32_e64 v22, 0, 1, vcc_lo
	v_cmp_neq_f32_e32 vcc_lo, v11, v12
	v_or_b32_e32 v18, v22, v18
	v_cndmask_b32_e64 v23, 0, 1, vcc_lo
	v_cmp_neq_f32_e32 vcc_lo, v13, v14
	s_delay_alu instid0(VALU_DEP_3) | instskip(NEXT) | instid1(VALU_DEP_3)
	v_lshlrev_b32_e32 v18, 16, v18
	v_lshlrev_b16 v23, 8, v23
	v_cndmask_b32_e64 v24, 0, 1, vcc_lo
	v_cmp_neq_f32_e32 vcc_lo, v14, v11
	s_delay_alu instid0(VALU_DEP_2) | instskip(SKIP_2) | instid1(VALU_DEP_2)
	v_lshlrev_b16 v24, 8, v24
	v_cndmask_b32_e64 v25, 0, 1, vcc_lo
	v_cmp_neq_f32_e32 vcc_lo, v16, v13
	v_or_b32_e32 v23, v25, v23
	v_cndmask_b32_e64 v26, 0, 1, vcc_lo
	v_cmp_neq_f32_e32 vcc_lo, v15, v16
	s_delay_alu instid0(VALU_DEP_3) | instskip(NEXT) | instid1(VALU_DEP_3)
	v_and_b32_e32 v23, 0xffff, v23
	v_or_b32_e32 v24, v26, v24
	v_cndmask_b32_e64 v27, 0, 1, vcc_lo
	s_delay_alu instid0(VALU_DEP_3) | instskip(NEXT) | instid1(VALU_DEP_3)
	v_or_b32_e32 v18, v23, v18
	v_lshlrev_b32_e32 v22, 16, v24
	s_delay_alu instid0(VALU_DEP_3) | instskip(NEXT) | instid1(VALU_DEP_1)
	v_lshlrev_b16 v26, 8, v27
	v_and_b32_e32 v24, 0xffff, v26
	s_delay_alu instid0(VALU_DEP_1)
	v_or_b32_e32 v17, v24, v22
	s_branch .LBB94_54
.LBB94_49:
                                        ; implicit-def: $sgpr0
                                        ; implicit-def: $vgpr18
	s_branch .LBB94_55
.LBB94_50:
                                        ; implicit-def: $sgpr0
                                        ; implicit-def: $vgpr18
	s_and_b32 vcc_lo, exec_lo, s1
	s_cbranch_vccz .LBB94_54
; %bb.51:
	s_waitcnt vmcnt(0) lgkmcnt(0)
	s_barrier
	buffer_gl0_inv
	s_and_saveexec_b32 s0, s3
	s_cbranch_execz .LBB94_53
; %bb.52:
	v_add_nc_u32_e32 v17, -4, v21
	ds_load_b32 v20, v17
.LBB94_53:
	s_or_b32 exec_lo, exec_lo, s0
	v_or_b32_e32 v17, 7, v19
	v_or_b32_e32 v18, 6, v19
	;; [unrolled: 1-line block ×3, first 2 shown]
	v_cmp_neq_f32_e32 vcc_lo, v9, v10
	v_cmp_neq_f32_e64 s1, v12, v9
	v_cmp_gt_u32_e64 s0, s25, v17
	v_cmp_gt_u32_e64 s5, s25, v18
	v_cmp_neq_f32_e64 s4, v11, v12
	v_cmp_gt_u32_e64 s6, s25, v21
	v_or_b32_e32 v18, 3, v19
	s_and_b32 s0, s0, vcc_lo
	v_or_b32_e32 v22, 4, v19
	v_cndmask_b32_e64 v17, 0, 1, s0
	s_and_b32 s0, s5, s1
	v_cmp_gt_u32_e32 vcc_lo, s25, v18
	v_cndmask_b32_e64 v21, 0, 1, s0
	s_and_b32 s0, s6, s4
	v_or_b32_e32 v18, 2, v19
	v_cndmask_b32_e64 v23, 0, 1, s0
	v_cmp_neq_f32_e64 s0, v13, v14
	v_cmp_gt_u32_e64 s1, s25, v22
	v_or_b32_e32 v22, 1, v19
	v_cmp_neq_f32_e64 s4, v14, v11
	v_cmp_neq_f32_e64 s6, v15, v16
	s_and_b32 s0, vcc_lo, s0
	v_cmp_gt_u32_e32 vcc_lo, s25, v18
	v_cndmask_b32_e64 v24, 0, 1, s0
	v_cmp_neq_f32_e64 s0, v16, v13
	v_cmp_gt_u32_e64 s5, s25, v22
	s_and_b32 s1, s1, s4
	v_lshlrev_b16 v23, 8, v23
	v_cndmask_b32_e64 v18, 0, 1, s1
	s_and_b32 s0, vcc_lo, s0
	v_lshlrev_b16 v24, 8, v24
	v_cndmask_b32_e64 v22, 0, 1, s0
	s_and_b32 s0, s5, s6
	v_lshlrev_b16 v17, 8, v17
	v_cndmask_b32_e64 v25, 0, 1, s0
	v_or_b32_e32 v18, v18, v23
	v_or_b32_e32 v22, v22, v24
	v_cmp_gt_u32_e32 vcc_lo, s25, v19
	v_or_b32_e32 v17, v21, v17
	v_lshlrev_b16 v24, 8, v25
	v_and_b32_e32 v18, 0xffff, v18
	v_lshlrev_b32_e32 v21, 16, v22
	s_waitcnt lgkmcnt(0)
	v_cmp_neq_f32_e64 s0, v20, v15
	v_lshlrev_b32_e32 v23, 16, v17
	v_and_b32_e32 v22, 0xffff, v24
	s_delay_alu instid0(VALU_DEP_3) | instskip(NEXT) | instid1(VALU_DEP_2)
	s_and_b32 s0, vcc_lo, s0
	v_or_b32_e32 v18, v18, v23
	s_delay_alu instid0(VALU_DEP_2)
	v_or_b32_e32 v17, v22, v21
.LBB94_54:
	s_mov_b32 s14, -1
	s_cbranch_execnz .LBB94_63
.LBB94_55:
	s_waitcnt vmcnt(0) lgkmcnt(1)
	v_lshlrev_b32_e32 v20, 2, v0
	v_cmp_neq_f32_e64 s1, v9, v10
	v_cmp_neq_f32_e64 s4, v12, v9
	;; [unrolled: 1-line block ×7, first 2 shown]
	s_and_b32 vcc_lo, exec_lo, s23
	ds_store_b32 v20, v10
	s_cbranch_vccz .LBB94_59
; %bb.56:
	v_cndmask_b32_e64 v17, 0, 1, s1
	v_cndmask_b32_e64 v21, 0, 1, s5
	v_cndmask_b32_e64 v23, 0, 1, s7
	v_cndmask_b32_e64 v24, 0, 1, s8
	v_cndmask_b32_e64 v18, 0, 1, s4
	v_cndmask_b32_e64 v22, 0, 1, s6
	v_cndmask_b32_e64 v25, 0, 1, s0
	v_lshlrev_b16 v21, 8, v21
	v_lshlrev_b16 v17, 8, v17
	;; [unrolled: 1-line block ×4, first 2 shown]
	s_waitcnt lgkmcnt(0)
	v_or_b32_e32 v21, v22, v21
	v_or_b32_e32 v17, v18, v17
	;; [unrolled: 1-line block ×4, first 2 shown]
	s_barrier
	v_and_b32_e32 v21, 0xffff, v21
	v_lshlrev_b32_e32 v17, 16, v17
	v_lshlrev_b32_e32 v23, 16, v18
	v_and_b32_e32 v22, 0xffff, v22
	buffer_gl0_inv
                                        ; implicit-def: $sgpr0
	v_or_b32_e32 v18, v21, v17
	v_or_b32_e32 v17, v22, v23
	s_and_saveexec_b32 s1, s3
	s_delay_alu instid0(SALU_CYCLE_1)
	s_xor_b32 s1, exec_lo, s1
	s_cbranch_execz .LBB94_58
; %bb.57:
	v_add_nc_u32_e32 v21, -4, v20
	s_or_b32 s14, s14, exec_lo
	ds_load_b32 v21, v21
	s_waitcnt lgkmcnt(0)
	v_cmp_neq_f32_e32 vcc_lo, v21, v15
	s_and_b32 s0, vcc_lo, exec_lo
.LBB94_58:
	s_or_b32 exec_lo, exec_lo, s1
	s_branch .LBB94_63
.LBB94_59:
                                        ; implicit-def: $sgpr0
                                        ; implicit-def: $vgpr18
	s_cbranch_execz .LBB94_63
; %bb.60:
	v_or_b32_e32 v17, 7, v19
	v_or_b32_e32 v18, 6, v19
	v_cmp_neq_f32_e32 vcc_lo, v9, v10
	v_cmp_neq_f32_e64 s1, v12, v9
	v_or_b32_e32 v21, 5, v19
	v_cmp_gt_u32_e64 s0, s25, v17
	v_cmp_gt_u32_e64 s4, s25, v18
	v_or_b32_e32 v17, 4, v19
	v_or_b32_e32 v22, 3, v19
	v_cmp_gt_u32_e64 s5, s25, v21
	s_and_b32 s0, s0, vcc_lo
	v_cmp_neq_f32_e32 vcc_lo, v11, v12
	v_cndmask_b32_e64 v18, 0, 1, s0
	s_and_b32 s0, s4, s1
	v_cmp_neq_f32_e64 s1, v14, v11
	v_cndmask_b32_e64 v21, 0, 1, s0
	v_cmp_gt_u32_e64 s0, s25, v17
	v_or_b32_e32 v23, 1, v19
	s_and_b32 s4, s5, vcc_lo
	v_cmp_gt_u32_e32 vcc_lo, s25, v22
	v_cndmask_b32_e64 v17, 0, 1, s4
	s_and_b32 s0, s0, s1
	v_or_b32_e32 v25, 2, v19
	v_cndmask_b32_e64 v24, 0, 1, s0
	v_cmp_neq_f32_e64 s0, v13, v14
	v_cmp_gt_u32_e64 s1, s25, v23
	v_cmp_neq_f32_e64 s4, v15, v16
	v_cmp_gt_u32_e64 s5, s25, v25
	v_cmp_neq_f32_e64 s6, v16, v13
	s_and_b32 s0, vcc_lo, s0
	v_lshlrev_b16 v17, 8, v17
	v_cndmask_b32_e64 v22, 0, 1, s0
	s_and_b32 s0, s1, s4
	v_lshlrev_b16 v18, 8, v18
	v_cndmask_b32_e64 v23, 0, 1, s0
	s_and_b32 s0, s5, s6
	v_lshlrev_b16 v22, 8, v22
	v_cndmask_b32_e64 v25, 0, 1, s0
	v_or_b32_e32 v17, v24, v17
	v_lshlrev_b16 v23, 8, v23
	v_or_b32_e32 v18, v21, v18
	s_waitcnt lgkmcnt(0)
	v_or_b32_e32 v21, v25, v22
	v_and_b32_e32 v17, 0xffff, v17
	v_or_b32_e32 v22, 1, v23
	v_lshlrev_b32_e32 v18, 16, v18
	s_barrier
	v_lshlrev_b32_e32 v21, 16, v21
	buffer_gl0_inv
	v_and_b32_e32 v22, 0xffff, v22
	v_or_b32_e32 v18, v17, v18
                                        ; implicit-def: $sgpr0
	s_delay_alu instid0(VALU_DEP_2)
	v_or_b32_e32 v17, v22, v21
	s_and_saveexec_b32 s1, s3
	s_cbranch_execz .LBB94_62
; %bb.61:
	v_add_nc_u32_e32 v20, -4, v20
	v_cmp_gt_u32_e32 vcc_lo, s25, v19
	s_or_b32 s14, s14, exec_lo
	ds_load_b32 v20, v20
	s_waitcnt lgkmcnt(0)
	v_cmp_neq_f32_e64 s0, v20, v15
	s_delay_alu instid0(VALU_DEP_1) | instskip(NEXT) | instid1(SALU_CYCLE_1)
	s_and_b32 s0, vcc_lo, s0
	s_and_b32 s0, s0, exec_lo
.LBB94_62:
	s_or_b32 exec_lo, exec_lo, s1
.LBB94_63:
	s_and_saveexec_b32 s1, s14
	s_cbranch_execz .LBB94_65
; %bb.64:
	s_waitcnt vmcnt(0) lgkmcnt(1)
	v_and_b32_e32 v20, 0xffffff00, v17
	v_cndmask_b32_e64 v21, 0, 1, s0
	s_delay_alu instid0(VALU_DEP_1) | instskip(NEXT) | instid1(VALU_DEP_1)
	v_or_b32_e32 v20, v21, v20
	v_and_b32_e32 v20, 0xffff, v20
	s_delay_alu instid0(VALU_DEP_1)
	v_and_or_b32 v17, 0xffff0000, v17, v20
.LBB94_65:
	s_or_b32 exec_lo, exec_lo, s1
	s_delay_alu instid0(SALU_CYCLE_1)
	s_and_not1_b32 vcc_lo, exec_lo, s26
	s_cbranch_vccnz .LBB94_67
; %bb.66:
	v_cmp_gt_u32_e32 vcc_lo, s25, v19
	v_or_b32_e32 v21, 1, v19
	v_and_b32_e32 v22, 0xffffff00, v18
	v_or_b32_e32 v23, 2, v19
	s_waitcnt vmcnt(0) lgkmcnt(1)
	v_cndmask_b32_e32 v20, 0, v17, vcc_lo
	v_cmp_gt_u32_e32 vcc_lo, s25, v21
	v_or_b32_e32 v21, 4, v19
	v_cmp_gt_u32_e64 s0, s25, v23
	v_or_b32_e32 v23, 3, v19
	v_and_b32_e32 v20, 0xff, v20
	s_delay_alu instid0(VALU_DEP_2) | instskip(NEXT) | instid1(VALU_DEP_2)
	v_cmp_gt_u32_e64 s1, s25, v23
	v_cndmask_b32_e32 v20, v20, v17, vcc_lo
	v_cmp_gt_u32_e32 vcc_lo, s25, v21
	s_delay_alu instid0(VALU_DEP_2) | instskip(SKIP_1) | instid1(VALU_DEP_2)
	v_dual_cndmask_b32 v21, v22, v18 :: v_dual_and_b32 v20, 0xffff, v20
	v_or_b32_e32 v22, 5, v19
	v_cndmask_b32_e64 v20, v20, v17, s0
	s_delay_alu instid0(VALU_DEP_3) | instskip(NEXT) | instid1(VALU_DEP_3)
	v_and_b32_e32 v21, 0xffff00ff, v21
	v_cmp_gt_u32_e64 s0, s25, v22
	v_or_b32_e32 v22, 6, v19
	v_or_b32_e32 v19, 7, v19
	v_and_b32_e32 v20, 0xffffff, v20
	s_delay_alu instid0(VALU_DEP_4) | instskip(NEXT) | instid1(VALU_DEP_2)
	v_cndmask_b32_e64 v21, v21, v18, s0
	v_cndmask_b32_e64 v20, v20, v17, s1
	s_delay_alu instid0(VALU_DEP_2) | instskip(NEXT) | instid1(VALU_DEP_2)
	v_and_b32_e32 v21, 0xff00ffff, v21
	v_cndmask_b32_e32 v20, v20, v17, vcc_lo
	v_cmp_gt_u32_e32 vcc_lo, s25, v22
	s_delay_alu instid0(VALU_DEP_2) | instskip(NEXT) | instid1(VALU_DEP_1)
	v_cndmask_b32_e64 v20, v20, v17, s0
	v_dual_cndmask_b32 v21, v21, v18 :: v_dual_cndmask_b32 v20, v20, v17
	s_delay_alu instid0(VALU_DEP_1) | instskip(SKIP_1) | instid1(VALU_DEP_2)
	v_and_b32_e32 v21, 0xffffff, v21
	v_cmp_gt_u32_e32 vcc_lo, s25, v19
	v_dual_cndmask_b32 v18, v21, v18 :: v_dual_cndmask_b32 v17, v20, v17
.LBB94_67:
	s_delay_alu instid0(VALU_DEP_1) | instskip(NEXT) | instid1(VALU_DEP_2)
	v_and_b32_e32 v28, 0xff, v17
	v_alignbit_b32 v19, v18, v17, 24
	v_bfe_u32 v30, v17, 8, 8
	v_bfe_u32 v32, v17, 16, 8
	v_and_b32_e32 v36, 0xff, v18
	v_bfe_u32 v38, v18, 8, 8
	v_and_b32_e32 v34, 0xff, v19
	v_add_nc_u32_e32 v19, v30, v28
	s_waitcnt vmcnt(0) lgkmcnt(1)
	v_and_b32_e32 v20, 0x1e0, v0
	v_mbcnt_lo_u32_b32 v41, -1, 0
	v_bfe_u32 v40, v18, 16, 8
	v_lshrrev_b32_e32 v39, 24, v18
	v_add3_u32 v19, v19, v32, v34
	v_min_u32_e32 v20, 0x160, v20
	v_and_b32_e32 v21, 15, v41
	v_lshrrev_b32_e32 v42, 5, v0
	s_and_b32 vcc_lo, exec_lo, s9
	v_add3_u32 v19, v19, v36, v38
	v_or_b32_e32 v20, 31, v20
	v_cmp_eq_u32_e64 s3, 0, v21
	v_cmp_lt_u32_e64 s4, 1, v21
	v_cmp_lt_u32_e64 s1, 3, v21
	v_add3_u32 v43, v19, v40, v39
	v_and_b32_e32 v19, 16, v41
	v_cmp_lt_u32_e64 s0, 7, v21
	v_cmp_eq_u32_e64 s5, v20, v0
	s_mov_b32 s7, -1
	s_waitcnt lgkmcnt(0)
	v_cmp_eq_u32_e64 s6, 0, v19
	s_barrier
	buffer_gl0_inv
	s_cbranch_vccz .LBB94_98
; %bb.68:
	v_mov_b32_dpp v19, v43 row_shr:1 row_mask:0xf bank_mask:0xf
	s_delay_alu instid0(VALU_DEP_1) | instskip(NEXT) | instid1(VALU_DEP_1)
	v_cndmask_b32_e64 v19, v19, 0, s3
	v_add_nc_u32_e32 v19, v19, v43
	s_delay_alu instid0(VALU_DEP_1) | instskip(NEXT) | instid1(VALU_DEP_1)
	v_mov_b32_dpp v20, v19 row_shr:2 row_mask:0xf bank_mask:0xf
	v_cndmask_b32_e64 v20, 0, v20, s4
	s_delay_alu instid0(VALU_DEP_1) | instskip(NEXT) | instid1(VALU_DEP_1)
	v_add_nc_u32_e32 v19, v19, v20
	v_mov_b32_dpp v20, v19 row_shr:4 row_mask:0xf bank_mask:0xf
	s_delay_alu instid0(VALU_DEP_1) | instskip(NEXT) | instid1(VALU_DEP_1)
	v_cndmask_b32_e64 v20, 0, v20, s1
	v_add_nc_u32_e32 v19, v19, v20
	s_delay_alu instid0(VALU_DEP_1) | instskip(NEXT) | instid1(VALU_DEP_1)
	v_mov_b32_dpp v20, v19 row_shr:8 row_mask:0xf bank_mask:0xf
	v_cndmask_b32_e64 v20, 0, v20, s0
	s_delay_alu instid0(VALU_DEP_1) | instskip(SKIP_3) | instid1(VALU_DEP_1)
	v_add_nc_u32_e32 v19, v19, v20
	ds_swizzle_b32 v20, v19 offset:swizzle(BROADCAST,32,15)
	s_waitcnt lgkmcnt(0)
	v_cndmask_b32_e64 v20, v20, 0, s6
	v_add_nc_u32_e32 v19, v19, v20
	s_and_saveexec_b32 s7, s5
	s_cbranch_execz .LBB94_70
; %bb.69:
	v_lshlrev_b32_e32 v20, 2, v42
	ds_store_b32 v20, v19
.LBB94_70:
	s_or_b32 exec_lo, exec_lo, s7
	s_delay_alu instid0(SALU_CYCLE_1)
	s_mov_b32 s7, exec_lo
	s_waitcnt lgkmcnt(0)
	s_barrier
	buffer_gl0_inv
	v_cmpx_gt_u32_e32 12, v0
	s_cbranch_execz .LBB94_72
; %bb.71:
	v_lshlrev_b32_e32 v20, 2, v0
	ds_load_b32 v21, v20
	s_waitcnt lgkmcnt(0)
	v_mov_b32_dpp v22, v21 row_shr:1 row_mask:0xf bank_mask:0xf
	s_delay_alu instid0(VALU_DEP_1) | instskip(NEXT) | instid1(VALU_DEP_1)
	v_cndmask_b32_e64 v22, v22, 0, s3
	v_add_nc_u32_e32 v21, v22, v21
	s_delay_alu instid0(VALU_DEP_1) | instskip(NEXT) | instid1(VALU_DEP_1)
	v_mov_b32_dpp v22, v21 row_shr:2 row_mask:0xf bank_mask:0xf
	v_cndmask_b32_e64 v22, 0, v22, s4
	s_delay_alu instid0(VALU_DEP_1) | instskip(NEXT) | instid1(VALU_DEP_1)
	v_add_nc_u32_e32 v21, v21, v22
	v_mov_b32_dpp v22, v21 row_shr:4 row_mask:0xf bank_mask:0xf
	s_delay_alu instid0(VALU_DEP_1) | instskip(NEXT) | instid1(VALU_DEP_1)
	v_cndmask_b32_e64 v22, 0, v22, s1
	v_add_nc_u32_e32 v21, v21, v22
	s_delay_alu instid0(VALU_DEP_1) | instskip(NEXT) | instid1(VALU_DEP_1)
	v_mov_b32_dpp v22, v21 row_shr:8 row_mask:0xf bank_mask:0xf
	v_cndmask_b32_e64 v22, 0, v22, s0
	s_delay_alu instid0(VALU_DEP_1)
	v_add_nc_u32_e32 v21, v21, v22
	ds_store_b32 v20, v21
.LBB94_72:
	s_or_b32 exec_lo, exec_lo, s7
	v_cmp_gt_u32_e32 vcc_lo, 32, v0
	s_mov_b32 s8, exec_lo
	s_waitcnt lgkmcnt(0)
	s_barrier
	buffer_gl0_inv
                                        ; implicit-def: $vgpr27
	v_cmpx_lt_u32_e32 31, v0
	s_cbranch_execz .LBB94_74
; %bb.73:
	v_lshl_add_u32 v20, v42, 2, -4
	ds_load_b32 v27, v20
	s_waitcnt lgkmcnt(0)
	v_add_nc_u32_e32 v19, v27, v19
.LBB94_74:
	s_or_b32 exec_lo, exec_lo, s8
	v_add_nc_u32_e32 v20, -1, v41
	s_delay_alu instid0(VALU_DEP_1) | instskip(NEXT) | instid1(VALU_DEP_1)
	v_cmp_gt_i32_e64 s7, 0, v20
	v_cndmask_b32_e64 v20, v20, v41, s7
	v_cmp_eq_u32_e64 s7, 0, v41
	s_delay_alu instid0(VALU_DEP_2)
	v_lshlrev_b32_e32 v20, 2, v20
	ds_bpermute_b32 v29, v20, v19
	s_and_saveexec_b32 s8, vcc_lo
	s_cbranch_execz .LBB94_97
; %bb.75:
	v_mov_b32_e32 v23, 0
	ds_load_b32 v19, v23 offset:44
	s_and_saveexec_b32 s9, s7
	s_cbranch_execz .LBB94_77
; %bb.76:
	s_add_i32 s14, s24, 32
	s_mov_b32 s15, 0
	v_mov_b32_e32 v20, 1
	s_lshl_b64 s[14:15], s[14:15], 3
	s_delay_alu instid0(SALU_CYCLE_1)
	s_add_u32 s14, s20, s14
	s_addc_u32 s15, s21, s15
	s_waitcnt lgkmcnt(0)
	global_store_b64 v23, v[19:20], s[14:15]
.LBB94_77:
	s_or_b32 exec_lo, exec_lo, s9
	v_xad_u32 v21, v41, -1, s24
	s_mov_b32 s14, 0
	s_mov_b32 s9, exec_lo
	s_delay_alu instid0(VALU_DEP_1) | instskip(NEXT) | instid1(VALU_DEP_1)
	v_add_nc_u32_e32 v22, 32, v21
	v_lshlrev_b64 v[22:23], 3, v[22:23]
	s_delay_alu instid0(VALU_DEP_1) | instskip(NEXT) | instid1(VALU_DEP_2)
	v_add_co_u32 v25, vcc_lo, s20, v22
	v_add_co_ci_u32_e32 v26, vcc_lo, s21, v23, vcc_lo
	global_load_b64 v[23:24], v[25:26], off glc
	s_waitcnt vmcnt(0)
	v_and_b32_e32 v20, 0xff, v24
	s_delay_alu instid0(VALU_DEP_1)
	v_cmpx_eq_u16_e32 0, v20
	s_cbranch_execz .LBB94_83
; %bb.78:
	s_mov_b32 s15, 1
	.p2align	6
.LBB94_79:                              ; =>This Loop Header: Depth=1
                                        ;     Child Loop BB94_80 Depth 2
	s_delay_alu instid0(SALU_CYCLE_1)
	s_max_u32 s25, s15, 1
.LBB94_80:                              ;   Parent Loop BB94_79 Depth=1
                                        ; =>  This Inner Loop Header: Depth=2
	s_delay_alu instid0(SALU_CYCLE_1)
	s_add_i32 s25, s25, -1
	s_sleep 1
	s_cmp_eq_u32 s25, 0
	s_cbranch_scc0 .LBB94_80
; %bb.81:                               ;   in Loop: Header=BB94_79 Depth=1
	global_load_b64 v[23:24], v[25:26], off glc
	s_cmp_lt_u32 s15, 32
	s_cselect_b32 s25, -1, 0
	s_delay_alu instid0(SALU_CYCLE_1) | instskip(SKIP_3) | instid1(VALU_DEP_1)
	s_cmp_lg_u32 s25, 0
	s_addc_u32 s15, s15, 0
	s_waitcnt vmcnt(0)
	v_and_b32_e32 v20, 0xff, v24
	v_cmp_ne_u16_e32 vcc_lo, 0, v20
	s_or_b32 s14, vcc_lo, s14
	s_delay_alu instid0(SALU_CYCLE_1)
	s_and_not1_b32 exec_lo, exec_lo, s14
	s_cbranch_execnz .LBB94_79
; %bb.82:
	s_or_b32 exec_lo, exec_lo, s14
.LBB94_83:
	s_delay_alu instid0(SALU_CYCLE_1)
	s_or_b32 exec_lo, exec_lo, s9
	v_cmp_ne_u32_e32 vcc_lo, 31, v41
	v_lshlrev_b32_e64 v33, v41, -1
	v_add_nc_u32_e32 v37, 2, v41
	v_add_nc_u32_e32 v45, 4, v41
	;; [unrolled: 1-line block ×3, first 2 shown]
	v_add_co_ci_u32_e32 v20, vcc_lo, 0, v41, vcc_lo
	v_add_nc_u32_e32 v49, 16, v41
	s_delay_alu instid0(VALU_DEP_2)
	v_lshlrev_b32_e32 v31, 2, v20
	v_and_b32_e32 v20, 0xff, v24
	ds_bpermute_b32 v22, v31, v23
	v_cmp_eq_u16_e32 vcc_lo, 2, v20
	v_and_or_b32 v20, vcc_lo, v33, 0x80000000
	v_cmp_gt_u32_e32 vcc_lo, 30, v41
	s_delay_alu instid0(VALU_DEP_2) | instskip(SKIP_1) | instid1(VALU_DEP_2)
	v_ctz_i32_b32_e32 v20, v20
	v_cndmask_b32_e64 v25, 0, 1, vcc_lo
	v_cmp_lt_u32_e32 vcc_lo, v41, v20
	s_waitcnt lgkmcnt(0)
	s_delay_alu instid0(VALU_DEP_2) | instskip(NEXT) | instid1(VALU_DEP_1)
	v_dual_cndmask_b32 v22, 0, v22 :: v_dual_lshlrev_b32 v25, 1, v25
	v_add_lshl_u32 v35, v25, v41, 2
	v_cmp_gt_u32_e32 vcc_lo, 28, v41
	s_delay_alu instid0(VALU_DEP_3) | instskip(SKIP_4) | instid1(VALU_DEP_1)
	v_add_nc_u32_e32 v22, v22, v23
	v_cndmask_b32_e64 v25, 0, 1, vcc_lo
	v_cmp_le_u32_e32 vcc_lo, v37, v20
	ds_bpermute_b32 v23, v35, v22
	v_lshlrev_b32_e32 v25, 2, v25
	v_add_lshl_u32 v44, v25, v41, 2
	s_waitcnt lgkmcnt(0)
	v_cndmask_b32_e32 v23, 0, v23, vcc_lo
	v_cmp_gt_u32_e32 vcc_lo, 24, v41
	s_delay_alu instid0(VALU_DEP_2) | instskip(SKIP_4) | instid1(VALU_DEP_1)
	v_add_nc_u32_e32 v22, v22, v23
	v_cndmask_b32_e64 v25, 0, 1, vcc_lo
	v_cmp_le_u32_e32 vcc_lo, v45, v20
	ds_bpermute_b32 v23, v44, v22
	v_lshlrev_b32_e32 v25, 3, v25
	v_add_lshl_u32 v46, v25, v41, 2
	s_waitcnt lgkmcnt(0)
	v_cndmask_b32_e32 v23, 0, v23, vcc_lo
	v_cmp_gt_u32_e32 vcc_lo, 16, v41
	s_delay_alu instid0(VALU_DEP_2) | instskip(SKIP_4) | instid1(VALU_DEP_1)
	v_add_nc_u32_e32 v22, v22, v23
	v_cndmask_b32_e64 v25, 0, 1, vcc_lo
	v_cmp_le_u32_e32 vcc_lo, v47, v20
	ds_bpermute_b32 v23, v46, v22
	v_lshlrev_b32_e32 v25, 4, v25
	v_add_lshl_u32 v48, v25, v41, 2
	s_waitcnt lgkmcnt(0)
	v_cndmask_b32_e32 v23, 0, v23, vcc_lo
	v_cmp_le_u32_e32 vcc_lo, v49, v20
	s_delay_alu instid0(VALU_DEP_2) | instskip(SKIP_3) | instid1(VALU_DEP_1)
	v_add_nc_u32_e32 v22, v22, v23
	ds_bpermute_b32 v23, v48, v22
	s_waitcnt lgkmcnt(0)
	v_cndmask_b32_e32 v20, 0, v23, vcc_lo
	v_dual_mov_b32 v22, 0 :: v_dual_add_nc_u32 v23, v22, v20
	s_branch .LBB94_85
.LBB94_84:                              ;   in Loop: Header=BB94_85 Depth=1
	s_or_b32 exec_lo, exec_lo, s9
	ds_bpermute_b32 v26, v31, v23
	v_and_b32_e32 v25, 0xff, v24
	v_subrev_nc_u32_e32 v21, 32, v21
	s_delay_alu instid0(VALU_DEP_2) | instskip(SKIP_1) | instid1(VALU_DEP_1)
	v_cmp_eq_u16_e32 vcc_lo, 2, v25
	v_and_or_b32 v25, vcc_lo, v33, 0x80000000
	v_ctz_i32_b32_e32 v25, v25
	s_delay_alu instid0(VALU_DEP_1) | instskip(SKIP_3) | instid1(VALU_DEP_2)
	v_cmp_lt_u32_e32 vcc_lo, v41, v25
	s_waitcnt lgkmcnt(0)
	v_cndmask_b32_e32 v26, 0, v26, vcc_lo
	v_cmp_le_u32_e32 vcc_lo, v37, v25
	v_add_nc_u32_e32 v23, v26, v23
	ds_bpermute_b32 v26, v35, v23
	s_waitcnt lgkmcnt(0)
	v_cndmask_b32_e32 v26, 0, v26, vcc_lo
	v_cmp_le_u32_e32 vcc_lo, v45, v25
	s_delay_alu instid0(VALU_DEP_2) | instskip(SKIP_4) | instid1(VALU_DEP_2)
	v_add_nc_u32_e32 v23, v23, v26
	ds_bpermute_b32 v26, v44, v23
	s_waitcnt lgkmcnt(0)
	v_cndmask_b32_e32 v26, 0, v26, vcc_lo
	v_cmp_le_u32_e32 vcc_lo, v47, v25
	v_add_nc_u32_e32 v23, v23, v26
	ds_bpermute_b32 v26, v46, v23
	s_waitcnt lgkmcnt(0)
	v_cndmask_b32_e32 v26, 0, v26, vcc_lo
	v_cmp_le_u32_e32 vcc_lo, v49, v25
	s_delay_alu instid0(VALU_DEP_2) | instskip(SKIP_3) | instid1(VALU_DEP_1)
	v_add_nc_u32_e32 v23, v23, v26
	ds_bpermute_b32 v26, v48, v23
	s_waitcnt lgkmcnt(0)
	v_cndmask_b32_e32 v25, 0, v26, vcc_lo
	v_add3_u32 v23, v25, v20, v23
.LBB94_85:                              ; =>This Loop Header: Depth=1
                                        ;     Child Loop BB94_88 Depth 2
                                        ;       Child Loop BB94_89 Depth 3
	v_and_b32_e32 v20, 0xff, v24
	s_delay_alu instid0(VALU_DEP_1) | instskip(SKIP_2) | instid1(VALU_DEP_1)
	v_cmp_ne_u16_e32 vcc_lo, 2, v20
	v_cndmask_b32_e64 v20, 0, 1, vcc_lo
	;;#ASMSTART
	;;#ASMEND
	v_cmp_ne_u32_e32 vcc_lo, 0, v20
	v_mov_b32_e32 v20, v23
	s_cmp_lg_u32 vcc_lo, exec_lo
	s_cbranch_scc1 .LBB94_92
; %bb.86:                               ;   in Loop: Header=BB94_85 Depth=1
	v_lshlrev_b64 v[23:24], 3, v[21:22]
	s_mov_b32 s9, exec_lo
	s_delay_alu instid0(VALU_DEP_1) | instskip(NEXT) | instid1(VALU_DEP_2)
	v_add_co_u32 v25, vcc_lo, s20, v23
	v_add_co_ci_u32_e32 v26, vcc_lo, s21, v24, vcc_lo
	global_load_b64 v[23:24], v[25:26], off glc
	s_waitcnt vmcnt(0)
	v_and_b32_e32 v50, 0xff, v24
	s_delay_alu instid0(VALU_DEP_1)
	v_cmpx_eq_u16_e32 0, v50
	s_cbranch_execz .LBB94_84
; %bb.87:                               ;   in Loop: Header=BB94_85 Depth=1
	s_mov_b32 s15, 1
	s_mov_b32 s14, 0
	.p2align	6
.LBB94_88:                              ;   Parent Loop BB94_85 Depth=1
                                        ; =>  This Loop Header: Depth=2
                                        ;       Child Loop BB94_89 Depth 3
	s_max_u32 s25, s15, 1
.LBB94_89:                              ;   Parent Loop BB94_85 Depth=1
                                        ;     Parent Loop BB94_88 Depth=2
                                        ; =>    This Inner Loop Header: Depth=3
	s_delay_alu instid0(SALU_CYCLE_1)
	s_add_i32 s25, s25, -1
	s_sleep 1
	s_cmp_eq_u32 s25, 0
	s_cbranch_scc0 .LBB94_89
; %bb.90:                               ;   in Loop: Header=BB94_88 Depth=2
	global_load_b64 v[23:24], v[25:26], off glc
	s_cmp_lt_u32 s15, 32
	s_cselect_b32 s25, -1, 0
	s_delay_alu instid0(SALU_CYCLE_1) | instskip(SKIP_3) | instid1(VALU_DEP_1)
	s_cmp_lg_u32 s25, 0
	s_addc_u32 s15, s15, 0
	s_waitcnt vmcnt(0)
	v_and_b32_e32 v50, 0xff, v24
	v_cmp_ne_u16_e32 vcc_lo, 0, v50
	s_or_b32 s14, vcc_lo, s14
	s_delay_alu instid0(SALU_CYCLE_1)
	s_and_not1_b32 exec_lo, exec_lo, s14
	s_cbranch_execnz .LBB94_88
; %bb.91:                               ;   in Loop: Header=BB94_85 Depth=1
	s_or_b32 exec_lo, exec_lo, s14
	s_branch .LBB94_84
.LBB94_92:                              ;   in Loop: Header=BB94_85 Depth=1
                                        ; implicit-def: $vgpr23
                                        ; implicit-def: $vgpr24
	s_cbranch_execz .LBB94_85
; %bb.93:
	s_and_saveexec_b32 s9, s7
	s_cbranch_execz .LBB94_95
; %bb.94:
	s_add_i32 s14, s24, 32
	s_mov_b32 s15, 0
	v_dual_mov_b32 v22, 2 :: v_dual_add_nc_u32 v21, v20, v19
	s_lshl_b64 s[14:15], s[14:15], 3
	v_mov_b32_e32 v23, 0
	s_add_u32 s14, s20, s14
	s_addc_u32 s15, s21, s15
	global_store_b64 v23, v[21:22], s[14:15]
	ds_store_b64 v23, v[19:20] offset:12672
.LBB94_95:
	s_or_b32 exec_lo, exec_lo, s9
	s_delay_alu instid0(SALU_CYCLE_1)
	s_and_b32 exec_lo, exec_lo, s2
	s_cbranch_execz .LBB94_97
; %bb.96:
	v_mov_b32_e32 v19, 0
	ds_store_b32 v19, v20 offset:44
.LBB94_97:
	s_or_b32 exec_lo, exec_lo, s8
	v_mov_b32_e32 v19, 0
	s_waitcnt lgkmcnt(0)
	s_waitcnt_vscnt null, 0x0
	s_barrier
	buffer_gl0_inv
	v_cndmask_b32_e64 v21, v29, v27, s7
	ds_load_b32 v20, v19 offset:44
	s_waitcnt lgkmcnt(0)
	s_barrier
	buffer_gl0_inv
	v_cndmask_b32_e64 v21, v21, 0, s2
	s_delay_alu instid0(VALU_DEP_1) | instskip(SKIP_2) | instid1(VALU_DEP_1)
	v_add_nc_u32_e32 v37, v20, v21
	ds_load_b64 v[19:20], v19 offset:12672
	v_add_nc_u32_e32 v35, v37, v28
	v_add_nc_u32_e32 v33, v35, v30
	s_delay_alu instid0(VALU_DEP_1) | instskip(NEXT) | instid1(VALU_DEP_1)
	v_add_nc_u32_e32 v31, v33, v32
	v_add_nc_u32_e32 v29, v31, v34
	s_delay_alu instid0(VALU_DEP_1) | instskip(NEXT) | instid1(VALU_DEP_1)
	v_add_nc_u32_e32 v27, v29, v36
	v_add_nc_u32_e32 v25, v27, v38
	s_delay_alu instid0(VALU_DEP_1)
	v_add_nc_u32_e32 v23, v25, v40
	v_lshrrev_b64 v[21:22], 24, v[17:18]
	s_branch .LBB94_108
.LBB94_98:
                                        ; implicit-def: $vgpr23
                                        ; implicit-def: $vgpr25
                                        ; implicit-def: $vgpr27
                                        ; implicit-def: $vgpr29
                                        ; implicit-def: $vgpr31
                                        ; implicit-def: $vgpr33
                                        ; implicit-def: $vgpr35
                                        ; implicit-def: $vgpr37
                                        ; implicit-def: $vgpr20
	v_lshrrev_b64 v[21:22], 24, v[17:18]
	s_and_b32 vcc_lo, exec_lo, s7
	s_cbranch_vccz .LBB94_108
; %bb.99:
	s_waitcnt lgkmcnt(0)
	v_mov_b32_dpp v19, v43 row_shr:1 row_mask:0xf bank_mask:0xf
	s_delay_alu instid0(VALU_DEP_1) | instskip(NEXT) | instid1(VALU_DEP_1)
	v_cndmask_b32_e64 v19, v19, 0, s3
	v_add_nc_u32_e32 v19, v19, v43
	s_delay_alu instid0(VALU_DEP_1) | instskip(NEXT) | instid1(VALU_DEP_1)
	v_mov_b32_dpp v20, v19 row_shr:2 row_mask:0xf bank_mask:0xf
	v_cndmask_b32_e64 v20, 0, v20, s4
	s_delay_alu instid0(VALU_DEP_1) | instskip(NEXT) | instid1(VALU_DEP_1)
	v_add_nc_u32_e32 v19, v19, v20
	v_mov_b32_dpp v20, v19 row_shr:4 row_mask:0xf bank_mask:0xf
	s_delay_alu instid0(VALU_DEP_1) | instskip(NEXT) | instid1(VALU_DEP_1)
	v_cndmask_b32_e64 v20, 0, v20, s1
	v_add_nc_u32_e32 v19, v19, v20
	s_delay_alu instid0(VALU_DEP_1) | instskip(NEXT) | instid1(VALU_DEP_1)
	v_mov_b32_dpp v20, v19 row_shr:8 row_mask:0xf bank_mask:0xf
	v_cndmask_b32_e64 v20, 0, v20, s0
	s_delay_alu instid0(VALU_DEP_1) | instskip(SKIP_3) | instid1(VALU_DEP_1)
	v_add_nc_u32_e32 v19, v19, v20
	ds_swizzle_b32 v20, v19 offset:swizzle(BROADCAST,32,15)
	s_waitcnt lgkmcnt(0)
	v_cndmask_b32_e64 v20, v20, 0, s6
	v_add_nc_u32_e32 v19, v19, v20
	s_and_saveexec_b32 s6, s5
	s_cbranch_execz .LBB94_101
; %bb.100:
	v_lshlrev_b32_e32 v20, 2, v42
	ds_store_b32 v20, v19
.LBB94_101:
	s_or_b32 exec_lo, exec_lo, s6
	s_delay_alu instid0(SALU_CYCLE_1)
	s_mov_b32 s5, exec_lo
	s_waitcnt lgkmcnt(0)
	s_barrier
	buffer_gl0_inv
	v_cmpx_gt_u32_e32 12, v0
	s_cbranch_execz .LBB94_103
; %bb.102:
	v_lshlrev_b32_e32 v20, 2, v0
	ds_load_b32 v22, v20
	s_waitcnt lgkmcnt(0)
	v_mov_b32_dpp v23, v22 row_shr:1 row_mask:0xf bank_mask:0xf
	s_delay_alu instid0(VALU_DEP_1) | instskip(NEXT) | instid1(VALU_DEP_1)
	v_cndmask_b32_e64 v23, v23, 0, s3
	v_add_nc_u32_e32 v22, v23, v22
	s_delay_alu instid0(VALU_DEP_1) | instskip(NEXT) | instid1(VALU_DEP_1)
	v_mov_b32_dpp v23, v22 row_shr:2 row_mask:0xf bank_mask:0xf
	v_cndmask_b32_e64 v23, 0, v23, s4
	s_delay_alu instid0(VALU_DEP_1) | instskip(NEXT) | instid1(VALU_DEP_1)
	v_add_nc_u32_e32 v22, v22, v23
	v_mov_b32_dpp v23, v22 row_shr:4 row_mask:0xf bank_mask:0xf
	s_delay_alu instid0(VALU_DEP_1) | instskip(NEXT) | instid1(VALU_DEP_1)
	v_cndmask_b32_e64 v23, 0, v23, s1
	v_add_nc_u32_e32 v22, v22, v23
	s_delay_alu instid0(VALU_DEP_1) | instskip(NEXT) | instid1(VALU_DEP_1)
	v_mov_b32_dpp v23, v22 row_shr:8 row_mask:0xf bank_mask:0xf
	v_cndmask_b32_e64 v23, 0, v23, s0
	s_delay_alu instid0(VALU_DEP_1)
	v_add_nc_u32_e32 v22, v22, v23
	ds_store_b32 v20, v22
.LBB94_103:
	s_or_b32 exec_lo, exec_lo, s5
	v_mov_b32_e32 v20, 0
	v_mov_b32_e32 v22, 0
	s_mov_b32 s0, exec_lo
	s_waitcnt lgkmcnt(0)
	s_barrier
	buffer_gl0_inv
	v_cmpx_lt_u32_e32 31, v0
	s_cbranch_execz .LBB94_105
; %bb.104:
	v_lshl_add_u32 v22, v42, 2, -4
	ds_load_b32 v22, v22
.LBB94_105:
	s_or_b32 exec_lo, exec_lo, s0
	v_add_nc_u32_e32 v23, -1, v41
	s_waitcnt lgkmcnt(0)
	v_add_nc_u32_e32 v19, v22, v19
	s_delay_alu instid0(VALU_DEP_2) | instskip(SKIP_1) | instid1(VALU_DEP_1)
	v_cmp_gt_i32_e32 vcc_lo, 0, v23
	v_cndmask_b32_e32 v23, v23, v41, vcc_lo
	v_lshlrev_b32_e32 v23, 2, v23
	ds_bpermute_b32 v23, v23, v19
	ds_load_b32 v19, v20 offset:44
	s_and_saveexec_b32 s0, s2
	s_cbranch_execz .LBB94_107
; %bb.106:
	v_mov_b32_e32 v24, 0
	v_mov_b32_e32 v20, 2
	s_waitcnt lgkmcnt(0)
	global_store_b64 v24, v[19:20], s[20:21] offset:256
.LBB94_107:
	s_or_b32 exec_lo, exec_lo, s0
	v_cmp_eq_u32_e32 vcc_lo, 0, v41
	s_waitcnt lgkmcnt(0)
	s_waitcnt_vscnt null, 0x0
	s_barrier
	buffer_gl0_inv
	v_cndmask_b32_e32 v20, v23, v22, vcc_lo
	s_delay_alu instid0(VALU_DEP_1) | instskip(NEXT) | instid1(VALU_DEP_1)
	v_cndmask_b32_e64 v37, v20, 0, s2
	v_dual_mov_b32 v20, 0 :: v_dual_add_nc_u32 v35, v37, v28
	s_delay_alu instid0(VALU_DEP_1) | instskip(NEXT) | instid1(VALU_DEP_1)
	v_add_nc_u32_e32 v33, v35, v30
	v_add_nc_u32_e32 v31, v33, v32
	s_delay_alu instid0(VALU_DEP_1) | instskip(NEXT) | instid1(VALU_DEP_1)
	v_add_nc_u32_e32 v29, v31, v34
	v_add_nc_u32_e32 v27, v29, v36
	;; [unrolled: 3-line block ×3, first 2 shown]
.LBB94_108:
	s_waitcnt lgkmcnt(0)
	v_add_nc_u32_e32 v43, v20, v19
	v_cmp_gt_u32_e64 s0, 0x181, v19
	v_lshrrev_b32_e32 v42, 8, v17
	v_lshrrev_b32_e32 v41, 16, v17
	;; [unrolled: 1-line block ×4, first 2 shown]
	v_cmp_lt_u32_e64 s1, v37, v43
	s_and_b32 vcc_lo, exec_lo, s0
	s_mov_b32 s3, -1
	s_cbranch_vccz .LBB94_134
; %bb.109:
	s_lshl_b64 s[4:5], s[10:11], 2
	s_delay_alu instid0(SALU_CYCLE_1) | instskip(SKIP_2) | instid1(SALU_CYCLE_1)
	s_add_u32 s3, s16, s4
	s_addc_u32 s4, s17, s5
	s_or_b32 s5, s23, s1
	s_and_saveexec_b32 s1, s5
	s_cbranch_execz .LBB94_112
; %bb.110:
	v_and_b32_e32 v24, 1, v17
	s_delay_alu instid0(VALU_DEP_1)
	v_cmp_eq_u32_e32 vcc_lo, 1, v24
	s_and_b32 exec_lo, exec_lo, vcc_lo
	s_cbranch_execz .LBB94_112
; %bb.111:
	v_mov_b32_e32 v38, 0
	s_delay_alu instid0(VALU_DEP_1) | instskip(NEXT) | instid1(VALU_DEP_1)
	v_lshlrev_b64 v[44:45], 2, v[37:38]
	v_add_co_u32 v44, vcc_lo, s3, v44
	s_delay_alu instid0(VALU_DEP_2)
	v_add_co_ci_u32_e32 v45, vcc_lo, s4, v45, vcc_lo
	global_store_b32 v[44:45], v15, off
.LBB94_112:
	s_or_b32 exec_lo, exec_lo, s1
	v_cmp_lt_u32_e32 vcc_lo, v35, v43
	s_or_b32 s5, s23, vcc_lo
	s_delay_alu instid0(SALU_CYCLE_1)
	s_and_saveexec_b32 s1, s5
	s_cbranch_execz .LBB94_115
; %bb.113:
	v_and_b32_e32 v24, 1, v42
	s_delay_alu instid0(VALU_DEP_1)
	v_cmp_eq_u32_e32 vcc_lo, 1, v24
	s_and_b32 exec_lo, exec_lo, vcc_lo
	s_cbranch_execz .LBB94_115
; %bb.114:
	v_mov_b32_e32 v36, 0
	s_delay_alu instid0(VALU_DEP_1) | instskip(NEXT) | instid1(VALU_DEP_1)
	v_lshlrev_b64 v[44:45], 2, v[35:36]
	v_add_co_u32 v44, vcc_lo, s3, v44
	s_delay_alu instid0(VALU_DEP_2)
	v_add_co_ci_u32_e32 v45, vcc_lo, s4, v45, vcc_lo
	global_store_b32 v[44:45], v16, off
.LBB94_115:
	s_or_b32 exec_lo, exec_lo, s1
	v_cmp_lt_u32_e32 vcc_lo, v33, v43
	s_or_b32 s5, s23, vcc_lo
	s_delay_alu instid0(SALU_CYCLE_1)
	;; [unrolled: 21-line block ×7, first 2 shown]
	s_and_saveexec_b32 s1, s5
	s_cbranch_execz .LBB94_133
; %bb.131:
	v_and_b32_e32 v24, 1, v39
	s_delay_alu instid0(VALU_DEP_1)
	v_cmp_eq_u32_e32 vcc_lo, 1, v24
	s_and_b32 exec_lo, exec_lo, vcc_lo
	s_cbranch_execz .LBB94_133
; %bb.132:
	v_mov_b32_e32 v24, 0
	s_delay_alu instid0(VALU_DEP_1) | instskip(NEXT) | instid1(VALU_DEP_1)
	v_lshlrev_b64 v[44:45], 2, v[23:24]
	v_add_co_u32 v44, vcc_lo, s3, v44
	s_delay_alu instid0(VALU_DEP_2)
	v_add_co_ci_u32_e32 v45, vcc_lo, s4, v45, vcc_lo
	global_store_b32 v[44:45], v10, off
.LBB94_133:
	s_or_b32 exec_lo, exec_lo, s1
	s_mov_b32 s3, 0
.LBB94_134:
	v_and_b32_e32 v17, 1, v17
	s_and_b32 vcc_lo, exec_lo, s3
	s_delay_alu instid0(VALU_DEP_1)
	v_cmp_eq_u32_e64 s1, 1, v17
	s_cbranch_vccz .LBB94_155
; %bb.135:
	s_delay_alu instid0(VALU_DEP_1)
	s_and_saveexec_b32 s3, s1
	s_cbranch_execz .LBB94_137
; %bb.136:
	v_sub_nc_u32_e32 v24, v37, v20
	s_delay_alu instid0(VALU_DEP_1)
	v_lshlrev_b32_e32 v24, 2, v24
	ds_store_b32 v24, v15
.LBB94_137:
	s_or_b32 exec_lo, exec_lo, s3
	v_and_b32_e32 v15, 1, v42
	s_mov_b32 s1, exec_lo
	s_delay_alu instid0(VALU_DEP_1)
	v_cmpx_eq_u32_e32 1, v15
	s_cbranch_execz .LBB94_139
; %bb.138:
	v_sub_nc_u32_e32 v15, v35, v20
	s_delay_alu instid0(VALU_DEP_1)
	v_lshlrev_b32_e32 v15, 2, v15
	ds_store_b32 v15, v16
.LBB94_139:
	s_or_b32 exec_lo, exec_lo, s1
	v_and_b32_e32 v15, 1, v41
	s_mov_b32 s1, exec_lo
	s_delay_alu instid0(VALU_DEP_1)
	v_cmpx_eq_u32_e32 1, v15
	;; [unrolled: 12-line block ×7, first 2 shown]
	s_cbranch_execz .LBB94_151
; %bb.150:
	v_sub_nc_u32_e32 v9, v23, v20
	s_delay_alu instid0(VALU_DEP_1)
	v_lshlrev_b32_e32 v9, 2, v9
	ds_store_b32 v9, v10
.LBB94_151:
	s_or_b32 exec_lo, exec_lo, s1
	s_delay_alu instid0(SALU_CYCLE_1)
	s_mov_b32 s3, exec_lo
	s_waitcnt lgkmcnt(0)
	s_waitcnt_vscnt null, 0x0
	s_barrier
	buffer_gl0_inv
	v_cmpx_lt_u32_e64 v0, v19
	s_cbranch_execz .LBB94_154
; %bb.152:
	v_dual_mov_b32 v10, 0 :: v_dual_mov_b32 v9, v20
	s_lshl_b64 s[4:5], s[10:11], 2
	v_lshlrev_b32_e32 v11, 2, v0
	s_add_u32 s1, s16, s4
	s_addc_u32 s4, s17, s5
	v_lshlrev_b64 v[12:13], 2, v[9:10]
	v_mov_b32_e32 v9, v0
	s_delay_alu instid0(VALU_DEP_2) | instskip(NEXT) | instid1(VALU_DEP_3)
	v_add_co_u32 v12, vcc_lo, s1, v12
	v_add_co_ci_u32_e32 v13, vcc_lo, s4, v13, vcc_lo
	s_mov_b32 s4, 0
	.p2align	6
.LBB94_153:                             ; =>This Inner Loop Header: Depth=1
	ds_load_b32 v16, v11
	v_lshlrev_b64 v[14:15], 2, v[9:10]
	v_add_nc_u32_e32 v9, 0x180, v9
	v_add_nc_u32_e32 v11, 0x600, v11
	s_delay_alu instid0(VALU_DEP_2) | instskip(NEXT) | instid1(VALU_DEP_4)
	v_cmp_ge_u32_e32 vcc_lo, v9, v19
	v_add_co_u32 v14, s1, v12, v14
	s_delay_alu instid0(VALU_DEP_1)
	v_add_co_ci_u32_e64 v15, s1, v13, v15, s1
	s_or_b32 s4, vcc_lo, s4
	s_waitcnt lgkmcnt(0)
	global_store_b32 v[14:15], v16, off
	s_and_not1_b32 exec_lo, exec_lo, s4
	s_cbranch_execnz .LBB94_153
.LBB94_154:
	s_or_b32 exec_lo, exec_lo, s3
.LBB94_155:
	s_delay_alu instid0(SALU_CYCLE_1)
	s_and_b32 vcc_lo, exec_lo, s0
	s_mov_b32 s0, -1
	s_waitcnt_vscnt null, 0x0
	s_barrier
	buffer_gl0_inv
	s_cbranch_vccz .LBB94_183
; %bb.156:
	v_cmp_lt_u32_e32 vcc_lo, v37, v43
	s_lshl_b64 s[0:1], s[10:11], 2
	s_delay_alu instid0(SALU_CYCLE_1) | instskip(SKIP_2) | instid1(SALU_CYCLE_1)
	s_add_u32 s0, s18, s0
	s_addc_u32 s1, s19, s1
	s_or_b32 s4, s23, vcc_lo
	s_and_saveexec_b32 s3, s4
	s_cbranch_execz .LBB94_159
; %bb.157:
	v_cmp_eq_u32_e32 vcc_lo, 1, v17
	s_and_b32 exec_lo, exec_lo, vcc_lo
	s_cbranch_execz .LBB94_159
; %bb.158:
	v_mov_b32_e32 v38, 0
	s_delay_alu instid0(VALU_DEP_1) | instskip(NEXT) | instid1(VALU_DEP_1)
	v_lshlrev_b64 v[9:10], 2, v[37:38]
	v_add_co_u32 v9, vcc_lo, s0, v9
	s_delay_alu instid0(VALU_DEP_2)
	v_add_co_ci_u32_e32 v10, vcc_lo, s1, v10, vcc_lo
	global_store_b32 v[9:10], v7, off
.LBB94_159:
	s_or_b32 exec_lo, exec_lo, s3
	v_cmp_lt_u32_e32 vcc_lo, v35, v43
	s_or_b32 s4, s23, vcc_lo
	s_delay_alu instid0(SALU_CYCLE_1)
	s_and_saveexec_b32 s3, s4
	s_cbranch_execz .LBB94_162
; %bb.160:
	v_and_b32_e32 v9, 1, v42
	s_delay_alu instid0(VALU_DEP_1)
	v_cmp_eq_u32_e32 vcc_lo, 1, v9
	s_and_b32 exec_lo, exec_lo, vcc_lo
	s_cbranch_execz .LBB94_162
; %bb.161:
	v_mov_b32_e32 v36, 0
	s_delay_alu instid0(VALU_DEP_1) | instskip(NEXT) | instid1(VALU_DEP_1)
	v_lshlrev_b64 v[9:10], 2, v[35:36]
	v_add_co_u32 v9, vcc_lo, s0, v9
	s_delay_alu instid0(VALU_DEP_2)
	v_add_co_ci_u32_e32 v10, vcc_lo, s1, v10, vcc_lo
	global_store_b32 v[9:10], v8, off
.LBB94_162:
	s_or_b32 exec_lo, exec_lo, s3
	v_cmp_lt_u32_e32 vcc_lo, v33, v43
	s_or_b32 s4, s23, vcc_lo
	s_delay_alu instid0(SALU_CYCLE_1)
	s_and_saveexec_b32 s3, s4
	s_cbranch_execz .LBB94_165
; %bb.163:
	v_and_b32_e32 v9, 1, v41
	s_delay_alu instid0(VALU_DEP_1)
	v_cmp_eq_u32_e32 vcc_lo, 1, v9
	s_and_b32 exec_lo, exec_lo, vcc_lo
	s_cbranch_execz .LBB94_165
; %bb.164:
	v_mov_b32_e32 v34, 0
	s_delay_alu instid0(VALU_DEP_1) | instskip(NEXT) | instid1(VALU_DEP_1)
	v_lshlrev_b64 v[9:10], 2, v[33:34]
	v_add_co_u32 v9, vcc_lo, s0, v9
	s_delay_alu instid0(VALU_DEP_2)
	v_add_co_ci_u32_e32 v10, vcc_lo, s1, v10, vcc_lo
	global_store_b32 v[9:10], v5, off
.LBB94_165:
	;; [unrolled: 21-line block ×7, first 2 shown]
	s_or_b32 exec_lo, exec_lo, s3
.LBB94_181:
	s_and_b32 s0, s2, s22
	s_delay_alu instid0(SALU_CYCLE_1)
	s_and_saveexec_b32 s1, s0
	s_cbranch_execz .LBB94_204
.LBB94_182:
	v_add_co_u32 v0, s0, s10, v19
	s_delay_alu instid0(VALU_DEP_1) | instskip(SKIP_1) | instid1(VALU_DEP_3)
	v_add_co_ci_u32_e64 v1, null, s11, 0, s0
	v_mov_b32_e32 v2, 0
	v_add_co_u32 v0, vcc_lo, v0, v20
	s_delay_alu instid0(VALU_DEP_3)
	v_add_co_ci_u32_e32 v1, vcc_lo, 0, v1, vcc_lo
	global_store_b64 v2, v[0:1], s[12:13]
	s_nop 0
	s_sendmsg sendmsg(MSG_DEALLOC_VGPRS)
	s_endpgm
.LBB94_183:
	s_and_b32 vcc_lo, exec_lo, s0
	s_cbranch_vccz .LBB94_181
; %bb.184:
	s_mov_b32 s0, exec_lo
	v_cmpx_eq_u32_e32 1, v17
	s_cbranch_execz .LBB94_186
; %bb.185:
	v_sub_nc_u32_e32 v9, v37, v20
	s_delay_alu instid0(VALU_DEP_1)
	v_lshlrev_b32_e32 v9, 2, v9
	ds_store_b32 v9, v7
.LBB94_186:
	s_or_b32 exec_lo, exec_lo, s0
	v_and_b32_e32 v7, 1, v42
	s_mov_b32 s0, exec_lo
	s_delay_alu instid0(VALU_DEP_1)
	v_cmpx_eq_u32_e32 1, v7
	s_cbranch_execz .LBB94_188
; %bb.187:
	v_sub_nc_u32_e32 v7, v35, v20
	s_delay_alu instid0(VALU_DEP_1)
	v_lshlrev_b32_e32 v7, 2, v7
	ds_store_b32 v7, v8
.LBB94_188:
	s_or_b32 exec_lo, exec_lo, s0
	v_and_b32_e32 v7, 1, v41
	s_mov_b32 s0, exec_lo
	s_delay_alu instid0(VALU_DEP_1)
	v_cmpx_eq_u32_e32 1, v7
	s_cbranch_execz .LBB94_190
; %bb.189:
	v_sub_nc_u32_e32 v7, v33, v20
	s_delay_alu instid0(VALU_DEP_1)
	v_lshlrev_b32_e32 v7, 2, v7
	ds_store_b32 v7, v5
.LBB94_190:
	s_or_b32 exec_lo, exec_lo, s0
	v_and_b32_e32 v5, 1, v21
	s_mov_b32 s0, exec_lo
	s_delay_alu instid0(VALU_DEP_1)
	v_cmpx_eq_u32_e32 1, v5
	s_cbranch_execz .LBB94_192
; %bb.191:
	v_sub_nc_u32_e32 v5, v31, v20
	s_delay_alu instid0(VALU_DEP_1)
	v_lshlrev_b32_e32 v5, 2, v5
	ds_store_b32 v5, v6
.LBB94_192:
	s_or_b32 exec_lo, exec_lo, s0
	v_and_b32_e32 v5, 1, v18
	s_mov_b32 s0, exec_lo
	s_delay_alu instid0(VALU_DEP_1)
	v_cmpx_eq_u32_e32 1, v5
	s_cbranch_execz .LBB94_194
; %bb.193:
	v_sub_nc_u32_e32 v5, v29, v20
	s_delay_alu instid0(VALU_DEP_1)
	v_lshlrev_b32_e32 v5, 2, v5
	ds_store_b32 v5, v3
.LBB94_194:
	s_or_b32 exec_lo, exec_lo, s0
	v_and_b32_e32 v3, 1, v40
	s_mov_b32 s0, exec_lo
	s_delay_alu instid0(VALU_DEP_1)
	v_cmpx_eq_u32_e32 1, v3
	s_cbranch_execz .LBB94_196
; %bb.195:
	v_sub_nc_u32_e32 v3, v27, v20
	s_delay_alu instid0(VALU_DEP_1)
	v_lshlrev_b32_e32 v3, 2, v3
	ds_store_b32 v3, v4
.LBB94_196:
	s_or_b32 exec_lo, exec_lo, s0
	v_and_b32_e32 v3, 1, v22
	s_mov_b32 s0, exec_lo
	s_delay_alu instid0(VALU_DEP_1)
	v_cmpx_eq_u32_e32 1, v3
	s_cbranch_execz .LBB94_198
; %bb.197:
	v_sub_nc_u32_e32 v3, v25, v20
	s_delay_alu instid0(VALU_DEP_1)
	v_lshlrev_b32_e32 v3, 2, v3
	ds_store_b32 v3, v1
.LBB94_198:
	s_or_b32 exec_lo, exec_lo, s0
	v_and_b32_e32 v1, 1, v39
	s_mov_b32 s0, exec_lo
	s_delay_alu instid0(VALU_DEP_1)
	v_cmpx_eq_u32_e32 1, v1
	s_cbranch_execz .LBB94_200
; %bb.199:
	v_sub_nc_u32_e32 v1, v23, v20
	s_delay_alu instid0(VALU_DEP_1)
	v_lshlrev_b32_e32 v1, 2, v1
	ds_store_b32 v1, v2
.LBB94_200:
	s_or_b32 exec_lo, exec_lo, s0
	s_delay_alu instid0(SALU_CYCLE_1)
	s_mov_b32 s1, exec_lo
	s_waitcnt lgkmcnt(0)
	s_waitcnt_vscnt null, 0x0
	s_barrier
	buffer_gl0_inv
	v_cmpx_lt_u32_e64 v0, v19
	s_cbranch_execz .LBB94_203
; %bb.201:
	v_dual_mov_b32 v1, 0 :: v_dual_mov_b32 v2, v20
	s_lshl_b64 s[4:5], s[10:11], 2
	v_lshlrev_b32_e32 v4, 2, v0
	s_add_u32 s0, s18, s4
	s_delay_alu instid0(VALU_DEP_2) | instskip(SKIP_1) | instid1(VALU_DEP_1)
	v_mov_b32_e32 v3, v1
	s_addc_u32 s3, s19, s5
	v_lshlrev_b64 v[2:3], 2, v[2:3]
	s_delay_alu instid0(VALU_DEP_1) | instskip(NEXT) | instid1(VALU_DEP_2)
	v_add_co_u32 v2, vcc_lo, s0, v2
	v_add_co_ci_u32_e32 v3, vcc_lo, s3, v3, vcc_lo
	s_mov_b32 s3, 0
	.p2align	6
.LBB94_202:                             ; =>This Inner Loop Header: Depth=1
	ds_load_b32 v7, v4
	v_lshlrev_b64 v[5:6], 2, v[0:1]
	v_add_nc_u32_e32 v0, 0x180, v0
	v_add_nc_u32_e32 v4, 0x600, v4
	s_delay_alu instid0(VALU_DEP_2) | instskip(NEXT) | instid1(VALU_DEP_4)
	v_cmp_ge_u32_e32 vcc_lo, v0, v19
	v_add_co_u32 v5, s0, v2, v5
	s_delay_alu instid0(VALU_DEP_1)
	v_add_co_ci_u32_e64 v6, s0, v3, v6, s0
	s_or_b32 s3, vcc_lo, s3
	s_waitcnt lgkmcnt(0)
	global_store_b32 v[5:6], v7, off
	s_and_not1_b32 exec_lo, exec_lo, s3
	s_cbranch_execnz .LBB94_202
.LBB94_203:
	s_or_b32 exec_lo, exec_lo, s1
	s_and_b32 s0, s2, s22
	s_delay_alu instid0(SALU_CYCLE_1)
	s_and_saveexec_b32 s1, s0
	s_cbranch_execnz .LBB94_182
.LBB94_204:
	s_nop 0
	s_sendmsg sendmsg(MSG_DEALLOC_VGPRS)
	s_endpgm
	.section	.rodata,"a",@progbits
	.p2align	6, 0x0
	.amdhsa_kernel _ZN7rocprim17ROCPRIM_400000_NS6detail17trampoline_kernelINS0_14default_configENS1_25partition_config_selectorILNS1_17partition_subalgoE9EffbEEZZNS1_14partition_implILS5_9ELb0ES3_jN6thrust23THRUST_200600_302600_NS6detail15normal_iteratorINS9_10device_ptrIfEEEESE_PNS0_10empty_typeENS0_5tupleIJSE_SF_EEENSH_IJSE_SG_EEENS0_18inequality_wrapperINS9_8equal_toIfEEEEPmJSF_EEE10hipError_tPvRmT3_T4_T5_T6_T7_T9_mT8_P12ihipStream_tbDpT10_ENKUlT_T0_E_clISt17integral_constantIbLb1EES18_EEDaS13_S14_EUlS13_E_NS1_11comp_targetILNS1_3genE9ELNS1_11target_archE1100ELNS1_3gpuE3ELNS1_3repE0EEENS1_30default_config_static_selectorELNS0_4arch9wavefront6targetE0EEEvT1_
		.amdhsa_group_segment_fixed_size 12680
		.amdhsa_private_segment_fixed_size 0
		.amdhsa_kernarg_size 128
		.amdhsa_user_sgpr_count 15
		.amdhsa_user_sgpr_dispatch_ptr 0
		.amdhsa_user_sgpr_queue_ptr 0
		.amdhsa_user_sgpr_kernarg_segment_ptr 1
		.amdhsa_user_sgpr_dispatch_id 0
		.amdhsa_user_sgpr_private_segment_size 0
		.amdhsa_wavefront_size32 1
		.amdhsa_uses_dynamic_stack 0
		.amdhsa_enable_private_segment 0
		.amdhsa_system_sgpr_workgroup_id_x 1
		.amdhsa_system_sgpr_workgroup_id_y 0
		.amdhsa_system_sgpr_workgroup_id_z 0
		.amdhsa_system_sgpr_workgroup_info 0
		.amdhsa_system_vgpr_workitem_id 0
		.amdhsa_next_free_vgpr 51
		.amdhsa_next_free_sgpr 29
		.amdhsa_reserve_vcc 1
		.amdhsa_float_round_mode_32 0
		.amdhsa_float_round_mode_16_64 0
		.amdhsa_float_denorm_mode_32 3
		.amdhsa_float_denorm_mode_16_64 3
		.amdhsa_dx10_clamp 1
		.amdhsa_ieee_mode 1
		.amdhsa_fp16_overflow 0
		.amdhsa_workgroup_processor_mode 1
		.amdhsa_memory_ordered 1
		.amdhsa_forward_progress 0
		.amdhsa_shared_vgpr_count 0
		.amdhsa_exception_fp_ieee_invalid_op 0
		.amdhsa_exception_fp_denorm_src 0
		.amdhsa_exception_fp_ieee_div_zero 0
		.amdhsa_exception_fp_ieee_overflow 0
		.amdhsa_exception_fp_ieee_underflow 0
		.amdhsa_exception_fp_ieee_inexact 0
		.amdhsa_exception_int_div_zero 0
	.end_amdhsa_kernel
	.section	.text._ZN7rocprim17ROCPRIM_400000_NS6detail17trampoline_kernelINS0_14default_configENS1_25partition_config_selectorILNS1_17partition_subalgoE9EffbEEZZNS1_14partition_implILS5_9ELb0ES3_jN6thrust23THRUST_200600_302600_NS6detail15normal_iteratorINS9_10device_ptrIfEEEESE_PNS0_10empty_typeENS0_5tupleIJSE_SF_EEENSH_IJSE_SG_EEENS0_18inequality_wrapperINS9_8equal_toIfEEEEPmJSF_EEE10hipError_tPvRmT3_T4_T5_T6_T7_T9_mT8_P12ihipStream_tbDpT10_ENKUlT_T0_E_clISt17integral_constantIbLb1EES18_EEDaS13_S14_EUlS13_E_NS1_11comp_targetILNS1_3genE9ELNS1_11target_archE1100ELNS1_3gpuE3ELNS1_3repE0EEENS1_30default_config_static_selectorELNS0_4arch9wavefront6targetE0EEEvT1_,"axG",@progbits,_ZN7rocprim17ROCPRIM_400000_NS6detail17trampoline_kernelINS0_14default_configENS1_25partition_config_selectorILNS1_17partition_subalgoE9EffbEEZZNS1_14partition_implILS5_9ELb0ES3_jN6thrust23THRUST_200600_302600_NS6detail15normal_iteratorINS9_10device_ptrIfEEEESE_PNS0_10empty_typeENS0_5tupleIJSE_SF_EEENSH_IJSE_SG_EEENS0_18inequality_wrapperINS9_8equal_toIfEEEEPmJSF_EEE10hipError_tPvRmT3_T4_T5_T6_T7_T9_mT8_P12ihipStream_tbDpT10_ENKUlT_T0_E_clISt17integral_constantIbLb1EES18_EEDaS13_S14_EUlS13_E_NS1_11comp_targetILNS1_3genE9ELNS1_11target_archE1100ELNS1_3gpuE3ELNS1_3repE0EEENS1_30default_config_static_selectorELNS0_4arch9wavefront6targetE0EEEvT1_,comdat
.Lfunc_end94:
	.size	_ZN7rocprim17ROCPRIM_400000_NS6detail17trampoline_kernelINS0_14default_configENS1_25partition_config_selectorILNS1_17partition_subalgoE9EffbEEZZNS1_14partition_implILS5_9ELb0ES3_jN6thrust23THRUST_200600_302600_NS6detail15normal_iteratorINS9_10device_ptrIfEEEESE_PNS0_10empty_typeENS0_5tupleIJSE_SF_EEENSH_IJSE_SG_EEENS0_18inequality_wrapperINS9_8equal_toIfEEEEPmJSF_EEE10hipError_tPvRmT3_T4_T5_T6_T7_T9_mT8_P12ihipStream_tbDpT10_ENKUlT_T0_E_clISt17integral_constantIbLb1EES18_EEDaS13_S14_EUlS13_E_NS1_11comp_targetILNS1_3genE9ELNS1_11target_archE1100ELNS1_3gpuE3ELNS1_3repE0EEENS1_30default_config_static_selectorELNS0_4arch9wavefront6targetE0EEEvT1_, .Lfunc_end94-_ZN7rocprim17ROCPRIM_400000_NS6detail17trampoline_kernelINS0_14default_configENS1_25partition_config_selectorILNS1_17partition_subalgoE9EffbEEZZNS1_14partition_implILS5_9ELb0ES3_jN6thrust23THRUST_200600_302600_NS6detail15normal_iteratorINS9_10device_ptrIfEEEESE_PNS0_10empty_typeENS0_5tupleIJSE_SF_EEENSH_IJSE_SG_EEENS0_18inequality_wrapperINS9_8equal_toIfEEEEPmJSF_EEE10hipError_tPvRmT3_T4_T5_T6_T7_T9_mT8_P12ihipStream_tbDpT10_ENKUlT_T0_E_clISt17integral_constantIbLb1EES18_EEDaS13_S14_EUlS13_E_NS1_11comp_targetILNS1_3genE9ELNS1_11target_archE1100ELNS1_3gpuE3ELNS1_3repE0EEENS1_30default_config_static_selectorELNS0_4arch9wavefront6targetE0EEEvT1_
                                        ; -- End function
	.section	.AMDGPU.csdata,"",@progbits
; Kernel info:
; codeLenInByte = 9460
; NumSgprs: 31
; NumVgprs: 51
; ScratchSize: 0
; MemoryBound: 0
; FloatMode: 240
; IeeeMode: 1
; LDSByteSize: 12680 bytes/workgroup (compile time only)
; SGPRBlocks: 3
; VGPRBlocks: 6
; NumSGPRsForWavesPerEU: 31
; NumVGPRsForWavesPerEU: 51
; Occupancy: 15
; WaveLimiterHint : 1
; COMPUTE_PGM_RSRC2:SCRATCH_EN: 0
; COMPUTE_PGM_RSRC2:USER_SGPR: 15
; COMPUTE_PGM_RSRC2:TRAP_HANDLER: 0
; COMPUTE_PGM_RSRC2:TGID_X_EN: 1
; COMPUTE_PGM_RSRC2:TGID_Y_EN: 0
; COMPUTE_PGM_RSRC2:TGID_Z_EN: 0
; COMPUTE_PGM_RSRC2:TIDIG_COMP_CNT: 0
	.section	.text._ZN7rocprim17ROCPRIM_400000_NS6detail17trampoline_kernelINS0_14default_configENS1_25partition_config_selectorILNS1_17partition_subalgoE9EffbEEZZNS1_14partition_implILS5_9ELb0ES3_jN6thrust23THRUST_200600_302600_NS6detail15normal_iteratorINS9_10device_ptrIfEEEESE_PNS0_10empty_typeENS0_5tupleIJSE_SF_EEENSH_IJSE_SG_EEENS0_18inequality_wrapperINS9_8equal_toIfEEEEPmJSF_EEE10hipError_tPvRmT3_T4_T5_T6_T7_T9_mT8_P12ihipStream_tbDpT10_ENKUlT_T0_E_clISt17integral_constantIbLb1EES18_EEDaS13_S14_EUlS13_E_NS1_11comp_targetILNS1_3genE8ELNS1_11target_archE1030ELNS1_3gpuE2ELNS1_3repE0EEENS1_30default_config_static_selectorELNS0_4arch9wavefront6targetE0EEEvT1_,"axG",@progbits,_ZN7rocprim17ROCPRIM_400000_NS6detail17trampoline_kernelINS0_14default_configENS1_25partition_config_selectorILNS1_17partition_subalgoE9EffbEEZZNS1_14partition_implILS5_9ELb0ES3_jN6thrust23THRUST_200600_302600_NS6detail15normal_iteratorINS9_10device_ptrIfEEEESE_PNS0_10empty_typeENS0_5tupleIJSE_SF_EEENSH_IJSE_SG_EEENS0_18inequality_wrapperINS9_8equal_toIfEEEEPmJSF_EEE10hipError_tPvRmT3_T4_T5_T6_T7_T9_mT8_P12ihipStream_tbDpT10_ENKUlT_T0_E_clISt17integral_constantIbLb1EES18_EEDaS13_S14_EUlS13_E_NS1_11comp_targetILNS1_3genE8ELNS1_11target_archE1030ELNS1_3gpuE2ELNS1_3repE0EEENS1_30default_config_static_selectorELNS0_4arch9wavefront6targetE0EEEvT1_,comdat
	.protected	_ZN7rocprim17ROCPRIM_400000_NS6detail17trampoline_kernelINS0_14default_configENS1_25partition_config_selectorILNS1_17partition_subalgoE9EffbEEZZNS1_14partition_implILS5_9ELb0ES3_jN6thrust23THRUST_200600_302600_NS6detail15normal_iteratorINS9_10device_ptrIfEEEESE_PNS0_10empty_typeENS0_5tupleIJSE_SF_EEENSH_IJSE_SG_EEENS0_18inequality_wrapperINS9_8equal_toIfEEEEPmJSF_EEE10hipError_tPvRmT3_T4_T5_T6_T7_T9_mT8_P12ihipStream_tbDpT10_ENKUlT_T0_E_clISt17integral_constantIbLb1EES18_EEDaS13_S14_EUlS13_E_NS1_11comp_targetILNS1_3genE8ELNS1_11target_archE1030ELNS1_3gpuE2ELNS1_3repE0EEENS1_30default_config_static_selectorELNS0_4arch9wavefront6targetE0EEEvT1_ ; -- Begin function _ZN7rocprim17ROCPRIM_400000_NS6detail17trampoline_kernelINS0_14default_configENS1_25partition_config_selectorILNS1_17partition_subalgoE9EffbEEZZNS1_14partition_implILS5_9ELb0ES3_jN6thrust23THRUST_200600_302600_NS6detail15normal_iteratorINS9_10device_ptrIfEEEESE_PNS0_10empty_typeENS0_5tupleIJSE_SF_EEENSH_IJSE_SG_EEENS0_18inequality_wrapperINS9_8equal_toIfEEEEPmJSF_EEE10hipError_tPvRmT3_T4_T5_T6_T7_T9_mT8_P12ihipStream_tbDpT10_ENKUlT_T0_E_clISt17integral_constantIbLb1EES18_EEDaS13_S14_EUlS13_E_NS1_11comp_targetILNS1_3genE8ELNS1_11target_archE1030ELNS1_3gpuE2ELNS1_3repE0EEENS1_30default_config_static_selectorELNS0_4arch9wavefront6targetE0EEEvT1_
	.globl	_ZN7rocprim17ROCPRIM_400000_NS6detail17trampoline_kernelINS0_14default_configENS1_25partition_config_selectorILNS1_17partition_subalgoE9EffbEEZZNS1_14partition_implILS5_9ELb0ES3_jN6thrust23THRUST_200600_302600_NS6detail15normal_iteratorINS9_10device_ptrIfEEEESE_PNS0_10empty_typeENS0_5tupleIJSE_SF_EEENSH_IJSE_SG_EEENS0_18inequality_wrapperINS9_8equal_toIfEEEEPmJSF_EEE10hipError_tPvRmT3_T4_T5_T6_T7_T9_mT8_P12ihipStream_tbDpT10_ENKUlT_T0_E_clISt17integral_constantIbLb1EES18_EEDaS13_S14_EUlS13_E_NS1_11comp_targetILNS1_3genE8ELNS1_11target_archE1030ELNS1_3gpuE2ELNS1_3repE0EEENS1_30default_config_static_selectorELNS0_4arch9wavefront6targetE0EEEvT1_
	.p2align	8
	.type	_ZN7rocprim17ROCPRIM_400000_NS6detail17trampoline_kernelINS0_14default_configENS1_25partition_config_selectorILNS1_17partition_subalgoE9EffbEEZZNS1_14partition_implILS5_9ELb0ES3_jN6thrust23THRUST_200600_302600_NS6detail15normal_iteratorINS9_10device_ptrIfEEEESE_PNS0_10empty_typeENS0_5tupleIJSE_SF_EEENSH_IJSE_SG_EEENS0_18inequality_wrapperINS9_8equal_toIfEEEEPmJSF_EEE10hipError_tPvRmT3_T4_T5_T6_T7_T9_mT8_P12ihipStream_tbDpT10_ENKUlT_T0_E_clISt17integral_constantIbLb1EES18_EEDaS13_S14_EUlS13_E_NS1_11comp_targetILNS1_3genE8ELNS1_11target_archE1030ELNS1_3gpuE2ELNS1_3repE0EEENS1_30default_config_static_selectorELNS0_4arch9wavefront6targetE0EEEvT1_,@function
_ZN7rocprim17ROCPRIM_400000_NS6detail17trampoline_kernelINS0_14default_configENS1_25partition_config_selectorILNS1_17partition_subalgoE9EffbEEZZNS1_14partition_implILS5_9ELb0ES3_jN6thrust23THRUST_200600_302600_NS6detail15normal_iteratorINS9_10device_ptrIfEEEESE_PNS0_10empty_typeENS0_5tupleIJSE_SF_EEENSH_IJSE_SG_EEENS0_18inequality_wrapperINS9_8equal_toIfEEEEPmJSF_EEE10hipError_tPvRmT3_T4_T5_T6_T7_T9_mT8_P12ihipStream_tbDpT10_ENKUlT_T0_E_clISt17integral_constantIbLb1EES18_EEDaS13_S14_EUlS13_E_NS1_11comp_targetILNS1_3genE8ELNS1_11target_archE1030ELNS1_3gpuE2ELNS1_3repE0EEENS1_30default_config_static_selectorELNS0_4arch9wavefront6targetE0EEEvT1_: ; @_ZN7rocprim17ROCPRIM_400000_NS6detail17trampoline_kernelINS0_14default_configENS1_25partition_config_selectorILNS1_17partition_subalgoE9EffbEEZZNS1_14partition_implILS5_9ELb0ES3_jN6thrust23THRUST_200600_302600_NS6detail15normal_iteratorINS9_10device_ptrIfEEEESE_PNS0_10empty_typeENS0_5tupleIJSE_SF_EEENSH_IJSE_SG_EEENS0_18inequality_wrapperINS9_8equal_toIfEEEEPmJSF_EEE10hipError_tPvRmT3_T4_T5_T6_T7_T9_mT8_P12ihipStream_tbDpT10_ENKUlT_T0_E_clISt17integral_constantIbLb1EES18_EEDaS13_S14_EUlS13_E_NS1_11comp_targetILNS1_3genE8ELNS1_11target_archE1030ELNS1_3gpuE2ELNS1_3repE0EEENS1_30default_config_static_selectorELNS0_4arch9wavefront6targetE0EEEvT1_
; %bb.0:
	.section	.rodata,"a",@progbits
	.p2align	6, 0x0
	.amdhsa_kernel _ZN7rocprim17ROCPRIM_400000_NS6detail17trampoline_kernelINS0_14default_configENS1_25partition_config_selectorILNS1_17partition_subalgoE9EffbEEZZNS1_14partition_implILS5_9ELb0ES3_jN6thrust23THRUST_200600_302600_NS6detail15normal_iteratorINS9_10device_ptrIfEEEESE_PNS0_10empty_typeENS0_5tupleIJSE_SF_EEENSH_IJSE_SG_EEENS0_18inequality_wrapperINS9_8equal_toIfEEEEPmJSF_EEE10hipError_tPvRmT3_T4_T5_T6_T7_T9_mT8_P12ihipStream_tbDpT10_ENKUlT_T0_E_clISt17integral_constantIbLb1EES18_EEDaS13_S14_EUlS13_E_NS1_11comp_targetILNS1_3genE8ELNS1_11target_archE1030ELNS1_3gpuE2ELNS1_3repE0EEENS1_30default_config_static_selectorELNS0_4arch9wavefront6targetE0EEEvT1_
		.amdhsa_group_segment_fixed_size 0
		.amdhsa_private_segment_fixed_size 0
		.amdhsa_kernarg_size 128
		.amdhsa_user_sgpr_count 15
		.amdhsa_user_sgpr_dispatch_ptr 0
		.amdhsa_user_sgpr_queue_ptr 0
		.amdhsa_user_sgpr_kernarg_segment_ptr 1
		.amdhsa_user_sgpr_dispatch_id 0
		.amdhsa_user_sgpr_private_segment_size 0
		.amdhsa_wavefront_size32 1
		.amdhsa_uses_dynamic_stack 0
		.amdhsa_enable_private_segment 0
		.amdhsa_system_sgpr_workgroup_id_x 1
		.amdhsa_system_sgpr_workgroup_id_y 0
		.amdhsa_system_sgpr_workgroup_id_z 0
		.amdhsa_system_sgpr_workgroup_info 0
		.amdhsa_system_vgpr_workitem_id 0
		.amdhsa_next_free_vgpr 1
		.amdhsa_next_free_sgpr 1
		.amdhsa_reserve_vcc 0
		.amdhsa_float_round_mode_32 0
		.amdhsa_float_round_mode_16_64 0
		.amdhsa_float_denorm_mode_32 3
		.amdhsa_float_denorm_mode_16_64 3
		.amdhsa_dx10_clamp 1
		.amdhsa_ieee_mode 1
		.amdhsa_fp16_overflow 0
		.amdhsa_workgroup_processor_mode 1
		.amdhsa_memory_ordered 1
		.amdhsa_forward_progress 0
		.amdhsa_shared_vgpr_count 0
		.amdhsa_exception_fp_ieee_invalid_op 0
		.amdhsa_exception_fp_denorm_src 0
		.amdhsa_exception_fp_ieee_div_zero 0
		.amdhsa_exception_fp_ieee_overflow 0
		.amdhsa_exception_fp_ieee_underflow 0
		.amdhsa_exception_fp_ieee_inexact 0
		.amdhsa_exception_int_div_zero 0
	.end_amdhsa_kernel
	.section	.text._ZN7rocprim17ROCPRIM_400000_NS6detail17trampoline_kernelINS0_14default_configENS1_25partition_config_selectorILNS1_17partition_subalgoE9EffbEEZZNS1_14partition_implILS5_9ELb0ES3_jN6thrust23THRUST_200600_302600_NS6detail15normal_iteratorINS9_10device_ptrIfEEEESE_PNS0_10empty_typeENS0_5tupleIJSE_SF_EEENSH_IJSE_SG_EEENS0_18inequality_wrapperINS9_8equal_toIfEEEEPmJSF_EEE10hipError_tPvRmT3_T4_T5_T6_T7_T9_mT8_P12ihipStream_tbDpT10_ENKUlT_T0_E_clISt17integral_constantIbLb1EES18_EEDaS13_S14_EUlS13_E_NS1_11comp_targetILNS1_3genE8ELNS1_11target_archE1030ELNS1_3gpuE2ELNS1_3repE0EEENS1_30default_config_static_selectorELNS0_4arch9wavefront6targetE0EEEvT1_,"axG",@progbits,_ZN7rocprim17ROCPRIM_400000_NS6detail17trampoline_kernelINS0_14default_configENS1_25partition_config_selectorILNS1_17partition_subalgoE9EffbEEZZNS1_14partition_implILS5_9ELb0ES3_jN6thrust23THRUST_200600_302600_NS6detail15normal_iteratorINS9_10device_ptrIfEEEESE_PNS0_10empty_typeENS0_5tupleIJSE_SF_EEENSH_IJSE_SG_EEENS0_18inequality_wrapperINS9_8equal_toIfEEEEPmJSF_EEE10hipError_tPvRmT3_T4_T5_T6_T7_T9_mT8_P12ihipStream_tbDpT10_ENKUlT_T0_E_clISt17integral_constantIbLb1EES18_EEDaS13_S14_EUlS13_E_NS1_11comp_targetILNS1_3genE8ELNS1_11target_archE1030ELNS1_3gpuE2ELNS1_3repE0EEENS1_30default_config_static_selectorELNS0_4arch9wavefront6targetE0EEEvT1_,comdat
.Lfunc_end95:
	.size	_ZN7rocprim17ROCPRIM_400000_NS6detail17trampoline_kernelINS0_14default_configENS1_25partition_config_selectorILNS1_17partition_subalgoE9EffbEEZZNS1_14partition_implILS5_9ELb0ES3_jN6thrust23THRUST_200600_302600_NS6detail15normal_iteratorINS9_10device_ptrIfEEEESE_PNS0_10empty_typeENS0_5tupleIJSE_SF_EEENSH_IJSE_SG_EEENS0_18inequality_wrapperINS9_8equal_toIfEEEEPmJSF_EEE10hipError_tPvRmT3_T4_T5_T6_T7_T9_mT8_P12ihipStream_tbDpT10_ENKUlT_T0_E_clISt17integral_constantIbLb1EES18_EEDaS13_S14_EUlS13_E_NS1_11comp_targetILNS1_3genE8ELNS1_11target_archE1030ELNS1_3gpuE2ELNS1_3repE0EEENS1_30default_config_static_selectorELNS0_4arch9wavefront6targetE0EEEvT1_, .Lfunc_end95-_ZN7rocprim17ROCPRIM_400000_NS6detail17trampoline_kernelINS0_14default_configENS1_25partition_config_selectorILNS1_17partition_subalgoE9EffbEEZZNS1_14partition_implILS5_9ELb0ES3_jN6thrust23THRUST_200600_302600_NS6detail15normal_iteratorINS9_10device_ptrIfEEEESE_PNS0_10empty_typeENS0_5tupleIJSE_SF_EEENSH_IJSE_SG_EEENS0_18inequality_wrapperINS9_8equal_toIfEEEEPmJSF_EEE10hipError_tPvRmT3_T4_T5_T6_T7_T9_mT8_P12ihipStream_tbDpT10_ENKUlT_T0_E_clISt17integral_constantIbLb1EES18_EEDaS13_S14_EUlS13_E_NS1_11comp_targetILNS1_3genE8ELNS1_11target_archE1030ELNS1_3gpuE2ELNS1_3repE0EEENS1_30default_config_static_selectorELNS0_4arch9wavefront6targetE0EEEvT1_
                                        ; -- End function
	.section	.AMDGPU.csdata,"",@progbits
; Kernel info:
; codeLenInByte = 0
; NumSgprs: 0
; NumVgprs: 0
; ScratchSize: 0
; MemoryBound: 0
; FloatMode: 240
; IeeeMode: 1
; LDSByteSize: 0 bytes/workgroup (compile time only)
; SGPRBlocks: 0
; VGPRBlocks: 0
; NumSGPRsForWavesPerEU: 1
; NumVGPRsForWavesPerEU: 1
; Occupancy: 16
; WaveLimiterHint : 0
; COMPUTE_PGM_RSRC2:SCRATCH_EN: 0
; COMPUTE_PGM_RSRC2:USER_SGPR: 15
; COMPUTE_PGM_RSRC2:TRAP_HANDLER: 0
; COMPUTE_PGM_RSRC2:TGID_X_EN: 1
; COMPUTE_PGM_RSRC2:TGID_Y_EN: 0
; COMPUTE_PGM_RSRC2:TGID_Z_EN: 0
; COMPUTE_PGM_RSRC2:TIDIG_COMP_CNT: 0
	.section	.text._ZN7rocprim17ROCPRIM_400000_NS6detail17trampoline_kernelINS0_14default_configENS1_25partition_config_selectorILNS1_17partition_subalgoE9EffbEEZZNS1_14partition_implILS5_9ELb0ES3_jN6thrust23THRUST_200600_302600_NS6detail15normal_iteratorINS9_10device_ptrIfEEEESE_PNS0_10empty_typeENS0_5tupleIJSE_SF_EEENSH_IJSE_SG_EEENS0_18inequality_wrapperINS9_8equal_toIfEEEEPmJSF_EEE10hipError_tPvRmT3_T4_T5_T6_T7_T9_mT8_P12ihipStream_tbDpT10_ENKUlT_T0_E_clISt17integral_constantIbLb1EES17_IbLb0EEEEDaS13_S14_EUlS13_E_NS1_11comp_targetILNS1_3genE0ELNS1_11target_archE4294967295ELNS1_3gpuE0ELNS1_3repE0EEENS1_30default_config_static_selectorELNS0_4arch9wavefront6targetE0EEEvT1_,"axG",@progbits,_ZN7rocprim17ROCPRIM_400000_NS6detail17trampoline_kernelINS0_14default_configENS1_25partition_config_selectorILNS1_17partition_subalgoE9EffbEEZZNS1_14partition_implILS5_9ELb0ES3_jN6thrust23THRUST_200600_302600_NS6detail15normal_iteratorINS9_10device_ptrIfEEEESE_PNS0_10empty_typeENS0_5tupleIJSE_SF_EEENSH_IJSE_SG_EEENS0_18inequality_wrapperINS9_8equal_toIfEEEEPmJSF_EEE10hipError_tPvRmT3_T4_T5_T6_T7_T9_mT8_P12ihipStream_tbDpT10_ENKUlT_T0_E_clISt17integral_constantIbLb1EES17_IbLb0EEEEDaS13_S14_EUlS13_E_NS1_11comp_targetILNS1_3genE0ELNS1_11target_archE4294967295ELNS1_3gpuE0ELNS1_3repE0EEENS1_30default_config_static_selectorELNS0_4arch9wavefront6targetE0EEEvT1_,comdat
	.protected	_ZN7rocprim17ROCPRIM_400000_NS6detail17trampoline_kernelINS0_14default_configENS1_25partition_config_selectorILNS1_17partition_subalgoE9EffbEEZZNS1_14partition_implILS5_9ELb0ES3_jN6thrust23THRUST_200600_302600_NS6detail15normal_iteratorINS9_10device_ptrIfEEEESE_PNS0_10empty_typeENS0_5tupleIJSE_SF_EEENSH_IJSE_SG_EEENS0_18inequality_wrapperINS9_8equal_toIfEEEEPmJSF_EEE10hipError_tPvRmT3_T4_T5_T6_T7_T9_mT8_P12ihipStream_tbDpT10_ENKUlT_T0_E_clISt17integral_constantIbLb1EES17_IbLb0EEEEDaS13_S14_EUlS13_E_NS1_11comp_targetILNS1_3genE0ELNS1_11target_archE4294967295ELNS1_3gpuE0ELNS1_3repE0EEENS1_30default_config_static_selectorELNS0_4arch9wavefront6targetE0EEEvT1_ ; -- Begin function _ZN7rocprim17ROCPRIM_400000_NS6detail17trampoline_kernelINS0_14default_configENS1_25partition_config_selectorILNS1_17partition_subalgoE9EffbEEZZNS1_14partition_implILS5_9ELb0ES3_jN6thrust23THRUST_200600_302600_NS6detail15normal_iteratorINS9_10device_ptrIfEEEESE_PNS0_10empty_typeENS0_5tupleIJSE_SF_EEENSH_IJSE_SG_EEENS0_18inequality_wrapperINS9_8equal_toIfEEEEPmJSF_EEE10hipError_tPvRmT3_T4_T5_T6_T7_T9_mT8_P12ihipStream_tbDpT10_ENKUlT_T0_E_clISt17integral_constantIbLb1EES17_IbLb0EEEEDaS13_S14_EUlS13_E_NS1_11comp_targetILNS1_3genE0ELNS1_11target_archE4294967295ELNS1_3gpuE0ELNS1_3repE0EEENS1_30default_config_static_selectorELNS0_4arch9wavefront6targetE0EEEvT1_
	.globl	_ZN7rocprim17ROCPRIM_400000_NS6detail17trampoline_kernelINS0_14default_configENS1_25partition_config_selectorILNS1_17partition_subalgoE9EffbEEZZNS1_14partition_implILS5_9ELb0ES3_jN6thrust23THRUST_200600_302600_NS6detail15normal_iteratorINS9_10device_ptrIfEEEESE_PNS0_10empty_typeENS0_5tupleIJSE_SF_EEENSH_IJSE_SG_EEENS0_18inequality_wrapperINS9_8equal_toIfEEEEPmJSF_EEE10hipError_tPvRmT3_T4_T5_T6_T7_T9_mT8_P12ihipStream_tbDpT10_ENKUlT_T0_E_clISt17integral_constantIbLb1EES17_IbLb0EEEEDaS13_S14_EUlS13_E_NS1_11comp_targetILNS1_3genE0ELNS1_11target_archE4294967295ELNS1_3gpuE0ELNS1_3repE0EEENS1_30default_config_static_selectorELNS0_4arch9wavefront6targetE0EEEvT1_
	.p2align	8
	.type	_ZN7rocprim17ROCPRIM_400000_NS6detail17trampoline_kernelINS0_14default_configENS1_25partition_config_selectorILNS1_17partition_subalgoE9EffbEEZZNS1_14partition_implILS5_9ELb0ES3_jN6thrust23THRUST_200600_302600_NS6detail15normal_iteratorINS9_10device_ptrIfEEEESE_PNS0_10empty_typeENS0_5tupleIJSE_SF_EEENSH_IJSE_SG_EEENS0_18inequality_wrapperINS9_8equal_toIfEEEEPmJSF_EEE10hipError_tPvRmT3_T4_T5_T6_T7_T9_mT8_P12ihipStream_tbDpT10_ENKUlT_T0_E_clISt17integral_constantIbLb1EES17_IbLb0EEEEDaS13_S14_EUlS13_E_NS1_11comp_targetILNS1_3genE0ELNS1_11target_archE4294967295ELNS1_3gpuE0ELNS1_3repE0EEENS1_30default_config_static_selectorELNS0_4arch9wavefront6targetE0EEEvT1_,@function
_ZN7rocprim17ROCPRIM_400000_NS6detail17trampoline_kernelINS0_14default_configENS1_25partition_config_selectorILNS1_17partition_subalgoE9EffbEEZZNS1_14partition_implILS5_9ELb0ES3_jN6thrust23THRUST_200600_302600_NS6detail15normal_iteratorINS9_10device_ptrIfEEEESE_PNS0_10empty_typeENS0_5tupleIJSE_SF_EEENSH_IJSE_SG_EEENS0_18inequality_wrapperINS9_8equal_toIfEEEEPmJSF_EEE10hipError_tPvRmT3_T4_T5_T6_T7_T9_mT8_P12ihipStream_tbDpT10_ENKUlT_T0_E_clISt17integral_constantIbLb1EES17_IbLb0EEEEDaS13_S14_EUlS13_E_NS1_11comp_targetILNS1_3genE0ELNS1_11target_archE4294967295ELNS1_3gpuE0ELNS1_3repE0EEENS1_30default_config_static_selectorELNS0_4arch9wavefront6targetE0EEEvT1_: ; @_ZN7rocprim17ROCPRIM_400000_NS6detail17trampoline_kernelINS0_14default_configENS1_25partition_config_selectorILNS1_17partition_subalgoE9EffbEEZZNS1_14partition_implILS5_9ELb0ES3_jN6thrust23THRUST_200600_302600_NS6detail15normal_iteratorINS9_10device_ptrIfEEEESE_PNS0_10empty_typeENS0_5tupleIJSE_SF_EEENSH_IJSE_SG_EEENS0_18inequality_wrapperINS9_8equal_toIfEEEEPmJSF_EEE10hipError_tPvRmT3_T4_T5_T6_T7_T9_mT8_P12ihipStream_tbDpT10_ENKUlT_T0_E_clISt17integral_constantIbLb1EES17_IbLb0EEEEDaS13_S14_EUlS13_E_NS1_11comp_targetILNS1_3genE0ELNS1_11target_archE4294967295ELNS1_3gpuE0ELNS1_3repE0EEENS1_30default_config_static_selectorELNS0_4arch9wavefront6targetE0EEEvT1_
; %bb.0:
	.section	.rodata,"a",@progbits
	.p2align	6, 0x0
	.amdhsa_kernel _ZN7rocprim17ROCPRIM_400000_NS6detail17trampoline_kernelINS0_14default_configENS1_25partition_config_selectorILNS1_17partition_subalgoE9EffbEEZZNS1_14partition_implILS5_9ELb0ES3_jN6thrust23THRUST_200600_302600_NS6detail15normal_iteratorINS9_10device_ptrIfEEEESE_PNS0_10empty_typeENS0_5tupleIJSE_SF_EEENSH_IJSE_SG_EEENS0_18inequality_wrapperINS9_8equal_toIfEEEEPmJSF_EEE10hipError_tPvRmT3_T4_T5_T6_T7_T9_mT8_P12ihipStream_tbDpT10_ENKUlT_T0_E_clISt17integral_constantIbLb1EES17_IbLb0EEEEDaS13_S14_EUlS13_E_NS1_11comp_targetILNS1_3genE0ELNS1_11target_archE4294967295ELNS1_3gpuE0ELNS1_3repE0EEENS1_30default_config_static_selectorELNS0_4arch9wavefront6targetE0EEEvT1_
		.amdhsa_group_segment_fixed_size 0
		.amdhsa_private_segment_fixed_size 0
		.amdhsa_kernarg_size 112
		.amdhsa_user_sgpr_count 15
		.amdhsa_user_sgpr_dispatch_ptr 0
		.amdhsa_user_sgpr_queue_ptr 0
		.amdhsa_user_sgpr_kernarg_segment_ptr 1
		.amdhsa_user_sgpr_dispatch_id 0
		.amdhsa_user_sgpr_private_segment_size 0
		.amdhsa_wavefront_size32 1
		.amdhsa_uses_dynamic_stack 0
		.amdhsa_enable_private_segment 0
		.amdhsa_system_sgpr_workgroup_id_x 1
		.amdhsa_system_sgpr_workgroup_id_y 0
		.amdhsa_system_sgpr_workgroup_id_z 0
		.amdhsa_system_sgpr_workgroup_info 0
		.amdhsa_system_vgpr_workitem_id 0
		.amdhsa_next_free_vgpr 1
		.amdhsa_next_free_sgpr 1
		.amdhsa_reserve_vcc 0
		.amdhsa_float_round_mode_32 0
		.amdhsa_float_round_mode_16_64 0
		.amdhsa_float_denorm_mode_32 3
		.amdhsa_float_denorm_mode_16_64 3
		.amdhsa_dx10_clamp 1
		.amdhsa_ieee_mode 1
		.amdhsa_fp16_overflow 0
		.amdhsa_workgroup_processor_mode 1
		.amdhsa_memory_ordered 1
		.amdhsa_forward_progress 0
		.amdhsa_shared_vgpr_count 0
		.amdhsa_exception_fp_ieee_invalid_op 0
		.amdhsa_exception_fp_denorm_src 0
		.amdhsa_exception_fp_ieee_div_zero 0
		.amdhsa_exception_fp_ieee_overflow 0
		.amdhsa_exception_fp_ieee_underflow 0
		.amdhsa_exception_fp_ieee_inexact 0
		.amdhsa_exception_int_div_zero 0
	.end_amdhsa_kernel
	.section	.text._ZN7rocprim17ROCPRIM_400000_NS6detail17trampoline_kernelINS0_14default_configENS1_25partition_config_selectorILNS1_17partition_subalgoE9EffbEEZZNS1_14partition_implILS5_9ELb0ES3_jN6thrust23THRUST_200600_302600_NS6detail15normal_iteratorINS9_10device_ptrIfEEEESE_PNS0_10empty_typeENS0_5tupleIJSE_SF_EEENSH_IJSE_SG_EEENS0_18inequality_wrapperINS9_8equal_toIfEEEEPmJSF_EEE10hipError_tPvRmT3_T4_T5_T6_T7_T9_mT8_P12ihipStream_tbDpT10_ENKUlT_T0_E_clISt17integral_constantIbLb1EES17_IbLb0EEEEDaS13_S14_EUlS13_E_NS1_11comp_targetILNS1_3genE0ELNS1_11target_archE4294967295ELNS1_3gpuE0ELNS1_3repE0EEENS1_30default_config_static_selectorELNS0_4arch9wavefront6targetE0EEEvT1_,"axG",@progbits,_ZN7rocprim17ROCPRIM_400000_NS6detail17trampoline_kernelINS0_14default_configENS1_25partition_config_selectorILNS1_17partition_subalgoE9EffbEEZZNS1_14partition_implILS5_9ELb0ES3_jN6thrust23THRUST_200600_302600_NS6detail15normal_iteratorINS9_10device_ptrIfEEEESE_PNS0_10empty_typeENS0_5tupleIJSE_SF_EEENSH_IJSE_SG_EEENS0_18inequality_wrapperINS9_8equal_toIfEEEEPmJSF_EEE10hipError_tPvRmT3_T4_T5_T6_T7_T9_mT8_P12ihipStream_tbDpT10_ENKUlT_T0_E_clISt17integral_constantIbLb1EES17_IbLb0EEEEDaS13_S14_EUlS13_E_NS1_11comp_targetILNS1_3genE0ELNS1_11target_archE4294967295ELNS1_3gpuE0ELNS1_3repE0EEENS1_30default_config_static_selectorELNS0_4arch9wavefront6targetE0EEEvT1_,comdat
.Lfunc_end96:
	.size	_ZN7rocprim17ROCPRIM_400000_NS6detail17trampoline_kernelINS0_14default_configENS1_25partition_config_selectorILNS1_17partition_subalgoE9EffbEEZZNS1_14partition_implILS5_9ELb0ES3_jN6thrust23THRUST_200600_302600_NS6detail15normal_iteratorINS9_10device_ptrIfEEEESE_PNS0_10empty_typeENS0_5tupleIJSE_SF_EEENSH_IJSE_SG_EEENS0_18inequality_wrapperINS9_8equal_toIfEEEEPmJSF_EEE10hipError_tPvRmT3_T4_T5_T6_T7_T9_mT8_P12ihipStream_tbDpT10_ENKUlT_T0_E_clISt17integral_constantIbLb1EES17_IbLb0EEEEDaS13_S14_EUlS13_E_NS1_11comp_targetILNS1_3genE0ELNS1_11target_archE4294967295ELNS1_3gpuE0ELNS1_3repE0EEENS1_30default_config_static_selectorELNS0_4arch9wavefront6targetE0EEEvT1_, .Lfunc_end96-_ZN7rocprim17ROCPRIM_400000_NS6detail17trampoline_kernelINS0_14default_configENS1_25partition_config_selectorILNS1_17partition_subalgoE9EffbEEZZNS1_14partition_implILS5_9ELb0ES3_jN6thrust23THRUST_200600_302600_NS6detail15normal_iteratorINS9_10device_ptrIfEEEESE_PNS0_10empty_typeENS0_5tupleIJSE_SF_EEENSH_IJSE_SG_EEENS0_18inequality_wrapperINS9_8equal_toIfEEEEPmJSF_EEE10hipError_tPvRmT3_T4_T5_T6_T7_T9_mT8_P12ihipStream_tbDpT10_ENKUlT_T0_E_clISt17integral_constantIbLb1EES17_IbLb0EEEEDaS13_S14_EUlS13_E_NS1_11comp_targetILNS1_3genE0ELNS1_11target_archE4294967295ELNS1_3gpuE0ELNS1_3repE0EEENS1_30default_config_static_selectorELNS0_4arch9wavefront6targetE0EEEvT1_
                                        ; -- End function
	.section	.AMDGPU.csdata,"",@progbits
; Kernel info:
; codeLenInByte = 0
; NumSgprs: 0
; NumVgprs: 0
; ScratchSize: 0
; MemoryBound: 0
; FloatMode: 240
; IeeeMode: 1
; LDSByteSize: 0 bytes/workgroup (compile time only)
; SGPRBlocks: 0
; VGPRBlocks: 0
; NumSGPRsForWavesPerEU: 1
; NumVGPRsForWavesPerEU: 1
; Occupancy: 16
; WaveLimiterHint : 0
; COMPUTE_PGM_RSRC2:SCRATCH_EN: 0
; COMPUTE_PGM_RSRC2:USER_SGPR: 15
; COMPUTE_PGM_RSRC2:TRAP_HANDLER: 0
; COMPUTE_PGM_RSRC2:TGID_X_EN: 1
; COMPUTE_PGM_RSRC2:TGID_Y_EN: 0
; COMPUTE_PGM_RSRC2:TGID_Z_EN: 0
; COMPUTE_PGM_RSRC2:TIDIG_COMP_CNT: 0
	.section	.text._ZN7rocprim17ROCPRIM_400000_NS6detail17trampoline_kernelINS0_14default_configENS1_25partition_config_selectorILNS1_17partition_subalgoE9EffbEEZZNS1_14partition_implILS5_9ELb0ES3_jN6thrust23THRUST_200600_302600_NS6detail15normal_iteratorINS9_10device_ptrIfEEEESE_PNS0_10empty_typeENS0_5tupleIJSE_SF_EEENSH_IJSE_SG_EEENS0_18inequality_wrapperINS9_8equal_toIfEEEEPmJSF_EEE10hipError_tPvRmT3_T4_T5_T6_T7_T9_mT8_P12ihipStream_tbDpT10_ENKUlT_T0_E_clISt17integral_constantIbLb1EES17_IbLb0EEEEDaS13_S14_EUlS13_E_NS1_11comp_targetILNS1_3genE5ELNS1_11target_archE942ELNS1_3gpuE9ELNS1_3repE0EEENS1_30default_config_static_selectorELNS0_4arch9wavefront6targetE0EEEvT1_,"axG",@progbits,_ZN7rocprim17ROCPRIM_400000_NS6detail17trampoline_kernelINS0_14default_configENS1_25partition_config_selectorILNS1_17partition_subalgoE9EffbEEZZNS1_14partition_implILS5_9ELb0ES3_jN6thrust23THRUST_200600_302600_NS6detail15normal_iteratorINS9_10device_ptrIfEEEESE_PNS0_10empty_typeENS0_5tupleIJSE_SF_EEENSH_IJSE_SG_EEENS0_18inequality_wrapperINS9_8equal_toIfEEEEPmJSF_EEE10hipError_tPvRmT3_T4_T5_T6_T7_T9_mT8_P12ihipStream_tbDpT10_ENKUlT_T0_E_clISt17integral_constantIbLb1EES17_IbLb0EEEEDaS13_S14_EUlS13_E_NS1_11comp_targetILNS1_3genE5ELNS1_11target_archE942ELNS1_3gpuE9ELNS1_3repE0EEENS1_30default_config_static_selectorELNS0_4arch9wavefront6targetE0EEEvT1_,comdat
	.protected	_ZN7rocprim17ROCPRIM_400000_NS6detail17trampoline_kernelINS0_14default_configENS1_25partition_config_selectorILNS1_17partition_subalgoE9EffbEEZZNS1_14partition_implILS5_9ELb0ES3_jN6thrust23THRUST_200600_302600_NS6detail15normal_iteratorINS9_10device_ptrIfEEEESE_PNS0_10empty_typeENS0_5tupleIJSE_SF_EEENSH_IJSE_SG_EEENS0_18inequality_wrapperINS9_8equal_toIfEEEEPmJSF_EEE10hipError_tPvRmT3_T4_T5_T6_T7_T9_mT8_P12ihipStream_tbDpT10_ENKUlT_T0_E_clISt17integral_constantIbLb1EES17_IbLb0EEEEDaS13_S14_EUlS13_E_NS1_11comp_targetILNS1_3genE5ELNS1_11target_archE942ELNS1_3gpuE9ELNS1_3repE0EEENS1_30default_config_static_selectorELNS0_4arch9wavefront6targetE0EEEvT1_ ; -- Begin function _ZN7rocprim17ROCPRIM_400000_NS6detail17trampoline_kernelINS0_14default_configENS1_25partition_config_selectorILNS1_17partition_subalgoE9EffbEEZZNS1_14partition_implILS5_9ELb0ES3_jN6thrust23THRUST_200600_302600_NS6detail15normal_iteratorINS9_10device_ptrIfEEEESE_PNS0_10empty_typeENS0_5tupleIJSE_SF_EEENSH_IJSE_SG_EEENS0_18inequality_wrapperINS9_8equal_toIfEEEEPmJSF_EEE10hipError_tPvRmT3_T4_T5_T6_T7_T9_mT8_P12ihipStream_tbDpT10_ENKUlT_T0_E_clISt17integral_constantIbLb1EES17_IbLb0EEEEDaS13_S14_EUlS13_E_NS1_11comp_targetILNS1_3genE5ELNS1_11target_archE942ELNS1_3gpuE9ELNS1_3repE0EEENS1_30default_config_static_selectorELNS0_4arch9wavefront6targetE0EEEvT1_
	.globl	_ZN7rocprim17ROCPRIM_400000_NS6detail17trampoline_kernelINS0_14default_configENS1_25partition_config_selectorILNS1_17partition_subalgoE9EffbEEZZNS1_14partition_implILS5_9ELb0ES3_jN6thrust23THRUST_200600_302600_NS6detail15normal_iteratorINS9_10device_ptrIfEEEESE_PNS0_10empty_typeENS0_5tupleIJSE_SF_EEENSH_IJSE_SG_EEENS0_18inequality_wrapperINS9_8equal_toIfEEEEPmJSF_EEE10hipError_tPvRmT3_T4_T5_T6_T7_T9_mT8_P12ihipStream_tbDpT10_ENKUlT_T0_E_clISt17integral_constantIbLb1EES17_IbLb0EEEEDaS13_S14_EUlS13_E_NS1_11comp_targetILNS1_3genE5ELNS1_11target_archE942ELNS1_3gpuE9ELNS1_3repE0EEENS1_30default_config_static_selectorELNS0_4arch9wavefront6targetE0EEEvT1_
	.p2align	8
	.type	_ZN7rocprim17ROCPRIM_400000_NS6detail17trampoline_kernelINS0_14default_configENS1_25partition_config_selectorILNS1_17partition_subalgoE9EffbEEZZNS1_14partition_implILS5_9ELb0ES3_jN6thrust23THRUST_200600_302600_NS6detail15normal_iteratorINS9_10device_ptrIfEEEESE_PNS0_10empty_typeENS0_5tupleIJSE_SF_EEENSH_IJSE_SG_EEENS0_18inequality_wrapperINS9_8equal_toIfEEEEPmJSF_EEE10hipError_tPvRmT3_T4_T5_T6_T7_T9_mT8_P12ihipStream_tbDpT10_ENKUlT_T0_E_clISt17integral_constantIbLb1EES17_IbLb0EEEEDaS13_S14_EUlS13_E_NS1_11comp_targetILNS1_3genE5ELNS1_11target_archE942ELNS1_3gpuE9ELNS1_3repE0EEENS1_30default_config_static_selectorELNS0_4arch9wavefront6targetE0EEEvT1_,@function
_ZN7rocprim17ROCPRIM_400000_NS6detail17trampoline_kernelINS0_14default_configENS1_25partition_config_selectorILNS1_17partition_subalgoE9EffbEEZZNS1_14partition_implILS5_9ELb0ES3_jN6thrust23THRUST_200600_302600_NS6detail15normal_iteratorINS9_10device_ptrIfEEEESE_PNS0_10empty_typeENS0_5tupleIJSE_SF_EEENSH_IJSE_SG_EEENS0_18inequality_wrapperINS9_8equal_toIfEEEEPmJSF_EEE10hipError_tPvRmT3_T4_T5_T6_T7_T9_mT8_P12ihipStream_tbDpT10_ENKUlT_T0_E_clISt17integral_constantIbLb1EES17_IbLb0EEEEDaS13_S14_EUlS13_E_NS1_11comp_targetILNS1_3genE5ELNS1_11target_archE942ELNS1_3gpuE9ELNS1_3repE0EEENS1_30default_config_static_selectorELNS0_4arch9wavefront6targetE0EEEvT1_: ; @_ZN7rocprim17ROCPRIM_400000_NS6detail17trampoline_kernelINS0_14default_configENS1_25partition_config_selectorILNS1_17partition_subalgoE9EffbEEZZNS1_14partition_implILS5_9ELb0ES3_jN6thrust23THRUST_200600_302600_NS6detail15normal_iteratorINS9_10device_ptrIfEEEESE_PNS0_10empty_typeENS0_5tupleIJSE_SF_EEENSH_IJSE_SG_EEENS0_18inequality_wrapperINS9_8equal_toIfEEEEPmJSF_EEE10hipError_tPvRmT3_T4_T5_T6_T7_T9_mT8_P12ihipStream_tbDpT10_ENKUlT_T0_E_clISt17integral_constantIbLb1EES17_IbLb0EEEEDaS13_S14_EUlS13_E_NS1_11comp_targetILNS1_3genE5ELNS1_11target_archE942ELNS1_3gpuE9ELNS1_3repE0EEENS1_30default_config_static_selectorELNS0_4arch9wavefront6targetE0EEEvT1_
; %bb.0:
	.section	.rodata,"a",@progbits
	.p2align	6, 0x0
	.amdhsa_kernel _ZN7rocprim17ROCPRIM_400000_NS6detail17trampoline_kernelINS0_14default_configENS1_25partition_config_selectorILNS1_17partition_subalgoE9EffbEEZZNS1_14partition_implILS5_9ELb0ES3_jN6thrust23THRUST_200600_302600_NS6detail15normal_iteratorINS9_10device_ptrIfEEEESE_PNS0_10empty_typeENS0_5tupleIJSE_SF_EEENSH_IJSE_SG_EEENS0_18inequality_wrapperINS9_8equal_toIfEEEEPmJSF_EEE10hipError_tPvRmT3_T4_T5_T6_T7_T9_mT8_P12ihipStream_tbDpT10_ENKUlT_T0_E_clISt17integral_constantIbLb1EES17_IbLb0EEEEDaS13_S14_EUlS13_E_NS1_11comp_targetILNS1_3genE5ELNS1_11target_archE942ELNS1_3gpuE9ELNS1_3repE0EEENS1_30default_config_static_selectorELNS0_4arch9wavefront6targetE0EEEvT1_
		.amdhsa_group_segment_fixed_size 0
		.amdhsa_private_segment_fixed_size 0
		.amdhsa_kernarg_size 112
		.amdhsa_user_sgpr_count 15
		.amdhsa_user_sgpr_dispatch_ptr 0
		.amdhsa_user_sgpr_queue_ptr 0
		.amdhsa_user_sgpr_kernarg_segment_ptr 1
		.amdhsa_user_sgpr_dispatch_id 0
		.amdhsa_user_sgpr_private_segment_size 0
		.amdhsa_wavefront_size32 1
		.amdhsa_uses_dynamic_stack 0
		.amdhsa_enable_private_segment 0
		.amdhsa_system_sgpr_workgroup_id_x 1
		.amdhsa_system_sgpr_workgroup_id_y 0
		.amdhsa_system_sgpr_workgroup_id_z 0
		.amdhsa_system_sgpr_workgroup_info 0
		.amdhsa_system_vgpr_workitem_id 0
		.amdhsa_next_free_vgpr 1
		.amdhsa_next_free_sgpr 1
		.amdhsa_reserve_vcc 0
		.amdhsa_float_round_mode_32 0
		.amdhsa_float_round_mode_16_64 0
		.amdhsa_float_denorm_mode_32 3
		.amdhsa_float_denorm_mode_16_64 3
		.amdhsa_dx10_clamp 1
		.amdhsa_ieee_mode 1
		.amdhsa_fp16_overflow 0
		.amdhsa_workgroup_processor_mode 1
		.amdhsa_memory_ordered 1
		.amdhsa_forward_progress 0
		.amdhsa_shared_vgpr_count 0
		.amdhsa_exception_fp_ieee_invalid_op 0
		.amdhsa_exception_fp_denorm_src 0
		.amdhsa_exception_fp_ieee_div_zero 0
		.amdhsa_exception_fp_ieee_overflow 0
		.amdhsa_exception_fp_ieee_underflow 0
		.amdhsa_exception_fp_ieee_inexact 0
		.amdhsa_exception_int_div_zero 0
	.end_amdhsa_kernel
	.section	.text._ZN7rocprim17ROCPRIM_400000_NS6detail17trampoline_kernelINS0_14default_configENS1_25partition_config_selectorILNS1_17partition_subalgoE9EffbEEZZNS1_14partition_implILS5_9ELb0ES3_jN6thrust23THRUST_200600_302600_NS6detail15normal_iteratorINS9_10device_ptrIfEEEESE_PNS0_10empty_typeENS0_5tupleIJSE_SF_EEENSH_IJSE_SG_EEENS0_18inequality_wrapperINS9_8equal_toIfEEEEPmJSF_EEE10hipError_tPvRmT3_T4_T5_T6_T7_T9_mT8_P12ihipStream_tbDpT10_ENKUlT_T0_E_clISt17integral_constantIbLb1EES17_IbLb0EEEEDaS13_S14_EUlS13_E_NS1_11comp_targetILNS1_3genE5ELNS1_11target_archE942ELNS1_3gpuE9ELNS1_3repE0EEENS1_30default_config_static_selectorELNS0_4arch9wavefront6targetE0EEEvT1_,"axG",@progbits,_ZN7rocprim17ROCPRIM_400000_NS6detail17trampoline_kernelINS0_14default_configENS1_25partition_config_selectorILNS1_17partition_subalgoE9EffbEEZZNS1_14partition_implILS5_9ELb0ES3_jN6thrust23THRUST_200600_302600_NS6detail15normal_iteratorINS9_10device_ptrIfEEEESE_PNS0_10empty_typeENS0_5tupleIJSE_SF_EEENSH_IJSE_SG_EEENS0_18inequality_wrapperINS9_8equal_toIfEEEEPmJSF_EEE10hipError_tPvRmT3_T4_T5_T6_T7_T9_mT8_P12ihipStream_tbDpT10_ENKUlT_T0_E_clISt17integral_constantIbLb1EES17_IbLb0EEEEDaS13_S14_EUlS13_E_NS1_11comp_targetILNS1_3genE5ELNS1_11target_archE942ELNS1_3gpuE9ELNS1_3repE0EEENS1_30default_config_static_selectorELNS0_4arch9wavefront6targetE0EEEvT1_,comdat
.Lfunc_end97:
	.size	_ZN7rocprim17ROCPRIM_400000_NS6detail17trampoline_kernelINS0_14default_configENS1_25partition_config_selectorILNS1_17partition_subalgoE9EffbEEZZNS1_14partition_implILS5_9ELb0ES3_jN6thrust23THRUST_200600_302600_NS6detail15normal_iteratorINS9_10device_ptrIfEEEESE_PNS0_10empty_typeENS0_5tupleIJSE_SF_EEENSH_IJSE_SG_EEENS0_18inequality_wrapperINS9_8equal_toIfEEEEPmJSF_EEE10hipError_tPvRmT3_T4_T5_T6_T7_T9_mT8_P12ihipStream_tbDpT10_ENKUlT_T0_E_clISt17integral_constantIbLb1EES17_IbLb0EEEEDaS13_S14_EUlS13_E_NS1_11comp_targetILNS1_3genE5ELNS1_11target_archE942ELNS1_3gpuE9ELNS1_3repE0EEENS1_30default_config_static_selectorELNS0_4arch9wavefront6targetE0EEEvT1_, .Lfunc_end97-_ZN7rocprim17ROCPRIM_400000_NS6detail17trampoline_kernelINS0_14default_configENS1_25partition_config_selectorILNS1_17partition_subalgoE9EffbEEZZNS1_14partition_implILS5_9ELb0ES3_jN6thrust23THRUST_200600_302600_NS6detail15normal_iteratorINS9_10device_ptrIfEEEESE_PNS0_10empty_typeENS0_5tupleIJSE_SF_EEENSH_IJSE_SG_EEENS0_18inequality_wrapperINS9_8equal_toIfEEEEPmJSF_EEE10hipError_tPvRmT3_T4_T5_T6_T7_T9_mT8_P12ihipStream_tbDpT10_ENKUlT_T0_E_clISt17integral_constantIbLb1EES17_IbLb0EEEEDaS13_S14_EUlS13_E_NS1_11comp_targetILNS1_3genE5ELNS1_11target_archE942ELNS1_3gpuE9ELNS1_3repE0EEENS1_30default_config_static_selectorELNS0_4arch9wavefront6targetE0EEEvT1_
                                        ; -- End function
	.section	.AMDGPU.csdata,"",@progbits
; Kernel info:
; codeLenInByte = 0
; NumSgprs: 0
; NumVgprs: 0
; ScratchSize: 0
; MemoryBound: 0
; FloatMode: 240
; IeeeMode: 1
; LDSByteSize: 0 bytes/workgroup (compile time only)
; SGPRBlocks: 0
; VGPRBlocks: 0
; NumSGPRsForWavesPerEU: 1
; NumVGPRsForWavesPerEU: 1
; Occupancy: 16
; WaveLimiterHint : 0
; COMPUTE_PGM_RSRC2:SCRATCH_EN: 0
; COMPUTE_PGM_RSRC2:USER_SGPR: 15
; COMPUTE_PGM_RSRC2:TRAP_HANDLER: 0
; COMPUTE_PGM_RSRC2:TGID_X_EN: 1
; COMPUTE_PGM_RSRC2:TGID_Y_EN: 0
; COMPUTE_PGM_RSRC2:TGID_Z_EN: 0
; COMPUTE_PGM_RSRC2:TIDIG_COMP_CNT: 0
	.section	.text._ZN7rocprim17ROCPRIM_400000_NS6detail17trampoline_kernelINS0_14default_configENS1_25partition_config_selectorILNS1_17partition_subalgoE9EffbEEZZNS1_14partition_implILS5_9ELb0ES3_jN6thrust23THRUST_200600_302600_NS6detail15normal_iteratorINS9_10device_ptrIfEEEESE_PNS0_10empty_typeENS0_5tupleIJSE_SF_EEENSH_IJSE_SG_EEENS0_18inequality_wrapperINS9_8equal_toIfEEEEPmJSF_EEE10hipError_tPvRmT3_T4_T5_T6_T7_T9_mT8_P12ihipStream_tbDpT10_ENKUlT_T0_E_clISt17integral_constantIbLb1EES17_IbLb0EEEEDaS13_S14_EUlS13_E_NS1_11comp_targetILNS1_3genE4ELNS1_11target_archE910ELNS1_3gpuE8ELNS1_3repE0EEENS1_30default_config_static_selectorELNS0_4arch9wavefront6targetE0EEEvT1_,"axG",@progbits,_ZN7rocprim17ROCPRIM_400000_NS6detail17trampoline_kernelINS0_14default_configENS1_25partition_config_selectorILNS1_17partition_subalgoE9EffbEEZZNS1_14partition_implILS5_9ELb0ES3_jN6thrust23THRUST_200600_302600_NS6detail15normal_iteratorINS9_10device_ptrIfEEEESE_PNS0_10empty_typeENS0_5tupleIJSE_SF_EEENSH_IJSE_SG_EEENS0_18inequality_wrapperINS9_8equal_toIfEEEEPmJSF_EEE10hipError_tPvRmT3_T4_T5_T6_T7_T9_mT8_P12ihipStream_tbDpT10_ENKUlT_T0_E_clISt17integral_constantIbLb1EES17_IbLb0EEEEDaS13_S14_EUlS13_E_NS1_11comp_targetILNS1_3genE4ELNS1_11target_archE910ELNS1_3gpuE8ELNS1_3repE0EEENS1_30default_config_static_selectorELNS0_4arch9wavefront6targetE0EEEvT1_,comdat
	.protected	_ZN7rocprim17ROCPRIM_400000_NS6detail17trampoline_kernelINS0_14default_configENS1_25partition_config_selectorILNS1_17partition_subalgoE9EffbEEZZNS1_14partition_implILS5_9ELb0ES3_jN6thrust23THRUST_200600_302600_NS6detail15normal_iteratorINS9_10device_ptrIfEEEESE_PNS0_10empty_typeENS0_5tupleIJSE_SF_EEENSH_IJSE_SG_EEENS0_18inequality_wrapperINS9_8equal_toIfEEEEPmJSF_EEE10hipError_tPvRmT3_T4_T5_T6_T7_T9_mT8_P12ihipStream_tbDpT10_ENKUlT_T0_E_clISt17integral_constantIbLb1EES17_IbLb0EEEEDaS13_S14_EUlS13_E_NS1_11comp_targetILNS1_3genE4ELNS1_11target_archE910ELNS1_3gpuE8ELNS1_3repE0EEENS1_30default_config_static_selectorELNS0_4arch9wavefront6targetE0EEEvT1_ ; -- Begin function _ZN7rocprim17ROCPRIM_400000_NS6detail17trampoline_kernelINS0_14default_configENS1_25partition_config_selectorILNS1_17partition_subalgoE9EffbEEZZNS1_14partition_implILS5_9ELb0ES3_jN6thrust23THRUST_200600_302600_NS6detail15normal_iteratorINS9_10device_ptrIfEEEESE_PNS0_10empty_typeENS0_5tupleIJSE_SF_EEENSH_IJSE_SG_EEENS0_18inequality_wrapperINS9_8equal_toIfEEEEPmJSF_EEE10hipError_tPvRmT3_T4_T5_T6_T7_T9_mT8_P12ihipStream_tbDpT10_ENKUlT_T0_E_clISt17integral_constantIbLb1EES17_IbLb0EEEEDaS13_S14_EUlS13_E_NS1_11comp_targetILNS1_3genE4ELNS1_11target_archE910ELNS1_3gpuE8ELNS1_3repE0EEENS1_30default_config_static_selectorELNS0_4arch9wavefront6targetE0EEEvT1_
	.globl	_ZN7rocprim17ROCPRIM_400000_NS6detail17trampoline_kernelINS0_14default_configENS1_25partition_config_selectorILNS1_17partition_subalgoE9EffbEEZZNS1_14partition_implILS5_9ELb0ES3_jN6thrust23THRUST_200600_302600_NS6detail15normal_iteratorINS9_10device_ptrIfEEEESE_PNS0_10empty_typeENS0_5tupleIJSE_SF_EEENSH_IJSE_SG_EEENS0_18inequality_wrapperINS9_8equal_toIfEEEEPmJSF_EEE10hipError_tPvRmT3_T4_T5_T6_T7_T9_mT8_P12ihipStream_tbDpT10_ENKUlT_T0_E_clISt17integral_constantIbLb1EES17_IbLb0EEEEDaS13_S14_EUlS13_E_NS1_11comp_targetILNS1_3genE4ELNS1_11target_archE910ELNS1_3gpuE8ELNS1_3repE0EEENS1_30default_config_static_selectorELNS0_4arch9wavefront6targetE0EEEvT1_
	.p2align	8
	.type	_ZN7rocprim17ROCPRIM_400000_NS6detail17trampoline_kernelINS0_14default_configENS1_25partition_config_selectorILNS1_17partition_subalgoE9EffbEEZZNS1_14partition_implILS5_9ELb0ES3_jN6thrust23THRUST_200600_302600_NS6detail15normal_iteratorINS9_10device_ptrIfEEEESE_PNS0_10empty_typeENS0_5tupleIJSE_SF_EEENSH_IJSE_SG_EEENS0_18inequality_wrapperINS9_8equal_toIfEEEEPmJSF_EEE10hipError_tPvRmT3_T4_T5_T6_T7_T9_mT8_P12ihipStream_tbDpT10_ENKUlT_T0_E_clISt17integral_constantIbLb1EES17_IbLb0EEEEDaS13_S14_EUlS13_E_NS1_11comp_targetILNS1_3genE4ELNS1_11target_archE910ELNS1_3gpuE8ELNS1_3repE0EEENS1_30default_config_static_selectorELNS0_4arch9wavefront6targetE0EEEvT1_,@function
_ZN7rocprim17ROCPRIM_400000_NS6detail17trampoline_kernelINS0_14default_configENS1_25partition_config_selectorILNS1_17partition_subalgoE9EffbEEZZNS1_14partition_implILS5_9ELb0ES3_jN6thrust23THRUST_200600_302600_NS6detail15normal_iteratorINS9_10device_ptrIfEEEESE_PNS0_10empty_typeENS0_5tupleIJSE_SF_EEENSH_IJSE_SG_EEENS0_18inequality_wrapperINS9_8equal_toIfEEEEPmJSF_EEE10hipError_tPvRmT3_T4_T5_T6_T7_T9_mT8_P12ihipStream_tbDpT10_ENKUlT_T0_E_clISt17integral_constantIbLb1EES17_IbLb0EEEEDaS13_S14_EUlS13_E_NS1_11comp_targetILNS1_3genE4ELNS1_11target_archE910ELNS1_3gpuE8ELNS1_3repE0EEENS1_30default_config_static_selectorELNS0_4arch9wavefront6targetE0EEEvT1_: ; @_ZN7rocprim17ROCPRIM_400000_NS6detail17trampoline_kernelINS0_14default_configENS1_25partition_config_selectorILNS1_17partition_subalgoE9EffbEEZZNS1_14partition_implILS5_9ELb0ES3_jN6thrust23THRUST_200600_302600_NS6detail15normal_iteratorINS9_10device_ptrIfEEEESE_PNS0_10empty_typeENS0_5tupleIJSE_SF_EEENSH_IJSE_SG_EEENS0_18inequality_wrapperINS9_8equal_toIfEEEEPmJSF_EEE10hipError_tPvRmT3_T4_T5_T6_T7_T9_mT8_P12ihipStream_tbDpT10_ENKUlT_T0_E_clISt17integral_constantIbLb1EES17_IbLb0EEEEDaS13_S14_EUlS13_E_NS1_11comp_targetILNS1_3genE4ELNS1_11target_archE910ELNS1_3gpuE8ELNS1_3repE0EEENS1_30default_config_static_selectorELNS0_4arch9wavefront6targetE0EEEvT1_
; %bb.0:
	.section	.rodata,"a",@progbits
	.p2align	6, 0x0
	.amdhsa_kernel _ZN7rocprim17ROCPRIM_400000_NS6detail17trampoline_kernelINS0_14default_configENS1_25partition_config_selectorILNS1_17partition_subalgoE9EffbEEZZNS1_14partition_implILS5_9ELb0ES3_jN6thrust23THRUST_200600_302600_NS6detail15normal_iteratorINS9_10device_ptrIfEEEESE_PNS0_10empty_typeENS0_5tupleIJSE_SF_EEENSH_IJSE_SG_EEENS0_18inequality_wrapperINS9_8equal_toIfEEEEPmJSF_EEE10hipError_tPvRmT3_T4_T5_T6_T7_T9_mT8_P12ihipStream_tbDpT10_ENKUlT_T0_E_clISt17integral_constantIbLb1EES17_IbLb0EEEEDaS13_S14_EUlS13_E_NS1_11comp_targetILNS1_3genE4ELNS1_11target_archE910ELNS1_3gpuE8ELNS1_3repE0EEENS1_30default_config_static_selectorELNS0_4arch9wavefront6targetE0EEEvT1_
		.amdhsa_group_segment_fixed_size 0
		.amdhsa_private_segment_fixed_size 0
		.amdhsa_kernarg_size 112
		.amdhsa_user_sgpr_count 15
		.amdhsa_user_sgpr_dispatch_ptr 0
		.amdhsa_user_sgpr_queue_ptr 0
		.amdhsa_user_sgpr_kernarg_segment_ptr 1
		.amdhsa_user_sgpr_dispatch_id 0
		.amdhsa_user_sgpr_private_segment_size 0
		.amdhsa_wavefront_size32 1
		.amdhsa_uses_dynamic_stack 0
		.amdhsa_enable_private_segment 0
		.amdhsa_system_sgpr_workgroup_id_x 1
		.amdhsa_system_sgpr_workgroup_id_y 0
		.amdhsa_system_sgpr_workgroup_id_z 0
		.amdhsa_system_sgpr_workgroup_info 0
		.amdhsa_system_vgpr_workitem_id 0
		.amdhsa_next_free_vgpr 1
		.amdhsa_next_free_sgpr 1
		.amdhsa_reserve_vcc 0
		.amdhsa_float_round_mode_32 0
		.amdhsa_float_round_mode_16_64 0
		.amdhsa_float_denorm_mode_32 3
		.amdhsa_float_denorm_mode_16_64 3
		.amdhsa_dx10_clamp 1
		.amdhsa_ieee_mode 1
		.amdhsa_fp16_overflow 0
		.amdhsa_workgroup_processor_mode 1
		.amdhsa_memory_ordered 1
		.amdhsa_forward_progress 0
		.amdhsa_shared_vgpr_count 0
		.amdhsa_exception_fp_ieee_invalid_op 0
		.amdhsa_exception_fp_denorm_src 0
		.amdhsa_exception_fp_ieee_div_zero 0
		.amdhsa_exception_fp_ieee_overflow 0
		.amdhsa_exception_fp_ieee_underflow 0
		.amdhsa_exception_fp_ieee_inexact 0
		.amdhsa_exception_int_div_zero 0
	.end_amdhsa_kernel
	.section	.text._ZN7rocprim17ROCPRIM_400000_NS6detail17trampoline_kernelINS0_14default_configENS1_25partition_config_selectorILNS1_17partition_subalgoE9EffbEEZZNS1_14partition_implILS5_9ELb0ES3_jN6thrust23THRUST_200600_302600_NS6detail15normal_iteratorINS9_10device_ptrIfEEEESE_PNS0_10empty_typeENS0_5tupleIJSE_SF_EEENSH_IJSE_SG_EEENS0_18inequality_wrapperINS9_8equal_toIfEEEEPmJSF_EEE10hipError_tPvRmT3_T4_T5_T6_T7_T9_mT8_P12ihipStream_tbDpT10_ENKUlT_T0_E_clISt17integral_constantIbLb1EES17_IbLb0EEEEDaS13_S14_EUlS13_E_NS1_11comp_targetILNS1_3genE4ELNS1_11target_archE910ELNS1_3gpuE8ELNS1_3repE0EEENS1_30default_config_static_selectorELNS0_4arch9wavefront6targetE0EEEvT1_,"axG",@progbits,_ZN7rocprim17ROCPRIM_400000_NS6detail17trampoline_kernelINS0_14default_configENS1_25partition_config_selectorILNS1_17partition_subalgoE9EffbEEZZNS1_14partition_implILS5_9ELb0ES3_jN6thrust23THRUST_200600_302600_NS6detail15normal_iteratorINS9_10device_ptrIfEEEESE_PNS0_10empty_typeENS0_5tupleIJSE_SF_EEENSH_IJSE_SG_EEENS0_18inequality_wrapperINS9_8equal_toIfEEEEPmJSF_EEE10hipError_tPvRmT3_T4_T5_T6_T7_T9_mT8_P12ihipStream_tbDpT10_ENKUlT_T0_E_clISt17integral_constantIbLb1EES17_IbLb0EEEEDaS13_S14_EUlS13_E_NS1_11comp_targetILNS1_3genE4ELNS1_11target_archE910ELNS1_3gpuE8ELNS1_3repE0EEENS1_30default_config_static_selectorELNS0_4arch9wavefront6targetE0EEEvT1_,comdat
.Lfunc_end98:
	.size	_ZN7rocprim17ROCPRIM_400000_NS6detail17trampoline_kernelINS0_14default_configENS1_25partition_config_selectorILNS1_17partition_subalgoE9EffbEEZZNS1_14partition_implILS5_9ELb0ES3_jN6thrust23THRUST_200600_302600_NS6detail15normal_iteratorINS9_10device_ptrIfEEEESE_PNS0_10empty_typeENS0_5tupleIJSE_SF_EEENSH_IJSE_SG_EEENS0_18inequality_wrapperINS9_8equal_toIfEEEEPmJSF_EEE10hipError_tPvRmT3_T4_T5_T6_T7_T9_mT8_P12ihipStream_tbDpT10_ENKUlT_T0_E_clISt17integral_constantIbLb1EES17_IbLb0EEEEDaS13_S14_EUlS13_E_NS1_11comp_targetILNS1_3genE4ELNS1_11target_archE910ELNS1_3gpuE8ELNS1_3repE0EEENS1_30default_config_static_selectorELNS0_4arch9wavefront6targetE0EEEvT1_, .Lfunc_end98-_ZN7rocprim17ROCPRIM_400000_NS6detail17trampoline_kernelINS0_14default_configENS1_25partition_config_selectorILNS1_17partition_subalgoE9EffbEEZZNS1_14partition_implILS5_9ELb0ES3_jN6thrust23THRUST_200600_302600_NS6detail15normal_iteratorINS9_10device_ptrIfEEEESE_PNS0_10empty_typeENS0_5tupleIJSE_SF_EEENSH_IJSE_SG_EEENS0_18inequality_wrapperINS9_8equal_toIfEEEEPmJSF_EEE10hipError_tPvRmT3_T4_T5_T6_T7_T9_mT8_P12ihipStream_tbDpT10_ENKUlT_T0_E_clISt17integral_constantIbLb1EES17_IbLb0EEEEDaS13_S14_EUlS13_E_NS1_11comp_targetILNS1_3genE4ELNS1_11target_archE910ELNS1_3gpuE8ELNS1_3repE0EEENS1_30default_config_static_selectorELNS0_4arch9wavefront6targetE0EEEvT1_
                                        ; -- End function
	.section	.AMDGPU.csdata,"",@progbits
; Kernel info:
; codeLenInByte = 0
; NumSgprs: 0
; NumVgprs: 0
; ScratchSize: 0
; MemoryBound: 0
; FloatMode: 240
; IeeeMode: 1
; LDSByteSize: 0 bytes/workgroup (compile time only)
; SGPRBlocks: 0
; VGPRBlocks: 0
; NumSGPRsForWavesPerEU: 1
; NumVGPRsForWavesPerEU: 1
; Occupancy: 15
; WaveLimiterHint : 0
; COMPUTE_PGM_RSRC2:SCRATCH_EN: 0
; COMPUTE_PGM_RSRC2:USER_SGPR: 15
; COMPUTE_PGM_RSRC2:TRAP_HANDLER: 0
; COMPUTE_PGM_RSRC2:TGID_X_EN: 1
; COMPUTE_PGM_RSRC2:TGID_Y_EN: 0
; COMPUTE_PGM_RSRC2:TGID_Z_EN: 0
; COMPUTE_PGM_RSRC2:TIDIG_COMP_CNT: 0
	.section	.text._ZN7rocprim17ROCPRIM_400000_NS6detail17trampoline_kernelINS0_14default_configENS1_25partition_config_selectorILNS1_17partition_subalgoE9EffbEEZZNS1_14partition_implILS5_9ELb0ES3_jN6thrust23THRUST_200600_302600_NS6detail15normal_iteratorINS9_10device_ptrIfEEEESE_PNS0_10empty_typeENS0_5tupleIJSE_SF_EEENSH_IJSE_SG_EEENS0_18inequality_wrapperINS9_8equal_toIfEEEEPmJSF_EEE10hipError_tPvRmT3_T4_T5_T6_T7_T9_mT8_P12ihipStream_tbDpT10_ENKUlT_T0_E_clISt17integral_constantIbLb1EES17_IbLb0EEEEDaS13_S14_EUlS13_E_NS1_11comp_targetILNS1_3genE3ELNS1_11target_archE908ELNS1_3gpuE7ELNS1_3repE0EEENS1_30default_config_static_selectorELNS0_4arch9wavefront6targetE0EEEvT1_,"axG",@progbits,_ZN7rocprim17ROCPRIM_400000_NS6detail17trampoline_kernelINS0_14default_configENS1_25partition_config_selectorILNS1_17partition_subalgoE9EffbEEZZNS1_14partition_implILS5_9ELb0ES3_jN6thrust23THRUST_200600_302600_NS6detail15normal_iteratorINS9_10device_ptrIfEEEESE_PNS0_10empty_typeENS0_5tupleIJSE_SF_EEENSH_IJSE_SG_EEENS0_18inequality_wrapperINS9_8equal_toIfEEEEPmJSF_EEE10hipError_tPvRmT3_T4_T5_T6_T7_T9_mT8_P12ihipStream_tbDpT10_ENKUlT_T0_E_clISt17integral_constantIbLb1EES17_IbLb0EEEEDaS13_S14_EUlS13_E_NS1_11comp_targetILNS1_3genE3ELNS1_11target_archE908ELNS1_3gpuE7ELNS1_3repE0EEENS1_30default_config_static_selectorELNS0_4arch9wavefront6targetE0EEEvT1_,comdat
	.protected	_ZN7rocprim17ROCPRIM_400000_NS6detail17trampoline_kernelINS0_14default_configENS1_25partition_config_selectorILNS1_17partition_subalgoE9EffbEEZZNS1_14partition_implILS5_9ELb0ES3_jN6thrust23THRUST_200600_302600_NS6detail15normal_iteratorINS9_10device_ptrIfEEEESE_PNS0_10empty_typeENS0_5tupleIJSE_SF_EEENSH_IJSE_SG_EEENS0_18inequality_wrapperINS9_8equal_toIfEEEEPmJSF_EEE10hipError_tPvRmT3_T4_T5_T6_T7_T9_mT8_P12ihipStream_tbDpT10_ENKUlT_T0_E_clISt17integral_constantIbLb1EES17_IbLb0EEEEDaS13_S14_EUlS13_E_NS1_11comp_targetILNS1_3genE3ELNS1_11target_archE908ELNS1_3gpuE7ELNS1_3repE0EEENS1_30default_config_static_selectorELNS0_4arch9wavefront6targetE0EEEvT1_ ; -- Begin function _ZN7rocprim17ROCPRIM_400000_NS6detail17trampoline_kernelINS0_14default_configENS1_25partition_config_selectorILNS1_17partition_subalgoE9EffbEEZZNS1_14partition_implILS5_9ELb0ES3_jN6thrust23THRUST_200600_302600_NS6detail15normal_iteratorINS9_10device_ptrIfEEEESE_PNS0_10empty_typeENS0_5tupleIJSE_SF_EEENSH_IJSE_SG_EEENS0_18inequality_wrapperINS9_8equal_toIfEEEEPmJSF_EEE10hipError_tPvRmT3_T4_T5_T6_T7_T9_mT8_P12ihipStream_tbDpT10_ENKUlT_T0_E_clISt17integral_constantIbLb1EES17_IbLb0EEEEDaS13_S14_EUlS13_E_NS1_11comp_targetILNS1_3genE3ELNS1_11target_archE908ELNS1_3gpuE7ELNS1_3repE0EEENS1_30default_config_static_selectorELNS0_4arch9wavefront6targetE0EEEvT1_
	.globl	_ZN7rocprim17ROCPRIM_400000_NS6detail17trampoline_kernelINS0_14default_configENS1_25partition_config_selectorILNS1_17partition_subalgoE9EffbEEZZNS1_14partition_implILS5_9ELb0ES3_jN6thrust23THRUST_200600_302600_NS6detail15normal_iteratorINS9_10device_ptrIfEEEESE_PNS0_10empty_typeENS0_5tupleIJSE_SF_EEENSH_IJSE_SG_EEENS0_18inequality_wrapperINS9_8equal_toIfEEEEPmJSF_EEE10hipError_tPvRmT3_T4_T5_T6_T7_T9_mT8_P12ihipStream_tbDpT10_ENKUlT_T0_E_clISt17integral_constantIbLb1EES17_IbLb0EEEEDaS13_S14_EUlS13_E_NS1_11comp_targetILNS1_3genE3ELNS1_11target_archE908ELNS1_3gpuE7ELNS1_3repE0EEENS1_30default_config_static_selectorELNS0_4arch9wavefront6targetE0EEEvT1_
	.p2align	8
	.type	_ZN7rocprim17ROCPRIM_400000_NS6detail17trampoline_kernelINS0_14default_configENS1_25partition_config_selectorILNS1_17partition_subalgoE9EffbEEZZNS1_14partition_implILS5_9ELb0ES3_jN6thrust23THRUST_200600_302600_NS6detail15normal_iteratorINS9_10device_ptrIfEEEESE_PNS0_10empty_typeENS0_5tupleIJSE_SF_EEENSH_IJSE_SG_EEENS0_18inequality_wrapperINS9_8equal_toIfEEEEPmJSF_EEE10hipError_tPvRmT3_T4_T5_T6_T7_T9_mT8_P12ihipStream_tbDpT10_ENKUlT_T0_E_clISt17integral_constantIbLb1EES17_IbLb0EEEEDaS13_S14_EUlS13_E_NS1_11comp_targetILNS1_3genE3ELNS1_11target_archE908ELNS1_3gpuE7ELNS1_3repE0EEENS1_30default_config_static_selectorELNS0_4arch9wavefront6targetE0EEEvT1_,@function
_ZN7rocprim17ROCPRIM_400000_NS6detail17trampoline_kernelINS0_14default_configENS1_25partition_config_selectorILNS1_17partition_subalgoE9EffbEEZZNS1_14partition_implILS5_9ELb0ES3_jN6thrust23THRUST_200600_302600_NS6detail15normal_iteratorINS9_10device_ptrIfEEEESE_PNS0_10empty_typeENS0_5tupleIJSE_SF_EEENSH_IJSE_SG_EEENS0_18inequality_wrapperINS9_8equal_toIfEEEEPmJSF_EEE10hipError_tPvRmT3_T4_T5_T6_T7_T9_mT8_P12ihipStream_tbDpT10_ENKUlT_T0_E_clISt17integral_constantIbLb1EES17_IbLb0EEEEDaS13_S14_EUlS13_E_NS1_11comp_targetILNS1_3genE3ELNS1_11target_archE908ELNS1_3gpuE7ELNS1_3repE0EEENS1_30default_config_static_selectorELNS0_4arch9wavefront6targetE0EEEvT1_: ; @_ZN7rocprim17ROCPRIM_400000_NS6detail17trampoline_kernelINS0_14default_configENS1_25partition_config_selectorILNS1_17partition_subalgoE9EffbEEZZNS1_14partition_implILS5_9ELb0ES3_jN6thrust23THRUST_200600_302600_NS6detail15normal_iteratorINS9_10device_ptrIfEEEESE_PNS0_10empty_typeENS0_5tupleIJSE_SF_EEENSH_IJSE_SG_EEENS0_18inequality_wrapperINS9_8equal_toIfEEEEPmJSF_EEE10hipError_tPvRmT3_T4_T5_T6_T7_T9_mT8_P12ihipStream_tbDpT10_ENKUlT_T0_E_clISt17integral_constantIbLb1EES17_IbLb0EEEEDaS13_S14_EUlS13_E_NS1_11comp_targetILNS1_3genE3ELNS1_11target_archE908ELNS1_3gpuE7ELNS1_3repE0EEENS1_30default_config_static_selectorELNS0_4arch9wavefront6targetE0EEEvT1_
; %bb.0:
	.section	.rodata,"a",@progbits
	.p2align	6, 0x0
	.amdhsa_kernel _ZN7rocprim17ROCPRIM_400000_NS6detail17trampoline_kernelINS0_14default_configENS1_25partition_config_selectorILNS1_17partition_subalgoE9EffbEEZZNS1_14partition_implILS5_9ELb0ES3_jN6thrust23THRUST_200600_302600_NS6detail15normal_iteratorINS9_10device_ptrIfEEEESE_PNS0_10empty_typeENS0_5tupleIJSE_SF_EEENSH_IJSE_SG_EEENS0_18inequality_wrapperINS9_8equal_toIfEEEEPmJSF_EEE10hipError_tPvRmT3_T4_T5_T6_T7_T9_mT8_P12ihipStream_tbDpT10_ENKUlT_T0_E_clISt17integral_constantIbLb1EES17_IbLb0EEEEDaS13_S14_EUlS13_E_NS1_11comp_targetILNS1_3genE3ELNS1_11target_archE908ELNS1_3gpuE7ELNS1_3repE0EEENS1_30default_config_static_selectorELNS0_4arch9wavefront6targetE0EEEvT1_
		.amdhsa_group_segment_fixed_size 0
		.amdhsa_private_segment_fixed_size 0
		.amdhsa_kernarg_size 112
		.amdhsa_user_sgpr_count 15
		.amdhsa_user_sgpr_dispatch_ptr 0
		.amdhsa_user_sgpr_queue_ptr 0
		.amdhsa_user_sgpr_kernarg_segment_ptr 1
		.amdhsa_user_sgpr_dispatch_id 0
		.amdhsa_user_sgpr_private_segment_size 0
		.amdhsa_wavefront_size32 1
		.amdhsa_uses_dynamic_stack 0
		.amdhsa_enable_private_segment 0
		.amdhsa_system_sgpr_workgroup_id_x 1
		.amdhsa_system_sgpr_workgroup_id_y 0
		.amdhsa_system_sgpr_workgroup_id_z 0
		.amdhsa_system_sgpr_workgroup_info 0
		.amdhsa_system_vgpr_workitem_id 0
		.amdhsa_next_free_vgpr 1
		.amdhsa_next_free_sgpr 1
		.amdhsa_reserve_vcc 0
		.amdhsa_float_round_mode_32 0
		.amdhsa_float_round_mode_16_64 0
		.amdhsa_float_denorm_mode_32 3
		.amdhsa_float_denorm_mode_16_64 3
		.amdhsa_dx10_clamp 1
		.amdhsa_ieee_mode 1
		.amdhsa_fp16_overflow 0
		.amdhsa_workgroup_processor_mode 1
		.amdhsa_memory_ordered 1
		.amdhsa_forward_progress 0
		.amdhsa_shared_vgpr_count 0
		.amdhsa_exception_fp_ieee_invalid_op 0
		.amdhsa_exception_fp_denorm_src 0
		.amdhsa_exception_fp_ieee_div_zero 0
		.amdhsa_exception_fp_ieee_overflow 0
		.amdhsa_exception_fp_ieee_underflow 0
		.amdhsa_exception_fp_ieee_inexact 0
		.amdhsa_exception_int_div_zero 0
	.end_amdhsa_kernel
	.section	.text._ZN7rocprim17ROCPRIM_400000_NS6detail17trampoline_kernelINS0_14default_configENS1_25partition_config_selectorILNS1_17partition_subalgoE9EffbEEZZNS1_14partition_implILS5_9ELb0ES3_jN6thrust23THRUST_200600_302600_NS6detail15normal_iteratorINS9_10device_ptrIfEEEESE_PNS0_10empty_typeENS0_5tupleIJSE_SF_EEENSH_IJSE_SG_EEENS0_18inequality_wrapperINS9_8equal_toIfEEEEPmJSF_EEE10hipError_tPvRmT3_T4_T5_T6_T7_T9_mT8_P12ihipStream_tbDpT10_ENKUlT_T0_E_clISt17integral_constantIbLb1EES17_IbLb0EEEEDaS13_S14_EUlS13_E_NS1_11comp_targetILNS1_3genE3ELNS1_11target_archE908ELNS1_3gpuE7ELNS1_3repE0EEENS1_30default_config_static_selectorELNS0_4arch9wavefront6targetE0EEEvT1_,"axG",@progbits,_ZN7rocprim17ROCPRIM_400000_NS6detail17trampoline_kernelINS0_14default_configENS1_25partition_config_selectorILNS1_17partition_subalgoE9EffbEEZZNS1_14partition_implILS5_9ELb0ES3_jN6thrust23THRUST_200600_302600_NS6detail15normal_iteratorINS9_10device_ptrIfEEEESE_PNS0_10empty_typeENS0_5tupleIJSE_SF_EEENSH_IJSE_SG_EEENS0_18inequality_wrapperINS9_8equal_toIfEEEEPmJSF_EEE10hipError_tPvRmT3_T4_T5_T6_T7_T9_mT8_P12ihipStream_tbDpT10_ENKUlT_T0_E_clISt17integral_constantIbLb1EES17_IbLb0EEEEDaS13_S14_EUlS13_E_NS1_11comp_targetILNS1_3genE3ELNS1_11target_archE908ELNS1_3gpuE7ELNS1_3repE0EEENS1_30default_config_static_selectorELNS0_4arch9wavefront6targetE0EEEvT1_,comdat
.Lfunc_end99:
	.size	_ZN7rocprim17ROCPRIM_400000_NS6detail17trampoline_kernelINS0_14default_configENS1_25partition_config_selectorILNS1_17partition_subalgoE9EffbEEZZNS1_14partition_implILS5_9ELb0ES3_jN6thrust23THRUST_200600_302600_NS6detail15normal_iteratorINS9_10device_ptrIfEEEESE_PNS0_10empty_typeENS0_5tupleIJSE_SF_EEENSH_IJSE_SG_EEENS0_18inequality_wrapperINS9_8equal_toIfEEEEPmJSF_EEE10hipError_tPvRmT3_T4_T5_T6_T7_T9_mT8_P12ihipStream_tbDpT10_ENKUlT_T0_E_clISt17integral_constantIbLb1EES17_IbLb0EEEEDaS13_S14_EUlS13_E_NS1_11comp_targetILNS1_3genE3ELNS1_11target_archE908ELNS1_3gpuE7ELNS1_3repE0EEENS1_30default_config_static_selectorELNS0_4arch9wavefront6targetE0EEEvT1_, .Lfunc_end99-_ZN7rocprim17ROCPRIM_400000_NS6detail17trampoline_kernelINS0_14default_configENS1_25partition_config_selectorILNS1_17partition_subalgoE9EffbEEZZNS1_14partition_implILS5_9ELb0ES3_jN6thrust23THRUST_200600_302600_NS6detail15normal_iteratorINS9_10device_ptrIfEEEESE_PNS0_10empty_typeENS0_5tupleIJSE_SF_EEENSH_IJSE_SG_EEENS0_18inequality_wrapperINS9_8equal_toIfEEEEPmJSF_EEE10hipError_tPvRmT3_T4_T5_T6_T7_T9_mT8_P12ihipStream_tbDpT10_ENKUlT_T0_E_clISt17integral_constantIbLb1EES17_IbLb0EEEEDaS13_S14_EUlS13_E_NS1_11comp_targetILNS1_3genE3ELNS1_11target_archE908ELNS1_3gpuE7ELNS1_3repE0EEENS1_30default_config_static_selectorELNS0_4arch9wavefront6targetE0EEEvT1_
                                        ; -- End function
	.section	.AMDGPU.csdata,"",@progbits
; Kernel info:
; codeLenInByte = 0
; NumSgprs: 0
; NumVgprs: 0
; ScratchSize: 0
; MemoryBound: 0
; FloatMode: 240
; IeeeMode: 1
; LDSByteSize: 0 bytes/workgroup (compile time only)
; SGPRBlocks: 0
; VGPRBlocks: 0
; NumSGPRsForWavesPerEU: 1
; NumVGPRsForWavesPerEU: 1
; Occupancy: 16
; WaveLimiterHint : 0
; COMPUTE_PGM_RSRC2:SCRATCH_EN: 0
; COMPUTE_PGM_RSRC2:USER_SGPR: 15
; COMPUTE_PGM_RSRC2:TRAP_HANDLER: 0
; COMPUTE_PGM_RSRC2:TGID_X_EN: 1
; COMPUTE_PGM_RSRC2:TGID_Y_EN: 0
; COMPUTE_PGM_RSRC2:TGID_Z_EN: 0
; COMPUTE_PGM_RSRC2:TIDIG_COMP_CNT: 0
	.section	.text._ZN7rocprim17ROCPRIM_400000_NS6detail17trampoline_kernelINS0_14default_configENS1_25partition_config_selectorILNS1_17partition_subalgoE9EffbEEZZNS1_14partition_implILS5_9ELb0ES3_jN6thrust23THRUST_200600_302600_NS6detail15normal_iteratorINS9_10device_ptrIfEEEESE_PNS0_10empty_typeENS0_5tupleIJSE_SF_EEENSH_IJSE_SG_EEENS0_18inequality_wrapperINS9_8equal_toIfEEEEPmJSF_EEE10hipError_tPvRmT3_T4_T5_T6_T7_T9_mT8_P12ihipStream_tbDpT10_ENKUlT_T0_E_clISt17integral_constantIbLb1EES17_IbLb0EEEEDaS13_S14_EUlS13_E_NS1_11comp_targetILNS1_3genE2ELNS1_11target_archE906ELNS1_3gpuE6ELNS1_3repE0EEENS1_30default_config_static_selectorELNS0_4arch9wavefront6targetE0EEEvT1_,"axG",@progbits,_ZN7rocprim17ROCPRIM_400000_NS6detail17trampoline_kernelINS0_14default_configENS1_25partition_config_selectorILNS1_17partition_subalgoE9EffbEEZZNS1_14partition_implILS5_9ELb0ES3_jN6thrust23THRUST_200600_302600_NS6detail15normal_iteratorINS9_10device_ptrIfEEEESE_PNS0_10empty_typeENS0_5tupleIJSE_SF_EEENSH_IJSE_SG_EEENS0_18inequality_wrapperINS9_8equal_toIfEEEEPmJSF_EEE10hipError_tPvRmT3_T4_T5_T6_T7_T9_mT8_P12ihipStream_tbDpT10_ENKUlT_T0_E_clISt17integral_constantIbLb1EES17_IbLb0EEEEDaS13_S14_EUlS13_E_NS1_11comp_targetILNS1_3genE2ELNS1_11target_archE906ELNS1_3gpuE6ELNS1_3repE0EEENS1_30default_config_static_selectorELNS0_4arch9wavefront6targetE0EEEvT1_,comdat
	.protected	_ZN7rocprim17ROCPRIM_400000_NS6detail17trampoline_kernelINS0_14default_configENS1_25partition_config_selectorILNS1_17partition_subalgoE9EffbEEZZNS1_14partition_implILS5_9ELb0ES3_jN6thrust23THRUST_200600_302600_NS6detail15normal_iteratorINS9_10device_ptrIfEEEESE_PNS0_10empty_typeENS0_5tupleIJSE_SF_EEENSH_IJSE_SG_EEENS0_18inequality_wrapperINS9_8equal_toIfEEEEPmJSF_EEE10hipError_tPvRmT3_T4_T5_T6_T7_T9_mT8_P12ihipStream_tbDpT10_ENKUlT_T0_E_clISt17integral_constantIbLb1EES17_IbLb0EEEEDaS13_S14_EUlS13_E_NS1_11comp_targetILNS1_3genE2ELNS1_11target_archE906ELNS1_3gpuE6ELNS1_3repE0EEENS1_30default_config_static_selectorELNS0_4arch9wavefront6targetE0EEEvT1_ ; -- Begin function _ZN7rocprim17ROCPRIM_400000_NS6detail17trampoline_kernelINS0_14default_configENS1_25partition_config_selectorILNS1_17partition_subalgoE9EffbEEZZNS1_14partition_implILS5_9ELb0ES3_jN6thrust23THRUST_200600_302600_NS6detail15normal_iteratorINS9_10device_ptrIfEEEESE_PNS0_10empty_typeENS0_5tupleIJSE_SF_EEENSH_IJSE_SG_EEENS0_18inequality_wrapperINS9_8equal_toIfEEEEPmJSF_EEE10hipError_tPvRmT3_T4_T5_T6_T7_T9_mT8_P12ihipStream_tbDpT10_ENKUlT_T0_E_clISt17integral_constantIbLb1EES17_IbLb0EEEEDaS13_S14_EUlS13_E_NS1_11comp_targetILNS1_3genE2ELNS1_11target_archE906ELNS1_3gpuE6ELNS1_3repE0EEENS1_30default_config_static_selectorELNS0_4arch9wavefront6targetE0EEEvT1_
	.globl	_ZN7rocprim17ROCPRIM_400000_NS6detail17trampoline_kernelINS0_14default_configENS1_25partition_config_selectorILNS1_17partition_subalgoE9EffbEEZZNS1_14partition_implILS5_9ELb0ES3_jN6thrust23THRUST_200600_302600_NS6detail15normal_iteratorINS9_10device_ptrIfEEEESE_PNS0_10empty_typeENS0_5tupleIJSE_SF_EEENSH_IJSE_SG_EEENS0_18inequality_wrapperINS9_8equal_toIfEEEEPmJSF_EEE10hipError_tPvRmT3_T4_T5_T6_T7_T9_mT8_P12ihipStream_tbDpT10_ENKUlT_T0_E_clISt17integral_constantIbLb1EES17_IbLb0EEEEDaS13_S14_EUlS13_E_NS1_11comp_targetILNS1_3genE2ELNS1_11target_archE906ELNS1_3gpuE6ELNS1_3repE0EEENS1_30default_config_static_selectorELNS0_4arch9wavefront6targetE0EEEvT1_
	.p2align	8
	.type	_ZN7rocprim17ROCPRIM_400000_NS6detail17trampoline_kernelINS0_14default_configENS1_25partition_config_selectorILNS1_17partition_subalgoE9EffbEEZZNS1_14partition_implILS5_9ELb0ES3_jN6thrust23THRUST_200600_302600_NS6detail15normal_iteratorINS9_10device_ptrIfEEEESE_PNS0_10empty_typeENS0_5tupleIJSE_SF_EEENSH_IJSE_SG_EEENS0_18inequality_wrapperINS9_8equal_toIfEEEEPmJSF_EEE10hipError_tPvRmT3_T4_T5_T6_T7_T9_mT8_P12ihipStream_tbDpT10_ENKUlT_T0_E_clISt17integral_constantIbLb1EES17_IbLb0EEEEDaS13_S14_EUlS13_E_NS1_11comp_targetILNS1_3genE2ELNS1_11target_archE906ELNS1_3gpuE6ELNS1_3repE0EEENS1_30default_config_static_selectorELNS0_4arch9wavefront6targetE0EEEvT1_,@function
_ZN7rocprim17ROCPRIM_400000_NS6detail17trampoline_kernelINS0_14default_configENS1_25partition_config_selectorILNS1_17partition_subalgoE9EffbEEZZNS1_14partition_implILS5_9ELb0ES3_jN6thrust23THRUST_200600_302600_NS6detail15normal_iteratorINS9_10device_ptrIfEEEESE_PNS0_10empty_typeENS0_5tupleIJSE_SF_EEENSH_IJSE_SG_EEENS0_18inequality_wrapperINS9_8equal_toIfEEEEPmJSF_EEE10hipError_tPvRmT3_T4_T5_T6_T7_T9_mT8_P12ihipStream_tbDpT10_ENKUlT_T0_E_clISt17integral_constantIbLb1EES17_IbLb0EEEEDaS13_S14_EUlS13_E_NS1_11comp_targetILNS1_3genE2ELNS1_11target_archE906ELNS1_3gpuE6ELNS1_3repE0EEENS1_30default_config_static_selectorELNS0_4arch9wavefront6targetE0EEEvT1_: ; @_ZN7rocprim17ROCPRIM_400000_NS6detail17trampoline_kernelINS0_14default_configENS1_25partition_config_selectorILNS1_17partition_subalgoE9EffbEEZZNS1_14partition_implILS5_9ELb0ES3_jN6thrust23THRUST_200600_302600_NS6detail15normal_iteratorINS9_10device_ptrIfEEEESE_PNS0_10empty_typeENS0_5tupleIJSE_SF_EEENSH_IJSE_SG_EEENS0_18inequality_wrapperINS9_8equal_toIfEEEEPmJSF_EEE10hipError_tPvRmT3_T4_T5_T6_T7_T9_mT8_P12ihipStream_tbDpT10_ENKUlT_T0_E_clISt17integral_constantIbLb1EES17_IbLb0EEEEDaS13_S14_EUlS13_E_NS1_11comp_targetILNS1_3genE2ELNS1_11target_archE906ELNS1_3gpuE6ELNS1_3repE0EEENS1_30default_config_static_selectorELNS0_4arch9wavefront6targetE0EEEvT1_
; %bb.0:
	.section	.rodata,"a",@progbits
	.p2align	6, 0x0
	.amdhsa_kernel _ZN7rocprim17ROCPRIM_400000_NS6detail17trampoline_kernelINS0_14default_configENS1_25partition_config_selectorILNS1_17partition_subalgoE9EffbEEZZNS1_14partition_implILS5_9ELb0ES3_jN6thrust23THRUST_200600_302600_NS6detail15normal_iteratorINS9_10device_ptrIfEEEESE_PNS0_10empty_typeENS0_5tupleIJSE_SF_EEENSH_IJSE_SG_EEENS0_18inequality_wrapperINS9_8equal_toIfEEEEPmJSF_EEE10hipError_tPvRmT3_T4_T5_T6_T7_T9_mT8_P12ihipStream_tbDpT10_ENKUlT_T0_E_clISt17integral_constantIbLb1EES17_IbLb0EEEEDaS13_S14_EUlS13_E_NS1_11comp_targetILNS1_3genE2ELNS1_11target_archE906ELNS1_3gpuE6ELNS1_3repE0EEENS1_30default_config_static_selectorELNS0_4arch9wavefront6targetE0EEEvT1_
		.amdhsa_group_segment_fixed_size 0
		.amdhsa_private_segment_fixed_size 0
		.amdhsa_kernarg_size 112
		.amdhsa_user_sgpr_count 15
		.amdhsa_user_sgpr_dispatch_ptr 0
		.amdhsa_user_sgpr_queue_ptr 0
		.amdhsa_user_sgpr_kernarg_segment_ptr 1
		.amdhsa_user_sgpr_dispatch_id 0
		.amdhsa_user_sgpr_private_segment_size 0
		.amdhsa_wavefront_size32 1
		.amdhsa_uses_dynamic_stack 0
		.amdhsa_enable_private_segment 0
		.amdhsa_system_sgpr_workgroup_id_x 1
		.amdhsa_system_sgpr_workgroup_id_y 0
		.amdhsa_system_sgpr_workgroup_id_z 0
		.amdhsa_system_sgpr_workgroup_info 0
		.amdhsa_system_vgpr_workitem_id 0
		.amdhsa_next_free_vgpr 1
		.amdhsa_next_free_sgpr 1
		.amdhsa_reserve_vcc 0
		.amdhsa_float_round_mode_32 0
		.amdhsa_float_round_mode_16_64 0
		.amdhsa_float_denorm_mode_32 3
		.amdhsa_float_denorm_mode_16_64 3
		.amdhsa_dx10_clamp 1
		.amdhsa_ieee_mode 1
		.amdhsa_fp16_overflow 0
		.amdhsa_workgroup_processor_mode 1
		.amdhsa_memory_ordered 1
		.amdhsa_forward_progress 0
		.amdhsa_shared_vgpr_count 0
		.amdhsa_exception_fp_ieee_invalid_op 0
		.amdhsa_exception_fp_denorm_src 0
		.amdhsa_exception_fp_ieee_div_zero 0
		.amdhsa_exception_fp_ieee_overflow 0
		.amdhsa_exception_fp_ieee_underflow 0
		.amdhsa_exception_fp_ieee_inexact 0
		.amdhsa_exception_int_div_zero 0
	.end_amdhsa_kernel
	.section	.text._ZN7rocprim17ROCPRIM_400000_NS6detail17trampoline_kernelINS0_14default_configENS1_25partition_config_selectorILNS1_17partition_subalgoE9EffbEEZZNS1_14partition_implILS5_9ELb0ES3_jN6thrust23THRUST_200600_302600_NS6detail15normal_iteratorINS9_10device_ptrIfEEEESE_PNS0_10empty_typeENS0_5tupleIJSE_SF_EEENSH_IJSE_SG_EEENS0_18inequality_wrapperINS9_8equal_toIfEEEEPmJSF_EEE10hipError_tPvRmT3_T4_T5_T6_T7_T9_mT8_P12ihipStream_tbDpT10_ENKUlT_T0_E_clISt17integral_constantIbLb1EES17_IbLb0EEEEDaS13_S14_EUlS13_E_NS1_11comp_targetILNS1_3genE2ELNS1_11target_archE906ELNS1_3gpuE6ELNS1_3repE0EEENS1_30default_config_static_selectorELNS0_4arch9wavefront6targetE0EEEvT1_,"axG",@progbits,_ZN7rocprim17ROCPRIM_400000_NS6detail17trampoline_kernelINS0_14default_configENS1_25partition_config_selectorILNS1_17partition_subalgoE9EffbEEZZNS1_14partition_implILS5_9ELb0ES3_jN6thrust23THRUST_200600_302600_NS6detail15normal_iteratorINS9_10device_ptrIfEEEESE_PNS0_10empty_typeENS0_5tupleIJSE_SF_EEENSH_IJSE_SG_EEENS0_18inequality_wrapperINS9_8equal_toIfEEEEPmJSF_EEE10hipError_tPvRmT3_T4_T5_T6_T7_T9_mT8_P12ihipStream_tbDpT10_ENKUlT_T0_E_clISt17integral_constantIbLb1EES17_IbLb0EEEEDaS13_S14_EUlS13_E_NS1_11comp_targetILNS1_3genE2ELNS1_11target_archE906ELNS1_3gpuE6ELNS1_3repE0EEENS1_30default_config_static_selectorELNS0_4arch9wavefront6targetE0EEEvT1_,comdat
.Lfunc_end100:
	.size	_ZN7rocprim17ROCPRIM_400000_NS6detail17trampoline_kernelINS0_14default_configENS1_25partition_config_selectorILNS1_17partition_subalgoE9EffbEEZZNS1_14partition_implILS5_9ELb0ES3_jN6thrust23THRUST_200600_302600_NS6detail15normal_iteratorINS9_10device_ptrIfEEEESE_PNS0_10empty_typeENS0_5tupleIJSE_SF_EEENSH_IJSE_SG_EEENS0_18inequality_wrapperINS9_8equal_toIfEEEEPmJSF_EEE10hipError_tPvRmT3_T4_T5_T6_T7_T9_mT8_P12ihipStream_tbDpT10_ENKUlT_T0_E_clISt17integral_constantIbLb1EES17_IbLb0EEEEDaS13_S14_EUlS13_E_NS1_11comp_targetILNS1_3genE2ELNS1_11target_archE906ELNS1_3gpuE6ELNS1_3repE0EEENS1_30default_config_static_selectorELNS0_4arch9wavefront6targetE0EEEvT1_, .Lfunc_end100-_ZN7rocprim17ROCPRIM_400000_NS6detail17trampoline_kernelINS0_14default_configENS1_25partition_config_selectorILNS1_17partition_subalgoE9EffbEEZZNS1_14partition_implILS5_9ELb0ES3_jN6thrust23THRUST_200600_302600_NS6detail15normal_iteratorINS9_10device_ptrIfEEEESE_PNS0_10empty_typeENS0_5tupleIJSE_SF_EEENSH_IJSE_SG_EEENS0_18inequality_wrapperINS9_8equal_toIfEEEEPmJSF_EEE10hipError_tPvRmT3_T4_T5_T6_T7_T9_mT8_P12ihipStream_tbDpT10_ENKUlT_T0_E_clISt17integral_constantIbLb1EES17_IbLb0EEEEDaS13_S14_EUlS13_E_NS1_11comp_targetILNS1_3genE2ELNS1_11target_archE906ELNS1_3gpuE6ELNS1_3repE0EEENS1_30default_config_static_selectorELNS0_4arch9wavefront6targetE0EEEvT1_
                                        ; -- End function
	.section	.AMDGPU.csdata,"",@progbits
; Kernel info:
; codeLenInByte = 0
; NumSgprs: 0
; NumVgprs: 0
; ScratchSize: 0
; MemoryBound: 0
; FloatMode: 240
; IeeeMode: 1
; LDSByteSize: 0 bytes/workgroup (compile time only)
; SGPRBlocks: 0
; VGPRBlocks: 0
; NumSGPRsForWavesPerEU: 1
; NumVGPRsForWavesPerEU: 1
; Occupancy: 16
; WaveLimiterHint : 0
; COMPUTE_PGM_RSRC2:SCRATCH_EN: 0
; COMPUTE_PGM_RSRC2:USER_SGPR: 15
; COMPUTE_PGM_RSRC2:TRAP_HANDLER: 0
; COMPUTE_PGM_RSRC2:TGID_X_EN: 1
; COMPUTE_PGM_RSRC2:TGID_Y_EN: 0
; COMPUTE_PGM_RSRC2:TGID_Z_EN: 0
; COMPUTE_PGM_RSRC2:TIDIG_COMP_CNT: 0
	.section	.text._ZN7rocprim17ROCPRIM_400000_NS6detail17trampoline_kernelINS0_14default_configENS1_25partition_config_selectorILNS1_17partition_subalgoE9EffbEEZZNS1_14partition_implILS5_9ELb0ES3_jN6thrust23THRUST_200600_302600_NS6detail15normal_iteratorINS9_10device_ptrIfEEEESE_PNS0_10empty_typeENS0_5tupleIJSE_SF_EEENSH_IJSE_SG_EEENS0_18inequality_wrapperINS9_8equal_toIfEEEEPmJSF_EEE10hipError_tPvRmT3_T4_T5_T6_T7_T9_mT8_P12ihipStream_tbDpT10_ENKUlT_T0_E_clISt17integral_constantIbLb1EES17_IbLb0EEEEDaS13_S14_EUlS13_E_NS1_11comp_targetILNS1_3genE10ELNS1_11target_archE1200ELNS1_3gpuE4ELNS1_3repE0EEENS1_30default_config_static_selectorELNS0_4arch9wavefront6targetE0EEEvT1_,"axG",@progbits,_ZN7rocprim17ROCPRIM_400000_NS6detail17trampoline_kernelINS0_14default_configENS1_25partition_config_selectorILNS1_17partition_subalgoE9EffbEEZZNS1_14partition_implILS5_9ELb0ES3_jN6thrust23THRUST_200600_302600_NS6detail15normal_iteratorINS9_10device_ptrIfEEEESE_PNS0_10empty_typeENS0_5tupleIJSE_SF_EEENSH_IJSE_SG_EEENS0_18inequality_wrapperINS9_8equal_toIfEEEEPmJSF_EEE10hipError_tPvRmT3_T4_T5_T6_T7_T9_mT8_P12ihipStream_tbDpT10_ENKUlT_T0_E_clISt17integral_constantIbLb1EES17_IbLb0EEEEDaS13_S14_EUlS13_E_NS1_11comp_targetILNS1_3genE10ELNS1_11target_archE1200ELNS1_3gpuE4ELNS1_3repE0EEENS1_30default_config_static_selectorELNS0_4arch9wavefront6targetE0EEEvT1_,comdat
	.protected	_ZN7rocprim17ROCPRIM_400000_NS6detail17trampoline_kernelINS0_14default_configENS1_25partition_config_selectorILNS1_17partition_subalgoE9EffbEEZZNS1_14partition_implILS5_9ELb0ES3_jN6thrust23THRUST_200600_302600_NS6detail15normal_iteratorINS9_10device_ptrIfEEEESE_PNS0_10empty_typeENS0_5tupleIJSE_SF_EEENSH_IJSE_SG_EEENS0_18inequality_wrapperINS9_8equal_toIfEEEEPmJSF_EEE10hipError_tPvRmT3_T4_T5_T6_T7_T9_mT8_P12ihipStream_tbDpT10_ENKUlT_T0_E_clISt17integral_constantIbLb1EES17_IbLb0EEEEDaS13_S14_EUlS13_E_NS1_11comp_targetILNS1_3genE10ELNS1_11target_archE1200ELNS1_3gpuE4ELNS1_3repE0EEENS1_30default_config_static_selectorELNS0_4arch9wavefront6targetE0EEEvT1_ ; -- Begin function _ZN7rocprim17ROCPRIM_400000_NS6detail17trampoline_kernelINS0_14default_configENS1_25partition_config_selectorILNS1_17partition_subalgoE9EffbEEZZNS1_14partition_implILS5_9ELb0ES3_jN6thrust23THRUST_200600_302600_NS6detail15normal_iteratorINS9_10device_ptrIfEEEESE_PNS0_10empty_typeENS0_5tupleIJSE_SF_EEENSH_IJSE_SG_EEENS0_18inequality_wrapperINS9_8equal_toIfEEEEPmJSF_EEE10hipError_tPvRmT3_T4_T5_T6_T7_T9_mT8_P12ihipStream_tbDpT10_ENKUlT_T0_E_clISt17integral_constantIbLb1EES17_IbLb0EEEEDaS13_S14_EUlS13_E_NS1_11comp_targetILNS1_3genE10ELNS1_11target_archE1200ELNS1_3gpuE4ELNS1_3repE0EEENS1_30default_config_static_selectorELNS0_4arch9wavefront6targetE0EEEvT1_
	.globl	_ZN7rocprim17ROCPRIM_400000_NS6detail17trampoline_kernelINS0_14default_configENS1_25partition_config_selectorILNS1_17partition_subalgoE9EffbEEZZNS1_14partition_implILS5_9ELb0ES3_jN6thrust23THRUST_200600_302600_NS6detail15normal_iteratorINS9_10device_ptrIfEEEESE_PNS0_10empty_typeENS0_5tupleIJSE_SF_EEENSH_IJSE_SG_EEENS0_18inequality_wrapperINS9_8equal_toIfEEEEPmJSF_EEE10hipError_tPvRmT3_T4_T5_T6_T7_T9_mT8_P12ihipStream_tbDpT10_ENKUlT_T0_E_clISt17integral_constantIbLb1EES17_IbLb0EEEEDaS13_S14_EUlS13_E_NS1_11comp_targetILNS1_3genE10ELNS1_11target_archE1200ELNS1_3gpuE4ELNS1_3repE0EEENS1_30default_config_static_selectorELNS0_4arch9wavefront6targetE0EEEvT1_
	.p2align	8
	.type	_ZN7rocprim17ROCPRIM_400000_NS6detail17trampoline_kernelINS0_14default_configENS1_25partition_config_selectorILNS1_17partition_subalgoE9EffbEEZZNS1_14partition_implILS5_9ELb0ES3_jN6thrust23THRUST_200600_302600_NS6detail15normal_iteratorINS9_10device_ptrIfEEEESE_PNS0_10empty_typeENS0_5tupleIJSE_SF_EEENSH_IJSE_SG_EEENS0_18inequality_wrapperINS9_8equal_toIfEEEEPmJSF_EEE10hipError_tPvRmT3_T4_T5_T6_T7_T9_mT8_P12ihipStream_tbDpT10_ENKUlT_T0_E_clISt17integral_constantIbLb1EES17_IbLb0EEEEDaS13_S14_EUlS13_E_NS1_11comp_targetILNS1_3genE10ELNS1_11target_archE1200ELNS1_3gpuE4ELNS1_3repE0EEENS1_30default_config_static_selectorELNS0_4arch9wavefront6targetE0EEEvT1_,@function
_ZN7rocprim17ROCPRIM_400000_NS6detail17trampoline_kernelINS0_14default_configENS1_25partition_config_selectorILNS1_17partition_subalgoE9EffbEEZZNS1_14partition_implILS5_9ELb0ES3_jN6thrust23THRUST_200600_302600_NS6detail15normal_iteratorINS9_10device_ptrIfEEEESE_PNS0_10empty_typeENS0_5tupleIJSE_SF_EEENSH_IJSE_SG_EEENS0_18inequality_wrapperINS9_8equal_toIfEEEEPmJSF_EEE10hipError_tPvRmT3_T4_T5_T6_T7_T9_mT8_P12ihipStream_tbDpT10_ENKUlT_T0_E_clISt17integral_constantIbLb1EES17_IbLb0EEEEDaS13_S14_EUlS13_E_NS1_11comp_targetILNS1_3genE10ELNS1_11target_archE1200ELNS1_3gpuE4ELNS1_3repE0EEENS1_30default_config_static_selectorELNS0_4arch9wavefront6targetE0EEEvT1_: ; @_ZN7rocprim17ROCPRIM_400000_NS6detail17trampoline_kernelINS0_14default_configENS1_25partition_config_selectorILNS1_17partition_subalgoE9EffbEEZZNS1_14partition_implILS5_9ELb0ES3_jN6thrust23THRUST_200600_302600_NS6detail15normal_iteratorINS9_10device_ptrIfEEEESE_PNS0_10empty_typeENS0_5tupleIJSE_SF_EEENSH_IJSE_SG_EEENS0_18inequality_wrapperINS9_8equal_toIfEEEEPmJSF_EEE10hipError_tPvRmT3_T4_T5_T6_T7_T9_mT8_P12ihipStream_tbDpT10_ENKUlT_T0_E_clISt17integral_constantIbLb1EES17_IbLb0EEEEDaS13_S14_EUlS13_E_NS1_11comp_targetILNS1_3genE10ELNS1_11target_archE1200ELNS1_3gpuE4ELNS1_3repE0EEENS1_30default_config_static_selectorELNS0_4arch9wavefront6targetE0EEEvT1_
; %bb.0:
	.section	.rodata,"a",@progbits
	.p2align	6, 0x0
	.amdhsa_kernel _ZN7rocprim17ROCPRIM_400000_NS6detail17trampoline_kernelINS0_14default_configENS1_25partition_config_selectorILNS1_17partition_subalgoE9EffbEEZZNS1_14partition_implILS5_9ELb0ES3_jN6thrust23THRUST_200600_302600_NS6detail15normal_iteratorINS9_10device_ptrIfEEEESE_PNS0_10empty_typeENS0_5tupleIJSE_SF_EEENSH_IJSE_SG_EEENS0_18inequality_wrapperINS9_8equal_toIfEEEEPmJSF_EEE10hipError_tPvRmT3_T4_T5_T6_T7_T9_mT8_P12ihipStream_tbDpT10_ENKUlT_T0_E_clISt17integral_constantIbLb1EES17_IbLb0EEEEDaS13_S14_EUlS13_E_NS1_11comp_targetILNS1_3genE10ELNS1_11target_archE1200ELNS1_3gpuE4ELNS1_3repE0EEENS1_30default_config_static_selectorELNS0_4arch9wavefront6targetE0EEEvT1_
		.amdhsa_group_segment_fixed_size 0
		.amdhsa_private_segment_fixed_size 0
		.amdhsa_kernarg_size 112
		.amdhsa_user_sgpr_count 15
		.amdhsa_user_sgpr_dispatch_ptr 0
		.amdhsa_user_sgpr_queue_ptr 0
		.amdhsa_user_sgpr_kernarg_segment_ptr 1
		.amdhsa_user_sgpr_dispatch_id 0
		.amdhsa_user_sgpr_private_segment_size 0
		.amdhsa_wavefront_size32 1
		.amdhsa_uses_dynamic_stack 0
		.amdhsa_enable_private_segment 0
		.amdhsa_system_sgpr_workgroup_id_x 1
		.amdhsa_system_sgpr_workgroup_id_y 0
		.amdhsa_system_sgpr_workgroup_id_z 0
		.amdhsa_system_sgpr_workgroup_info 0
		.amdhsa_system_vgpr_workitem_id 0
		.amdhsa_next_free_vgpr 1
		.amdhsa_next_free_sgpr 1
		.amdhsa_reserve_vcc 0
		.amdhsa_float_round_mode_32 0
		.amdhsa_float_round_mode_16_64 0
		.amdhsa_float_denorm_mode_32 3
		.amdhsa_float_denorm_mode_16_64 3
		.amdhsa_dx10_clamp 1
		.amdhsa_ieee_mode 1
		.amdhsa_fp16_overflow 0
		.amdhsa_workgroup_processor_mode 1
		.amdhsa_memory_ordered 1
		.amdhsa_forward_progress 0
		.amdhsa_shared_vgpr_count 0
		.amdhsa_exception_fp_ieee_invalid_op 0
		.amdhsa_exception_fp_denorm_src 0
		.amdhsa_exception_fp_ieee_div_zero 0
		.amdhsa_exception_fp_ieee_overflow 0
		.amdhsa_exception_fp_ieee_underflow 0
		.amdhsa_exception_fp_ieee_inexact 0
		.amdhsa_exception_int_div_zero 0
	.end_amdhsa_kernel
	.section	.text._ZN7rocprim17ROCPRIM_400000_NS6detail17trampoline_kernelINS0_14default_configENS1_25partition_config_selectorILNS1_17partition_subalgoE9EffbEEZZNS1_14partition_implILS5_9ELb0ES3_jN6thrust23THRUST_200600_302600_NS6detail15normal_iteratorINS9_10device_ptrIfEEEESE_PNS0_10empty_typeENS0_5tupleIJSE_SF_EEENSH_IJSE_SG_EEENS0_18inequality_wrapperINS9_8equal_toIfEEEEPmJSF_EEE10hipError_tPvRmT3_T4_T5_T6_T7_T9_mT8_P12ihipStream_tbDpT10_ENKUlT_T0_E_clISt17integral_constantIbLb1EES17_IbLb0EEEEDaS13_S14_EUlS13_E_NS1_11comp_targetILNS1_3genE10ELNS1_11target_archE1200ELNS1_3gpuE4ELNS1_3repE0EEENS1_30default_config_static_selectorELNS0_4arch9wavefront6targetE0EEEvT1_,"axG",@progbits,_ZN7rocprim17ROCPRIM_400000_NS6detail17trampoline_kernelINS0_14default_configENS1_25partition_config_selectorILNS1_17partition_subalgoE9EffbEEZZNS1_14partition_implILS5_9ELb0ES3_jN6thrust23THRUST_200600_302600_NS6detail15normal_iteratorINS9_10device_ptrIfEEEESE_PNS0_10empty_typeENS0_5tupleIJSE_SF_EEENSH_IJSE_SG_EEENS0_18inequality_wrapperINS9_8equal_toIfEEEEPmJSF_EEE10hipError_tPvRmT3_T4_T5_T6_T7_T9_mT8_P12ihipStream_tbDpT10_ENKUlT_T0_E_clISt17integral_constantIbLb1EES17_IbLb0EEEEDaS13_S14_EUlS13_E_NS1_11comp_targetILNS1_3genE10ELNS1_11target_archE1200ELNS1_3gpuE4ELNS1_3repE0EEENS1_30default_config_static_selectorELNS0_4arch9wavefront6targetE0EEEvT1_,comdat
.Lfunc_end101:
	.size	_ZN7rocprim17ROCPRIM_400000_NS6detail17trampoline_kernelINS0_14default_configENS1_25partition_config_selectorILNS1_17partition_subalgoE9EffbEEZZNS1_14partition_implILS5_9ELb0ES3_jN6thrust23THRUST_200600_302600_NS6detail15normal_iteratorINS9_10device_ptrIfEEEESE_PNS0_10empty_typeENS0_5tupleIJSE_SF_EEENSH_IJSE_SG_EEENS0_18inequality_wrapperINS9_8equal_toIfEEEEPmJSF_EEE10hipError_tPvRmT3_T4_T5_T6_T7_T9_mT8_P12ihipStream_tbDpT10_ENKUlT_T0_E_clISt17integral_constantIbLb1EES17_IbLb0EEEEDaS13_S14_EUlS13_E_NS1_11comp_targetILNS1_3genE10ELNS1_11target_archE1200ELNS1_3gpuE4ELNS1_3repE0EEENS1_30default_config_static_selectorELNS0_4arch9wavefront6targetE0EEEvT1_, .Lfunc_end101-_ZN7rocprim17ROCPRIM_400000_NS6detail17trampoline_kernelINS0_14default_configENS1_25partition_config_selectorILNS1_17partition_subalgoE9EffbEEZZNS1_14partition_implILS5_9ELb0ES3_jN6thrust23THRUST_200600_302600_NS6detail15normal_iteratorINS9_10device_ptrIfEEEESE_PNS0_10empty_typeENS0_5tupleIJSE_SF_EEENSH_IJSE_SG_EEENS0_18inequality_wrapperINS9_8equal_toIfEEEEPmJSF_EEE10hipError_tPvRmT3_T4_T5_T6_T7_T9_mT8_P12ihipStream_tbDpT10_ENKUlT_T0_E_clISt17integral_constantIbLb1EES17_IbLb0EEEEDaS13_S14_EUlS13_E_NS1_11comp_targetILNS1_3genE10ELNS1_11target_archE1200ELNS1_3gpuE4ELNS1_3repE0EEENS1_30default_config_static_selectorELNS0_4arch9wavefront6targetE0EEEvT1_
                                        ; -- End function
	.section	.AMDGPU.csdata,"",@progbits
; Kernel info:
; codeLenInByte = 0
; NumSgprs: 0
; NumVgprs: 0
; ScratchSize: 0
; MemoryBound: 0
; FloatMode: 240
; IeeeMode: 1
; LDSByteSize: 0 bytes/workgroup (compile time only)
; SGPRBlocks: 0
; VGPRBlocks: 0
; NumSGPRsForWavesPerEU: 1
; NumVGPRsForWavesPerEU: 1
; Occupancy: 15
; WaveLimiterHint : 0
; COMPUTE_PGM_RSRC2:SCRATCH_EN: 0
; COMPUTE_PGM_RSRC2:USER_SGPR: 15
; COMPUTE_PGM_RSRC2:TRAP_HANDLER: 0
; COMPUTE_PGM_RSRC2:TGID_X_EN: 1
; COMPUTE_PGM_RSRC2:TGID_Y_EN: 0
; COMPUTE_PGM_RSRC2:TGID_Z_EN: 0
; COMPUTE_PGM_RSRC2:TIDIG_COMP_CNT: 0
	.section	.text._ZN7rocprim17ROCPRIM_400000_NS6detail17trampoline_kernelINS0_14default_configENS1_25partition_config_selectorILNS1_17partition_subalgoE9EffbEEZZNS1_14partition_implILS5_9ELb0ES3_jN6thrust23THRUST_200600_302600_NS6detail15normal_iteratorINS9_10device_ptrIfEEEESE_PNS0_10empty_typeENS0_5tupleIJSE_SF_EEENSH_IJSE_SG_EEENS0_18inequality_wrapperINS9_8equal_toIfEEEEPmJSF_EEE10hipError_tPvRmT3_T4_T5_T6_T7_T9_mT8_P12ihipStream_tbDpT10_ENKUlT_T0_E_clISt17integral_constantIbLb1EES17_IbLb0EEEEDaS13_S14_EUlS13_E_NS1_11comp_targetILNS1_3genE9ELNS1_11target_archE1100ELNS1_3gpuE3ELNS1_3repE0EEENS1_30default_config_static_selectorELNS0_4arch9wavefront6targetE0EEEvT1_,"axG",@progbits,_ZN7rocprim17ROCPRIM_400000_NS6detail17trampoline_kernelINS0_14default_configENS1_25partition_config_selectorILNS1_17partition_subalgoE9EffbEEZZNS1_14partition_implILS5_9ELb0ES3_jN6thrust23THRUST_200600_302600_NS6detail15normal_iteratorINS9_10device_ptrIfEEEESE_PNS0_10empty_typeENS0_5tupleIJSE_SF_EEENSH_IJSE_SG_EEENS0_18inequality_wrapperINS9_8equal_toIfEEEEPmJSF_EEE10hipError_tPvRmT3_T4_T5_T6_T7_T9_mT8_P12ihipStream_tbDpT10_ENKUlT_T0_E_clISt17integral_constantIbLb1EES17_IbLb0EEEEDaS13_S14_EUlS13_E_NS1_11comp_targetILNS1_3genE9ELNS1_11target_archE1100ELNS1_3gpuE3ELNS1_3repE0EEENS1_30default_config_static_selectorELNS0_4arch9wavefront6targetE0EEEvT1_,comdat
	.protected	_ZN7rocprim17ROCPRIM_400000_NS6detail17trampoline_kernelINS0_14default_configENS1_25partition_config_selectorILNS1_17partition_subalgoE9EffbEEZZNS1_14partition_implILS5_9ELb0ES3_jN6thrust23THRUST_200600_302600_NS6detail15normal_iteratorINS9_10device_ptrIfEEEESE_PNS0_10empty_typeENS0_5tupleIJSE_SF_EEENSH_IJSE_SG_EEENS0_18inequality_wrapperINS9_8equal_toIfEEEEPmJSF_EEE10hipError_tPvRmT3_T4_T5_T6_T7_T9_mT8_P12ihipStream_tbDpT10_ENKUlT_T0_E_clISt17integral_constantIbLb1EES17_IbLb0EEEEDaS13_S14_EUlS13_E_NS1_11comp_targetILNS1_3genE9ELNS1_11target_archE1100ELNS1_3gpuE3ELNS1_3repE0EEENS1_30default_config_static_selectorELNS0_4arch9wavefront6targetE0EEEvT1_ ; -- Begin function _ZN7rocprim17ROCPRIM_400000_NS6detail17trampoline_kernelINS0_14default_configENS1_25partition_config_selectorILNS1_17partition_subalgoE9EffbEEZZNS1_14partition_implILS5_9ELb0ES3_jN6thrust23THRUST_200600_302600_NS6detail15normal_iteratorINS9_10device_ptrIfEEEESE_PNS0_10empty_typeENS0_5tupleIJSE_SF_EEENSH_IJSE_SG_EEENS0_18inequality_wrapperINS9_8equal_toIfEEEEPmJSF_EEE10hipError_tPvRmT3_T4_T5_T6_T7_T9_mT8_P12ihipStream_tbDpT10_ENKUlT_T0_E_clISt17integral_constantIbLb1EES17_IbLb0EEEEDaS13_S14_EUlS13_E_NS1_11comp_targetILNS1_3genE9ELNS1_11target_archE1100ELNS1_3gpuE3ELNS1_3repE0EEENS1_30default_config_static_selectorELNS0_4arch9wavefront6targetE0EEEvT1_
	.globl	_ZN7rocprim17ROCPRIM_400000_NS6detail17trampoline_kernelINS0_14default_configENS1_25partition_config_selectorILNS1_17partition_subalgoE9EffbEEZZNS1_14partition_implILS5_9ELb0ES3_jN6thrust23THRUST_200600_302600_NS6detail15normal_iteratorINS9_10device_ptrIfEEEESE_PNS0_10empty_typeENS0_5tupleIJSE_SF_EEENSH_IJSE_SG_EEENS0_18inequality_wrapperINS9_8equal_toIfEEEEPmJSF_EEE10hipError_tPvRmT3_T4_T5_T6_T7_T9_mT8_P12ihipStream_tbDpT10_ENKUlT_T0_E_clISt17integral_constantIbLb1EES17_IbLb0EEEEDaS13_S14_EUlS13_E_NS1_11comp_targetILNS1_3genE9ELNS1_11target_archE1100ELNS1_3gpuE3ELNS1_3repE0EEENS1_30default_config_static_selectorELNS0_4arch9wavefront6targetE0EEEvT1_
	.p2align	8
	.type	_ZN7rocprim17ROCPRIM_400000_NS6detail17trampoline_kernelINS0_14default_configENS1_25partition_config_selectorILNS1_17partition_subalgoE9EffbEEZZNS1_14partition_implILS5_9ELb0ES3_jN6thrust23THRUST_200600_302600_NS6detail15normal_iteratorINS9_10device_ptrIfEEEESE_PNS0_10empty_typeENS0_5tupleIJSE_SF_EEENSH_IJSE_SG_EEENS0_18inequality_wrapperINS9_8equal_toIfEEEEPmJSF_EEE10hipError_tPvRmT3_T4_T5_T6_T7_T9_mT8_P12ihipStream_tbDpT10_ENKUlT_T0_E_clISt17integral_constantIbLb1EES17_IbLb0EEEEDaS13_S14_EUlS13_E_NS1_11comp_targetILNS1_3genE9ELNS1_11target_archE1100ELNS1_3gpuE3ELNS1_3repE0EEENS1_30default_config_static_selectorELNS0_4arch9wavefront6targetE0EEEvT1_,@function
_ZN7rocprim17ROCPRIM_400000_NS6detail17trampoline_kernelINS0_14default_configENS1_25partition_config_selectorILNS1_17partition_subalgoE9EffbEEZZNS1_14partition_implILS5_9ELb0ES3_jN6thrust23THRUST_200600_302600_NS6detail15normal_iteratorINS9_10device_ptrIfEEEESE_PNS0_10empty_typeENS0_5tupleIJSE_SF_EEENSH_IJSE_SG_EEENS0_18inequality_wrapperINS9_8equal_toIfEEEEPmJSF_EEE10hipError_tPvRmT3_T4_T5_T6_T7_T9_mT8_P12ihipStream_tbDpT10_ENKUlT_T0_E_clISt17integral_constantIbLb1EES17_IbLb0EEEEDaS13_S14_EUlS13_E_NS1_11comp_targetILNS1_3genE9ELNS1_11target_archE1100ELNS1_3gpuE3ELNS1_3repE0EEENS1_30default_config_static_selectorELNS0_4arch9wavefront6targetE0EEEvT1_: ; @_ZN7rocprim17ROCPRIM_400000_NS6detail17trampoline_kernelINS0_14default_configENS1_25partition_config_selectorILNS1_17partition_subalgoE9EffbEEZZNS1_14partition_implILS5_9ELb0ES3_jN6thrust23THRUST_200600_302600_NS6detail15normal_iteratorINS9_10device_ptrIfEEEESE_PNS0_10empty_typeENS0_5tupleIJSE_SF_EEENSH_IJSE_SG_EEENS0_18inequality_wrapperINS9_8equal_toIfEEEEPmJSF_EEE10hipError_tPvRmT3_T4_T5_T6_T7_T9_mT8_P12ihipStream_tbDpT10_ENKUlT_T0_E_clISt17integral_constantIbLb1EES17_IbLb0EEEEDaS13_S14_EUlS13_E_NS1_11comp_targetILNS1_3genE9ELNS1_11target_archE1100ELNS1_3gpuE3ELNS1_3repE0EEENS1_30default_config_static_selectorELNS0_4arch9wavefront6targetE0EEEvT1_
; %bb.0:
	s_clause 0x4
	s_load_b128 s[4:7], s[0:1], 0x8
	s_load_b32 s14, s[0:1], 0x68
	s_load_b128 s[16:19], s[0:1], 0x40
	s_load_b64 s[2:3], s[0:1], 0x50
	s_load_b64 s[8:9], s[0:1], 0x18
	s_mov_b32 s23, 0
	s_mul_i32 s22, s15, 0xc00
	v_lshrrev_b32_e32 v18, 3, v0
	v_add_nc_u32_e32 v23, 0x180, v0
	v_add_nc_u32_e32 v22, 0x300, v0
	;; [unrolled: 1-line block ×3, first 2 shown]
	v_or_b32_e32 v24, 0x600, v0
	v_add_nc_u32_e32 v20, 0x780, v0
	v_add_nc_u32_e32 v17, 0x900, v0
	;; [unrolled: 1-line block ×3, first 2 shown]
	s_waitcnt lgkmcnt(0)
	s_lshl_b64 s[12:13], s[6:7], 2
	s_mul_i32 s20, s14, 0xc00
	s_add_u32 s21, s4, s12
	s_addc_u32 s24, s5, s13
	s_add_i32 s4, s20, s6
	s_load_b64 s[10:11], s[18:19], 0x0
	s_sub_i32 s19, s2, s4
	s_add_i32 s14, s14, -1
	s_addk_i32 s19, 0xc00
	s_add_u32 s4, s6, s20
	s_addc_u32 s5, s7, 0
	s_cmp_eq_u32 s15, s14
	v_cmp_ge_u64_e64 s2, s[4:5], s[2:3]
	s_cselect_b32 s14, -1, 0
	s_lshl_b64 s[4:5], s[22:23], 2
	s_mov_b32 s22, -1
	s_delay_alu instid0(VALU_DEP_1) | instskip(NEXT) | instid1(SALU_CYCLE_1)
	s_and_b32 s20, s14, s2
	s_xor_b32 s18, s20, -1
	s_add_u32 s21, s21, s4
	s_addc_u32 s3, s24, s5
	s_and_b32 vcc_lo, exec_lo, s18
	s_cbranch_vccz .LBB102_2
; %bb.1:
	v_lshlrev_b32_e32 v7, 2, v0
	v_lshrrev_b32_e32 v11, 3, v23
	v_lshrrev_b32_e32 v12, 3, v22
	;; [unrolled: 1-line block ×4, first 2 shown]
	v_add_co_u32 v1, s2, s21, v7
	s_delay_alu instid0(VALU_DEP_1) | instskip(SKIP_1) | instid1(VALU_DEP_3)
	v_add_co_ci_u32_e64 v2, null, s3, 0, s2
	v_lshrrev_b32_e32 v15, 3, v20
	v_add_co_u32 v3, vcc_lo, 0x1000, v1
	s_delay_alu instid0(VALU_DEP_3)
	v_add_co_ci_u32_e32 v4, vcc_lo, 0, v2, vcc_lo
	v_add_co_u32 v5, vcc_lo, 0x2000, v1
	v_add_co_ci_u32_e32 v6, vcc_lo, 0, v2, vcc_lo
	s_clause 0x7
	flat_load_b32 v8, v[1:2]
	flat_load_b32 v9, v[1:2] offset:1536
	flat_load_b32 v1, v[1:2] offset:3072
	;; [unrolled: 1-line block ×7, first 2 shown]
	v_and_b32_e32 v6, 60, v18
	v_lshrrev_b32_e32 v16, 3, v17
	v_lshrrev_b32_e32 v19, 3, v21
	v_and_b32_e32 v11, 0x7c, v11
	v_and_b32_e32 v12, 0xfc, v12
	v_and_b32_e32 v13, 0xfc, v13
	v_and_b32_e32 v14, 0xfc, v14
	v_add_nc_u32_e32 v6, v6, v7
	v_and_b32_e32 v15, 0x1fc, v15
	v_and_b32_e32 v16, 0x17c, v16
	;; [unrolled: 1-line block ×3, first 2 shown]
	v_add_nc_u32_e32 v11, v11, v7
	v_add_nc_u32_e32 v12, v12, v7
	;; [unrolled: 1-line block ×4, first 2 shown]
	s_mov_b32 s22, 0
	v_add_nc_u32_e32 v15, v15, v7
	v_add_nc_u32_e32 v16, v16, v7
	;; [unrolled: 1-line block ×3, first 2 shown]
	s_waitcnt vmcnt(7) lgkmcnt(0)
	ds_store_b32 v6, v8
	s_waitcnt vmcnt(6)
	ds_store_b32 v11, v9 offset:1536
	s_waitcnt vmcnt(5)
	ds_store_b32 v12, v1 offset:3072
	;; [unrolled: 2-line block ×7, first 2 shown]
	s_waitcnt lgkmcnt(0)
	s_barrier
.LBB102_2:
	v_cmp_gt_u32_e64 s2, s19, v0
	s_and_not1_b32 vcc_lo, exec_lo, s22
	s_cbranch_vccnz .LBB102_20
; %bb.3:
                                        ; implicit-def: $vgpr1_vgpr2_vgpr3_vgpr4_vgpr5_vgpr6_vgpr7_vgpr8
	s_delay_alu instid0(VALU_DEP_1)
	s_and_saveexec_b32 s22, s2
	s_cbranch_execz .LBB102_11
; %bb.4:
	v_lshlrev_b32_e32 v1, 2, v0
	s_delay_alu instid0(VALU_DEP_1) | instskip(NEXT) | instid1(VALU_DEP_1)
	v_add_co_u32 v1, s2, s21, v1
	v_add_co_ci_u32_e64 v2, null, s3, 0, s2
	flat_load_b32 v1, v[1:2]
	s_or_b32 exec_lo, exec_lo, s22
	s_delay_alu instid0(SALU_CYCLE_1)
	s_mov_b32 s2, exec_lo
	v_cmpx_gt_u32_e64 s19, v23
	s_cbranch_execnz .LBB102_12
.LBB102_5:
	s_or_b32 exec_lo, exec_lo, s2
	s_delay_alu instid0(SALU_CYCLE_1)
	s_mov_b32 s2, exec_lo
	v_cmpx_gt_u32_e64 s19, v22
	s_cbranch_execz .LBB102_13
.LBB102_6:
	v_lshlrev_b32_e32 v3, 2, v0
	s_delay_alu instid0(VALU_DEP_1) | instskip(NEXT) | instid1(VALU_DEP_1)
	v_add_co_u32 v9, s22, s21, v3
	v_add_co_ci_u32_e64 v10, null, s3, 0, s22
	flat_load_b32 v3, v[9:10] offset:3072
	s_or_b32 exec_lo, exec_lo, s2
	s_delay_alu instid0(SALU_CYCLE_1)
	s_mov_b32 s2, exec_lo
	v_cmpx_gt_u32_e64 s19, v25
	s_cbranch_execnz .LBB102_14
.LBB102_7:
	s_or_b32 exec_lo, exec_lo, s2
	s_delay_alu instid0(SALU_CYCLE_1)
	s_mov_b32 s2, exec_lo
	v_cmpx_gt_u32_e64 s19, v24
	s_cbranch_execz .LBB102_15
.LBB102_8:
	v_lshlrev_b32_e32 v5, 2, v24
	s_delay_alu instid0(VALU_DEP_1) | instskip(NEXT) | instid1(VALU_DEP_1)
	v_add_co_u32 v9, s22, s21, v5
	v_add_co_ci_u32_e64 v10, null, s3, 0, s22
	flat_load_b32 v5, v[9:10]
	s_or_b32 exec_lo, exec_lo, s2
	s_delay_alu instid0(SALU_CYCLE_1)
	s_mov_b32 s2, exec_lo
	v_cmpx_gt_u32_e64 s19, v20
	s_cbranch_execnz .LBB102_16
.LBB102_9:
	s_or_b32 exec_lo, exec_lo, s2
	s_delay_alu instid0(SALU_CYCLE_1)
	s_mov_b32 s2, exec_lo
	v_cmpx_gt_u32_e64 s19, v17
	s_cbranch_execz .LBB102_17
.LBB102_10:
	v_lshlrev_b32_e32 v7, 2, v17
	s_delay_alu instid0(VALU_DEP_1) | instskip(NEXT) | instid1(VALU_DEP_1)
	v_add_co_u32 v9, s22, s21, v7
	v_add_co_ci_u32_e64 v10, null, s3, 0, s22
	flat_load_b32 v7, v[9:10]
	s_or_b32 exec_lo, exec_lo, s2
	s_delay_alu instid0(SALU_CYCLE_1)
	s_mov_b32 s2, exec_lo
	v_cmpx_gt_u32_e64 s19, v21
	s_cbranch_execnz .LBB102_18
	s_branch .LBB102_19
.LBB102_11:
	s_or_b32 exec_lo, exec_lo, s22
	s_delay_alu instid0(SALU_CYCLE_1)
	s_mov_b32 s2, exec_lo
	v_cmpx_gt_u32_e64 s19, v23
	s_cbranch_execz .LBB102_5
.LBB102_12:
	v_lshlrev_b32_e32 v2, 2, v0
	s_delay_alu instid0(VALU_DEP_1) | instskip(NEXT) | instid1(VALU_DEP_1)
	v_add_co_u32 v9, s22, s21, v2
	v_add_co_ci_u32_e64 v10, null, s3, 0, s22
	flat_load_b32 v2, v[9:10] offset:1536
	s_or_b32 exec_lo, exec_lo, s2
	s_delay_alu instid0(SALU_CYCLE_1)
	s_mov_b32 s2, exec_lo
	v_cmpx_gt_u32_e64 s19, v22
	s_cbranch_execnz .LBB102_6
.LBB102_13:
	s_or_b32 exec_lo, exec_lo, s2
	s_delay_alu instid0(SALU_CYCLE_1)
	s_mov_b32 s2, exec_lo
	v_cmpx_gt_u32_e64 s19, v25
	s_cbranch_execz .LBB102_7
.LBB102_14:
	v_lshlrev_b32_e32 v4, 2, v25
	s_delay_alu instid0(VALU_DEP_1) | instskip(NEXT) | instid1(VALU_DEP_1)
	v_add_co_u32 v9, s22, s21, v4
	v_add_co_ci_u32_e64 v10, null, s3, 0, s22
	flat_load_b32 v4, v[9:10]
	s_or_b32 exec_lo, exec_lo, s2
	s_delay_alu instid0(SALU_CYCLE_1)
	s_mov_b32 s2, exec_lo
	v_cmpx_gt_u32_e64 s19, v24
	s_cbranch_execnz .LBB102_8
.LBB102_15:
	s_or_b32 exec_lo, exec_lo, s2
	s_delay_alu instid0(SALU_CYCLE_1)
	s_mov_b32 s2, exec_lo
	v_cmpx_gt_u32_e64 s19, v20
	s_cbranch_execz .LBB102_9
.LBB102_16:
	v_lshlrev_b32_e32 v6, 2, v20
	s_delay_alu instid0(VALU_DEP_1) | instskip(NEXT) | instid1(VALU_DEP_1)
	v_add_co_u32 v9, s22, s21, v6
	v_add_co_ci_u32_e64 v10, null, s3, 0, s22
	flat_load_b32 v6, v[9:10]
	s_or_b32 exec_lo, exec_lo, s2
	s_delay_alu instid0(SALU_CYCLE_1)
	s_mov_b32 s2, exec_lo
	v_cmpx_gt_u32_e64 s19, v17
	s_cbranch_execnz .LBB102_10
.LBB102_17:
	s_or_b32 exec_lo, exec_lo, s2
	s_delay_alu instid0(SALU_CYCLE_1)
	s_mov_b32 s2, exec_lo
	v_cmpx_gt_u32_e64 s19, v21
	s_cbranch_execz .LBB102_19
.LBB102_18:
	v_lshlrev_b32_e32 v8, 2, v21
	s_delay_alu instid0(VALU_DEP_1) | instskip(NEXT) | instid1(VALU_DEP_1)
	v_add_co_u32 v8, s22, s21, v8
	v_add_co_ci_u32_e64 v9, null, s3, 0, s22
	flat_load_b32 v8, v[8:9]
.LBB102_19:
	s_or_b32 exec_lo, exec_lo, s2
	v_lshrrev_b32_e32 v9, 3, v23
	v_lshrrev_b32_e32 v10, 3, v22
	;; [unrolled: 1-line block ×4, first 2 shown]
	v_and_b32_e32 v11, 60, v18
	v_lshlrev_b32_e32 v12, 2, v0
	v_lshrrev_b32_e32 v15, 3, v20
	v_lshrrev_b32_e32 v16, 3, v17
	;; [unrolled: 1-line block ×3, first 2 shown]
	v_and_b32_e32 v9, 0x7c, v9
	v_and_b32_e32 v10, 0xfc, v10
	;; [unrolled: 1-line block ×4, first 2 shown]
	v_add_nc_u32_e32 v11, v11, v12
	v_and_b32_e32 v15, 0x1fc, v15
	v_and_b32_e32 v16, 0x1fc, v16
	;; [unrolled: 1-line block ×3, first 2 shown]
	v_add_nc_u32_e32 v9, v9, v12
	v_add_nc_u32_e32 v10, v10, v12
	;; [unrolled: 1-line block ×7, first 2 shown]
	s_waitcnt vmcnt(0) lgkmcnt(0)
	ds_store_b32 v11, v1
	ds_store_b32 v9, v2 offset:1536
	ds_store_b32 v10, v3 offset:3072
	;; [unrolled: 1-line block ×7, first 2 shown]
	s_waitcnt lgkmcnt(0)
	s_barrier
.LBB102_20:
	v_lshlrev_b32_e32 v19, 3, v0
	v_lshrrev_b32_e32 v1, 2, v0
	s_waitcnt lgkmcnt(0)
	buffer_gl0_inv
	s_add_u32 s2, s8, s12
	s_addc_u32 s8, s9, s13
	s_add_u32 s2, s2, s4
	v_add_lshl_u32 v1, v1, v19, 2
	s_addc_u32 s4, s8, s5
	s_and_b32 vcc_lo, exec_lo, s18
	s_mov_b32 s5, -1
	ds_load_2addr_b32 v[15:16], v1 offset1:1
	ds_load_2addr_b32 v[13:14], v1 offset0:2 offset1:3
	ds_load_2addr_b32 v[11:12], v1 offset0:4 offset1:5
	;; [unrolled: 1-line block ×3, first 2 shown]
	s_waitcnt lgkmcnt(0)
	s_barrier
	buffer_gl0_inv
	s_cbranch_vccz .LBB102_22
; %bb.21:
	v_lshlrev_b32_e32 v8, 2, v0
	v_lshrrev_b32_e32 v29, 3, v23
	v_lshrrev_b32_e32 v30, 3, v22
	;; [unrolled: 1-line block ×4, first 2 shown]
	v_add_co_u32 v2, s5, s2, v8
	s_delay_alu instid0(VALU_DEP_1) | instskip(SKIP_1) | instid1(VALU_DEP_3)
	v_add_co_ci_u32_e64 v3, null, s4, 0, s5
	v_lshrrev_b32_e32 v33, 3, v20
	v_add_co_u32 v4, vcc_lo, 0x1000, v2
	s_delay_alu instid0(VALU_DEP_3)
	v_add_co_ci_u32_e32 v5, vcc_lo, 0, v3, vcc_lo
	v_add_co_u32 v6, vcc_lo, 0x2000, v2
	v_add_co_ci_u32_e32 v7, vcc_lo, 0, v3, vcc_lo
	s_clause 0x7
	flat_load_b32 v26, v[2:3]
	flat_load_b32 v27, v[2:3] offset:1536
	flat_load_b32 v2, v[2:3] offset:3072
	;; [unrolled: 1-line block ×7, first 2 shown]
	v_and_b32_e32 v7, 60, v18
	v_lshrrev_b32_e32 v34, 3, v17
	v_lshrrev_b32_e32 v35, 3, v21
	v_and_b32_e32 v29, 0x7c, v29
	v_and_b32_e32 v30, 0xfc, v30
	;; [unrolled: 1-line block ×4, first 2 shown]
	v_add_nc_u32_e32 v7, v7, v8
	v_and_b32_e32 v33, 0x1fc, v33
	v_and_b32_e32 v34, 0x17c, v34
	;; [unrolled: 1-line block ×3, first 2 shown]
	v_add_nc_u32_e32 v29, v29, v8
	v_add_nc_u32_e32 v30, v30, v8
	;; [unrolled: 1-line block ×4, first 2 shown]
	s_mov_b32 s5, 0
	v_add_nc_u32_e32 v33, v33, v8
	v_add_nc_u32_e32 v34, v34, v8
	;; [unrolled: 1-line block ×3, first 2 shown]
	s_waitcnt vmcnt(7) lgkmcnt(7)
	ds_store_b32 v7, v26
	s_waitcnt vmcnt(6) lgkmcnt(7)
	ds_store_b32 v29, v27 offset:1536
	s_waitcnt vmcnt(5) lgkmcnt(7)
	ds_store_b32 v30, v2 offset:3072
	;; [unrolled: 2-line block ×7, first 2 shown]
	s_waitcnt lgkmcnt(0)
	s_barrier
.LBB102_22:
	s_and_not1_b32 vcc_lo, exec_lo, s5
	s_cbranch_vccnz .LBB102_40
; %bb.23:
	s_mov_b32 s5, exec_lo
                                        ; implicit-def: $vgpr2
	v_cmpx_gt_u32_e64 s19, v0
	s_cbranch_execz .LBB102_25
; %bb.24:
	v_lshlrev_b32_e32 v2, 2, v0
	s_delay_alu instid0(VALU_DEP_1) | instskip(NEXT) | instid1(VALU_DEP_1)
	v_add_co_u32 v2, s8, s2, v2
	v_add_co_ci_u32_e64 v3, null, s4, 0, s8
	flat_load_b32 v2, v[2:3]
.LBB102_25:
	s_or_b32 exec_lo, exec_lo, s5
	s_delay_alu instid0(SALU_CYCLE_1)
	s_mov_b32 s5, exec_lo
                                        ; implicit-def: $vgpr3
	v_cmpx_gt_u32_e64 s19, v23
	s_cbranch_execz .LBB102_27
; %bb.26:
	v_lshlrev_b32_e32 v3, 2, v0
	s_delay_alu instid0(VALU_DEP_1) | instskip(NEXT) | instid1(VALU_DEP_1)
	v_add_co_u32 v3, s8, s2, v3
	v_add_co_ci_u32_e64 v4, null, s4, 0, s8
	flat_load_b32 v3, v[3:4] offset:1536
.LBB102_27:
	s_or_b32 exec_lo, exec_lo, s5
	s_delay_alu instid0(SALU_CYCLE_1)
	s_mov_b32 s5, exec_lo
                                        ; implicit-def: $vgpr4
	v_cmpx_gt_u32_e64 s19, v22
	s_cbranch_execz .LBB102_29
; %bb.28:
	v_lshlrev_b32_e32 v4, 2, v0
	s_delay_alu instid0(VALU_DEP_1) | instskip(NEXT) | instid1(VALU_DEP_1)
	v_add_co_u32 v4, s8, s2, v4
	v_add_co_ci_u32_e64 v5, null, s4, 0, s8
	flat_load_b32 v4, v[4:5] offset:3072
.LBB102_29:
	s_or_b32 exec_lo, exec_lo, s5
	s_delay_alu instid0(SALU_CYCLE_1)
	s_mov_b32 s5, exec_lo
                                        ; implicit-def: $vgpr5
	v_cmpx_gt_u32_e64 s19, v25
	s_cbranch_execz .LBB102_31
; %bb.30:
	v_lshlrev_b32_e32 v5, 2, v25
	s_delay_alu instid0(VALU_DEP_1) | instskip(NEXT) | instid1(VALU_DEP_1)
	v_add_co_u32 v5, s8, s2, v5
	v_add_co_ci_u32_e64 v6, null, s4, 0, s8
	flat_load_b32 v5, v[5:6]
.LBB102_31:
	s_or_b32 exec_lo, exec_lo, s5
	s_delay_alu instid0(SALU_CYCLE_1)
	s_mov_b32 s5, exec_lo
                                        ; implicit-def: $vgpr6
	v_cmpx_gt_u32_e64 s19, v24
	s_cbranch_execz .LBB102_33
; %bb.32:
	v_lshlrev_b32_e32 v6, 2, v24
	s_delay_alu instid0(VALU_DEP_1) | instskip(NEXT) | instid1(VALU_DEP_1)
	v_add_co_u32 v6, s8, s2, v6
	v_add_co_ci_u32_e64 v7, null, s4, 0, s8
	flat_load_b32 v6, v[6:7]
.LBB102_33:
	s_or_b32 exec_lo, exec_lo, s5
	s_delay_alu instid0(SALU_CYCLE_1)
	s_mov_b32 s5, exec_lo
                                        ; implicit-def: $vgpr7
	v_cmpx_gt_u32_e64 s19, v20
	s_cbranch_execz .LBB102_35
; %bb.34:
	v_lshlrev_b32_e32 v7, 2, v20
	s_delay_alu instid0(VALU_DEP_1) | instskip(NEXT) | instid1(VALU_DEP_1)
	v_add_co_u32 v7, s8, s2, v7
	v_add_co_ci_u32_e64 v8, null, s4, 0, s8
	flat_load_b32 v7, v[7:8]
.LBB102_35:
	s_or_b32 exec_lo, exec_lo, s5
	s_delay_alu instid0(SALU_CYCLE_1)
	s_mov_b32 s5, exec_lo
                                        ; implicit-def: $vgpr8
	v_cmpx_gt_u32_e64 s19, v17
	s_cbranch_execz .LBB102_37
; %bb.36:
	v_lshlrev_b32_e32 v8, 2, v17
	s_delay_alu instid0(VALU_DEP_1) | instskip(NEXT) | instid1(VALU_DEP_1)
	v_add_co_u32 v26, s8, s2, v8
	v_add_co_ci_u32_e64 v27, null, s4, 0, s8
	flat_load_b32 v8, v[26:27]
.LBB102_37:
	s_or_b32 exec_lo, exec_lo, s5
	s_delay_alu instid0(SALU_CYCLE_1)
	s_mov_b32 s5, exec_lo
                                        ; implicit-def: $vgpr26
	v_cmpx_gt_u32_e64 s19, v21
	s_cbranch_execz .LBB102_39
; %bb.38:
	v_lshlrev_b32_e32 v26, 2, v21
	s_delay_alu instid0(VALU_DEP_1) | instskip(NEXT) | instid1(VALU_DEP_1)
	v_add_co_u32 v26, s2, s2, v26
	v_add_co_ci_u32_e64 v27, null, s4, 0, s2
	flat_load_b32 v26, v[26:27]
.LBB102_39:
	s_or_b32 exec_lo, exec_lo, s5
	v_lshrrev_b32_e32 v23, 3, v23
	v_lshrrev_b32_e32 v22, 3, v22
	;; [unrolled: 1-line block ×4, first 2 shown]
	v_and_b32_e32 v18, 60, v18
	v_lshlrev_b32_e32 v27, 2, v0
	v_lshrrev_b32_e32 v20, 3, v20
	v_lshrrev_b32_e32 v17, 3, v17
	;; [unrolled: 1-line block ×3, first 2 shown]
	v_and_b32_e32 v23, 0x7c, v23
	v_and_b32_e32 v22, 0xfc, v22
	;; [unrolled: 1-line block ×4, first 2 shown]
	v_add_nc_u32_e32 v18, v18, v27
	v_and_b32_e32 v20, 0x1fc, v20
	v_and_b32_e32 v17, 0x1fc, v17
	;; [unrolled: 1-line block ×3, first 2 shown]
	v_add_nc_u32_e32 v23, v23, v27
	v_add_nc_u32_e32 v22, v22, v27
	;; [unrolled: 1-line block ×7, first 2 shown]
	s_waitcnt vmcnt(0) lgkmcnt(0)
	ds_store_b32 v18, v2
	ds_store_b32 v23, v3 offset:1536
	ds_store_b32 v22, v4 offset:3072
	;; [unrolled: 1-line block ×7, first 2 shown]
	s_waitcnt lgkmcnt(0)
	s_barrier
.LBB102_40:
	buffer_gl0_inv
	ds_load_2addr_b32 v[7:8], v1 offset1:1
	ds_load_2addr_b32 v[5:6], v1 offset0:2 offset1:3
	ds_load_2addr_b32 v[3:4], v1 offset0:4 offset1:5
	;; [unrolled: 1-line block ×3, first 2 shown]
	s_cmp_lg_u32 s15, 0
	s_mov_b32 s12, 0
	s_cselect_b32 s9, -1, 0
	s_cmp_lg_u64 s[6:7], 0
	s_waitcnt lgkmcnt(0)
	s_cselect_b32 s2, -1, 0
	s_barrier
	s_or_b32 s2, s9, s2
	buffer_gl0_inv
	s_and_b32 vcc_lo, exec_lo, s2
	s_cbranch_vccz .LBB102_45
; %bb.41:
	v_add_co_u32 v17, s2, -4, s21
	s_delay_alu instid0(VALU_DEP_1)
	v_add_co_ci_u32_e64 v18, null, -1, s3, s2
	v_lshlrev_b32_e32 v21, 2, v0
	s_mov_b32 s3, -1
	s_and_b32 vcc_lo, exec_lo, s18
	flat_load_b32 v20, v[17:18]
	ds_store_b32 v21, v10
	s_cbranch_vccz .LBB102_46
; %bb.42:
	s_waitcnt vmcnt(0) lgkmcnt(1)
	v_mov_b32_e32 v17, v20
	s_mov_b32 s3, 0
	s_mov_b32 s2, exec_lo
	s_waitcnt lgkmcnt(0)
	s_barrier
	buffer_gl0_inv
	v_cmpx_ne_u32_e32 0, v0
	s_cbranch_execz .LBB102_44
; %bb.43:
	v_add_nc_u32_e32 v17, -4, v21
	ds_load_b32 v17, v17
.LBB102_44:
	s_or_b32 exec_lo, exec_lo, s2
	v_cmp_neq_f32_e32 vcc_lo, v9, v10
	s_waitcnt lgkmcnt(0)
	v_cmp_neq_f32_e64 s2, v17, v15
	v_cndmask_b32_e64 v18, 0, 1, vcc_lo
	v_cmp_neq_f32_e32 vcc_lo, v12, v9
	s_delay_alu instid0(VALU_DEP_2) | instskip(SKIP_2) | instid1(VALU_DEP_2)
	v_lshlrev_b16 v18, 8, v18
	v_cndmask_b32_e64 v22, 0, 1, vcc_lo
	v_cmp_neq_f32_e32 vcc_lo, v11, v12
	v_or_b32_e32 v18, v22, v18
	v_cndmask_b32_e64 v23, 0, 1, vcc_lo
	v_cmp_neq_f32_e32 vcc_lo, v13, v14
	s_delay_alu instid0(VALU_DEP_3) | instskip(NEXT) | instid1(VALU_DEP_3)
	v_lshlrev_b32_e32 v18, 16, v18
	v_lshlrev_b16 v23, 8, v23
	v_cndmask_b32_e64 v24, 0, 1, vcc_lo
	v_cmp_neq_f32_e32 vcc_lo, v14, v11
	s_delay_alu instid0(VALU_DEP_2) | instskip(SKIP_2) | instid1(VALU_DEP_2)
	v_lshlrev_b16 v24, 8, v24
	v_cndmask_b32_e64 v25, 0, 1, vcc_lo
	v_cmp_neq_f32_e32 vcc_lo, v16, v13
	v_or_b32_e32 v23, v25, v23
	v_cndmask_b32_e64 v26, 0, 1, vcc_lo
	v_cmp_neq_f32_e32 vcc_lo, v15, v16
	s_delay_alu instid0(VALU_DEP_3) | instskip(NEXT) | instid1(VALU_DEP_3)
	v_and_b32_e32 v23, 0xffff, v23
	v_or_b32_e32 v24, v26, v24
	v_cndmask_b32_e64 v27, 0, 1, vcc_lo
	s_delay_alu instid0(VALU_DEP_3) | instskip(NEXT) | instid1(VALU_DEP_3)
	v_or_b32_e32 v18, v23, v18
	v_lshlrev_b32_e32 v22, 16, v24
	s_delay_alu instid0(VALU_DEP_3) | instskip(NEXT) | instid1(VALU_DEP_1)
	v_lshlrev_b16 v26, 8, v27
	v_and_b32_e32 v24, 0xffff, v26
	s_delay_alu instid0(VALU_DEP_1)
	v_or_b32_e32 v17, v24, v22
	s_and_b32 vcc_lo, exec_lo, s3
	s_cbranch_vccnz .LBB102_47
	s_branch .LBB102_50
.LBB102_45:
                                        ; implicit-def: $sgpr2
                                        ; implicit-def: $vgpr18
	s_branch .LBB102_51
.LBB102_46:
                                        ; implicit-def: $sgpr2
                                        ; implicit-def: $vgpr18
	s_and_b32 vcc_lo, exec_lo, s3
	s_cbranch_vccz .LBB102_50
.LBB102_47:
	s_mov_b32 s2, exec_lo
	s_waitcnt vmcnt(0) lgkmcnt(0)
	s_barrier
	buffer_gl0_inv
	v_cmpx_ne_u32_e32 0, v0
	s_cbranch_execz .LBB102_49
; %bb.48:
	v_add_nc_u32_e32 v17, -4, v21
	ds_load_b32 v20, v17
.LBB102_49:
	s_or_b32 exec_lo, exec_lo, s2
	v_or_b32_e32 v17, 7, v19
	v_or_b32_e32 v18, 6, v19
	;; [unrolled: 1-line block ×3, first 2 shown]
	v_cmp_neq_f32_e32 vcc_lo, v9, v10
	v_cmp_neq_f32_e64 s3, v12, v9
	v_cmp_gt_u32_e64 s2, s19, v17
	v_cmp_gt_u32_e64 s5, s19, v18
	v_cmp_neq_f32_e64 s4, v11, v12
	v_cmp_gt_u32_e64 s6, s19, v21
	v_or_b32_e32 v18, 3, v19
	s_and_b32 s2, s2, vcc_lo
	v_or_b32_e32 v22, 4, v19
	v_cndmask_b32_e64 v17, 0, 1, s2
	s_and_b32 s2, s5, s3
	v_cmp_gt_u32_e32 vcc_lo, s19, v18
	v_cndmask_b32_e64 v21, 0, 1, s2
	s_and_b32 s2, s6, s4
	v_or_b32_e32 v18, 2, v19
	v_cndmask_b32_e64 v23, 0, 1, s2
	v_cmp_neq_f32_e64 s2, v13, v14
	v_cmp_gt_u32_e64 s3, s19, v22
	v_or_b32_e32 v22, 1, v19
	v_cmp_neq_f32_e64 s4, v14, v11
	v_cmp_neq_f32_e64 s6, v15, v16
	s_and_b32 s2, vcc_lo, s2
	v_cmp_gt_u32_e32 vcc_lo, s19, v18
	v_cndmask_b32_e64 v24, 0, 1, s2
	v_cmp_neq_f32_e64 s2, v16, v13
	v_cmp_gt_u32_e64 s5, s19, v22
	s_and_b32 s3, s3, s4
	v_lshlrev_b16 v23, 8, v23
	v_cndmask_b32_e64 v18, 0, 1, s3
	s_and_b32 s2, vcc_lo, s2
	v_lshlrev_b16 v24, 8, v24
	v_cndmask_b32_e64 v22, 0, 1, s2
	s_and_b32 s2, s5, s6
	v_lshlrev_b16 v17, 8, v17
	v_cndmask_b32_e64 v25, 0, 1, s2
	v_or_b32_e32 v18, v18, v23
	v_or_b32_e32 v22, v22, v24
	v_cmp_gt_u32_e32 vcc_lo, s19, v19
	v_or_b32_e32 v17, v21, v17
	v_lshlrev_b16 v24, 8, v25
	v_and_b32_e32 v18, 0xffff, v18
	v_lshlrev_b32_e32 v21, 16, v22
	s_waitcnt lgkmcnt(0)
	v_cmp_neq_f32_e64 s2, v20, v15
	v_lshlrev_b32_e32 v23, 16, v17
	v_and_b32_e32 v22, 0xffff, v24
	s_delay_alu instid0(VALU_DEP_3) | instskip(NEXT) | instid1(VALU_DEP_2)
	s_and_b32 s2, vcc_lo, s2
	v_or_b32_e32 v18, v18, v23
	s_delay_alu instid0(VALU_DEP_2)
	v_or_b32_e32 v17, v22, v21
.LBB102_50:
	s_mov_b32 s12, -1
	s_cbranch_execnz .LBB102_59
.LBB102_51:
	s_waitcnt vmcnt(0) lgkmcnt(1)
	v_lshlrev_b32_e32 v20, 2, v0
	v_cmp_neq_f32_e64 s3, v9, v10
	v_cmp_neq_f32_e64 s4, v12, v9
	;; [unrolled: 1-line block ×7, first 2 shown]
	s_and_b32 vcc_lo, exec_lo, s18
	ds_store_b32 v20, v10
	s_cbranch_vccz .LBB102_55
; %bb.52:
	v_cndmask_b32_e64 v17, 0, 1, s3
	v_cndmask_b32_e64 v21, 0, 1, s5
	;; [unrolled: 1-line block ×7, first 2 shown]
	v_lshlrev_b16 v21, 8, v21
	v_lshlrev_b16 v17, 8, v17
	;; [unrolled: 1-line block ×4, first 2 shown]
	s_mov_b32 s3, 0
	v_or_b32_e32 v21, v22, v21
	v_or_b32_e32 v17, v18, v17
	;; [unrolled: 1-line block ×4, first 2 shown]
	s_mov_b32 s4, exec_lo
	v_and_b32_e32 v21, 0xffff, v21
	v_lshlrev_b32_e32 v17, 16, v17
	v_lshlrev_b32_e32 v23, 16, v18
	v_and_b32_e32 v22, 0xffff, v22
	s_waitcnt lgkmcnt(0)
	s_barrier
	v_or_b32_e32 v18, v21, v17
	buffer_gl0_inv
	v_or_b32_e32 v17, v22, v23
                                        ; implicit-def: $sgpr2
	v_cmpx_ne_u32_e32 0, v0
	s_xor_b32 s4, exec_lo, s4
	s_cbranch_execz .LBB102_54
; %bb.53:
	v_add_nc_u32_e32 v21, -4, v20
	s_or_b32 s12, s12, exec_lo
	ds_load_b32 v21, v21
	s_waitcnt lgkmcnt(0)
	v_cmp_neq_f32_e32 vcc_lo, v21, v15
	s_and_b32 s2, vcc_lo, exec_lo
.LBB102_54:
	s_or_b32 exec_lo, exec_lo, s4
	s_delay_alu instid0(SALU_CYCLE_1)
	s_and_b32 vcc_lo, exec_lo, s3
	s_cbranch_vccnz .LBB102_56
	s_branch .LBB102_59
.LBB102_55:
                                        ; implicit-def: $sgpr2
                                        ; implicit-def: $vgpr18
	s_cbranch_execz .LBB102_59
.LBB102_56:
	v_or_b32_e32 v17, 7, v19
	v_or_b32_e32 v18, 6, v19
	v_cmp_neq_f32_e32 vcc_lo, v9, v10
	v_cmp_neq_f32_e64 s3, v12, v9
	v_or_b32_e32 v21, 5, v19
	v_cmp_gt_u32_e64 s2, s19, v17
	v_cmp_gt_u32_e64 s4, s19, v18
	v_or_b32_e32 v17, 4, v19
	v_or_b32_e32 v22, 3, v19
	v_cmp_gt_u32_e64 s5, s19, v21
	s_and_b32 s2, s2, vcc_lo
	v_cmp_neq_f32_e32 vcc_lo, v11, v12
	v_cndmask_b32_e64 v18, 0, 1, s2
	s_and_b32 s2, s4, s3
	v_cmp_neq_f32_e64 s3, v14, v11
	v_cndmask_b32_e64 v21, 0, 1, s2
	v_cmp_gt_u32_e64 s2, s19, v17
	v_or_b32_e32 v23, 1, v19
	s_and_b32 s4, s5, vcc_lo
	v_cmp_gt_u32_e32 vcc_lo, s19, v22
	v_cndmask_b32_e64 v17, 0, 1, s4
	s_and_b32 s2, s2, s3
	v_or_b32_e32 v25, 2, v19
	v_cndmask_b32_e64 v24, 0, 1, s2
	v_cmp_neq_f32_e64 s2, v13, v14
	v_cmp_gt_u32_e64 s3, s19, v23
	v_cmp_neq_f32_e64 s4, v15, v16
	v_cmp_gt_u32_e64 s5, s19, v25
	v_cmp_neq_f32_e64 s6, v16, v13
	s_and_b32 s2, vcc_lo, s2
	v_lshlrev_b16 v17, 8, v17
	v_cndmask_b32_e64 v22, 0, 1, s2
	s_and_b32 s2, s3, s4
	v_lshlrev_b16 v18, 8, v18
	v_cndmask_b32_e64 v23, 0, 1, s2
	s_and_b32 s2, s5, s6
	v_lshlrev_b16 v22, 8, v22
	v_cndmask_b32_e64 v25, 0, 1, s2
	v_or_b32_e32 v17, v24, v17
	v_lshlrev_b16 v23, 8, v23
	v_or_b32_e32 v18, v21, v18
	s_mov_b32 s3, exec_lo
	v_or_b32_e32 v21, v25, v22
	v_and_b32_e32 v17, 0xffff, v17
	v_or_b32_e32 v22, 1, v23
	v_lshlrev_b32_e32 v18, 16, v18
	s_waitcnt lgkmcnt(0)
	v_lshlrev_b32_e32 v21, 16, v21
	s_barrier
	v_and_b32_e32 v22, 0xffff, v22
	v_or_b32_e32 v18, v17, v18
	buffer_gl0_inv
                                        ; implicit-def: $sgpr2
	v_or_b32_e32 v17, v22, v21
	v_cmpx_ne_u32_e32 0, v0
	s_cbranch_execz .LBB102_58
; %bb.57:
	v_add_nc_u32_e32 v20, -4, v20
	v_cmp_gt_u32_e32 vcc_lo, s19, v19
	s_or_b32 s12, s12, exec_lo
	ds_load_b32 v20, v20
	s_waitcnt lgkmcnt(0)
	v_cmp_neq_f32_e64 s2, v20, v15
	s_delay_alu instid0(VALU_DEP_1) | instskip(NEXT) | instid1(SALU_CYCLE_1)
	s_and_b32 s2, vcc_lo, s2
	s_and_b32 s2, s2, exec_lo
.LBB102_58:
	s_or_b32 exec_lo, exec_lo, s3
.LBB102_59:
	s_and_saveexec_b32 s3, s12
	s_cbranch_execz .LBB102_61
; %bb.60:
	s_waitcnt vmcnt(0) lgkmcnt(1)
	v_and_b32_e32 v20, 0xffffff00, v17
	v_cndmask_b32_e64 v21, 0, 1, s2
	s_delay_alu instid0(VALU_DEP_1) | instskip(NEXT) | instid1(VALU_DEP_1)
	v_or_b32_e32 v20, v21, v20
	v_and_b32_e32 v20, 0xffff, v20
	s_delay_alu instid0(VALU_DEP_1)
	v_and_or_b32 v17, 0xffff0000, v17, v20
.LBB102_61:
	s_or_b32 exec_lo, exec_lo, s3
	s_load_b64 s[12:13], s[0:1], 0x60
	s_and_not1_b32 vcc_lo, exec_lo, s20
	s_cbranch_vccnz .LBB102_63
; %bb.62:
	v_cmp_gt_u32_e32 vcc_lo, s19, v19
	v_or_b32_e32 v21, 1, v19
	v_and_b32_e32 v22, 0xffffff00, v18
	v_or_b32_e32 v23, 2, v19
	s_waitcnt vmcnt(0) lgkmcnt(0)
	v_cndmask_b32_e32 v20, 0, v17, vcc_lo
	v_cmp_gt_u32_e32 vcc_lo, s19, v21
	v_or_b32_e32 v21, 4, v19
	v_cmp_gt_u32_e64 s2, s19, v23
	v_or_b32_e32 v23, 3, v19
	v_and_b32_e32 v20, 0xff, v20
	s_delay_alu instid0(VALU_DEP_2) | instskip(NEXT) | instid1(VALU_DEP_2)
	v_cmp_gt_u32_e64 s3, s19, v23
	v_cndmask_b32_e32 v20, v20, v17, vcc_lo
	v_cmp_gt_u32_e32 vcc_lo, s19, v21
	s_delay_alu instid0(VALU_DEP_2) | instskip(SKIP_1) | instid1(VALU_DEP_2)
	v_dual_cndmask_b32 v21, v22, v18 :: v_dual_and_b32 v20, 0xffff, v20
	v_or_b32_e32 v22, 5, v19
	v_cndmask_b32_e64 v20, v20, v17, s2
	s_delay_alu instid0(VALU_DEP_3) | instskip(NEXT) | instid1(VALU_DEP_3)
	v_and_b32_e32 v21, 0xffff00ff, v21
	v_cmp_gt_u32_e64 s2, s19, v22
	v_or_b32_e32 v22, 6, v19
	v_or_b32_e32 v19, 7, v19
	v_and_b32_e32 v20, 0xffffff, v20
	s_delay_alu instid0(VALU_DEP_4) | instskip(NEXT) | instid1(VALU_DEP_2)
	v_cndmask_b32_e64 v21, v21, v18, s2
	v_cndmask_b32_e64 v20, v20, v17, s3
	s_delay_alu instid0(VALU_DEP_2) | instskip(NEXT) | instid1(VALU_DEP_2)
	v_and_b32_e32 v21, 0xff00ffff, v21
	v_cndmask_b32_e32 v20, v20, v17, vcc_lo
	v_cmp_gt_u32_e32 vcc_lo, s19, v22
	s_delay_alu instid0(VALU_DEP_2) | instskip(NEXT) | instid1(VALU_DEP_1)
	v_cndmask_b32_e64 v20, v20, v17, s2
	v_dual_cndmask_b32 v21, v21, v18 :: v_dual_cndmask_b32 v20, v20, v17
	s_delay_alu instid0(VALU_DEP_1) | instskip(SKIP_1) | instid1(VALU_DEP_2)
	v_and_b32_e32 v21, 0xffffff, v21
	v_cmp_gt_u32_e32 vcc_lo, s19, v19
	v_dual_cndmask_b32 v18, v21, v18 :: v_dual_cndmask_b32 v17, v20, v17
.LBB102_63:
	s_delay_alu instid0(VALU_DEP_1) | instskip(NEXT) | instid1(VALU_DEP_2)
	v_and_b32_e32 v28, 0xff, v17
	v_alignbit_b32 v19, v18, v17, 24
	v_bfe_u32 v30, v17, 8, 8
	v_bfe_u32 v32, v17, 16, 8
	v_and_b32_e32 v36, 0xff, v18
	v_bfe_u32 v38, v18, 8, 8
	v_and_b32_e32 v34, 0xff, v19
	v_add_nc_u32_e32 v19, v30, v28
	s_waitcnt vmcnt(0) lgkmcnt(0)
	v_and_b32_e32 v20, 0x1e0, v0
	v_mbcnt_lo_u32_b32 v41, -1, 0
	v_bfe_u32 v40, v18, 16, 8
	v_lshrrev_b32_e32 v39, 24, v18
	v_add3_u32 v19, v19, v32, v34
	v_min_u32_e32 v20, 0x160, v20
	v_and_b32_e32 v21, 15, v41
	v_lshrrev_b32_e32 v42, 5, v0
	s_and_b32 vcc_lo, exec_lo, s9
	v_add3_u32 v19, v19, v36, v38
	v_or_b32_e32 v20, 31, v20
	v_cmp_eq_u32_e64 s4, 0, v21
	v_cmp_lt_u32_e64 s5, 1, v21
	v_cmp_lt_u32_e64 s3, 3, v21
	v_add3_u32 v43, v19, v40, v39
	v_and_b32_e32 v19, 16, v41
	v_cmp_lt_u32_e64 s2, 7, v21
	v_cmp_eq_u32_e64 s6, v20, v0
	s_mov_b32 s8, -1
	s_delay_alu instid0(VALU_DEP_3)
	v_cmp_eq_u32_e64 s7, 0, v19
	s_barrier
	buffer_gl0_inv
	s_cbranch_vccz .LBB102_94
; %bb.64:
	v_mov_b32_dpp v19, v43 row_shr:1 row_mask:0xf bank_mask:0xf
	s_delay_alu instid0(VALU_DEP_1) | instskip(NEXT) | instid1(VALU_DEP_1)
	v_cndmask_b32_e64 v19, v19, 0, s4
	v_add_nc_u32_e32 v19, v19, v43
	s_delay_alu instid0(VALU_DEP_1) | instskip(NEXT) | instid1(VALU_DEP_1)
	v_mov_b32_dpp v20, v19 row_shr:2 row_mask:0xf bank_mask:0xf
	v_cndmask_b32_e64 v20, 0, v20, s5
	s_delay_alu instid0(VALU_DEP_1) | instskip(NEXT) | instid1(VALU_DEP_1)
	v_add_nc_u32_e32 v19, v19, v20
	v_mov_b32_dpp v20, v19 row_shr:4 row_mask:0xf bank_mask:0xf
	s_delay_alu instid0(VALU_DEP_1) | instskip(NEXT) | instid1(VALU_DEP_1)
	v_cndmask_b32_e64 v20, 0, v20, s3
	v_add_nc_u32_e32 v19, v19, v20
	s_delay_alu instid0(VALU_DEP_1) | instskip(NEXT) | instid1(VALU_DEP_1)
	v_mov_b32_dpp v20, v19 row_shr:8 row_mask:0xf bank_mask:0xf
	v_cndmask_b32_e64 v20, 0, v20, s2
	s_delay_alu instid0(VALU_DEP_1) | instskip(SKIP_3) | instid1(VALU_DEP_1)
	v_add_nc_u32_e32 v19, v19, v20
	ds_swizzle_b32 v20, v19 offset:swizzle(BROADCAST,32,15)
	s_waitcnt lgkmcnt(0)
	v_cndmask_b32_e64 v20, v20, 0, s7
	v_add_nc_u32_e32 v19, v19, v20
	s_and_saveexec_b32 s8, s6
	s_cbranch_execz .LBB102_66
; %bb.65:
	v_lshlrev_b32_e32 v20, 2, v42
	ds_store_b32 v20, v19
.LBB102_66:
	s_or_b32 exec_lo, exec_lo, s8
	s_delay_alu instid0(SALU_CYCLE_1)
	s_mov_b32 s8, exec_lo
	s_waitcnt lgkmcnt(0)
	s_barrier
	buffer_gl0_inv
	v_cmpx_gt_u32_e32 12, v0
	s_cbranch_execz .LBB102_68
; %bb.67:
	v_lshlrev_b32_e32 v20, 2, v0
	ds_load_b32 v21, v20
	s_waitcnt lgkmcnt(0)
	v_mov_b32_dpp v22, v21 row_shr:1 row_mask:0xf bank_mask:0xf
	s_delay_alu instid0(VALU_DEP_1) | instskip(NEXT) | instid1(VALU_DEP_1)
	v_cndmask_b32_e64 v22, v22, 0, s4
	v_add_nc_u32_e32 v21, v22, v21
	s_delay_alu instid0(VALU_DEP_1) | instskip(NEXT) | instid1(VALU_DEP_1)
	v_mov_b32_dpp v22, v21 row_shr:2 row_mask:0xf bank_mask:0xf
	v_cndmask_b32_e64 v22, 0, v22, s5
	s_delay_alu instid0(VALU_DEP_1) | instskip(NEXT) | instid1(VALU_DEP_1)
	v_add_nc_u32_e32 v21, v21, v22
	v_mov_b32_dpp v22, v21 row_shr:4 row_mask:0xf bank_mask:0xf
	s_delay_alu instid0(VALU_DEP_1) | instskip(NEXT) | instid1(VALU_DEP_1)
	v_cndmask_b32_e64 v22, 0, v22, s3
	v_add_nc_u32_e32 v21, v21, v22
	s_delay_alu instid0(VALU_DEP_1) | instskip(NEXT) | instid1(VALU_DEP_1)
	v_mov_b32_dpp v22, v21 row_shr:8 row_mask:0xf bank_mask:0xf
	v_cndmask_b32_e64 v22, 0, v22, s2
	s_delay_alu instid0(VALU_DEP_1)
	v_add_nc_u32_e32 v21, v21, v22
	ds_store_b32 v20, v21
.LBB102_68:
	s_or_b32 exec_lo, exec_lo, s8
	v_cmp_gt_u32_e32 vcc_lo, 32, v0
	s_mov_b32 s9, exec_lo
	s_waitcnt lgkmcnt(0)
	s_barrier
	buffer_gl0_inv
                                        ; implicit-def: $vgpr27
	v_cmpx_lt_u32_e32 31, v0
	s_cbranch_execz .LBB102_70
; %bb.69:
	v_lshl_add_u32 v20, v42, 2, -4
	ds_load_b32 v27, v20
	s_waitcnt lgkmcnt(0)
	v_add_nc_u32_e32 v19, v27, v19
.LBB102_70:
	s_or_b32 exec_lo, exec_lo, s9
	v_add_nc_u32_e32 v20, -1, v41
	s_delay_alu instid0(VALU_DEP_1) | instskip(NEXT) | instid1(VALU_DEP_1)
	v_cmp_gt_i32_e64 s8, 0, v20
	v_cndmask_b32_e64 v20, v20, v41, s8
	v_cmp_eq_u32_e64 s8, 0, v41
	s_delay_alu instid0(VALU_DEP_2)
	v_lshlrev_b32_e32 v20, 2, v20
	ds_bpermute_b32 v29, v20, v19
	s_and_saveexec_b32 s9, vcc_lo
	s_cbranch_execz .LBB102_93
; %bb.71:
	v_mov_b32_e32 v23, 0
	ds_load_b32 v19, v23 offset:44
	s_and_saveexec_b32 s19, s8
	s_cbranch_execz .LBB102_73
; %bb.72:
	s_add_i32 s20, s15, 32
	s_mov_b32 s21, 0
	v_mov_b32_e32 v20, 1
	s_lshl_b64 s[20:21], s[20:21], 3
	s_delay_alu instid0(SALU_CYCLE_1)
	s_add_u32 s20, s12, s20
	s_addc_u32 s21, s13, s21
	s_waitcnt lgkmcnt(0)
	global_store_b64 v23, v[19:20], s[20:21]
.LBB102_73:
	s_or_b32 exec_lo, exec_lo, s19
	v_xad_u32 v21, v41, -1, s15
	s_mov_b32 s20, 0
	s_mov_b32 s19, exec_lo
	s_delay_alu instid0(VALU_DEP_1) | instskip(NEXT) | instid1(VALU_DEP_1)
	v_add_nc_u32_e32 v22, 32, v21
	v_lshlrev_b64 v[22:23], 3, v[22:23]
	s_delay_alu instid0(VALU_DEP_1) | instskip(NEXT) | instid1(VALU_DEP_2)
	v_add_co_u32 v25, vcc_lo, s12, v22
	v_add_co_ci_u32_e32 v26, vcc_lo, s13, v23, vcc_lo
	global_load_b64 v[23:24], v[25:26], off glc
	s_waitcnt vmcnt(0)
	v_and_b32_e32 v20, 0xff, v24
	s_delay_alu instid0(VALU_DEP_1)
	v_cmpx_eq_u16_e32 0, v20
	s_cbranch_execz .LBB102_79
; %bb.74:
	s_mov_b32 s21, 1
	.p2align	6
.LBB102_75:                             ; =>This Loop Header: Depth=1
                                        ;     Child Loop BB102_76 Depth 2
	s_delay_alu instid0(SALU_CYCLE_1)
	s_max_u32 s22, s21, 1
.LBB102_76:                             ;   Parent Loop BB102_75 Depth=1
                                        ; =>  This Inner Loop Header: Depth=2
	s_delay_alu instid0(SALU_CYCLE_1)
	s_add_i32 s22, s22, -1
	s_sleep 1
	s_cmp_eq_u32 s22, 0
	s_cbranch_scc0 .LBB102_76
; %bb.77:                               ;   in Loop: Header=BB102_75 Depth=1
	global_load_b64 v[23:24], v[25:26], off glc
	s_cmp_lt_u32 s21, 32
	s_cselect_b32 s22, -1, 0
	s_delay_alu instid0(SALU_CYCLE_1) | instskip(SKIP_3) | instid1(VALU_DEP_1)
	s_cmp_lg_u32 s22, 0
	s_addc_u32 s21, s21, 0
	s_waitcnt vmcnt(0)
	v_and_b32_e32 v20, 0xff, v24
	v_cmp_ne_u16_e32 vcc_lo, 0, v20
	s_or_b32 s20, vcc_lo, s20
	s_delay_alu instid0(SALU_CYCLE_1)
	s_and_not1_b32 exec_lo, exec_lo, s20
	s_cbranch_execnz .LBB102_75
; %bb.78:
	s_or_b32 exec_lo, exec_lo, s20
.LBB102_79:
	s_delay_alu instid0(SALU_CYCLE_1)
	s_or_b32 exec_lo, exec_lo, s19
	v_cmp_ne_u32_e32 vcc_lo, 31, v41
	v_lshlrev_b32_e64 v33, v41, -1
	v_add_nc_u32_e32 v37, 2, v41
	v_add_nc_u32_e32 v45, 4, v41
	;; [unrolled: 1-line block ×3, first 2 shown]
	v_add_co_ci_u32_e32 v20, vcc_lo, 0, v41, vcc_lo
	v_add_nc_u32_e32 v49, 16, v41
	s_delay_alu instid0(VALU_DEP_2)
	v_lshlrev_b32_e32 v31, 2, v20
	v_and_b32_e32 v20, 0xff, v24
	ds_bpermute_b32 v22, v31, v23
	v_cmp_eq_u16_e32 vcc_lo, 2, v20
	v_and_or_b32 v20, vcc_lo, v33, 0x80000000
	v_cmp_gt_u32_e32 vcc_lo, 30, v41
	s_delay_alu instid0(VALU_DEP_2) | instskip(SKIP_1) | instid1(VALU_DEP_2)
	v_ctz_i32_b32_e32 v20, v20
	v_cndmask_b32_e64 v25, 0, 1, vcc_lo
	v_cmp_lt_u32_e32 vcc_lo, v41, v20
	s_waitcnt lgkmcnt(0)
	s_delay_alu instid0(VALU_DEP_2) | instskip(NEXT) | instid1(VALU_DEP_1)
	v_dual_cndmask_b32 v22, 0, v22 :: v_dual_lshlrev_b32 v25, 1, v25
	v_add_lshl_u32 v35, v25, v41, 2
	v_cmp_gt_u32_e32 vcc_lo, 28, v41
	s_delay_alu instid0(VALU_DEP_3) | instskip(SKIP_4) | instid1(VALU_DEP_1)
	v_add_nc_u32_e32 v22, v22, v23
	v_cndmask_b32_e64 v25, 0, 1, vcc_lo
	v_cmp_le_u32_e32 vcc_lo, v37, v20
	ds_bpermute_b32 v23, v35, v22
	v_lshlrev_b32_e32 v25, 2, v25
	v_add_lshl_u32 v44, v25, v41, 2
	s_waitcnt lgkmcnt(0)
	v_cndmask_b32_e32 v23, 0, v23, vcc_lo
	v_cmp_gt_u32_e32 vcc_lo, 24, v41
	s_delay_alu instid0(VALU_DEP_2) | instskip(SKIP_4) | instid1(VALU_DEP_1)
	v_add_nc_u32_e32 v22, v22, v23
	v_cndmask_b32_e64 v25, 0, 1, vcc_lo
	v_cmp_le_u32_e32 vcc_lo, v45, v20
	ds_bpermute_b32 v23, v44, v22
	v_lshlrev_b32_e32 v25, 3, v25
	v_add_lshl_u32 v46, v25, v41, 2
	s_waitcnt lgkmcnt(0)
	v_cndmask_b32_e32 v23, 0, v23, vcc_lo
	v_cmp_gt_u32_e32 vcc_lo, 16, v41
	s_delay_alu instid0(VALU_DEP_2) | instskip(SKIP_4) | instid1(VALU_DEP_1)
	v_add_nc_u32_e32 v22, v22, v23
	v_cndmask_b32_e64 v25, 0, 1, vcc_lo
	v_cmp_le_u32_e32 vcc_lo, v47, v20
	ds_bpermute_b32 v23, v46, v22
	v_lshlrev_b32_e32 v25, 4, v25
	v_add_lshl_u32 v48, v25, v41, 2
	s_waitcnt lgkmcnt(0)
	v_cndmask_b32_e32 v23, 0, v23, vcc_lo
	v_cmp_le_u32_e32 vcc_lo, v49, v20
	s_delay_alu instid0(VALU_DEP_2) | instskip(SKIP_3) | instid1(VALU_DEP_1)
	v_add_nc_u32_e32 v22, v22, v23
	ds_bpermute_b32 v23, v48, v22
	s_waitcnt lgkmcnt(0)
	v_cndmask_b32_e32 v20, 0, v23, vcc_lo
	v_dual_mov_b32 v22, 0 :: v_dual_add_nc_u32 v23, v22, v20
	s_branch .LBB102_81
.LBB102_80:                             ;   in Loop: Header=BB102_81 Depth=1
	s_or_b32 exec_lo, exec_lo, s19
	ds_bpermute_b32 v26, v31, v23
	v_and_b32_e32 v25, 0xff, v24
	v_subrev_nc_u32_e32 v21, 32, v21
	s_delay_alu instid0(VALU_DEP_2) | instskip(SKIP_1) | instid1(VALU_DEP_1)
	v_cmp_eq_u16_e32 vcc_lo, 2, v25
	v_and_or_b32 v25, vcc_lo, v33, 0x80000000
	v_ctz_i32_b32_e32 v25, v25
	s_delay_alu instid0(VALU_DEP_1) | instskip(SKIP_3) | instid1(VALU_DEP_2)
	v_cmp_lt_u32_e32 vcc_lo, v41, v25
	s_waitcnt lgkmcnt(0)
	v_cndmask_b32_e32 v26, 0, v26, vcc_lo
	v_cmp_le_u32_e32 vcc_lo, v37, v25
	v_add_nc_u32_e32 v23, v26, v23
	ds_bpermute_b32 v26, v35, v23
	s_waitcnt lgkmcnt(0)
	v_cndmask_b32_e32 v26, 0, v26, vcc_lo
	v_cmp_le_u32_e32 vcc_lo, v45, v25
	s_delay_alu instid0(VALU_DEP_2) | instskip(SKIP_4) | instid1(VALU_DEP_2)
	v_add_nc_u32_e32 v23, v23, v26
	ds_bpermute_b32 v26, v44, v23
	s_waitcnt lgkmcnt(0)
	v_cndmask_b32_e32 v26, 0, v26, vcc_lo
	v_cmp_le_u32_e32 vcc_lo, v47, v25
	v_add_nc_u32_e32 v23, v23, v26
	ds_bpermute_b32 v26, v46, v23
	s_waitcnt lgkmcnt(0)
	v_cndmask_b32_e32 v26, 0, v26, vcc_lo
	v_cmp_le_u32_e32 vcc_lo, v49, v25
	s_delay_alu instid0(VALU_DEP_2) | instskip(SKIP_3) | instid1(VALU_DEP_1)
	v_add_nc_u32_e32 v23, v23, v26
	ds_bpermute_b32 v26, v48, v23
	s_waitcnt lgkmcnt(0)
	v_cndmask_b32_e32 v25, 0, v26, vcc_lo
	v_add3_u32 v23, v25, v20, v23
.LBB102_81:                             ; =>This Loop Header: Depth=1
                                        ;     Child Loop BB102_84 Depth 2
                                        ;       Child Loop BB102_85 Depth 3
	v_and_b32_e32 v20, 0xff, v24
	s_delay_alu instid0(VALU_DEP_1) | instskip(SKIP_2) | instid1(VALU_DEP_1)
	v_cmp_ne_u16_e32 vcc_lo, 2, v20
	v_cndmask_b32_e64 v20, 0, 1, vcc_lo
	;;#ASMSTART
	;;#ASMEND
	v_cmp_ne_u32_e32 vcc_lo, 0, v20
	v_mov_b32_e32 v20, v23
	s_cmp_lg_u32 vcc_lo, exec_lo
	s_cbranch_scc1 .LBB102_88
; %bb.82:                               ;   in Loop: Header=BB102_81 Depth=1
	v_lshlrev_b64 v[23:24], 3, v[21:22]
	s_mov_b32 s19, exec_lo
	s_delay_alu instid0(VALU_DEP_1) | instskip(NEXT) | instid1(VALU_DEP_2)
	v_add_co_u32 v25, vcc_lo, s12, v23
	v_add_co_ci_u32_e32 v26, vcc_lo, s13, v24, vcc_lo
	global_load_b64 v[23:24], v[25:26], off glc
	s_waitcnt vmcnt(0)
	v_and_b32_e32 v50, 0xff, v24
	s_delay_alu instid0(VALU_DEP_1)
	v_cmpx_eq_u16_e32 0, v50
	s_cbranch_execz .LBB102_80
; %bb.83:                               ;   in Loop: Header=BB102_81 Depth=1
	s_mov_b32 s21, 1
	s_mov_b32 s20, 0
	.p2align	6
.LBB102_84:                             ;   Parent Loop BB102_81 Depth=1
                                        ; =>  This Loop Header: Depth=2
                                        ;       Child Loop BB102_85 Depth 3
	s_max_u32 s22, s21, 1
.LBB102_85:                             ;   Parent Loop BB102_81 Depth=1
                                        ;     Parent Loop BB102_84 Depth=2
                                        ; =>    This Inner Loop Header: Depth=3
	s_delay_alu instid0(SALU_CYCLE_1)
	s_add_i32 s22, s22, -1
	s_sleep 1
	s_cmp_eq_u32 s22, 0
	s_cbranch_scc0 .LBB102_85
; %bb.86:                               ;   in Loop: Header=BB102_84 Depth=2
	global_load_b64 v[23:24], v[25:26], off glc
	s_cmp_lt_u32 s21, 32
	s_cselect_b32 s22, -1, 0
	s_delay_alu instid0(SALU_CYCLE_1) | instskip(SKIP_3) | instid1(VALU_DEP_1)
	s_cmp_lg_u32 s22, 0
	s_addc_u32 s21, s21, 0
	s_waitcnt vmcnt(0)
	v_and_b32_e32 v50, 0xff, v24
	v_cmp_ne_u16_e32 vcc_lo, 0, v50
	s_or_b32 s20, vcc_lo, s20
	s_delay_alu instid0(SALU_CYCLE_1)
	s_and_not1_b32 exec_lo, exec_lo, s20
	s_cbranch_execnz .LBB102_84
; %bb.87:                               ;   in Loop: Header=BB102_81 Depth=1
	s_or_b32 exec_lo, exec_lo, s20
	s_branch .LBB102_80
.LBB102_88:                             ;   in Loop: Header=BB102_81 Depth=1
                                        ; implicit-def: $vgpr23
                                        ; implicit-def: $vgpr24
	s_cbranch_execz .LBB102_81
; %bb.89:
	s_and_saveexec_b32 s19, s8
	s_cbranch_execz .LBB102_91
; %bb.90:
	s_add_i32 s20, s15, 32
	s_mov_b32 s21, 0
	v_dual_mov_b32 v22, 2 :: v_dual_add_nc_u32 v21, v20, v19
	s_lshl_b64 s[20:21], s[20:21], 3
	v_mov_b32_e32 v23, 0
	s_add_u32 s20, s12, s20
	s_addc_u32 s21, s13, s21
	global_store_b64 v23, v[21:22], s[20:21]
	ds_store_b64 v23, v[19:20] offset:12672
.LBB102_91:
	s_or_b32 exec_lo, exec_lo, s19
	v_cmp_eq_u32_e32 vcc_lo, 0, v0
	s_and_b32 exec_lo, exec_lo, vcc_lo
	s_cbranch_execz .LBB102_93
; %bb.92:
	v_mov_b32_e32 v19, 0
	ds_store_b32 v19, v20 offset:44
.LBB102_93:
	s_or_b32 exec_lo, exec_lo, s9
	v_mov_b32_e32 v19, 0
	s_waitcnt lgkmcnt(0)
	s_waitcnt_vscnt null, 0x0
	s_barrier
	buffer_gl0_inv
	v_cndmask_b32_e64 v21, v29, v27, s8
	ds_load_b32 v20, v19 offset:44
	v_cmp_ne_u32_e32 vcc_lo, 0, v0
	s_waitcnt lgkmcnt(0)
	s_barrier
	buffer_gl0_inv
	v_cndmask_b32_e32 v21, 0, v21, vcc_lo
	s_delay_alu instid0(VALU_DEP_1) | instskip(SKIP_2) | instid1(VALU_DEP_1)
	v_add_nc_u32_e32 v37, v20, v21
	ds_load_b64 v[19:20], v19 offset:12672
	v_add_nc_u32_e32 v35, v37, v28
	v_add_nc_u32_e32 v33, v35, v30
	s_delay_alu instid0(VALU_DEP_1) | instskip(NEXT) | instid1(VALU_DEP_1)
	v_add_nc_u32_e32 v31, v33, v32
	v_add_nc_u32_e32 v29, v31, v34
	s_delay_alu instid0(VALU_DEP_1) | instskip(NEXT) | instid1(VALU_DEP_1)
	v_add_nc_u32_e32 v27, v29, v36
	v_add_nc_u32_e32 v25, v27, v38
	s_delay_alu instid0(VALU_DEP_1)
	v_add_nc_u32_e32 v23, v25, v40
	v_lshrrev_b64 v[21:22], 24, v[17:18]
	s_branch .LBB102_104
.LBB102_94:
                                        ; implicit-def: $vgpr23
                                        ; implicit-def: $vgpr25
                                        ; implicit-def: $vgpr27
                                        ; implicit-def: $vgpr29
                                        ; implicit-def: $vgpr31
                                        ; implicit-def: $vgpr33
                                        ; implicit-def: $vgpr35
                                        ; implicit-def: $vgpr37
                                        ; implicit-def: $vgpr20
	v_lshrrev_b64 v[21:22], 24, v[17:18]
	s_and_b32 vcc_lo, exec_lo, s8
	s_cbranch_vccz .LBB102_104
; %bb.95:
	s_waitcnt lgkmcnt(0)
	v_mov_b32_dpp v19, v43 row_shr:1 row_mask:0xf bank_mask:0xf
	s_delay_alu instid0(VALU_DEP_1) | instskip(NEXT) | instid1(VALU_DEP_1)
	v_cndmask_b32_e64 v19, v19, 0, s4
	v_add_nc_u32_e32 v19, v19, v43
	s_delay_alu instid0(VALU_DEP_1) | instskip(NEXT) | instid1(VALU_DEP_1)
	v_mov_b32_dpp v20, v19 row_shr:2 row_mask:0xf bank_mask:0xf
	v_cndmask_b32_e64 v20, 0, v20, s5
	s_delay_alu instid0(VALU_DEP_1) | instskip(NEXT) | instid1(VALU_DEP_1)
	v_add_nc_u32_e32 v19, v19, v20
	v_mov_b32_dpp v20, v19 row_shr:4 row_mask:0xf bank_mask:0xf
	s_delay_alu instid0(VALU_DEP_1) | instskip(NEXT) | instid1(VALU_DEP_1)
	v_cndmask_b32_e64 v20, 0, v20, s3
	v_add_nc_u32_e32 v19, v19, v20
	s_delay_alu instid0(VALU_DEP_1) | instskip(NEXT) | instid1(VALU_DEP_1)
	v_mov_b32_dpp v20, v19 row_shr:8 row_mask:0xf bank_mask:0xf
	v_cndmask_b32_e64 v20, 0, v20, s2
	s_delay_alu instid0(VALU_DEP_1) | instskip(SKIP_3) | instid1(VALU_DEP_1)
	v_add_nc_u32_e32 v19, v19, v20
	ds_swizzle_b32 v20, v19 offset:swizzle(BROADCAST,32,15)
	s_waitcnt lgkmcnt(0)
	v_cndmask_b32_e64 v20, v20, 0, s7
	v_add_nc_u32_e32 v19, v19, v20
	s_and_saveexec_b32 s7, s6
	s_cbranch_execz .LBB102_97
; %bb.96:
	v_lshlrev_b32_e32 v20, 2, v42
	ds_store_b32 v20, v19
.LBB102_97:
	s_or_b32 exec_lo, exec_lo, s7
	s_delay_alu instid0(SALU_CYCLE_1)
	s_mov_b32 s6, exec_lo
	s_waitcnt lgkmcnt(0)
	s_barrier
	buffer_gl0_inv
	v_cmpx_gt_u32_e32 12, v0
	s_cbranch_execz .LBB102_99
; %bb.98:
	v_lshlrev_b32_e32 v20, 2, v0
	ds_load_b32 v22, v20
	s_waitcnt lgkmcnt(0)
	v_mov_b32_dpp v23, v22 row_shr:1 row_mask:0xf bank_mask:0xf
	s_delay_alu instid0(VALU_DEP_1) | instskip(NEXT) | instid1(VALU_DEP_1)
	v_cndmask_b32_e64 v23, v23, 0, s4
	v_add_nc_u32_e32 v22, v23, v22
	s_delay_alu instid0(VALU_DEP_1) | instskip(NEXT) | instid1(VALU_DEP_1)
	v_mov_b32_dpp v23, v22 row_shr:2 row_mask:0xf bank_mask:0xf
	v_cndmask_b32_e64 v23, 0, v23, s5
	s_delay_alu instid0(VALU_DEP_1) | instskip(NEXT) | instid1(VALU_DEP_1)
	v_add_nc_u32_e32 v22, v22, v23
	v_mov_b32_dpp v23, v22 row_shr:4 row_mask:0xf bank_mask:0xf
	s_delay_alu instid0(VALU_DEP_1) | instskip(NEXT) | instid1(VALU_DEP_1)
	v_cndmask_b32_e64 v23, 0, v23, s3
	v_add_nc_u32_e32 v22, v22, v23
	s_delay_alu instid0(VALU_DEP_1) | instskip(NEXT) | instid1(VALU_DEP_1)
	v_mov_b32_dpp v23, v22 row_shr:8 row_mask:0xf bank_mask:0xf
	v_cndmask_b32_e64 v23, 0, v23, s2
	s_delay_alu instid0(VALU_DEP_1)
	v_add_nc_u32_e32 v22, v22, v23
	ds_store_b32 v20, v22
.LBB102_99:
	s_or_b32 exec_lo, exec_lo, s6
	v_mov_b32_e32 v20, 0
	v_mov_b32_e32 v22, 0
	s_mov_b32 s2, exec_lo
	s_waitcnt lgkmcnt(0)
	s_barrier
	buffer_gl0_inv
	v_cmpx_lt_u32_e32 31, v0
	s_cbranch_execz .LBB102_101
; %bb.100:
	v_lshl_add_u32 v22, v42, 2, -4
	ds_load_b32 v22, v22
.LBB102_101:
	s_or_b32 exec_lo, exec_lo, s2
	v_add_nc_u32_e32 v23, -1, v41
	s_waitcnt lgkmcnt(0)
	v_add_nc_u32_e32 v19, v22, v19
	s_delay_alu instid0(VALU_DEP_2) | instskip(SKIP_2) | instid1(VALU_DEP_2)
	v_cmp_gt_i32_e32 vcc_lo, 0, v23
	v_cndmask_b32_e32 v23, v23, v41, vcc_lo
	v_cmp_eq_u32_e32 vcc_lo, 0, v0
	v_lshlrev_b32_e32 v23, 2, v23
	ds_bpermute_b32 v23, v23, v19
	ds_load_b32 v19, v20 offset:44
	s_and_saveexec_b32 s2, vcc_lo
	s_cbranch_execz .LBB102_103
; %bb.102:
	v_mov_b32_e32 v24, 0
	v_mov_b32_e32 v20, 2
	s_waitcnt lgkmcnt(0)
	global_store_b64 v24, v[19:20], s[12:13] offset:256
.LBB102_103:
	s_or_b32 exec_lo, exec_lo, s2
	v_cmp_eq_u32_e64 s2, 0, v41
	s_waitcnt lgkmcnt(0)
	s_waitcnt_vscnt null, 0x0
	s_barrier
	buffer_gl0_inv
	v_cndmask_b32_e64 v20, v23, v22, s2
	s_delay_alu instid0(VALU_DEP_1) | instskip(NEXT) | instid1(VALU_DEP_1)
	v_cndmask_b32_e64 v37, v20, 0, vcc_lo
	v_dual_mov_b32 v20, 0 :: v_dual_add_nc_u32 v35, v37, v28
	s_delay_alu instid0(VALU_DEP_1) | instskip(NEXT) | instid1(VALU_DEP_1)
	v_add_nc_u32_e32 v33, v35, v30
	v_add_nc_u32_e32 v31, v33, v32
	s_delay_alu instid0(VALU_DEP_1) | instskip(NEXT) | instid1(VALU_DEP_1)
	v_add_nc_u32_e32 v29, v31, v34
	v_add_nc_u32_e32 v27, v29, v36
	;; [unrolled: 3-line block ×3, first 2 shown]
.LBB102_104:
	s_load_b128 s[4:7], s[0:1], 0x28
	s_waitcnt lgkmcnt(0)
	v_add_nc_u32_e32 v43, v20, v19
	v_cmp_gt_u32_e64 s0, 0x181, v19
	v_lshrrev_b32_e32 v42, 8, v17
	v_lshrrev_b32_e32 v41, 16, v17
	;; [unrolled: 1-line block ×4, first 2 shown]
	v_cmp_lt_u32_e64 s1, v37, v43
	s_and_b32 vcc_lo, exec_lo, s0
	s_mov_b32 s2, -1
	s_cbranch_vccz .LBB102_130
; %bb.105:
	s_lshl_b64 s[2:3], s[10:11], 2
	s_delay_alu instid0(SALU_CYCLE_1) | instskip(SKIP_2) | instid1(SALU_CYCLE_1)
	s_add_u32 s2, s4, s2
	s_addc_u32 s3, s5, s3
	s_or_b32 s8, s18, s1
	s_and_saveexec_b32 s1, s8
	s_cbranch_execz .LBB102_108
; %bb.106:
	v_and_b32_e32 v24, 1, v17
	s_delay_alu instid0(VALU_DEP_1)
	v_cmp_eq_u32_e32 vcc_lo, 1, v24
	s_and_b32 exec_lo, exec_lo, vcc_lo
	s_cbranch_execz .LBB102_108
; %bb.107:
	v_mov_b32_e32 v38, 0
	s_delay_alu instid0(VALU_DEP_1) | instskip(NEXT) | instid1(VALU_DEP_1)
	v_lshlrev_b64 v[44:45], 2, v[37:38]
	v_add_co_u32 v44, vcc_lo, s2, v44
	s_delay_alu instid0(VALU_DEP_2)
	v_add_co_ci_u32_e32 v45, vcc_lo, s3, v45, vcc_lo
	global_store_b32 v[44:45], v15, off
.LBB102_108:
	s_or_b32 exec_lo, exec_lo, s1
	v_cmp_lt_u32_e32 vcc_lo, v35, v43
	s_or_b32 s8, s18, vcc_lo
	s_delay_alu instid0(SALU_CYCLE_1)
	s_and_saveexec_b32 s1, s8
	s_cbranch_execz .LBB102_111
; %bb.109:
	v_and_b32_e32 v24, 1, v42
	s_delay_alu instid0(VALU_DEP_1)
	v_cmp_eq_u32_e32 vcc_lo, 1, v24
	s_and_b32 exec_lo, exec_lo, vcc_lo
	s_cbranch_execz .LBB102_111
; %bb.110:
	v_mov_b32_e32 v36, 0
	s_delay_alu instid0(VALU_DEP_1) | instskip(NEXT) | instid1(VALU_DEP_1)
	v_lshlrev_b64 v[44:45], 2, v[35:36]
	v_add_co_u32 v44, vcc_lo, s2, v44
	s_delay_alu instid0(VALU_DEP_2)
	v_add_co_ci_u32_e32 v45, vcc_lo, s3, v45, vcc_lo
	global_store_b32 v[44:45], v16, off
.LBB102_111:
	s_or_b32 exec_lo, exec_lo, s1
	v_cmp_lt_u32_e32 vcc_lo, v33, v43
	s_or_b32 s8, s18, vcc_lo
	s_delay_alu instid0(SALU_CYCLE_1)
	;; [unrolled: 21-line block ×7, first 2 shown]
	s_and_saveexec_b32 s1, s8
	s_cbranch_execz .LBB102_129
; %bb.127:
	v_and_b32_e32 v24, 1, v39
	s_delay_alu instid0(VALU_DEP_1)
	v_cmp_eq_u32_e32 vcc_lo, 1, v24
	s_and_b32 exec_lo, exec_lo, vcc_lo
	s_cbranch_execz .LBB102_129
; %bb.128:
	v_mov_b32_e32 v24, 0
	s_delay_alu instid0(VALU_DEP_1) | instskip(NEXT) | instid1(VALU_DEP_1)
	v_lshlrev_b64 v[44:45], 2, v[23:24]
	v_add_co_u32 v44, vcc_lo, s2, v44
	s_delay_alu instid0(VALU_DEP_2)
	v_add_co_ci_u32_e32 v45, vcc_lo, s3, v45, vcc_lo
	global_store_b32 v[44:45], v10, off
.LBB102_129:
	s_or_b32 exec_lo, exec_lo, s1
	s_mov_b32 s2, 0
.LBB102_130:
	v_and_b32_e32 v17, 1, v17
	s_and_b32 vcc_lo, exec_lo, s2
	s_delay_alu instid0(VALU_DEP_1)
	v_cmp_eq_u32_e64 s1, 1, v17
	s_cbranch_vccz .LBB102_151
; %bb.131:
	s_delay_alu instid0(VALU_DEP_1)
	s_and_saveexec_b32 s2, s1
	s_cbranch_execz .LBB102_133
; %bb.132:
	v_sub_nc_u32_e32 v24, v37, v20
	s_delay_alu instid0(VALU_DEP_1)
	v_lshlrev_b32_e32 v24, 2, v24
	ds_store_b32 v24, v15
.LBB102_133:
	s_or_b32 exec_lo, exec_lo, s2
	v_and_b32_e32 v15, 1, v42
	s_mov_b32 s1, exec_lo
	s_delay_alu instid0(VALU_DEP_1)
	v_cmpx_eq_u32_e32 1, v15
	s_cbranch_execz .LBB102_135
; %bb.134:
	v_sub_nc_u32_e32 v15, v35, v20
	s_delay_alu instid0(VALU_DEP_1)
	v_lshlrev_b32_e32 v15, 2, v15
	ds_store_b32 v15, v16
.LBB102_135:
	s_or_b32 exec_lo, exec_lo, s1
	v_and_b32_e32 v15, 1, v41
	s_mov_b32 s1, exec_lo
	s_delay_alu instid0(VALU_DEP_1)
	v_cmpx_eq_u32_e32 1, v15
	s_cbranch_execz .LBB102_137
; %bb.136:
	v_sub_nc_u32_e32 v15, v33, v20
	s_delay_alu instid0(VALU_DEP_1)
	v_lshlrev_b32_e32 v15, 2, v15
	ds_store_b32 v15, v13
.LBB102_137:
	s_or_b32 exec_lo, exec_lo, s1
	v_and_b32_e32 v13, 1, v21
	s_mov_b32 s1, exec_lo
	s_delay_alu instid0(VALU_DEP_1)
	v_cmpx_eq_u32_e32 1, v13
	s_cbranch_execz .LBB102_139
; %bb.138:
	v_sub_nc_u32_e32 v13, v31, v20
	s_delay_alu instid0(VALU_DEP_1)
	v_lshlrev_b32_e32 v13, 2, v13
	ds_store_b32 v13, v14
.LBB102_139:
	s_or_b32 exec_lo, exec_lo, s1
	v_and_b32_e32 v13, 1, v18
	s_mov_b32 s1, exec_lo
	s_delay_alu instid0(VALU_DEP_1)
	v_cmpx_eq_u32_e32 1, v13
	s_cbranch_execz .LBB102_141
; %bb.140:
	v_sub_nc_u32_e32 v13, v29, v20
	s_delay_alu instid0(VALU_DEP_1)
	v_lshlrev_b32_e32 v13, 2, v13
	ds_store_b32 v13, v11
.LBB102_141:
	s_or_b32 exec_lo, exec_lo, s1
	v_and_b32_e32 v11, 1, v40
	s_mov_b32 s1, exec_lo
	s_delay_alu instid0(VALU_DEP_1)
	v_cmpx_eq_u32_e32 1, v11
	s_cbranch_execz .LBB102_143
; %bb.142:
	v_sub_nc_u32_e32 v11, v27, v20
	s_delay_alu instid0(VALU_DEP_1)
	v_lshlrev_b32_e32 v11, 2, v11
	ds_store_b32 v11, v12
.LBB102_143:
	s_or_b32 exec_lo, exec_lo, s1
	v_and_b32_e32 v11, 1, v22
	s_mov_b32 s1, exec_lo
	s_delay_alu instid0(VALU_DEP_1)
	v_cmpx_eq_u32_e32 1, v11
	s_cbranch_execz .LBB102_145
; %bb.144:
	v_sub_nc_u32_e32 v11, v25, v20
	s_delay_alu instid0(VALU_DEP_1)
	v_lshlrev_b32_e32 v11, 2, v11
	ds_store_b32 v11, v9
.LBB102_145:
	s_or_b32 exec_lo, exec_lo, s1
	v_and_b32_e32 v9, 1, v39
	s_mov_b32 s1, exec_lo
	s_delay_alu instid0(VALU_DEP_1)
	v_cmpx_eq_u32_e32 1, v9
	s_cbranch_execz .LBB102_147
; %bb.146:
	v_sub_nc_u32_e32 v9, v23, v20
	s_delay_alu instid0(VALU_DEP_1)
	v_lshlrev_b32_e32 v9, 2, v9
	ds_store_b32 v9, v10
.LBB102_147:
	s_or_b32 exec_lo, exec_lo, s1
	s_delay_alu instid0(SALU_CYCLE_1)
	s_mov_b32 s2, exec_lo
	s_waitcnt lgkmcnt(0)
	s_waitcnt_vscnt null, 0x0
	s_barrier
	buffer_gl0_inv
	v_cmpx_lt_u32_e64 v0, v19
	s_cbranch_execz .LBB102_150
; %bb.148:
	v_dual_mov_b32 v10, 0 :: v_dual_mov_b32 v9, v20
	s_lshl_b64 s[8:9], s[10:11], 2
	v_lshlrev_b32_e32 v11, 2, v0
	s_add_u32 s1, s4, s8
	s_addc_u32 s3, s5, s9
	v_lshlrev_b64 v[12:13], 2, v[9:10]
	v_mov_b32_e32 v9, v0
	s_delay_alu instid0(VALU_DEP_2) | instskip(NEXT) | instid1(VALU_DEP_3)
	v_add_co_u32 v12, vcc_lo, s1, v12
	v_add_co_ci_u32_e32 v13, vcc_lo, s3, v13, vcc_lo
	s_mov_b32 s3, 0
	.p2align	6
.LBB102_149:                            ; =>This Inner Loop Header: Depth=1
	ds_load_b32 v16, v11
	v_lshlrev_b64 v[14:15], 2, v[9:10]
	v_add_nc_u32_e32 v9, 0x180, v9
	v_add_nc_u32_e32 v11, 0x600, v11
	s_delay_alu instid0(VALU_DEP_2) | instskip(NEXT) | instid1(VALU_DEP_4)
	v_cmp_ge_u32_e32 vcc_lo, v9, v19
	v_add_co_u32 v14, s1, v12, v14
	s_delay_alu instid0(VALU_DEP_1)
	v_add_co_ci_u32_e64 v15, s1, v13, v15, s1
	s_or_b32 s3, vcc_lo, s3
	s_waitcnt lgkmcnt(0)
	global_store_b32 v[14:15], v16, off
	s_and_not1_b32 exec_lo, exec_lo, s3
	s_cbranch_execnz .LBB102_149
.LBB102_150:
	s_or_b32 exec_lo, exec_lo, s2
.LBB102_151:
	s_delay_alu instid0(SALU_CYCLE_1)
	s_and_b32 vcc_lo, exec_lo, s0
	s_mov_b32 s0, -1
	s_waitcnt_vscnt null, 0x0
	s_barrier
	buffer_gl0_inv
	s_cbranch_vccz .LBB102_179
; %bb.152:
	v_cmp_lt_u32_e32 vcc_lo, v37, v43
	s_lshl_b64 s[0:1], s[10:11], 2
	s_delay_alu instid0(SALU_CYCLE_1) | instskip(SKIP_2) | instid1(SALU_CYCLE_1)
	s_add_u32 s0, s6, s0
	s_addc_u32 s1, s7, s1
	s_or_b32 s3, s18, vcc_lo
	s_and_saveexec_b32 s2, s3
	s_cbranch_execz .LBB102_155
; %bb.153:
	v_cmp_eq_u32_e32 vcc_lo, 1, v17
	s_and_b32 exec_lo, exec_lo, vcc_lo
	s_cbranch_execz .LBB102_155
; %bb.154:
	v_mov_b32_e32 v38, 0
	s_delay_alu instid0(VALU_DEP_1) | instskip(NEXT) | instid1(VALU_DEP_1)
	v_lshlrev_b64 v[9:10], 2, v[37:38]
	v_add_co_u32 v9, vcc_lo, s0, v9
	s_delay_alu instid0(VALU_DEP_2)
	v_add_co_ci_u32_e32 v10, vcc_lo, s1, v10, vcc_lo
	global_store_b32 v[9:10], v7, off
.LBB102_155:
	s_or_b32 exec_lo, exec_lo, s2
	v_cmp_lt_u32_e32 vcc_lo, v35, v43
	s_or_b32 s3, s18, vcc_lo
	s_delay_alu instid0(SALU_CYCLE_1)
	s_and_saveexec_b32 s2, s3
	s_cbranch_execz .LBB102_158
; %bb.156:
	v_and_b32_e32 v9, 1, v42
	s_delay_alu instid0(VALU_DEP_1)
	v_cmp_eq_u32_e32 vcc_lo, 1, v9
	s_and_b32 exec_lo, exec_lo, vcc_lo
	s_cbranch_execz .LBB102_158
; %bb.157:
	v_mov_b32_e32 v36, 0
	s_delay_alu instid0(VALU_DEP_1) | instskip(NEXT) | instid1(VALU_DEP_1)
	v_lshlrev_b64 v[9:10], 2, v[35:36]
	v_add_co_u32 v9, vcc_lo, s0, v9
	s_delay_alu instid0(VALU_DEP_2)
	v_add_co_ci_u32_e32 v10, vcc_lo, s1, v10, vcc_lo
	global_store_b32 v[9:10], v8, off
.LBB102_158:
	s_or_b32 exec_lo, exec_lo, s2
	v_cmp_lt_u32_e32 vcc_lo, v33, v43
	s_or_b32 s3, s18, vcc_lo
	s_delay_alu instid0(SALU_CYCLE_1)
	s_and_saveexec_b32 s2, s3
	s_cbranch_execz .LBB102_161
; %bb.159:
	v_and_b32_e32 v9, 1, v41
	s_delay_alu instid0(VALU_DEP_1)
	v_cmp_eq_u32_e32 vcc_lo, 1, v9
	s_and_b32 exec_lo, exec_lo, vcc_lo
	s_cbranch_execz .LBB102_161
; %bb.160:
	v_mov_b32_e32 v34, 0
	s_delay_alu instid0(VALU_DEP_1) | instskip(NEXT) | instid1(VALU_DEP_1)
	v_lshlrev_b64 v[9:10], 2, v[33:34]
	v_add_co_u32 v9, vcc_lo, s0, v9
	s_delay_alu instid0(VALU_DEP_2)
	v_add_co_ci_u32_e32 v10, vcc_lo, s1, v10, vcc_lo
	global_store_b32 v[9:10], v5, off
.LBB102_161:
	;; [unrolled: 21-line block ×7, first 2 shown]
	s_or_b32 exec_lo, exec_lo, s2
.LBB102_177:
	v_cmp_eq_u32_e32 vcc_lo, 0, v0
	s_and_b32 s0, vcc_lo, s14
	s_delay_alu instid0(SALU_CYCLE_1)
	s_and_saveexec_b32 s1, s0
	s_cbranch_execz .LBB102_200
.LBB102_178:
	v_add_co_u32 v0, s0, s10, v19
	s_delay_alu instid0(VALU_DEP_1) | instskip(SKIP_1) | instid1(VALU_DEP_3)
	v_add_co_ci_u32_e64 v1, null, s11, 0, s0
	v_mov_b32_e32 v2, 0
	v_add_co_u32 v0, vcc_lo, v0, v20
	s_delay_alu instid0(VALU_DEP_3)
	v_add_co_ci_u32_e32 v1, vcc_lo, 0, v1, vcc_lo
	global_store_b64 v2, v[0:1], s[16:17]
	s_nop 0
	s_sendmsg sendmsg(MSG_DEALLOC_VGPRS)
	s_endpgm
.LBB102_179:
	s_and_b32 vcc_lo, exec_lo, s0
	s_cbranch_vccz .LBB102_177
; %bb.180:
	s_mov_b32 s0, exec_lo
	v_cmpx_eq_u32_e32 1, v17
	s_cbranch_execz .LBB102_182
; %bb.181:
	v_sub_nc_u32_e32 v9, v37, v20
	s_delay_alu instid0(VALU_DEP_1)
	v_lshlrev_b32_e32 v9, 2, v9
	ds_store_b32 v9, v7
.LBB102_182:
	s_or_b32 exec_lo, exec_lo, s0
	v_and_b32_e32 v7, 1, v42
	s_mov_b32 s0, exec_lo
	s_delay_alu instid0(VALU_DEP_1)
	v_cmpx_eq_u32_e32 1, v7
	s_cbranch_execz .LBB102_184
; %bb.183:
	v_sub_nc_u32_e32 v7, v35, v20
	s_delay_alu instid0(VALU_DEP_1)
	v_lshlrev_b32_e32 v7, 2, v7
	ds_store_b32 v7, v8
.LBB102_184:
	s_or_b32 exec_lo, exec_lo, s0
	v_and_b32_e32 v7, 1, v41
	s_mov_b32 s0, exec_lo
	s_delay_alu instid0(VALU_DEP_1)
	;; [unrolled: 12-line block ×7, first 2 shown]
	v_cmpx_eq_u32_e32 1, v1
	s_cbranch_execz .LBB102_196
; %bb.195:
	v_sub_nc_u32_e32 v1, v23, v20
	s_delay_alu instid0(VALU_DEP_1)
	v_lshlrev_b32_e32 v1, 2, v1
	ds_store_b32 v1, v2
.LBB102_196:
	s_or_b32 exec_lo, exec_lo, s0
	s_delay_alu instid0(SALU_CYCLE_1)
	s_mov_b32 s1, exec_lo
	s_waitcnt lgkmcnt(0)
	s_waitcnt_vscnt null, 0x0
	s_barrier
	buffer_gl0_inv
	v_cmpx_lt_u32_e64 v0, v19
	s_cbranch_execz .LBB102_199
; %bb.197:
	v_dual_mov_b32 v2, 0 :: v_dual_mov_b32 v1, v20
	s_lshl_b64 s[2:3], s[10:11], 2
	v_lshlrev_b32_e32 v3, 2, v0
	s_add_u32 s0, s6, s2
	s_addc_u32 s2, s7, s3
	v_lshlrev_b64 v[4:5], 2, v[1:2]
	v_mov_b32_e32 v1, v0
	s_delay_alu instid0(VALU_DEP_2) | instskip(NEXT) | instid1(VALU_DEP_3)
	v_add_co_u32 v4, vcc_lo, s0, v4
	v_add_co_ci_u32_e32 v5, vcc_lo, s2, v5, vcc_lo
	s_mov_b32 s2, 0
	.p2align	6
.LBB102_198:                            ; =>This Inner Loop Header: Depth=1
	ds_load_b32 v8, v3
	v_lshlrev_b64 v[6:7], 2, v[1:2]
	v_add_nc_u32_e32 v1, 0x180, v1
	v_add_nc_u32_e32 v3, 0x600, v3
	s_delay_alu instid0(VALU_DEP_2) | instskip(NEXT) | instid1(VALU_DEP_4)
	v_cmp_ge_u32_e32 vcc_lo, v1, v19
	v_add_co_u32 v6, s0, v4, v6
	s_delay_alu instid0(VALU_DEP_1)
	v_add_co_ci_u32_e64 v7, s0, v5, v7, s0
	s_or_b32 s2, vcc_lo, s2
	s_waitcnt lgkmcnt(0)
	global_store_b32 v[6:7], v8, off
	s_and_not1_b32 exec_lo, exec_lo, s2
	s_cbranch_execnz .LBB102_198
.LBB102_199:
	s_or_b32 exec_lo, exec_lo, s1
	v_cmp_eq_u32_e32 vcc_lo, 0, v0
	s_and_b32 s0, vcc_lo, s14
	s_delay_alu instid0(SALU_CYCLE_1)
	s_and_saveexec_b32 s1, s0
	s_cbranch_execnz .LBB102_178
.LBB102_200:
	s_nop 0
	s_sendmsg sendmsg(MSG_DEALLOC_VGPRS)
	s_endpgm
	.section	.rodata,"a",@progbits
	.p2align	6, 0x0
	.amdhsa_kernel _ZN7rocprim17ROCPRIM_400000_NS6detail17trampoline_kernelINS0_14default_configENS1_25partition_config_selectorILNS1_17partition_subalgoE9EffbEEZZNS1_14partition_implILS5_9ELb0ES3_jN6thrust23THRUST_200600_302600_NS6detail15normal_iteratorINS9_10device_ptrIfEEEESE_PNS0_10empty_typeENS0_5tupleIJSE_SF_EEENSH_IJSE_SG_EEENS0_18inequality_wrapperINS9_8equal_toIfEEEEPmJSF_EEE10hipError_tPvRmT3_T4_T5_T6_T7_T9_mT8_P12ihipStream_tbDpT10_ENKUlT_T0_E_clISt17integral_constantIbLb1EES17_IbLb0EEEEDaS13_S14_EUlS13_E_NS1_11comp_targetILNS1_3genE9ELNS1_11target_archE1100ELNS1_3gpuE3ELNS1_3repE0EEENS1_30default_config_static_selectorELNS0_4arch9wavefront6targetE0EEEvT1_
		.amdhsa_group_segment_fixed_size 12680
		.amdhsa_private_segment_fixed_size 0
		.amdhsa_kernarg_size 112
		.amdhsa_user_sgpr_count 15
		.amdhsa_user_sgpr_dispatch_ptr 0
		.amdhsa_user_sgpr_queue_ptr 0
		.amdhsa_user_sgpr_kernarg_segment_ptr 1
		.amdhsa_user_sgpr_dispatch_id 0
		.amdhsa_user_sgpr_private_segment_size 0
		.amdhsa_wavefront_size32 1
		.amdhsa_uses_dynamic_stack 0
		.amdhsa_enable_private_segment 0
		.amdhsa_system_sgpr_workgroup_id_x 1
		.amdhsa_system_sgpr_workgroup_id_y 0
		.amdhsa_system_sgpr_workgroup_id_z 0
		.amdhsa_system_sgpr_workgroup_info 0
		.amdhsa_system_vgpr_workitem_id 0
		.amdhsa_next_free_vgpr 51
		.amdhsa_next_free_sgpr 25
		.amdhsa_reserve_vcc 1
		.amdhsa_float_round_mode_32 0
		.amdhsa_float_round_mode_16_64 0
		.amdhsa_float_denorm_mode_32 3
		.amdhsa_float_denorm_mode_16_64 3
		.amdhsa_dx10_clamp 1
		.amdhsa_ieee_mode 1
		.amdhsa_fp16_overflow 0
		.amdhsa_workgroup_processor_mode 1
		.amdhsa_memory_ordered 1
		.amdhsa_forward_progress 0
		.amdhsa_shared_vgpr_count 0
		.amdhsa_exception_fp_ieee_invalid_op 0
		.amdhsa_exception_fp_denorm_src 0
		.amdhsa_exception_fp_ieee_div_zero 0
		.amdhsa_exception_fp_ieee_overflow 0
		.amdhsa_exception_fp_ieee_underflow 0
		.amdhsa_exception_fp_ieee_inexact 0
		.amdhsa_exception_int_div_zero 0
	.end_amdhsa_kernel
	.section	.text._ZN7rocprim17ROCPRIM_400000_NS6detail17trampoline_kernelINS0_14default_configENS1_25partition_config_selectorILNS1_17partition_subalgoE9EffbEEZZNS1_14partition_implILS5_9ELb0ES3_jN6thrust23THRUST_200600_302600_NS6detail15normal_iteratorINS9_10device_ptrIfEEEESE_PNS0_10empty_typeENS0_5tupleIJSE_SF_EEENSH_IJSE_SG_EEENS0_18inequality_wrapperINS9_8equal_toIfEEEEPmJSF_EEE10hipError_tPvRmT3_T4_T5_T6_T7_T9_mT8_P12ihipStream_tbDpT10_ENKUlT_T0_E_clISt17integral_constantIbLb1EES17_IbLb0EEEEDaS13_S14_EUlS13_E_NS1_11comp_targetILNS1_3genE9ELNS1_11target_archE1100ELNS1_3gpuE3ELNS1_3repE0EEENS1_30default_config_static_selectorELNS0_4arch9wavefront6targetE0EEEvT1_,"axG",@progbits,_ZN7rocprim17ROCPRIM_400000_NS6detail17trampoline_kernelINS0_14default_configENS1_25partition_config_selectorILNS1_17partition_subalgoE9EffbEEZZNS1_14partition_implILS5_9ELb0ES3_jN6thrust23THRUST_200600_302600_NS6detail15normal_iteratorINS9_10device_ptrIfEEEESE_PNS0_10empty_typeENS0_5tupleIJSE_SF_EEENSH_IJSE_SG_EEENS0_18inequality_wrapperINS9_8equal_toIfEEEEPmJSF_EEE10hipError_tPvRmT3_T4_T5_T6_T7_T9_mT8_P12ihipStream_tbDpT10_ENKUlT_T0_E_clISt17integral_constantIbLb1EES17_IbLb0EEEEDaS13_S14_EUlS13_E_NS1_11comp_targetILNS1_3genE9ELNS1_11target_archE1100ELNS1_3gpuE3ELNS1_3repE0EEENS1_30default_config_static_selectorELNS0_4arch9wavefront6targetE0EEEvT1_,comdat
.Lfunc_end102:
	.size	_ZN7rocprim17ROCPRIM_400000_NS6detail17trampoline_kernelINS0_14default_configENS1_25partition_config_selectorILNS1_17partition_subalgoE9EffbEEZZNS1_14partition_implILS5_9ELb0ES3_jN6thrust23THRUST_200600_302600_NS6detail15normal_iteratorINS9_10device_ptrIfEEEESE_PNS0_10empty_typeENS0_5tupleIJSE_SF_EEENSH_IJSE_SG_EEENS0_18inequality_wrapperINS9_8equal_toIfEEEEPmJSF_EEE10hipError_tPvRmT3_T4_T5_T6_T7_T9_mT8_P12ihipStream_tbDpT10_ENKUlT_T0_E_clISt17integral_constantIbLb1EES17_IbLb0EEEEDaS13_S14_EUlS13_E_NS1_11comp_targetILNS1_3genE9ELNS1_11target_archE1100ELNS1_3gpuE3ELNS1_3repE0EEENS1_30default_config_static_selectorELNS0_4arch9wavefront6targetE0EEEvT1_, .Lfunc_end102-_ZN7rocprim17ROCPRIM_400000_NS6detail17trampoline_kernelINS0_14default_configENS1_25partition_config_selectorILNS1_17partition_subalgoE9EffbEEZZNS1_14partition_implILS5_9ELb0ES3_jN6thrust23THRUST_200600_302600_NS6detail15normal_iteratorINS9_10device_ptrIfEEEESE_PNS0_10empty_typeENS0_5tupleIJSE_SF_EEENSH_IJSE_SG_EEENS0_18inequality_wrapperINS9_8equal_toIfEEEEPmJSF_EEE10hipError_tPvRmT3_T4_T5_T6_T7_T9_mT8_P12ihipStream_tbDpT10_ENKUlT_T0_E_clISt17integral_constantIbLb1EES17_IbLb0EEEEDaS13_S14_EUlS13_E_NS1_11comp_targetILNS1_3genE9ELNS1_11target_archE1100ELNS1_3gpuE3ELNS1_3repE0EEENS1_30default_config_static_selectorELNS0_4arch9wavefront6targetE0EEEvT1_
                                        ; -- End function
	.section	.AMDGPU.csdata,"",@progbits
; Kernel info:
; codeLenInByte = 9320
; NumSgprs: 27
; NumVgprs: 51
; ScratchSize: 0
; MemoryBound: 0
; FloatMode: 240
; IeeeMode: 1
; LDSByteSize: 12680 bytes/workgroup (compile time only)
; SGPRBlocks: 3
; VGPRBlocks: 6
; NumSGPRsForWavesPerEU: 27
; NumVGPRsForWavesPerEU: 51
; Occupancy: 15
; WaveLimiterHint : 1
; COMPUTE_PGM_RSRC2:SCRATCH_EN: 0
; COMPUTE_PGM_RSRC2:USER_SGPR: 15
; COMPUTE_PGM_RSRC2:TRAP_HANDLER: 0
; COMPUTE_PGM_RSRC2:TGID_X_EN: 1
; COMPUTE_PGM_RSRC2:TGID_Y_EN: 0
; COMPUTE_PGM_RSRC2:TGID_Z_EN: 0
; COMPUTE_PGM_RSRC2:TIDIG_COMP_CNT: 0
	.section	.text._ZN7rocprim17ROCPRIM_400000_NS6detail17trampoline_kernelINS0_14default_configENS1_25partition_config_selectorILNS1_17partition_subalgoE9EffbEEZZNS1_14partition_implILS5_9ELb0ES3_jN6thrust23THRUST_200600_302600_NS6detail15normal_iteratorINS9_10device_ptrIfEEEESE_PNS0_10empty_typeENS0_5tupleIJSE_SF_EEENSH_IJSE_SG_EEENS0_18inequality_wrapperINS9_8equal_toIfEEEEPmJSF_EEE10hipError_tPvRmT3_T4_T5_T6_T7_T9_mT8_P12ihipStream_tbDpT10_ENKUlT_T0_E_clISt17integral_constantIbLb1EES17_IbLb0EEEEDaS13_S14_EUlS13_E_NS1_11comp_targetILNS1_3genE8ELNS1_11target_archE1030ELNS1_3gpuE2ELNS1_3repE0EEENS1_30default_config_static_selectorELNS0_4arch9wavefront6targetE0EEEvT1_,"axG",@progbits,_ZN7rocprim17ROCPRIM_400000_NS6detail17trampoline_kernelINS0_14default_configENS1_25partition_config_selectorILNS1_17partition_subalgoE9EffbEEZZNS1_14partition_implILS5_9ELb0ES3_jN6thrust23THRUST_200600_302600_NS6detail15normal_iteratorINS9_10device_ptrIfEEEESE_PNS0_10empty_typeENS0_5tupleIJSE_SF_EEENSH_IJSE_SG_EEENS0_18inequality_wrapperINS9_8equal_toIfEEEEPmJSF_EEE10hipError_tPvRmT3_T4_T5_T6_T7_T9_mT8_P12ihipStream_tbDpT10_ENKUlT_T0_E_clISt17integral_constantIbLb1EES17_IbLb0EEEEDaS13_S14_EUlS13_E_NS1_11comp_targetILNS1_3genE8ELNS1_11target_archE1030ELNS1_3gpuE2ELNS1_3repE0EEENS1_30default_config_static_selectorELNS0_4arch9wavefront6targetE0EEEvT1_,comdat
	.protected	_ZN7rocprim17ROCPRIM_400000_NS6detail17trampoline_kernelINS0_14default_configENS1_25partition_config_selectorILNS1_17partition_subalgoE9EffbEEZZNS1_14partition_implILS5_9ELb0ES3_jN6thrust23THRUST_200600_302600_NS6detail15normal_iteratorINS9_10device_ptrIfEEEESE_PNS0_10empty_typeENS0_5tupleIJSE_SF_EEENSH_IJSE_SG_EEENS0_18inequality_wrapperINS9_8equal_toIfEEEEPmJSF_EEE10hipError_tPvRmT3_T4_T5_T6_T7_T9_mT8_P12ihipStream_tbDpT10_ENKUlT_T0_E_clISt17integral_constantIbLb1EES17_IbLb0EEEEDaS13_S14_EUlS13_E_NS1_11comp_targetILNS1_3genE8ELNS1_11target_archE1030ELNS1_3gpuE2ELNS1_3repE0EEENS1_30default_config_static_selectorELNS0_4arch9wavefront6targetE0EEEvT1_ ; -- Begin function _ZN7rocprim17ROCPRIM_400000_NS6detail17trampoline_kernelINS0_14default_configENS1_25partition_config_selectorILNS1_17partition_subalgoE9EffbEEZZNS1_14partition_implILS5_9ELb0ES3_jN6thrust23THRUST_200600_302600_NS6detail15normal_iteratorINS9_10device_ptrIfEEEESE_PNS0_10empty_typeENS0_5tupleIJSE_SF_EEENSH_IJSE_SG_EEENS0_18inequality_wrapperINS9_8equal_toIfEEEEPmJSF_EEE10hipError_tPvRmT3_T4_T5_T6_T7_T9_mT8_P12ihipStream_tbDpT10_ENKUlT_T0_E_clISt17integral_constantIbLb1EES17_IbLb0EEEEDaS13_S14_EUlS13_E_NS1_11comp_targetILNS1_3genE8ELNS1_11target_archE1030ELNS1_3gpuE2ELNS1_3repE0EEENS1_30default_config_static_selectorELNS0_4arch9wavefront6targetE0EEEvT1_
	.globl	_ZN7rocprim17ROCPRIM_400000_NS6detail17trampoline_kernelINS0_14default_configENS1_25partition_config_selectorILNS1_17partition_subalgoE9EffbEEZZNS1_14partition_implILS5_9ELb0ES3_jN6thrust23THRUST_200600_302600_NS6detail15normal_iteratorINS9_10device_ptrIfEEEESE_PNS0_10empty_typeENS0_5tupleIJSE_SF_EEENSH_IJSE_SG_EEENS0_18inequality_wrapperINS9_8equal_toIfEEEEPmJSF_EEE10hipError_tPvRmT3_T4_T5_T6_T7_T9_mT8_P12ihipStream_tbDpT10_ENKUlT_T0_E_clISt17integral_constantIbLb1EES17_IbLb0EEEEDaS13_S14_EUlS13_E_NS1_11comp_targetILNS1_3genE8ELNS1_11target_archE1030ELNS1_3gpuE2ELNS1_3repE0EEENS1_30default_config_static_selectorELNS0_4arch9wavefront6targetE0EEEvT1_
	.p2align	8
	.type	_ZN7rocprim17ROCPRIM_400000_NS6detail17trampoline_kernelINS0_14default_configENS1_25partition_config_selectorILNS1_17partition_subalgoE9EffbEEZZNS1_14partition_implILS5_9ELb0ES3_jN6thrust23THRUST_200600_302600_NS6detail15normal_iteratorINS9_10device_ptrIfEEEESE_PNS0_10empty_typeENS0_5tupleIJSE_SF_EEENSH_IJSE_SG_EEENS0_18inequality_wrapperINS9_8equal_toIfEEEEPmJSF_EEE10hipError_tPvRmT3_T4_T5_T6_T7_T9_mT8_P12ihipStream_tbDpT10_ENKUlT_T0_E_clISt17integral_constantIbLb1EES17_IbLb0EEEEDaS13_S14_EUlS13_E_NS1_11comp_targetILNS1_3genE8ELNS1_11target_archE1030ELNS1_3gpuE2ELNS1_3repE0EEENS1_30default_config_static_selectorELNS0_4arch9wavefront6targetE0EEEvT1_,@function
_ZN7rocprim17ROCPRIM_400000_NS6detail17trampoline_kernelINS0_14default_configENS1_25partition_config_selectorILNS1_17partition_subalgoE9EffbEEZZNS1_14partition_implILS5_9ELb0ES3_jN6thrust23THRUST_200600_302600_NS6detail15normal_iteratorINS9_10device_ptrIfEEEESE_PNS0_10empty_typeENS0_5tupleIJSE_SF_EEENSH_IJSE_SG_EEENS0_18inequality_wrapperINS9_8equal_toIfEEEEPmJSF_EEE10hipError_tPvRmT3_T4_T5_T6_T7_T9_mT8_P12ihipStream_tbDpT10_ENKUlT_T0_E_clISt17integral_constantIbLb1EES17_IbLb0EEEEDaS13_S14_EUlS13_E_NS1_11comp_targetILNS1_3genE8ELNS1_11target_archE1030ELNS1_3gpuE2ELNS1_3repE0EEENS1_30default_config_static_selectorELNS0_4arch9wavefront6targetE0EEEvT1_: ; @_ZN7rocprim17ROCPRIM_400000_NS6detail17trampoline_kernelINS0_14default_configENS1_25partition_config_selectorILNS1_17partition_subalgoE9EffbEEZZNS1_14partition_implILS5_9ELb0ES3_jN6thrust23THRUST_200600_302600_NS6detail15normal_iteratorINS9_10device_ptrIfEEEESE_PNS0_10empty_typeENS0_5tupleIJSE_SF_EEENSH_IJSE_SG_EEENS0_18inequality_wrapperINS9_8equal_toIfEEEEPmJSF_EEE10hipError_tPvRmT3_T4_T5_T6_T7_T9_mT8_P12ihipStream_tbDpT10_ENKUlT_T0_E_clISt17integral_constantIbLb1EES17_IbLb0EEEEDaS13_S14_EUlS13_E_NS1_11comp_targetILNS1_3genE8ELNS1_11target_archE1030ELNS1_3gpuE2ELNS1_3repE0EEENS1_30default_config_static_selectorELNS0_4arch9wavefront6targetE0EEEvT1_
; %bb.0:
	.section	.rodata,"a",@progbits
	.p2align	6, 0x0
	.amdhsa_kernel _ZN7rocprim17ROCPRIM_400000_NS6detail17trampoline_kernelINS0_14default_configENS1_25partition_config_selectorILNS1_17partition_subalgoE9EffbEEZZNS1_14partition_implILS5_9ELb0ES3_jN6thrust23THRUST_200600_302600_NS6detail15normal_iteratorINS9_10device_ptrIfEEEESE_PNS0_10empty_typeENS0_5tupleIJSE_SF_EEENSH_IJSE_SG_EEENS0_18inequality_wrapperINS9_8equal_toIfEEEEPmJSF_EEE10hipError_tPvRmT3_T4_T5_T6_T7_T9_mT8_P12ihipStream_tbDpT10_ENKUlT_T0_E_clISt17integral_constantIbLb1EES17_IbLb0EEEEDaS13_S14_EUlS13_E_NS1_11comp_targetILNS1_3genE8ELNS1_11target_archE1030ELNS1_3gpuE2ELNS1_3repE0EEENS1_30default_config_static_selectorELNS0_4arch9wavefront6targetE0EEEvT1_
		.amdhsa_group_segment_fixed_size 0
		.amdhsa_private_segment_fixed_size 0
		.amdhsa_kernarg_size 112
		.amdhsa_user_sgpr_count 15
		.amdhsa_user_sgpr_dispatch_ptr 0
		.amdhsa_user_sgpr_queue_ptr 0
		.amdhsa_user_sgpr_kernarg_segment_ptr 1
		.amdhsa_user_sgpr_dispatch_id 0
		.amdhsa_user_sgpr_private_segment_size 0
		.amdhsa_wavefront_size32 1
		.amdhsa_uses_dynamic_stack 0
		.amdhsa_enable_private_segment 0
		.amdhsa_system_sgpr_workgroup_id_x 1
		.amdhsa_system_sgpr_workgroup_id_y 0
		.amdhsa_system_sgpr_workgroup_id_z 0
		.amdhsa_system_sgpr_workgroup_info 0
		.amdhsa_system_vgpr_workitem_id 0
		.amdhsa_next_free_vgpr 1
		.amdhsa_next_free_sgpr 1
		.amdhsa_reserve_vcc 0
		.amdhsa_float_round_mode_32 0
		.amdhsa_float_round_mode_16_64 0
		.amdhsa_float_denorm_mode_32 3
		.amdhsa_float_denorm_mode_16_64 3
		.amdhsa_dx10_clamp 1
		.amdhsa_ieee_mode 1
		.amdhsa_fp16_overflow 0
		.amdhsa_workgroup_processor_mode 1
		.amdhsa_memory_ordered 1
		.amdhsa_forward_progress 0
		.amdhsa_shared_vgpr_count 0
		.amdhsa_exception_fp_ieee_invalid_op 0
		.amdhsa_exception_fp_denorm_src 0
		.amdhsa_exception_fp_ieee_div_zero 0
		.amdhsa_exception_fp_ieee_overflow 0
		.amdhsa_exception_fp_ieee_underflow 0
		.amdhsa_exception_fp_ieee_inexact 0
		.amdhsa_exception_int_div_zero 0
	.end_amdhsa_kernel
	.section	.text._ZN7rocprim17ROCPRIM_400000_NS6detail17trampoline_kernelINS0_14default_configENS1_25partition_config_selectorILNS1_17partition_subalgoE9EffbEEZZNS1_14partition_implILS5_9ELb0ES3_jN6thrust23THRUST_200600_302600_NS6detail15normal_iteratorINS9_10device_ptrIfEEEESE_PNS0_10empty_typeENS0_5tupleIJSE_SF_EEENSH_IJSE_SG_EEENS0_18inequality_wrapperINS9_8equal_toIfEEEEPmJSF_EEE10hipError_tPvRmT3_T4_T5_T6_T7_T9_mT8_P12ihipStream_tbDpT10_ENKUlT_T0_E_clISt17integral_constantIbLb1EES17_IbLb0EEEEDaS13_S14_EUlS13_E_NS1_11comp_targetILNS1_3genE8ELNS1_11target_archE1030ELNS1_3gpuE2ELNS1_3repE0EEENS1_30default_config_static_selectorELNS0_4arch9wavefront6targetE0EEEvT1_,"axG",@progbits,_ZN7rocprim17ROCPRIM_400000_NS6detail17trampoline_kernelINS0_14default_configENS1_25partition_config_selectorILNS1_17partition_subalgoE9EffbEEZZNS1_14partition_implILS5_9ELb0ES3_jN6thrust23THRUST_200600_302600_NS6detail15normal_iteratorINS9_10device_ptrIfEEEESE_PNS0_10empty_typeENS0_5tupleIJSE_SF_EEENSH_IJSE_SG_EEENS0_18inequality_wrapperINS9_8equal_toIfEEEEPmJSF_EEE10hipError_tPvRmT3_T4_T5_T6_T7_T9_mT8_P12ihipStream_tbDpT10_ENKUlT_T0_E_clISt17integral_constantIbLb1EES17_IbLb0EEEEDaS13_S14_EUlS13_E_NS1_11comp_targetILNS1_3genE8ELNS1_11target_archE1030ELNS1_3gpuE2ELNS1_3repE0EEENS1_30default_config_static_selectorELNS0_4arch9wavefront6targetE0EEEvT1_,comdat
.Lfunc_end103:
	.size	_ZN7rocprim17ROCPRIM_400000_NS6detail17trampoline_kernelINS0_14default_configENS1_25partition_config_selectorILNS1_17partition_subalgoE9EffbEEZZNS1_14partition_implILS5_9ELb0ES3_jN6thrust23THRUST_200600_302600_NS6detail15normal_iteratorINS9_10device_ptrIfEEEESE_PNS0_10empty_typeENS0_5tupleIJSE_SF_EEENSH_IJSE_SG_EEENS0_18inequality_wrapperINS9_8equal_toIfEEEEPmJSF_EEE10hipError_tPvRmT3_T4_T5_T6_T7_T9_mT8_P12ihipStream_tbDpT10_ENKUlT_T0_E_clISt17integral_constantIbLb1EES17_IbLb0EEEEDaS13_S14_EUlS13_E_NS1_11comp_targetILNS1_3genE8ELNS1_11target_archE1030ELNS1_3gpuE2ELNS1_3repE0EEENS1_30default_config_static_selectorELNS0_4arch9wavefront6targetE0EEEvT1_, .Lfunc_end103-_ZN7rocprim17ROCPRIM_400000_NS6detail17trampoline_kernelINS0_14default_configENS1_25partition_config_selectorILNS1_17partition_subalgoE9EffbEEZZNS1_14partition_implILS5_9ELb0ES3_jN6thrust23THRUST_200600_302600_NS6detail15normal_iteratorINS9_10device_ptrIfEEEESE_PNS0_10empty_typeENS0_5tupleIJSE_SF_EEENSH_IJSE_SG_EEENS0_18inequality_wrapperINS9_8equal_toIfEEEEPmJSF_EEE10hipError_tPvRmT3_T4_T5_T6_T7_T9_mT8_P12ihipStream_tbDpT10_ENKUlT_T0_E_clISt17integral_constantIbLb1EES17_IbLb0EEEEDaS13_S14_EUlS13_E_NS1_11comp_targetILNS1_3genE8ELNS1_11target_archE1030ELNS1_3gpuE2ELNS1_3repE0EEENS1_30default_config_static_selectorELNS0_4arch9wavefront6targetE0EEEvT1_
                                        ; -- End function
	.section	.AMDGPU.csdata,"",@progbits
; Kernel info:
; codeLenInByte = 0
; NumSgprs: 0
; NumVgprs: 0
; ScratchSize: 0
; MemoryBound: 0
; FloatMode: 240
; IeeeMode: 1
; LDSByteSize: 0 bytes/workgroup (compile time only)
; SGPRBlocks: 0
; VGPRBlocks: 0
; NumSGPRsForWavesPerEU: 1
; NumVGPRsForWavesPerEU: 1
; Occupancy: 16
; WaveLimiterHint : 0
; COMPUTE_PGM_RSRC2:SCRATCH_EN: 0
; COMPUTE_PGM_RSRC2:USER_SGPR: 15
; COMPUTE_PGM_RSRC2:TRAP_HANDLER: 0
; COMPUTE_PGM_RSRC2:TGID_X_EN: 1
; COMPUTE_PGM_RSRC2:TGID_Y_EN: 0
; COMPUTE_PGM_RSRC2:TGID_Z_EN: 0
; COMPUTE_PGM_RSRC2:TIDIG_COMP_CNT: 0
	.section	.text._ZN7rocprim17ROCPRIM_400000_NS6detail17trampoline_kernelINS0_14default_configENS1_25partition_config_selectorILNS1_17partition_subalgoE9EffbEEZZNS1_14partition_implILS5_9ELb0ES3_jN6thrust23THRUST_200600_302600_NS6detail15normal_iteratorINS9_10device_ptrIfEEEESE_PNS0_10empty_typeENS0_5tupleIJSE_SF_EEENSH_IJSE_SG_EEENS0_18inequality_wrapperINS9_8equal_toIfEEEEPmJSF_EEE10hipError_tPvRmT3_T4_T5_T6_T7_T9_mT8_P12ihipStream_tbDpT10_ENKUlT_T0_E_clISt17integral_constantIbLb0EES17_IbLb1EEEEDaS13_S14_EUlS13_E_NS1_11comp_targetILNS1_3genE0ELNS1_11target_archE4294967295ELNS1_3gpuE0ELNS1_3repE0EEENS1_30default_config_static_selectorELNS0_4arch9wavefront6targetE0EEEvT1_,"axG",@progbits,_ZN7rocprim17ROCPRIM_400000_NS6detail17trampoline_kernelINS0_14default_configENS1_25partition_config_selectorILNS1_17partition_subalgoE9EffbEEZZNS1_14partition_implILS5_9ELb0ES3_jN6thrust23THRUST_200600_302600_NS6detail15normal_iteratorINS9_10device_ptrIfEEEESE_PNS0_10empty_typeENS0_5tupleIJSE_SF_EEENSH_IJSE_SG_EEENS0_18inequality_wrapperINS9_8equal_toIfEEEEPmJSF_EEE10hipError_tPvRmT3_T4_T5_T6_T7_T9_mT8_P12ihipStream_tbDpT10_ENKUlT_T0_E_clISt17integral_constantIbLb0EES17_IbLb1EEEEDaS13_S14_EUlS13_E_NS1_11comp_targetILNS1_3genE0ELNS1_11target_archE4294967295ELNS1_3gpuE0ELNS1_3repE0EEENS1_30default_config_static_selectorELNS0_4arch9wavefront6targetE0EEEvT1_,comdat
	.protected	_ZN7rocprim17ROCPRIM_400000_NS6detail17trampoline_kernelINS0_14default_configENS1_25partition_config_selectorILNS1_17partition_subalgoE9EffbEEZZNS1_14partition_implILS5_9ELb0ES3_jN6thrust23THRUST_200600_302600_NS6detail15normal_iteratorINS9_10device_ptrIfEEEESE_PNS0_10empty_typeENS0_5tupleIJSE_SF_EEENSH_IJSE_SG_EEENS0_18inequality_wrapperINS9_8equal_toIfEEEEPmJSF_EEE10hipError_tPvRmT3_T4_T5_T6_T7_T9_mT8_P12ihipStream_tbDpT10_ENKUlT_T0_E_clISt17integral_constantIbLb0EES17_IbLb1EEEEDaS13_S14_EUlS13_E_NS1_11comp_targetILNS1_3genE0ELNS1_11target_archE4294967295ELNS1_3gpuE0ELNS1_3repE0EEENS1_30default_config_static_selectorELNS0_4arch9wavefront6targetE0EEEvT1_ ; -- Begin function _ZN7rocprim17ROCPRIM_400000_NS6detail17trampoline_kernelINS0_14default_configENS1_25partition_config_selectorILNS1_17partition_subalgoE9EffbEEZZNS1_14partition_implILS5_9ELb0ES3_jN6thrust23THRUST_200600_302600_NS6detail15normal_iteratorINS9_10device_ptrIfEEEESE_PNS0_10empty_typeENS0_5tupleIJSE_SF_EEENSH_IJSE_SG_EEENS0_18inequality_wrapperINS9_8equal_toIfEEEEPmJSF_EEE10hipError_tPvRmT3_T4_T5_T6_T7_T9_mT8_P12ihipStream_tbDpT10_ENKUlT_T0_E_clISt17integral_constantIbLb0EES17_IbLb1EEEEDaS13_S14_EUlS13_E_NS1_11comp_targetILNS1_3genE0ELNS1_11target_archE4294967295ELNS1_3gpuE0ELNS1_3repE0EEENS1_30default_config_static_selectorELNS0_4arch9wavefront6targetE0EEEvT1_
	.globl	_ZN7rocprim17ROCPRIM_400000_NS6detail17trampoline_kernelINS0_14default_configENS1_25partition_config_selectorILNS1_17partition_subalgoE9EffbEEZZNS1_14partition_implILS5_9ELb0ES3_jN6thrust23THRUST_200600_302600_NS6detail15normal_iteratorINS9_10device_ptrIfEEEESE_PNS0_10empty_typeENS0_5tupleIJSE_SF_EEENSH_IJSE_SG_EEENS0_18inequality_wrapperINS9_8equal_toIfEEEEPmJSF_EEE10hipError_tPvRmT3_T4_T5_T6_T7_T9_mT8_P12ihipStream_tbDpT10_ENKUlT_T0_E_clISt17integral_constantIbLb0EES17_IbLb1EEEEDaS13_S14_EUlS13_E_NS1_11comp_targetILNS1_3genE0ELNS1_11target_archE4294967295ELNS1_3gpuE0ELNS1_3repE0EEENS1_30default_config_static_selectorELNS0_4arch9wavefront6targetE0EEEvT1_
	.p2align	8
	.type	_ZN7rocprim17ROCPRIM_400000_NS6detail17trampoline_kernelINS0_14default_configENS1_25partition_config_selectorILNS1_17partition_subalgoE9EffbEEZZNS1_14partition_implILS5_9ELb0ES3_jN6thrust23THRUST_200600_302600_NS6detail15normal_iteratorINS9_10device_ptrIfEEEESE_PNS0_10empty_typeENS0_5tupleIJSE_SF_EEENSH_IJSE_SG_EEENS0_18inequality_wrapperINS9_8equal_toIfEEEEPmJSF_EEE10hipError_tPvRmT3_T4_T5_T6_T7_T9_mT8_P12ihipStream_tbDpT10_ENKUlT_T0_E_clISt17integral_constantIbLb0EES17_IbLb1EEEEDaS13_S14_EUlS13_E_NS1_11comp_targetILNS1_3genE0ELNS1_11target_archE4294967295ELNS1_3gpuE0ELNS1_3repE0EEENS1_30default_config_static_selectorELNS0_4arch9wavefront6targetE0EEEvT1_,@function
_ZN7rocprim17ROCPRIM_400000_NS6detail17trampoline_kernelINS0_14default_configENS1_25partition_config_selectorILNS1_17partition_subalgoE9EffbEEZZNS1_14partition_implILS5_9ELb0ES3_jN6thrust23THRUST_200600_302600_NS6detail15normal_iteratorINS9_10device_ptrIfEEEESE_PNS0_10empty_typeENS0_5tupleIJSE_SF_EEENSH_IJSE_SG_EEENS0_18inequality_wrapperINS9_8equal_toIfEEEEPmJSF_EEE10hipError_tPvRmT3_T4_T5_T6_T7_T9_mT8_P12ihipStream_tbDpT10_ENKUlT_T0_E_clISt17integral_constantIbLb0EES17_IbLb1EEEEDaS13_S14_EUlS13_E_NS1_11comp_targetILNS1_3genE0ELNS1_11target_archE4294967295ELNS1_3gpuE0ELNS1_3repE0EEENS1_30default_config_static_selectorELNS0_4arch9wavefront6targetE0EEEvT1_: ; @_ZN7rocprim17ROCPRIM_400000_NS6detail17trampoline_kernelINS0_14default_configENS1_25partition_config_selectorILNS1_17partition_subalgoE9EffbEEZZNS1_14partition_implILS5_9ELb0ES3_jN6thrust23THRUST_200600_302600_NS6detail15normal_iteratorINS9_10device_ptrIfEEEESE_PNS0_10empty_typeENS0_5tupleIJSE_SF_EEENSH_IJSE_SG_EEENS0_18inequality_wrapperINS9_8equal_toIfEEEEPmJSF_EEE10hipError_tPvRmT3_T4_T5_T6_T7_T9_mT8_P12ihipStream_tbDpT10_ENKUlT_T0_E_clISt17integral_constantIbLb0EES17_IbLb1EEEEDaS13_S14_EUlS13_E_NS1_11comp_targetILNS1_3genE0ELNS1_11target_archE4294967295ELNS1_3gpuE0ELNS1_3repE0EEENS1_30default_config_static_selectorELNS0_4arch9wavefront6targetE0EEEvT1_
; %bb.0:
	.section	.rodata,"a",@progbits
	.p2align	6, 0x0
	.amdhsa_kernel _ZN7rocprim17ROCPRIM_400000_NS6detail17trampoline_kernelINS0_14default_configENS1_25partition_config_selectorILNS1_17partition_subalgoE9EffbEEZZNS1_14partition_implILS5_9ELb0ES3_jN6thrust23THRUST_200600_302600_NS6detail15normal_iteratorINS9_10device_ptrIfEEEESE_PNS0_10empty_typeENS0_5tupleIJSE_SF_EEENSH_IJSE_SG_EEENS0_18inequality_wrapperINS9_8equal_toIfEEEEPmJSF_EEE10hipError_tPvRmT3_T4_T5_T6_T7_T9_mT8_P12ihipStream_tbDpT10_ENKUlT_T0_E_clISt17integral_constantIbLb0EES17_IbLb1EEEEDaS13_S14_EUlS13_E_NS1_11comp_targetILNS1_3genE0ELNS1_11target_archE4294967295ELNS1_3gpuE0ELNS1_3repE0EEENS1_30default_config_static_selectorELNS0_4arch9wavefront6targetE0EEEvT1_
		.amdhsa_group_segment_fixed_size 0
		.amdhsa_private_segment_fixed_size 0
		.amdhsa_kernarg_size 128
		.amdhsa_user_sgpr_count 15
		.amdhsa_user_sgpr_dispatch_ptr 0
		.amdhsa_user_sgpr_queue_ptr 0
		.amdhsa_user_sgpr_kernarg_segment_ptr 1
		.amdhsa_user_sgpr_dispatch_id 0
		.amdhsa_user_sgpr_private_segment_size 0
		.amdhsa_wavefront_size32 1
		.amdhsa_uses_dynamic_stack 0
		.amdhsa_enable_private_segment 0
		.amdhsa_system_sgpr_workgroup_id_x 1
		.amdhsa_system_sgpr_workgroup_id_y 0
		.amdhsa_system_sgpr_workgroup_id_z 0
		.amdhsa_system_sgpr_workgroup_info 0
		.amdhsa_system_vgpr_workitem_id 0
		.amdhsa_next_free_vgpr 1
		.amdhsa_next_free_sgpr 1
		.amdhsa_reserve_vcc 0
		.amdhsa_float_round_mode_32 0
		.amdhsa_float_round_mode_16_64 0
		.amdhsa_float_denorm_mode_32 3
		.amdhsa_float_denorm_mode_16_64 3
		.amdhsa_dx10_clamp 1
		.amdhsa_ieee_mode 1
		.amdhsa_fp16_overflow 0
		.amdhsa_workgroup_processor_mode 1
		.amdhsa_memory_ordered 1
		.amdhsa_forward_progress 0
		.amdhsa_shared_vgpr_count 0
		.amdhsa_exception_fp_ieee_invalid_op 0
		.amdhsa_exception_fp_denorm_src 0
		.amdhsa_exception_fp_ieee_div_zero 0
		.amdhsa_exception_fp_ieee_overflow 0
		.amdhsa_exception_fp_ieee_underflow 0
		.amdhsa_exception_fp_ieee_inexact 0
		.amdhsa_exception_int_div_zero 0
	.end_amdhsa_kernel
	.section	.text._ZN7rocprim17ROCPRIM_400000_NS6detail17trampoline_kernelINS0_14default_configENS1_25partition_config_selectorILNS1_17partition_subalgoE9EffbEEZZNS1_14partition_implILS5_9ELb0ES3_jN6thrust23THRUST_200600_302600_NS6detail15normal_iteratorINS9_10device_ptrIfEEEESE_PNS0_10empty_typeENS0_5tupleIJSE_SF_EEENSH_IJSE_SG_EEENS0_18inequality_wrapperINS9_8equal_toIfEEEEPmJSF_EEE10hipError_tPvRmT3_T4_T5_T6_T7_T9_mT8_P12ihipStream_tbDpT10_ENKUlT_T0_E_clISt17integral_constantIbLb0EES17_IbLb1EEEEDaS13_S14_EUlS13_E_NS1_11comp_targetILNS1_3genE0ELNS1_11target_archE4294967295ELNS1_3gpuE0ELNS1_3repE0EEENS1_30default_config_static_selectorELNS0_4arch9wavefront6targetE0EEEvT1_,"axG",@progbits,_ZN7rocprim17ROCPRIM_400000_NS6detail17trampoline_kernelINS0_14default_configENS1_25partition_config_selectorILNS1_17partition_subalgoE9EffbEEZZNS1_14partition_implILS5_9ELb0ES3_jN6thrust23THRUST_200600_302600_NS6detail15normal_iteratorINS9_10device_ptrIfEEEESE_PNS0_10empty_typeENS0_5tupleIJSE_SF_EEENSH_IJSE_SG_EEENS0_18inequality_wrapperINS9_8equal_toIfEEEEPmJSF_EEE10hipError_tPvRmT3_T4_T5_T6_T7_T9_mT8_P12ihipStream_tbDpT10_ENKUlT_T0_E_clISt17integral_constantIbLb0EES17_IbLb1EEEEDaS13_S14_EUlS13_E_NS1_11comp_targetILNS1_3genE0ELNS1_11target_archE4294967295ELNS1_3gpuE0ELNS1_3repE0EEENS1_30default_config_static_selectorELNS0_4arch9wavefront6targetE0EEEvT1_,comdat
.Lfunc_end104:
	.size	_ZN7rocprim17ROCPRIM_400000_NS6detail17trampoline_kernelINS0_14default_configENS1_25partition_config_selectorILNS1_17partition_subalgoE9EffbEEZZNS1_14partition_implILS5_9ELb0ES3_jN6thrust23THRUST_200600_302600_NS6detail15normal_iteratorINS9_10device_ptrIfEEEESE_PNS0_10empty_typeENS0_5tupleIJSE_SF_EEENSH_IJSE_SG_EEENS0_18inequality_wrapperINS9_8equal_toIfEEEEPmJSF_EEE10hipError_tPvRmT3_T4_T5_T6_T7_T9_mT8_P12ihipStream_tbDpT10_ENKUlT_T0_E_clISt17integral_constantIbLb0EES17_IbLb1EEEEDaS13_S14_EUlS13_E_NS1_11comp_targetILNS1_3genE0ELNS1_11target_archE4294967295ELNS1_3gpuE0ELNS1_3repE0EEENS1_30default_config_static_selectorELNS0_4arch9wavefront6targetE0EEEvT1_, .Lfunc_end104-_ZN7rocprim17ROCPRIM_400000_NS6detail17trampoline_kernelINS0_14default_configENS1_25partition_config_selectorILNS1_17partition_subalgoE9EffbEEZZNS1_14partition_implILS5_9ELb0ES3_jN6thrust23THRUST_200600_302600_NS6detail15normal_iteratorINS9_10device_ptrIfEEEESE_PNS0_10empty_typeENS0_5tupleIJSE_SF_EEENSH_IJSE_SG_EEENS0_18inequality_wrapperINS9_8equal_toIfEEEEPmJSF_EEE10hipError_tPvRmT3_T4_T5_T6_T7_T9_mT8_P12ihipStream_tbDpT10_ENKUlT_T0_E_clISt17integral_constantIbLb0EES17_IbLb1EEEEDaS13_S14_EUlS13_E_NS1_11comp_targetILNS1_3genE0ELNS1_11target_archE4294967295ELNS1_3gpuE0ELNS1_3repE0EEENS1_30default_config_static_selectorELNS0_4arch9wavefront6targetE0EEEvT1_
                                        ; -- End function
	.section	.AMDGPU.csdata,"",@progbits
; Kernel info:
; codeLenInByte = 0
; NumSgprs: 0
; NumVgprs: 0
; ScratchSize: 0
; MemoryBound: 0
; FloatMode: 240
; IeeeMode: 1
; LDSByteSize: 0 bytes/workgroup (compile time only)
; SGPRBlocks: 0
; VGPRBlocks: 0
; NumSGPRsForWavesPerEU: 1
; NumVGPRsForWavesPerEU: 1
; Occupancy: 16
; WaveLimiterHint : 0
; COMPUTE_PGM_RSRC2:SCRATCH_EN: 0
; COMPUTE_PGM_RSRC2:USER_SGPR: 15
; COMPUTE_PGM_RSRC2:TRAP_HANDLER: 0
; COMPUTE_PGM_RSRC2:TGID_X_EN: 1
; COMPUTE_PGM_RSRC2:TGID_Y_EN: 0
; COMPUTE_PGM_RSRC2:TGID_Z_EN: 0
; COMPUTE_PGM_RSRC2:TIDIG_COMP_CNT: 0
	.section	.text._ZN7rocprim17ROCPRIM_400000_NS6detail17trampoline_kernelINS0_14default_configENS1_25partition_config_selectorILNS1_17partition_subalgoE9EffbEEZZNS1_14partition_implILS5_9ELb0ES3_jN6thrust23THRUST_200600_302600_NS6detail15normal_iteratorINS9_10device_ptrIfEEEESE_PNS0_10empty_typeENS0_5tupleIJSE_SF_EEENSH_IJSE_SG_EEENS0_18inequality_wrapperINS9_8equal_toIfEEEEPmJSF_EEE10hipError_tPvRmT3_T4_T5_T6_T7_T9_mT8_P12ihipStream_tbDpT10_ENKUlT_T0_E_clISt17integral_constantIbLb0EES17_IbLb1EEEEDaS13_S14_EUlS13_E_NS1_11comp_targetILNS1_3genE5ELNS1_11target_archE942ELNS1_3gpuE9ELNS1_3repE0EEENS1_30default_config_static_selectorELNS0_4arch9wavefront6targetE0EEEvT1_,"axG",@progbits,_ZN7rocprim17ROCPRIM_400000_NS6detail17trampoline_kernelINS0_14default_configENS1_25partition_config_selectorILNS1_17partition_subalgoE9EffbEEZZNS1_14partition_implILS5_9ELb0ES3_jN6thrust23THRUST_200600_302600_NS6detail15normal_iteratorINS9_10device_ptrIfEEEESE_PNS0_10empty_typeENS0_5tupleIJSE_SF_EEENSH_IJSE_SG_EEENS0_18inequality_wrapperINS9_8equal_toIfEEEEPmJSF_EEE10hipError_tPvRmT3_T4_T5_T6_T7_T9_mT8_P12ihipStream_tbDpT10_ENKUlT_T0_E_clISt17integral_constantIbLb0EES17_IbLb1EEEEDaS13_S14_EUlS13_E_NS1_11comp_targetILNS1_3genE5ELNS1_11target_archE942ELNS1_3gpuE9ELNS1_3repE0EEENS1_30default_config_static_selectorELNS0_4arch9wavefront6targetE0EEEvT1_,comdat
	.protected	_ZN7rocprim17ROCPRIM_400000_NS6detail17trampoline_kernelINS0_14default_configENS1_25partition_config_selectorILNS1_17partition_subalgoE9EffbEEZZNS1_14partition_implILS5_9ELb0ES3_jN6thrust23THRUST_200600_302600_NS6detail15normal_iteratorINS9_10device_ptrIfEEEESE_PNS0_10empty_typeENS0_5tupleIJSE_SF_EEENSH_IJSE_SG_EEENS0_18inequality_wrapperINS9_8equal_toIfEEEEPmJSF_EEE10hipError_tPvRmT3_T4_T5_T6_T7_T9_mT8_P12ihipStream_tbDpT10_ENKUlT_T0_E_clISt17integral_constantIbLb0EES17_IbLb1EEEEDaS13_S14_EUlS13_E_NS1_11comp_targetILNS1_3genE5ELNS1_11target_archE942ELNS1_3gpuE9ELNS1_3repE0EEENS1_30default_config_static_selectorELNS0_4arch9wavefront6targetE0EEEvT1_ ; -- Begin function _ZN7rocprim17ROCPRIM_400000_NS6detail17trampoline_kernelINS0_14default_configENS1_25partition_config_selectorILNS1_17partition_subalgoE9EffbEEZZNS1_14partition_implILS5_9ELb0ES3_jN6thrust23THRUST_200600_302600_NS6detail15normal_iteratorINS9_10device_ptrIfEEEESE_PNS0_10empty_typeENS0_5tupleIJSE_SF_EEENSH_IJSE_SG_EEENS0_18inequality_wrapperINS9_8equal_toIfEEEEPmJSF_EEE10hipError_tPvRmT3_T4_T5_T6_T7_T9_mT8_P12ihipStream_tbDpT10_ENKUlT_T0_E_clISt17integral_constantIbLb0EES17_IbLb1EEEEDaS13_S14_EUlS13_E_NS1_11comp_targetILNS1_3genE5ELNS1_11target_archE942ELNS1_3gpuE9ELNS1_3repE0EEENS1_30default_config_static_selectorELNS0_4arch9wavefront6targetE0EEEvT1_
	.globl	_ZN7rocprim17ROCPRIM_400000_NS6detail17trampoline_kernelINS0_14default_configENS1_25partition_config_selectorILNS1_17partition_subalgoE9EffbEEZZNS1_14partition_implILS5_9ELb0ES3_jN6thrust23THRUST_200600_302600_NS6detail15normal_iteratorINS9_10device_ptrIfEEEESE_PNS0_10empty_typeENS0_5tupleIJSE_SF_EEENSH_IJSE_SG_EEENS0_18inequality_wrapperINS9_8equal_toIfEEEEPmJSF_EEE10hipError_tPvRmT3_T4_T5_T6_T7_T9_mT8_P12ihipStream_tbDpT10_ENKUlT_T0_E_clISt17integral_constantIbLb0EES17_IbLb1EEEEDaS13_S14_EUlS13_E_NS1_11comp_targetILNS1_3genE5ELNS1_11target_archE942ELNS1_3gpuE9ELNS1_3repE0EEENS1_30default_config_static_selectorELNS0_4arch9wavefront6targetE0EEEvT1_
	.p2align	8
	.type	_ZN7rocprim17ROCPRIM_400000_NS6detail17trampoline_kernelINS0_14default_configENS1_25partition_config_selectorILNS1_17partition_subalgoE9EffbEEZZNS1_14partition_implILS5_9ELb0ES3_jN6thrust23THRUST_200600_302600_NS6detail15normal_iteratorINS9_10device_ptrIfEEEESE_PNS0_10empty_typeENS0_5tupleIJSE_SF_EEENSH_IJSE_SG_EEENS0_18inequality_wrapperINS9_8equal_toIfEEEEPmJSF_EEE10hipError_tPvRmT3_T4_T5_T6_T7_T9_mT8_P12ihipStream_tbDpT10_ENKUlT_T0_E_clISt17integral_constantIbLb0EES17_IbLb1EEEEDaS13_S14_EUlS13_E_NS1_11comp_targetILNS1_3genE5ELNS1_11target_archE942ELNS1_3gpuE9ELNS1_3repE0EEENS1_30default_config_static_selectorELNS0_4arch9wavefront6targetE0EEEvT1_,@function
_ZN7rocprim17ROCPRIM_400000_NS6detail17trampoline_kernelINS0_14default_configENS1_25partition_config_selectorILNS1_17partition_subalgoE9EffbEEZZNS1_14partition_implILS5_9ELb0ES3_jN6thrust23THRUST_200600_302600_NS6detail15normal_iteratorINS9_10device_ptrIfEEEESE_PNS0_10empty_typeENS0_5tupleIJSE_SF_EEENSH_IJSE_SG_EEENS0_18inequality_wrapperINS9_8equal_toIfEEEEPmJSF_EEE10hipError_tPvRmT3_T4_T5_T6_T7_T9_mT8_P12ihipStream_tbDpT10_ENKUlT_T0_E_clISt17integral_constantIbLb0EES17_IbLb1EEEEDaS13_S14_EUlS13_E_NS1_11comp_targetILNS1_3genE5ELNS1_11target_archE942ELNS1_3gpuE9ELNS1_3repE0EEENS1_30default_config_static_selectorELNS0_4arch9wavefront6targetE0EEEvT1_: ; @_ZN7rocprim17ROCPRIM_400000_NS6detail17trampoline_kernelINS0_14default_configENS1_25partition_config_selectorILNS1_17partition_subalgoE9EffbEEZZNS1_14partition_implILS5_9ELb0ES3_jN6thrust23THRUST_200600_302600_NS6detail15normal_iteratorINS9_10device_ptrIfEEEESE_PNS0_10empty_typeENS0_5tupleIJSE_SF_EEENSH_IJSE_SG_EEENS0_18inequality_wrapperINS9_8equal_toIfEEEEPmJSF_EEE10hipError_tPvRmT3_T4_T5_T6_T7_T9_mT8_P12ihipStream_tbDpT10_ENKUlT_T0_E_clISt17integral_constantIbLb0EES17_IbLb1EEEEDaS13_S14_EUlS13_E_NS1_11comp_targetILNS1_3genE5ELNS1_11target_archE942ELNS1_3gpuE9ELNS1_3repE0EEENS1_30default_config_static_selectorELNS0_4arch9wavefront6targetE0EEEvT1_
; %bb.0:
	.section	.rodata,"a",@progbits
	.p2align	6, 0x0
	.amdhsa_kernel _ZN7rocprim17ROCPRIM_400000_NS6detail17trampoline_kernelINS0_14default_configENS1_25partition_config_selectorILNS1_17partition_subalgoE9EffbEEZZNS1_14partition_implILS5_9ELb0ES3_jN6thrust23THRUST_200600_302600_NS6detail15normal_iteratorINS9_10device_ptrIfEEEESE_PNS0_10empty_typeENS0_5tupleIJSE_SF_EEENSH_IJSE_SG_EEENS0_18inequality_wrapperINS9_8equal_toIfEEEEPmJSF_EEE10hipError_tPvRmT3_T4_T5_T6_T7_T9_mT8_P12ihipStream_tbDpT10_ENKUlT_T0_E_clISt17integral_constantIbLb0EES17_IbLb1EEEEDaS13_S14_EUlS13_E_NS1_11comp_targetILNS1_3genE5ELNS1_11target_archE942ELNS1_3gpuE9ELNS1_3repE0EEENS1_30default_config_static_selectorELNS0_4arch9wavefront6targetE0EEEvT1_
		.amdhsa_group_segment_fixed_size 0
		.amdhsa_private_segment_fixed_size 0
		.amdhsa_kernarg_size 128
		.amdhsa_user_sgpr_count 15
		.amdhsa_user_sgpr_dispatch_ptr 0
		.amdhsa_user_sgpr_queue_ptr 0
		.amdhsa_user_sgpr_kernarg_segment_ptr 1
		.amdhsa_user_sgpr_dispatch_id 0
		.amdhsa_user_sgpr_private_segment_size 0
		.amdhsa_wavefront_size32 1
		.amdhsa_uses_dynamic_stack 0
		.amdhsa_enable_private_segment 0
		.amdhsa_system_sgpr_workgroup_id_x 1
		.amdhsa_system_sgpr_workgroup_id_y 0
		.amdhsa_system_sgpr_workgroup_id_z 0
		.amdhsa_system_sgpr_workgroup_info 0
		.amdhsa_system_vgpr_workitem_id 0
		.amdhsa_next_free_vgpr 1
		.amdhsa_next_free_sgpr 1
		.amdhsa_reserve_vcc 0
		.amdhsa_float_round_mode_32 0
		.amdhsa_float_round_mode_16_64 0
		.amdhsa_float_denorm_mode_32 3
		.amdhsa_float_denorm_mode_16_64 3
		.amdhsa_dx10_clamp 1
		.amdhsa_ieee_mode 1
		.amdhsa_fp16_overflow 0
		.amdhsa_workgroup_processor_mode 1
		.amdhsa_memory_ordered 1
		.amdhsa_forward_progress 0
		.amdhsa_shared_vgpr_count 0
		.amdhsa_exception_fp_ieee_invalid_op 0
		.amdhsa_exception_fp_denorm_src 0
		.amdhsa_exception_fp_ieee_div_zero 0
		.amdhsa_exception_fp_ieee_overflow 0
		.amdhsa_exception_fp_ieee_underflow 0
		.amdhsa_exception_fp_ieee_inexact 0
		.amdhsa_exception_int_div_zero 0
	.end_amdhsa_kernel
	.section	.text._ZN7rocprim17ROCPRIM_400000_NS6detail17trampoline_kernelINS0_14default_configENS1_25partition_config_selectorILNS1_17partition_subalgoE9EffbEEZZNS1_14partition_implILS5_9ELb0ES3_jN6thrust23THRUST_200600_302600_NS6detail15normal_iteratorINS9_10device_ptrIfEEEESE_PNS0_10empty_typeENS0_5tupleIJSE_SF_EEENSH_IJSE_SG_EEENS0_18inequality_wrapperINS9_8equal_toIfEEEEPmJSF_EEE10hipError_tPvRmT3_T4_T5_T6_T7_T9_mT8_P12ihipStream_tbDpT10_ENKUlT_T0_E_clISt17integral_constantIbLb0EES17_IbLb1EEEEDaS13_S14_EUlS13_E_NS1_11comp_targetILNS1_3genE5ELNS1_11target_archE942ELNS1_3gpuE9ELNS1_3repE0EEENS1_30default_config_static_selectorELNS0_4arch9wavefront6targetE0EEEvT1_,"axG",@progbits,_ZN7rocprim17ROCPRIM_400000_NS6detail17trampoline_kernelINS0_14default_configENS1_25partition_config_selectorILNS1_17partition_subalgoE9EffbEEZZNS1_14partition_implILS5_9ELb0ES3_jN6thrust23THRUST_200600_302600_NS6detail15normal_iteratorINS9_10device_ptrIfEEEESE_PNS0_10empty_typeENS0_5tupleIJSE_SF_EEENSH_IJSE_SG_EEENS0_18inequality_wrapperINS9_8equal_toIfEEEEPmJSF_EEE10hipError_tPvRmT3_T4_T5_T6_T7_T9_mT8_P12ihipStream_tbDpT10_ENKUlT_T0_E_clISt17integral_constantIbLb0EES17_IbLb1EEEEDaS13_S14_EUlS13_E_NS1_11comp_targetILNS1_3genE5ELNS1_11target_archE942ELNS1_3gpuE9ELNS1_3repE0EEENS1_30default_config_static_selectorELNS0_4arch9wavefront6targetE0EEEvT1_,comdat
.Lfunc_end105:
	.size	_ZN7rocprim17ROCPRIM_400000_NS6detail17trampoline_kernelINS0_14default_configENS1_25partition_config_selectorILNS1_17partition_subalgoE9EffbEEZZNS1_14partition_implILS5_9ELb0ES3_jN6thrust23THRUST_200600_302600_NS6detail15normal_iteratorINS9_10device_ptrIfEEEESE_PNS0_10empty_typeENS0_5tupleIJSE_SF_EEENSH_IJSE_SG_EEENS0_18inequality_wrapperINS9_8equal_toIfEEEEPmJSF_EEE10hipError_tPvRmT3_T4_T5_T6_T7_T9_mT8_P12ihipStream_tbDpT10_ENKUlT_T0_E_clISt17integral_constantIbLb0EES17_IbLb1EEEEDaS13_S14_EUlS13_E_NS1_11comp_targetILNS1_3genE5ELNS1_11target_archE942ELNS1_3gpuE9ELNS1_3repE0EEENS1_30default_config_static_selectorELNS0_4arch9wavefront6targetE0EEEvT1_, .Lfunc_end105-_ZN7rocprim17ROCPRIM_400000_NS6detail17trampoline_kernelINS0_14default_configENS1_25partition_config_selectorILNS1_17partition_subalgoE9EffbEEZZNS1_14partition_implILS5_9ELb0ES3_jN6thrust23THRUST_200600_302600_NS6detail15normal_iteratorINS9_10device_ptrIfEEEESE_PNS0_10empty_typeENS0_5tupleIJSE_SF_EEENSH_IJSE_SG_EEENS0_18inequality_wrapperINS9_8equal_toIfEEEEPmJSF_EEE10hipError_tPvRmT3_T4_T5_T6_T7_T9_mT8_P12ihipStream_tbDpT10_ENKUlT_T0_E_clISt17integral_constantIbLb0EES17_IbLb1EEEEDaS13_S14_EUlS13_E_NS1_11comp_targetILNS1_3genE5ELNS1_11target_archE942ELNS1_3gpuE9ELNS1_3repE0EEENS1_30default_config_static_selectorELNS0_4arch9wavefront6targetE0EEEvT1_
                                        ; -- End function
	.section	.AMDGPU.csdata,"",@progbits
; Kernel info:
; codeLenInByte = 0
; NumSgprs: 0
; NumVgprs: 0
; ScratchSize: 0
; MemoryBound: 0
; FloatMode: 240
; IeeeMode: 1
; LDSByteSize: 0 bytes/workgroup (compile time only)
; SGPRBlocks: 0
; VGPRBlocks: 0
; NumSGPRsForWavesPerEU: 1
; NumVGPRsForWavesPerEU: 1
; Occupancy: 16
; WaveLimiterHint : 0
; COMPUTE_PGM_RSRC2:SCRATCH_EN: 0
; COMPUTE_PGM_RSRC2:USER_SGPR: 15
; COMPUTE_PGM_RSRC2:TRAP_HANDLER: 0
; COMPUTE_PGM_RSRC2:TGID_X_EN: 1
; COMPUTE_PGM_RSRC2:TGID_Y_EN: 0
; COMPUTE_PGM_RSRC2:TGID_Z_EN: 0
; COMPUTE_PGM_RSRC2:TIDIG_COMP_CNT: 0
	.section	.text._ZN7rocprim17ROCPRIM_400000_NS6detail17trampoline_kernelINS0_14default_configENS1_25partition_config_selectorILNS1_17partition_subalgoE9EffbEEZZNS1_14partition_implILS5_9ELb0ES3_jN6thrust23THRUST_200600_302600_NS6detail15normal_iteratorINS9_10device_ptrIfEEEESE_PNS0_10empty_typeENS0_5tupleIJSE_SF_EEENSH_IJSE_SG_EEENS0_18inequality_wrapperINS9_8equal_toIfEEEEPmJSF_EEE10hipError_tPvRmT3_T4_T5_T6_T7_T9_mT8_P12ihipStream_tbDpT10_ENKUlT_T0_E_clISt17integral_constantIbLb0EES17_IbLb1EEEEDaS13_S14_EUlS13_E_NS1_11comp_targetILNS1_3genE4ELNS1_11target_archE910ELNS1_3gpuE8ELNS1_3repE0EEENS1_30default_config_static_selectorELNS0_4arch9wavefront6targetE0EEEvT1_,"axG",@progbits,_ZN7rocprim17ROCPRIM_400000_NS6detail17trampoline_kernelINS0_14default_configENS1_25partition_config_selectorILNS1_17partition_subalgoE9EffbEEZZNS1_14partition_implILS5_9ELb0ES3_jN6thrust23THRUST_200600_302600_NS6detail15normal_iteratorINS9_10device_ptrIfEEEESE_PNS0_10empty_typeENS0_5tupleIJSE_SF_EEENSH_IJSE_SG_EEENS0_18inequality_wrapperINS9_8equal_toIfEEEEPmJSF_EEE10hipError_tPvRmT3_T4_T5_T6_T7_T9_mT8_P12ihipStream_tbDpT10_ENKUlT_T0_E_clISt17integral_constantIbLb0EES17_IbLb1EEEEDaS13_S14_EUlS13_E_NS1_11comp_targetILNS1_3genE4ELNS1_11target_archE910ELNS1_3gpuE8ELNS1_3repE0EEENS1_30default_config_static_selectorELNS0_4arch9wavefront6targetE0EEEvT1_,comdat
	.protected	_ZN7rocprim17ROCPRIM_400000_NS6detail17trampoline_kernelINS0_14default_configENS1_25partition_config_selectorILNS1_17partition_subalgoE9EffbEEZZNS1_14partition_implILS5_9ELb0ES3_jN6thrust23THRUST_200600_302600_NS6detail15normal_iteratorINS9_10device_ptrIfEEEESE_PNS0_10empty_typeENS0_5tupleIJSE_SF_EEENSH_IJSE_SG_EEENS0_18inequality_wrapperINS9_8equal_toIfEEEEPmJSF_EEE10hipError_tPvRmT3_T4_T5_T6_T7_T9_mT8_P12ihipStream_tbDpT10_ENKUlT_T0_E_clISt17integral_constantIbLb0EES17_IbLb1EEEEDaS13_S14_EUlS13_E_NS1_11comp_targetILNS1_3genE4ELNS1_11target_archE910ELNS1_3gpuE8ELNS1_3repE0EEENS1_30default_config_static_selectorELNS0_4arch9wavefront6targetE0EEEvT1_ ; -- Begin function _ZN7rocprim17ROCPRIM_400000_NS6detail17trampoline_kernelINS0_14default_configENS1_25partition_config_selectorILNS1_17partition_subalgoE9EffbEEZZNS1_14partition_implILS5_9ELb0ES3_jN6thrust23THRUST_200600_302600_NS6detail15normal_iteratorINS9_10device_ptrIfEEEESE_PNS0_10empty_typeENS0_5tupleIJSE_SF_EEENSH_IJSE_SG_EEENS0_18inequality_wrapperINS9_8equal_toIfEEEEPmJSF_EEE10hipError_tPvRmT3_T4_T5_T6_T7_T9_mT8_P12ihipStream_tbDpT10_ENKUlT_T0_E_clISt17integral_constantIbLb0EES17_IbLb1EEEEDaS13_S14_EUlS13_E_NS1_11comp_targetILNS1_3genE4ELNS1_11target_archE910ELNS1_3gpuE8ELNS1_3repE0EEENS1_30default_config_static_selectorELNS0_4arch9wavefront6targetE0EEEvT1_
	.globl	_ZN7rocprim17ROCPRIM_400000_NS6detail17trampoline_kernelINS0_14default_configENS1_25partition_config_selectorILNS1_17partition_subalgoE9EffbEEZZNS1_14partition_implILS5_9ELb0ES3_jN6thrust23THRUST_200600_302600_NS6detail15normal_iteratorINS9_10device_ptrIfEEEESE_PNS0_10empty_typeENS0_5tupleIJSE_SF_EEENSH_IJSE_SG_EEENS0_18inequality_wrapperINS9_8equal_toIfEEEEPmJSF_EEE10hipError_tPvRmT3_T4_T5_T6_T7_T9_mT8_P12ihipStream_tbDpT10_ENKUlT_T0_E_clISt17integral_constantIbLb0EES17_IbLb1EEEEDaS13_S14_EUlS13_E_NS1_11comp_targetILNS1_3genE4ELNS1_11target_archE910ELNS1_3gpuE8ELNS1_3repE0EEENS1_30default_config_static_selectorELNS0_4arch9wavefront6targetE0EEEvT1_
	.p2align	8
	.type	_ZN7rocprim17ROCPRIM_400000_NS6detail17trampoline_kernelINS0_14default_configENS1_25partition_config_selectorILNS1_17partition_subalgoE9EffbEEZZNS1_14partition_implILS5_9ELb0ES3_jN6thrust23THRUST_200600_302600_NS6detail15normal_iteratorINS9_10device_ptrIfEEEESE_PNS0_10empty_typeENS0_5tupleIJSE_SF_EEENSH_IJSE_SG_EEENS0_18inequality_wrapperINS9_8equal_toIfEEEEPmJSF_EEE10hipError_tPvRmT3_T4_T5_T6_T7_T9_mT8_P12ihipStream_tbDpT10_ENKUlT_T0_E_clISt17integral_constantIbLb0EES17_IbLb1EEEEDaS13_S14_EUlS13_E_NS1_11comp_targetILNS1_3genE4ELNS1_11target_archE910ELNS1_3gpuE8ELNS1_3repE0EEENS1_30default_config_static_selectorELNS0_4arch9wavefront6targetE0EEEvT1_,@function
_ZN7rocprim17ROCPRIM_400000_NS6detail17trampoline_kernelINS0_14default_configENS1_25partition_config_selectorILNS1_17partition_subalgoE9EffbEEZZNS1_14partition_implILS5_9ELb0ES3_jN6thrust23THRUST_200600_302600_NS6detail15normal_iteratorINS9_10device_ptrIfEEEESE_PNS0_10empty_typeENS0_5tupleIJSE_SF_EEENSH_IJSE_SG_EEENS0_18inequality_wrapperINS9_8equal_toIfEEEEPmJSF_EEE10hipError_tPvRmT3_T4_T5_T6_T7_T9_mT8_P12ihipStream_tbDpT10_ENKUlT_T0_E_clISt17integral_constantIbLb0EES17_IbLb1EEEEDaS13_S14_EUlS13_E_NS1_11comp_targetILNS1_3genE4ELNS1_11target_archE910ELNS1_3gpuE8ELNS1_3repE0EEENS1_30default_config_static_selectorELNS0_4arch9wavefront6targetE0EEEvT1_: ; @_ZN7rocprim17ROCPRIM_400000_NS6detail17trampoline_kernelINS0_14default_configENS1_25partition_config_selectorILNS1_17partition_subalgoE9EffbEEZZNS1_14partition_implILS5_9ELb0ES3_jN6thrust23THRUST_200600_302600_NS6detail15normal_iteratorINS9_10device_ptrIfEEEESE_PNS0_10empty_typeENS0_5tupleIJSE_SF_EEENSH_IJSE_SG_EEENS0_18inequality_wrapperINS9_8equal_toIfEEEEPmJSF_EEE10hipError_tPvRmT3_T4_T5_T6_T7_T9_mT8_P12ihipStream_tbDpT10_ENKUlT_T0_E_clISt17integral_constantIbLb0EES17_IbLb1EEEEDaS13_S14_EUlS13_E_NS1_11comp_targetILNS1_3genE4ELNS1_11target_archE910ELNS1_3gpuE8ELNS1_3repE0EEENS1_30default_config_static_selectorELNS0_4arch9wavefront6targetE0EEEvT1_
; %bb.0:
	.section	.rodata,"a",@progbits
	.p2align	6, 0x0
	.amdhsa_kernel _ZN7rocprim17ROCPRIM_400000_NS6detail17trampoline_kernelINS0_14default_configENS1_25partition_config_selectorILNS1_17partition_subalgoE9EffbEEZZNS1_14partition_implILS5_9ELb0ES3_jN6thrust23THRUST_200600_302600_NS6detail15normal_iteratorINS9_10device_ptrIfEEEESE_PNS0_10empty_typeENS0_5tupleIJSE_SF_EEENSH_IJSE_SG_EEENS0_18inequality_wrapperINS9_8equal_toIfEEEEPmJSF_EEE10hipError_tPvRmT3_T4_T5_T6_T7_T9_mT8_P12ihipStream_tbDpT10_ENKUlT_T0_E_clISt17integral_constantIbLb0EES17_IbLb1EEEEDaS13_S14_EUlS13_E_NS1_11comp_targetILNS1_3genE4ELNS1_11target_archE910ELNS1_3gpuE8ELNS1_3repE0EEENS1_30default_config_static_selectorELNS0_4arch9wavefront6targetE0EEEvT1_
		.amdhsa_group_segment_fixed_size 0
		.amdhsa_private_segment_fixed_size 0
		.amdhsa_kernarg_size 128
		.amdhsa_user_sgpr_count 15
		.amdhsa_user_sgpr_dispatch_ptr 0
		.amdhsa_user_sgpr_queue_ptr 0
		.amdhsa_user_sgpr_kernarg_segment_ptr 1
		.amdhsa_user_sgpr_dispatch_id 0
		.amdhsa_user_sgpr_private_segment_size 0
		.amdhsa_wavefront_size32 1
		.amdhsa_uses_dynamic_stack 0
		.amdhsa_enable_private_segment 0
		.amdhsa_system_sgpr_workgroup_id_x 1
		.amdhsa_system_sgpr_workgroup_id_y 0
		.amdhsa_system_sgpr_workgroup_id_z 0
		.amdhsa_system_sgpr_workgroup_info 0
		.amdhsa_system_vgpr_workitem_id 0
		.amdhsa_next_free_vgpr 1
		.amdhsa_next_free_sgpr 1
		.amdhsa_reserve_vcc 0
		.amdhsa_float_round_mode_32 0
		.amdhsa_float_round_mode_16_64 0
		.amdhsa_float_denorm_mode_32 3
		.amdhsa_float_denorm_mode_16_64 3
		.amdhsa_dx10_clamp 1
		.amdhsa_ieee_mode 1
		.amdhsa_fp16_overflow 0
		.amdhsa_workgroup_processor_mode 1
		.amdhsa_memory_ordered 1
		.amdhsa_forward_progress 0
		.amdhsa_shared_vgpr_count 0
		.amdhsa_exception_fp_ieee_invalid_op 0
		.amdhsa_exception_fp_denorm_src 0
		.amdhsa_exception_fp_ieee_div_zero 0
		.amdhsa_exception_fp_ieee_overflow 0
		.amdhsa_exception_fp_ieee_underflow 0
		.amdhsa_exception_fp_ieee_inexact 0
		.amdhsa_exception_int_div_zero 0
	.end_amdhsa_kernel
	.section	.text._ZN7rocprim17ROCPRIM_400000_NS6detail17trampoline_kernelINS0_14default_configENS1_25partition_config_selectorILNS1_17partition_subalgoE9EffbEEZZNS1_14partition_implILS5_9ELb0ES3_jN6thrust23THRUST_200600_302600_NS6detail15normal_iteratorINS9_10device_ptrIfEEEESE_PNS0_10empty_typeENS0_5tupleIJSE_SF_EEENSH_IJSE_SG_EEENS0_18inequality_wrapperINS9_8equal_toIfEEEEPmJSF_EEE10hipError_tPvRmT3_T4_T5_T6_T7_T9_mT8_P12ihipStream_tbDpT10_ENKUlT_T0_E_clISt17integral_constantIbLb0EES17_IbLb1EEEEDaS13_S14_EUlS13_E_NS1_11comp_targetILNS1_3genE4ELNS1_11target_archE910ELNS1_3gpuE8ELNS1_3repE0EEENS1_30default_config_static_selectorELNS0_4arch9wavefront6targetE0EEEvT1_,"axG",@progbits,_ZN7rocprim17ROCPRIM_400000_NS6detail17trampoline_kernelINS0_14default_configENS1_25partition_config_selectorILNS1_17partition_subalgoE9EffbEEZZNS1_14partition_implILS5_9ELb0ES3_jN6thrust23THRUST_200600_302600_NS6detail15normal_iteratorINS9_10device_ptrIfEEEESE_PNS0_10empty_typeENS0_5tupleIJSE_SF_EEENSH_IJSE_SG_EEENS0_18inequality_wrapperINS9_8equal_toIfEEEEPmJSF_EEE10hipError_tPvRmT3_T4_T5_T6_T7_T9_mT8_P12ihipStream_tbDpT10_ENKUlT_T0_E_clISt17integral_constantIbLb0EES17_IbLb1EEEEDaS13_S14_EUlS13_E_NS1_11comp_targetILNS1_3genE4ELNS1_11target_archE910ELNS1_3gpuE8ELNS1_3repE0EEENS1_30default_config_static_selectorELNS0_4arch9wavefront6targetE0EEEvT1_,comdat
.Lfunc_end106:
	.size	_ZN7rocprim17ROCPRIM_400000_NS6detail17trampoline_kernelINS0_14default_configENS1_25partition_config_selectorILNS1_17partition_subalgoE9EffbEEZZNS1_14partition_implILS5_9ELb0ES3_jN6thrust23THRUST_200600_302600_NS6detail15normal_iteratorINS9_10device_ptrIfEEEESE_PNS0_10empty_typeENS0_5tupleIJSE_SF_EEENSH_IJSE_SG_EEENS0_18inequality_wrapperINS9_8equal_toIfEEEEPmJSF_EEE10hipError_tPvRmT3_T4_T5_T6_T7_T9_mT8_P12ihipStream_tbDpT10_ENKUlT_T0_E_clISt17integral_constantIbLb0EES17_IbLb1EEEEDaS13_S14_EUlS13_E_NS1_11comp_targetILNS1_3genE4ELNS1_11target_archE910ELNS1_3gpuE8ELNS1_3repE0EEENS1_30default_config_static_selectorELNS0_4arch9wavefront6targetE0EEEvT1_, .Lfunc_end106-_ZN7rocprim17ROCPRIM_400000_NS6detail17trampoline_kernelINS0_14default_configENS1_25partition_config_selectorILNS1_17partition_subalgoE9EffbEEZZNS1_14partition_implILS5_9ELb0ES3_jN6thrust23THRUST_200600_302600_NS6detail15normal_iteratorINS9_10device_ptrIfEEEESE_PNS0_10empty_typeENS0_5tupleIJSE_SF_EEENSH_IJSE_SG_EEENS0_18inequality_wrapperINS9_8equal_toIfEEEEPmJSF_EEE10hipError_tPvRmT3_T4_T5_T6_T7_T9_mT8_P12ihipStream_tbDpT10_ENKUlT_T0_E_clISt17integral_constantIbLb0EES17_IbLb1EEEEDaS13_S14_EUlS13_E_NS1_11comp_targetILNS1_3genE4ELNS1_11target_archE910ELNS1_3gpuE8ELNS1_3repE0EEENS1_30default_config_static_selectorELNS0_4arch9wavefront6targetE0EEEvT1_
                                        ; -- End function
	.section	.AMDGPU.csdata,"",@progbits
; Kernel info:
; codeLenInByte = 0
; NumSgprs: 0
; NumVgprs: 0
; ScratchSize: 0
; MemoryBound: 0
; FloatMode: 240
; IeeeMode: 1
; LDSByteSize: 0 bytes/workgroup (compile time only)
; SGPRBlocks: 0
; VGPRBlocks: 0
; NumSGPRsForWavesPerEU: 1
; NumVGPRsForWavesPerEU: 1
; Occupancy: 15
; WaveLimiterHint : 0
; COMPUTE_PGM_RSRC2:SCRATCH_EN: 0
; COMPUTE_PGM_RSRC2:USER_SGPR: 15
; COMPUTE_PGM_RSRC2:TRAP_HANDLER: 0
; COMPUTE_PGM_RSRC2:TGID_X_EN: 1
; COMPUTE_PGM_RSRC2:TGID_Y_EN: 0
; COMPUTE_PGM_RSRC2:TGID_Z_EN: 0
; COMPUTE_PGM_RSRC2:TIDIG_COMP_CNT: 0
	.section	.text._ZN7rocprim17ROCPRIM_400000_NS6detail17trampoline_kernelINS0_14default_configENS1_25partition_config_selectorILNS1_17partition_subalgoE9EffbEEZZNS1_14partition_implILS5_9ELb0ES3_jN6thrust23THRUST_200600_302600_NS6detail15normal_iteratorINS9_10device_ptrIfEEEESE_PNS0_10empty_typeENS0_5tupleIJSE_SF_EEENSH_IJSE_SG_EEENS0_18inequality_wrapperINS9_8equal_toIfEEEEPmJSF_EEE10hipError_tPvRmT3_T4_T5_T6_T7_T9_mT8_P12ihipStream_tbDpT10_ENKUlT_T0_E_clISt17integral_constantIbLb0EES17_IbLb1EEEEDaS13_S14_EUlS13_E_NS1_11comp_targetILNS1_3genE3ELNS1_11target_archE908ELNS1_3gpuE7ELNS1_3repE0EEENS1_30default_config_static_selectorELNS0_4arch9wavefront6targetE0EEEvT1_,"axG",@progbits,_ZN7rocprim17ROCPRIM_400000_NS6detail17trampoline_kernelINS0_14default_configENS1_25partition_config_selectorILNS1_17partition_subalgoE9EffbEEZZNS1_14partition_implILS5_9ELb0ES3_jN6thrust23THRUST_200600_302600_NS6detail15normal_iteratorINS9_10device_ptrIfEEEESE_PNS0_10empty_typeENS0_5tupleIJSE_SF_EEENSH_IJSE_SG_EEENS0_18inequality_wrapperINS9_8equal_toIfEEEEPmJSF_EEE10hipError_tPvRmT3_T4_T5_T6_T7_T9_mT8_P12ihipStream_tbDpT10_ENKUlT_T0_E_clISt17integral_constantIbLb0EES17_IbLb1EEEEDaS13_S14_EUlS13_E_NS1_11comp_targetILNS1_3genE3ELNS1_11target_archE908ELNS1_3gpuE7ELNS1_3repE0EEENS1_30default_config_static_selectorELNS0_4arch9wavefront6targetE0EEEvT1_,comdat
	.protected	_ZN7rocprim17ROCPRIM_400000_NS6detail17trampoline_kernelINS0_14default_configENS1_25partition_config_selectorILNS1_17partition_subalgoE9EffbEEZZNS1_14partition_implILS5_9ELb0ES3_jN6thrust23THRUST_200600_302600_NS6detail15normal_iteratorINS9_10device_ptrIfEEEESE_PNS0_10empty_typeENS0_5tupleIJSE_SF_EEENSH_IJSE_SG_EEENS0_18inequality_wrapperINS9_8equal_toIfEEEEPmJSF_EEE10hipError_tPvRmT3_T4_T5_T6_T7_T9_mT8_P12ihipStream_tbDpT10_ENKUlT_T0_E_clISt17integral_constantIbLb0EES17_IbLb1EEEEDaS13_S14_EUlS13_E_NS1_11comp_targetILNS1_3genE3ELNS1_11target_archE908ELNS1_3gpuE7ELNS1_3repE0EEENS1_30default_config_static_selectorELNS0_4arch9wavefront6targetE0EEEvT1_ ; -- Begin function _ZN7rocprim17ROCPRIM_400000_NS6detail17trampoline_kernelINS0_14default_configENS1_25partition_config_selectorILNS1_17partition_subalgoE9EffbEEZZNS1_14partition_implILS5_9ELb0ES3_jN6thrust23THRUST_200600_302600_NS6detail15normal_iteratorINS9_10device_ptrIfEEEESE_PNS0_10empty_typeENS0_5tupleIJSE_SF_EEENSH_IJSE_SG_EEENS0_18inequality_wrapperINS9_8equal_toIfEEEEPmJSF_EEE10hipError_tPvRmT3_T4_T5_T6_T7_T9_mT8_P12ihipStream_tbDpT10_ENKUlT_T0_E_clISt17integral_constantIbLb0EES17_IbLb1EEEEDaS13_S14_EUlS13_E_NS1_11comp_targetILNS1_3genE3ELNS1_11target_archE908ELNS1_3gpuE7ELNS1_3repE0EEENS1_30default_config_static_selectorELNS0_4arch9wavefront6targetE0EEEvT1_
	.globl	_ZN7rocprim17ROCPRIM_400000_NS6detail17trampoline_kernelINS0_14default_configENS1_25partition_config_selectorILNS1_17partition_subalgoE9EffbEEZZNS1_14partition_implILS5_9ELb0ES3_jN6thrust23THRUST_200600_302600_NS6detail15normal_iteratorINS9_10device_ptrIfEEEESE_PNS0_10empty_typeENS0_5tupleIJSE_SF_EEENSH_IJSE_SG_EEENS0_18inequality_wrapperINS9_8equal_toIfEEEEPmJSF_EEE10hipError_tPvRmT3_T4_T5_T6_T7_T9_mT8_P12ihipStream_tbDpT10_ENKUlT_T0_E_clISt17integral_constantIbLb0EES17_IbLb1EEEEDaS13_S14_EUlS13_E_NS1_11comp_targetILNS1_3genE3ELNS1_11target_archE908ELNS1_3gpuE7ELNS1_3repE0EEENS1_30default_config_static_selectorELNS0_4arch9wavefront6targetE0EEEvT1_
	.p2align	8
	.type	_ZN7rocprim17ROCPRIM_400000_NS6detail17trampoline_kernelINS0_14default_configENS1_25partition_config_selectorILNS1_17partition_subalgoE9EffbEEZZNS1_14partition_implILS5_9ELb0ES3_jN6thrust23THRUST_200600_302600_NS6detail15normal_iteratorINS9_10device_ptrIfEEEESE_PNS0_10empty_typeENS0_5tupleIJSE_SF_EEENSH_IJSE_SG_EEENS0_18inequality_wrapperINS9_8equal_toIfEEEEPmJSF_EEE10hipError_tPvRmT3_T4_T5_T6_T7_T9_mT8_P12ihipStream_tbDpT10_ENKUlT_T0_E_clISt17integral_constantIbLb0EES17_IbLb1EEEEDaS13_S14_EUlS13_E_NS1_11comp_targetILNS1_3genE3ELNS1_11target_archE908ELNS1_3gpuE7ELNS1_3repE0EEENS1_30default_config_static_selectorELNS0_4arch9wavefront6targetE0EEEvT1_,@function
_ZN7rocprim17ROCPRIM_400000_NS6detail17trampoline_kernelINS0_14default_configENS1_25partition_config_selectorILNS1_17partition_subalgoE9EffbEEZZNS1_14partition_implILS5_9ELb0ES3_jN6thrust23THRUST_200600_302600_NS6detail15normal_iteratorINS9_10device_ptrIfEEEESE_PNS0_10empty_typeENS0_5tupleIJSE_SF_EEENSH_IJSE_SG_EEENS0_18inequality_wrapperINS9_8equal_toIfEEEEPmJSF_EEE10hipError_tPvRmT3_T4_T5_T6_T7_T9_mT8_P12ihipStream_tbDpT10_ENKUlT_T0_E_clISt17integral_constantIbLb0EES17_IbLb1EEEEDaS13_S14_EUlS13_E_NS1_11comp_targetILNS1_3genE3ELNS1_11target_archE908ELNS1_3gpuE7ELNS1_3repE0EEENS1_30default_config_static_selectorELNS0_4arch9wavefront6targetE0EEEvT1_: ; @_ZN7rocprim17ROCPRIM_400000_NS6detail17trampoline_kernelINS0_14default_configENS1_25partition_config_selectorILNS1_17partition_subalgoE9EffbEEZZNS1_14partition_implILS5_9ELb0ES3_jN6thrust23THRUST_200600_302600_NS6detail15normal_iteratorINS9_10device_ptrIfEEEESE_PNS0_10empty_typeENS0_5tupleIJSE_SF_EEENSH_IJSE_SG_EEENS0_18inequality_wrapperINS9_8equal_toIfEEEEPmJSF_EEE10hipError_tPvRmT3_T4_T5_T6_T7_T9_mT8_P12ihipStream_tbDpT10_ENKUlT_T0_E_clISt17integral_constantIbLb0EES17_IbLb1EEEEDaS13_S14_EUlS13_E_NS1_11comp_targetILNS1_3genE3ELNS1_11target_archE908ELNS1_3gpuE7ELNS1_3repE0EEENS1_30default_config_static_selectorELNS0_4arch9wavefront6targetE0EEEvT1_
; %bb.0:
	.section	.rodata,"a",@progbits
	.p2align	6, 0x0
	.amdhsa_kernel _ZN7rocprim17ROCPRIM_400000_NS6detail17trampoline_kernelINS0_14default_configENS1_25partition_config_selectorILNS1_17partition_subalgoE9EffbEEZZNS1_14partition_implILS5_9ELb0ES3_jN6thrust23THRUST_200600_302600_NS6detail15normal_iteratorINS9_10device_ptrIfEEEESE_PNS0_10empty_typeENS0_5tupleIJSE_SF_EEENSH_IJSE_SG_EEENS0_18inequality_wrapperINS9_8equal_toIfEEEEPmJSF_EEE10hipError_tPvRmT3_T4_T5_T6_T7_T9_mT8_P12ihipStream_tbDpT10_ENKUlT_T0_E_clISt17integral_constantIbLb0EES17_IbLb1EEEEDaS13_S14_EUlS13_E_NS1_11comp_targetILNS1_3genE3ELNS1_11target_archE908ELNS1_3gpuE7ELNS1_3repE0EEENS1_30default_config_static_selectorELNS0_4arch9wavefront6targetE0EEEvT1_
		.amdhsa_group_segment_fixed_size 0
		.amdhsa_private_segment_fixed_size 0
		.amdhsa_kernarg_size 128
		.amdhsa_user_sgpr_count 15
		.amdhsa_user_sgpr_dispatch_ptr 0
		.amdhsa_user_sgpr_queue_ptr 0
		.amdhsa_user_sgpr_kernarg_segment_ptr 1
		.amdhsa_user_sgpr_dispatch_id 0
		.amdhsa_user_sgpr_private_segment_size 0
		.amdhsa_wavefront_size32 1
		.amdhsa_uses_dynamic_stack 0
		.amdhsa_enable_private_segment 0
		.amdhsa_system_sgpr_workgroup_id_x 1
		.amdhsa_system_sgpr_workgroup_id_y 0
		.amdhsa_system_sgpr_workgroup_id_z 0
		.amdhsa_system_sgpr_workgroup_info 0
		.amdhsa_system_vgpr_workitem_id 0
		.amdhsa_next_free_vgpr 1
		.amdhsa_next_free_sgpr 1
		.amdhsa_reserve_vcc 0
		.amdhsa_float_round_mode_32 0
		.amdhsa_float_round_mode_16_64 0
		.amdhsa_float_denorm_mode_32 3
		.amdhsa_float_denorm_mode_16_64 3
		.amdhsa_dx10_clamp 1
		.amdhsa_ieee_mode 1
		.amdhsa_fp16_overflow 0
		.amdhsa_workgroup_processor_mode 1
		.amdhsa_memory_ordered 1
		.amdhsa_forward_progress 0
		.amdhsa_shared_vgpr_count 0
		.amdhsa_exception_fp_ieee_invalid_op 0
		.amdhsa_exception_fp_denorm_src 0
		.amdhsa_exception_fp_ieee_div_zero 0
		.amdhsa_exception_fp_ieee_overflow 0
		.amdhsa_exception_fp_ieee_underflow 0
		.amdhsa_exception_fp_ieee_inexact 0
		.amdhsa_exception_int_div_zero 0
	.end_amdhsa_kernel
	.section	.text._ZN7rocprim17ROCPRIM_400000_NS6detail17trampoline_kernelINS0_14default_configENS1_25partition_config_selectorILNS1_17partition_subalgoE9EffbEEZZNS1_14partition_implILS5_9ELb0ES3_jN6thrust23THRUST_200600_302600_NS6detail15normal_iteratorINS9_10device_ptrIfEEEESE_PNS0_10empty_typeENS0_5tupleIJSE_SF_EEENSH_IJSE_SG_EEENS0_18inequality_wrapperINS9_8equal_toIfEEEEPmJSF_EEE10hipError_tPvRmT3_T4_T5_T6_T7_T9_mT8_P12ihipStream_tbDpT10_ENKUlT_T0_E_clISt17integral_constantIbLb0EES17_IbLb1EEEEDaS13_S14_EUlS13_E_NS1_11comp_targetILNS1_3genE3ELNS1_11target_archE908ELNS1_3gpuE7ELNS1_3repE0EEENS1_30default_config_static_selectorELNS0_4arch9wavefront6targetE0EEEvT1_,"axG",@progbits,_ZN7rocprim17ROCPRIM_400000_NS6detail17trampoline_kernelINS0_14default_configENS1_25partition_config_selectorILNS1_17partition_subalgoE9EffbEEZZNS1_14partition_implILS5_9ELb0ES3_jN6thrust23THRUST_200600_302600_NS6detail15normal_iteratorINS9_10device_ptrIfEEEESE_PNS0_10empty_typeENS0_5tupleIJSE_SF_EEENSH_IJSE_SG_EEENS0_18inequality_wrapperINS9_8equal_toIfEEEEPmJSF_EEE10hipError_tPvRmT3_T4_T5_T6_T7_T9_mT8_P12ihipStream_tbDpT10_ENKUlT_T0_E_clISt17integral_constantIbLb0EES17_IbLb1EEEEDaS13_S14_EUlS13_E_NS1_11comp_targetILNS1_3genE3ELNS1_11target_archE908ELNS1_3gpuE7ELNS1_3repE0EEENS1_30default_config_static_selectorELNS0_4arch9wavefront6targetE0EEEvT1_,comdat
.Lfunc_end107:
	.size	_ZN7rocprim17ROCPRIM_400000_NS6detail17trampoline_kernelINS0_14default_configENS1_25partition_config_selectorILNS1_17partition_subalgoE9EffbEEZZNS1_14partition_implILS5_9ELb0ES3_jN6thrust23THRUST_200600_302600_NS6detail15normal_iteratorINS9_10device_ptrIfEEEESE_PNS0_10empty_typeENS0_5tupleIJSE_SF_EEENSH_IJSE_SG_EEENS0_18inequality_wrapperINS9_8equal_toIfEEEEPmJSF_EEE10hipError_tPvRmT3_T4_T5_T6_T7_T9_mT8_P12ihipStream_tbDpT10_ENKUlT_T0_E_clISt17integral_constantIbLb0EES17_IbLb1EEEEDaS13_S14_EUlS13_E_NS1_11comp_targetILNS1_3genE3ELNS1_11target_archE908ELNS1_3gpuE7ELNS1_3repE0EEENS1_30default_config_static_selectorELNS0_4arch9wavefront6targetE0EEEvT1_, .Lfunc_end107-_ZN7rocprim17ROCPRIM_400000_NS6detail17trampoline_kernelINS0_14default_configENS1_25partition_config_selectorILNS1_17partition_subalgoE9EffbEEZZNS1_14partition_implILS5_9ELb0ES3_jN6thrust23THRUST_200600_302600_NS6detail15normal_iteratorINS9_10device_ptrIfEEEESE_PNS0_10empty_typeENS0_5tupleIJSE_SF_EEENSH_IJSE_SG_EEENS0_18inequality_wrapperINS9_8equal_toIfEEEEPmJSF_EEE10hipError_tPvRmT3_T4_T5_T6_T7_T9_mT8_P12ihipStream_tbDpT10_ENKUlT_T0_E_clISt17integral_constantIbLb0EES17_IbLb1EEEEDaS13_S14_EUlS13_E_NS1_11comp_targetILNS1_3genE3ELNS1_11target_archE908ELNS1_3gpuE7ELNS1_3repE0EEENS1_30default_config_static_selectorELNS0_4arch9wavefront6targetE0EEEvT1_
                                        ; -- End function
	.section	.AMDGPU.csdata,"",@progbits
; Kernel info:
; codeLenInByte = 0
; NumSgprs: 0
; NumVgprs: 0
; ScratchSize: 0
; MemoryBound: 0
; FloatMode: 240
; IeeeMode: 1
; LDSByteSize: 0 bytes/workgroup (compile time only)
; SGPRBlocks: 0
; VGPRBlocks: 0
; NumSGPRsForWavesPerEU: 1
; NumVGPRsForWavesPerEU: 1
; Occupancy: 16
; WaveLimiterHint : 0
; COMPUTE_PGM_RSRC2:SCRATCH_EN: 0
; COMPUTE_PGM_RSRC2:USER_SGPR: 15
; COMPUTE_PGM_RSRC2:TRAP_HANDLER: 0
; COMPUTE_PGM_RSRC2:TGID_X_EN: 1
; COMPUTE_PGM_RSRC2:TGID_Y_EN: 0
; COMPUTE_PGM_RSRC2:TGID_Z_EN: 0
; COMPUTE_PGM_RSRC2:TIDIG_COMP_CNT: 0
	.section	.text._ZN7rocprim17ROCPRIM_400000_NS6detail17trampoline_kernelINS0_14default_configENS1_25partition_config_selectorILNS1_17partition_subalgoE9EffbEEZZNS1_14partition_implILS5_9ELb0ES3_jN6thrust23THRUST_200600_302600_NS6detail15normal_iteratorINS9_10device_ptrIfEEEESE_PNS0_10empty_typeENS0_5tupleIJSE_SF_EEENSH_IJSE_SG_EEENS0_18inequality_wrapperINS9_8equal_toIfEEEEPmJSF_EEE10hipError_tPvRmT3_T4_T5_T6_T7_T9_mT8_P12ihipStream_tbDpT10_ENKUlT_T0_E_clISt17integral_constantIbLb0EES17_IbLb1EEEEDaS13_S14_EUlS13_E_NS1_11comp_targetILNS1_3genE2ELNS1_11target_archE906ELNS1_3gpuE6ELNS1_3repE0EEENS1_30default_config_static_selectorELNS0_4arch9wavefront6targetE0EEEvT1_,"axG",@progbits,_ZN7rocprim17ROCPRIM_400000_NS6detail17trampoline_kernelINS0_14default_configENS1_25partition_config_selectorILNS1_17partition_subalgoE9EffbEEZZNS1_14partition_implILS5_9ELb0ES3_jN6thrust23THRUST_200600_302600_NS6detail15normal_iteratorINS9_10device_ptrIfEEEESE_PNS0_10empty_typeENS0_5tupleIJSE_SF_EEENSH_IJSE_SG_EEENS0_18inequality_wrapperINS9_8equal_toIfEEEEPmJSF_EEE10hipError_tPvRmT3_T4_T5_T6_T7_T9_mT8_P12ihipStream_tbDpT10_ENKUlT_T0_E_clISt17integral_constantIbLb0EES17_IbLb1EEEEDaS13_S14_EUlS13_E_NS1_11comp_targetILNS1_3genE2ELNS1_11target_archE906ELNS1_3gpuE6ELNS1_3repE0EEENS1_30default_config_static_selectorELNS0_4arch9wavefront6targetE0EEEvT1_,comdat
	.protected	_ZN7rocprim17ROCPRIM_400000_NS6detail17trampoline_kernelINS0_14default_configENS1_25partition_config_selectorILNS1_17partition_subalgoE9EffbEEZZNS1_14partition_implILS5_9ELb0ES3_jN6thrust23THRUST_200600_302600_NS6detail15normal_iteratorINS9_10device_ptrIfEEEESE_PNS0_10empty_typeENS0_5tupleIJSE_SF_EEENSH_IJSE_SG_EEENS0_18inequality_wrapperINS9_8equal_toIfEEEEPmJSF_EEE10hipError_tPvRmT3_T4_T5_T6_T7_T9_mT8_P12ihipStream_tbDpT10_ENKUlT_T0_E_clISt17integral_constantIbLb0EES17_IbLb1EEEEDaS13_S14_EUlS13_E_NS1_11comp_targetILNS1_3genE2ELNS1_11target_archE906ELNS1_3gpuE6ELNS1_3repE0EEENS1_30default_config_static_selectorELNS0_4arch9wavefront6targetE0EEEvT1_ ; -- Begin function _ZN7rocprim17ROCPRIM_400000_NS6detail17trampoline_kernelINS0_14default_configENS1_25partition_config_selectorILNS1_17partition_subalgoE9EffbEEZZNS1_14partition_implILS5_9ELb0ES3_jN6thrust23THRUST_200600_302600_NS6detail15normal_iteratorINS9_10device_ptrIfEEEESE_PNS0_10empty_typeENS0_5tupleIJSE_SF_EEENSH_IJSE_SG_EEENS0_18inequality_wrapperINS9_8equal_toIfEEEEPmJSF_EEE10hipError_tPvRmT3_T4_T5_T6_T7_T9_mT8_P12ihipStream_tbDpT10_ENKUlT_T0_E_clISt17integral_constantIbLb0EES17_IbLb1EEEEDaS13_S14_EUlS13_E_NS1_11comp_targetILNS1_3genE2ELNS1_11target_archE906ELNS1_3gpuE6ELNS1_3repE0EEENS1_30default_config_static_selectorELNS0_4arch9wavefront6targetE0EEEvT1_
	.globl	_ZN7rocprim17ROCPRIM_400000_NS6detail17trampoline_kernelINS0_14default_configENS1_25partition_config_selectorILNS1_17partition_subalgoE9EffbEEZZNS1_14partition_implILS5_9ELb0ES3_jN6thrust23THRUST_200600_302600_NS6detail15normal_iteratorINS9_10device_ptrIfEEEESE_PNS0_10empty_typeENS0_5tupleIJSE_SF_EEENSH_IJSE_SG_EEENS0_18inequality_wrapperINS9_8equal_toIfEEEEPmJSF_EEE10hipError_tPvRmT3_T4_T5_T6_T7_T9_mT8_P12ihipStream_tbDpT10_ENKUlT_T0_E_clISt17integral_constantIbLb0EES17_IbLb1EEEEDaS13_S14_EUlS13_E_NS1_11comp_targetILNS1_3genE2ELNS1_11target_archE906ELNS1_3gpuE6ELNS1_3repE0EEENS1_30default_config_static_selectorELNS0_4arch9wavefront6targetE0EEEvT1_
	.p2align	8
	.type	_ZN7rocprim17ROCPRIM_400000_NS6detail17trampoline_kernelINS0_14default_configENS1_25partition_config_selectorILNS1_17partition_subalgoE9EffbEEZZNS1_14partition_implILS5_9ELb0ES3_jN6thrust23THRUST_200600_302600_NS6detail15normal_iteratorINS9_10device_ptrIfEEEESE_PNS0_10empty_typeENS0_5tupleIJSE_SF_EEENSH_IJSE_SG_EEENS0_18inequality_wrapperINS9_8equal_toIfEEEEPmJSF_EEE10hipError_tPvRmT3_T4_T5_T6_T7_T9_mT8_P12ihipStream_tbDpT10_ENKUlT_T0_E_clISt17integral_constantIbLb0EES17_IbLb1EEEEDaS13_S14_EUlS13_E_NS1_11comp_targetILNS1_3genE2ELNS1_11target_archE906ELNS1_3gpuE6ELNS1_3repE0EEENS1_30default_config_static_selectorELNS0_4arch9wavefront6targetE0EEEvT1_,@function
_ZN7rocprim17ROCPRIM_400000_NS6detail17trampoline_kernelINS0_14default_configENS1_25partition_config_selectorILNS1_17partition_subalgoE9EffbEEZZNS1_14partition_implILS5_9ELb0ES3_jN6thrust23THRUST_200600_302600_NS6detail15normal_iteratorINS9_10device_ptrIfEEEESE_PNS0_10empty_typeENS0_5tupleIJSE_SF_EEENSH_IJSE_SG_EEENS0_18inequality_wrapperINS9_8equal_toIfEEEEPmJSF_EEE10hipError_tPvRmT3_T4_T5_T6_T7_T9_mT8_P12ihipStream_tbDpT10_ENKUlT_T0_E_clISt17integral_constantIbLb0EES17_IbLb1EEEEDaS13_S14_EUlS13_E_NS1_11comp_targetILNS1_3genE2ELNS1_11target_archE906ELNS1_3gpuE6ELNS1_3repE0EEENS1_30default_config_static_selectorELNS0_4arch9wavefront6targetE0EEEvT1_: ; @_ZN7rocprim17ROCPRIM_400000_NS6detail17trampoline_kernelINS0_14default_configENS1_25partition_config_selectorILNS1_17partition_subalgoE9EffbEEZZNS1_14partition_implILS5_9ELb0ES3_jN6thrust23THRUST_200600_302600_NS6detail15normal_iteratorINS9_10device_ptrIfEEEESE_PNS0_10empty_typeENS0_5tupleIJSE_SF_EEENSH_IJSE_SG_EEENS0_18inequality_wrapperINS9_8equal_toIfEEEEPmJSF_EEE10hipError_tPvRmT3_T4_T5_T6_T7_T9_mT8_P12ihipStream_tbDpT10_ENKUlT_T0_E_clISt17integral_constantIbLb0EES17_IbLb1EEEEDaS13_S14_EUlS13_E_NS1_11comp_targetILNS1_3genE2ELNS1_11target_archE906ELNS1_3gpuE6ELNS1_3repE0EEENS1_30default_config_static_selectorELNS0_4arch9wavefront6targetE0EEEvT1_
; %bb.0:
	.section	.rodata,"a",@progbits
	.p2align	6, 0x0
	.amdhsa_kernel _ZN7rocprim17ROCPRIM_400000_NS6detail17trampoline_kernelINS0_14default_configENS1_25partition_config_selectorILNS1_17partition_subalgoE9EffbEEZZNS1_14partition_implILS5_9ELb0ES3_jN6thrust23THRUST_200600_302600_NS6detail15normal_iteratorINS9_10device_ptrIfEEEESE_PNS0_10empty_typeENS0_5tupleIJSE_SF_EEENSH_IJSE_SG_EEENS0_18inequality_wrapperINS9_8equal_toIfEEEEPmJSF_EEE10hipError_tPvRmT3_T4_T5_T6_T7_T9_mT8_P12ihipStream_tbDpT10_ENKUlT_T0_E_clISt17integral_constantIbLb0EES17_IbLb1EEEEDaS13_S14_EUlS13_E_NS1_11comp_targetILNS1_3genE2ELNS1_11target_archE906ELNS1_3gpuE6ELNS1_3repE0EEENS1_30default_config_static_selectorELNS0_4arch9wavefront6targetE0EEEvT1_
		.amdhsa_group_segment_fixed_size 0
		.amdhsa_private_segment_fixed_size 0
		.amdhsa_kernarg_size 128
		.amdhsa_user_sgpr_count 15
		.amdhsa_user_sgpr_dispatch_ptr 0
		.amdhsa_user_sgpr_queue_ptr 0
		.amdhsa_user_sgpr_kernarg_segment_ptr 1
		.amdhsa_user_sgpr_dispatch_id 0
		.amdhsa_user_sgpr_private_segment_size 0
		.amdhsa_wavefront_size32 1
		.amdhsa_uses_dynamic_stack 0
		.amdhsa_enable_private_segment 0
		.amdhsa_system_sgpr_workgroup_id_x 1
		.amdhsa_system_sgpr_workgroup_id_y 0
		.amdhsa_system_sgpr_workgroup_id_z 0
		.amdhsa_system_sgpr_workgroup_info 0
		.amdhsa_system_vgpr_workitem_id 0
		.amdhsa_next_free_vgpr 1
		.amdhsa_next_free_sgpr 1
		.amdhsa_reserve_vcc 0
		.amdhsa_float_round_mode_32 0
		.amdhsa_float_round_mode_16_64 0
		.amdhsa_float_denorm_mode_32 3
		.amdhsa_float_denorm_mode_16_64 3
		.amdhsa_dx10_clamp 1
		.amdhsa_ieee_mode 1
		.amdhsa_fp16_overflow 0
		.amdhsa_workgroup_processor_mode 1
		.amdhsa_memory_ordered 1
		.amdhsa_forward_progress 0
		.amdhsa_shared_vgpr_count 0
		.amdhsa_exception_fp_ieee_invalid_op 0
		.amdhsa_exception_fp_denorm_src 0
		.amdhsa_exception_fp_ieee_div_zero 0
		.amdhsa_exception_fp_ieee_overflow 0
		.amdhsa_exception_fp_ieee_underflow 0
		.amdhsa_exception_fp_ieee_inexact 0
		.amdhsa_exception_int_div_zero 0
	.end_amdhsa_kernel
	.section	.text._ZN7rocprim17ROCPRIM_400000_NS6detail17trampoline_kernelINS0_14default_configENS1_25partition_config_selectorILNS1_17partition_subalgoE9EffbEEZZNS1_14partition_implILS5_9ELb0ES3_jN6thrust23THRUST_200600_302600_NS6detail15normal_iteratorINS9_10device_ptrIfEEEESE_PNS0_10empty_typeENS0_5tupleIJSE_SF_EEENSH_IJSE_SG_EEENS0_18inequality_wrapperINS9_8equal_toIfEEEEPmJSF_EEE10hipError_tPvRmT3_T4_T5_T6_T7_T9_mT8_P12ihipStream_tbDpT10_ENKUlT_T0_E_clISt17integral_constantIbLb0EES17_IbLb1EEEEDaS13_S14_EUlS13_E_NS1_11comp_targetILNS1_3genE2ELNS1_11target_archE906ELNS1_3gpuE6ELNS1_3repE0EEENS1_30default_config_static_selectorELNS0_4arch9wavefront6targetE0EEEvT1_,"axG",@progbits,_ZN7rocprim17ROCPRIM_400000_NS6detail17trampoline_kernelINS0_14default_configENS1_25partition_config_selectorILNS1_17partition_subalgoE9EffbEEZZNS1_14partition_implILS5_9ELb0ES3_jN6thrust23THRUST_200600_302600_NS6detail15normal_iteratorINS9_10device_ptrIfEEEESE_PNS0_10empty_typeENS0_5tupleIJSE_SF_EEENSH_IJSE_SG_EEENS0_18inequality_wrapperINS9_8equal_toIfEEEEPmJSF_EEE10hipError_tPvRmT3_T4_T5_T6_T7_T9_mT8_P12ihipStream_tbDpT10_ENKUlT_T0_E_clISt17integral_constantIbLb0EES17_IbLb1EEEEDaS13_S14_EUlS13_E_NS1_11comp_targetILNS1_3genE2ELNS1_11target_archE906ELNS1_3gpuE6ELNS1_3repE0EEENS1_30default_config_static_selectorELNS0_4arch9wavefront6targetE0EEEvT1_,comdat
.Lfunc_end108:
	.size	_ZN7rocprim17ROCPRIM_400000_NS6detail17trampoline_kernelINS0_14default_configENS1_25partition_config_selectorILNS1_17partition_subalgoE9EffbEEZZNS1_14partition_implILS5_9ELb0ES3_jN6thrust23THRUST_200600_302600_NS6detail15normal_iteratorINS9_10device_ptrIfEEEESE_PNS0_10empty_typeENS0_5tupleIJSE_SF_EEENSH_IJSE_SG_EEENS0_18inequality_wrapperINS9_8equal_toIfEEEEPmJSF_EEE10hipError_tPvRmT3_T4_T5_T6_T7_T9_mT8_P12ihipStream_tbDpT10_ENKUlT_T0_E_clISt17integral_constantIbLb0EES17_IbLb1EEEEDaS13_S14_EUlS13_E_NS1_11comp_targetILNS1_3genE2ELNS1_11target_archE906ELNS1_3gpuE6ELNS1_3repE0EEENS1_30default_config_static_selectorELNS0_4arch9wavefront6targetE0EEEvT1_, .Lfunc_end108-_ZN7rocprim17ROCPRIM_400000_NS6detail17trampoline_kernelINS0_14default_configENS1_25partition_config_selectorILNS1_17partition_subalgoE9EffbEEZZNS1_14partition_implILS5_9ELb0ES3_jN6thrust23THRUST_200600_302600_NS6detail15normal_iteratorINS9_10device_ptrIfEEEESE_PNS0_10empty_typeENS0_5tupleIJSE_SF_EEENSH_IJSE_SG_EEENS0_18inequality_wrapperINS9_8equal_toIfEEEEPmJSF_EEE10hipError_tPvRmT3_T4_T5_T6_T7_T9_mT8_P12ihipStream_tbDpT10_ENKUlT_T0_E_clISt17integral_constantIbLb0EES17_IbLb1EEEEDaS13_S14_EUlS13_E_NS1_11comp_targetILNS1_3genE2ELNS1_11target_archE906ELNS1_3gpuE6ELNS1_3repE0EEENS1_30default_config_static_selectorELNS0_4arch9wavefront6targetE0EEEvT1_
                                        ; -- End function
	.section	.AMDGPU.csdata,"",@progbits
; Kernel info:
; codeLenInByte = 0
; NumSgprs: 0
; NumVgprs: 0
; ScratchSize: 0
; MemoryBound: 0
; FloatMode: 240
; IeeeMode: 1
; LDSByteSize: 0 bytes/workgroup (compile time only)
; SGPRBlocks: 0
; VGPRBlocks: 0
; NumSGPRsForWavesPerEU: 1
; NumVGPRsForWavesPerEU: 1
; Occupancy: 16
; WaveLimiterHint : 0
; COMPUTE_PGM_RSRC2:SCRATCH_EN: 0
; COMPUTE_PGM_RSRC2:USER_SGPR: 15
; COMPUTE_PGM_RSRC2:TRAP_HANDLER: 0
; COMPUTE_PGM_RSRC2:TGID_X_EN: 1
; COMPUTE_PGM_RSRC2:TGID_Y_EN: 0
; COMPUTE_PGM_RSRC2:TGID_Z_EN: 0
; COMPUTE_PGM_RSRC2:TIDIG_COMP_CNT: 0
	.section	.text._ZN7rocprim17ROCPRIM_400000_NS6detail17trampoline_kernelINS0_14default_configENS1_25partition_config_selectorILNS1_17partition_subalgoE9EffbEEZZNS1_14partition_implILS5_9ELb0ES3_jN6thrust23THRUST_200600_302600_NS6detail15normal_iteratorINS9_10device_ptrIfEEEESE_PNS0_10empty_typeENS0_5tupleIJSE_SF_EEENSH_IJSE_SG_EEENS0_18inequality_wrapperINS9_8equal_toIfEEEEPmJSF_EEE10hipError_tPvRmT3_T4_T5_T6_T7_T9_mT8_P12ihipStream_tbDpT10_ENKUlT_T0_E_clISt17integral_constantIbLb0EES17_IbLb1EEEEDaS13_S14_EUlS13_E_NS1_11comp_targetILNS1_3genE10ELNS1_11target_archE1200ELNS1_3gpuE4ELNS1_3repE0EEENS1_30default_config_static_selectorELNS0_4arch9wavefront6targetE0EEEvT1_,"axG",@progbits,_ZN7rocprim17ROCPRIM_400000_NS6detail17trampoline_kernelINS0_14default_configENS1_25partition_config_selectorILNS1_17partition_subalgoE9EffbEEZZNS1_14partition_implILS5_9ELb0ES3_jN6thrust23THRUST_200600_302600_NS6detail15normal_iteratorINS9_10device_ptrIfEEEESE_PNS0_10empty_typeENS0_5tupleIJSE_SF_EEENSH_IJSE_SG_EEENS0_18inequality_wrapperINS9_8equal_toIfEEEEPmJSF_EEE10hipError_tPvRmT3_T4_T5_T6_T7_T9_mT8_P12ihipStream_tbDpT10_ENKUlT_T0_E_clISt17integral_constantIbLb0EES17_IbLb1EEEEDaS13_S14_EUlS13_E_NS1_11comp_targetILNS1_3genE10ELNS1_11target_archE1200ELNS1_3gpuE4ELNS1_3repE0EEENS1_30default_config_static_selectorELNS0_4arch9wavefront6targetE0EEEvT1_,comdat
	.protected	_ZN7rocprim17ROCPRIM_400000_NS6detail17trampoline_kernelINS0_14default_configENS1_25partition_config_selectorILNS1_17partition_subalgoE9EffbEEZZNS1_14partition_implILS5_9ELb0ES3_jN6thrust23THRUST_200600_302600_NS6detail15normal_iteratorINS9_10device_ptrIfEEEESE_PNS0_10empty_typeENS0_5tupleIJSE_SF_EEENSH_IJSE_SG_EEENS0_18inequality_wrapperINS9_8equal_toIfEEEEPmJSF_EEE10hipError_tPvRmT3_T4_T5_T6_T7_T9_mT8_P12ihipStream_tbDpT10_ENKUlT_T0_E_clISt17integral_constantIbLb0EES17_IbLb1EEEEDaS13_S14_EUlS13_E_NS1_11comp_targetILNS1_3genE10ELNS1_11target_archE1200ELNS1_3gpuE4ELNS1_3repE0EEENS1_30default_config_static_selectorELNS0_4arch9wavefront6targetE0EEEvT1_ ; -- Begin function _ZN7rocprim17ROCPRIM_400000_NS6detail17trampoline_kernelINS0_14default_configENS1_25partition_config_selectorILNS1_17partition_subalgoE9EffbEEZZNS1_14partition_implILS5_9ELb0ES3_jN6thrust23THRUST_200600_302600_NS6detail15normal_iteratorINS9_10device_ptrIfEEEESE_PNS0_10empty_typeENS0_5tupleIJSE_SF_EEENSH_IJSE_SG_EEENS0_18inequality_wrapperINS9_8equal_toIfEEEEPmJSF_EEE10hipError_tPvRmT3_T4_T5_T6_T7_T9_mT8_P12ihipStream_tbDpT10_ENKUlT_T0_E_clISt17integral_constantIbLb0EES17_IbLb1EEEEDaS13_S14_EUlS13_E_NS1_11comp_targetILNS1_3genE10ELNS1_11target_archE1200ELNS1_3gpuE4ELNS1_3repE0EEENS1_30default_config_static_selectorELNS0_4arch9wavefront6targetE0EEEvT1_
	.globl	_ZN7rocprim17ROCPRIM_400000_NS6detail17trampoline_kernelINS0_14default_configENS1_25partition_config_selectorILNS1_17partition_subalgoE9EffbEEZZNS1_14partition_implILS5_9ELb0ES3_jN6thrust23THRUST_200600_302600_NS6detail15normal_iteratorINS9_10device_ptrIfEEEESE_PNS0_10empty_typeENS0_5tupleIJSE_SF_EEENSH_IJSE_SG_EEENS0_18inequality_wrapperINS9_8equal_toIfEEEEPmJSF_EEE10hipError_tPvRmT3_T4_T5_T6_T7_T9_mT8_P12ihipStream_tbDpT10_ENKUlT_T0_E_clISt17integral_constantIbLb0EES17_IbLb1EEEEDaS13_S14_EUlS13_E_NS1_11comp_targetILNS1_3genE10ELNS1_11target_archE1200ELNS1_3gpuE4ELNS1_3repE0EEENS1_30default_config_static_selectorELNS0_4arch9wavefront6targetE0EEEvT1_
	.p2align	8
	.type	_ZN7rocprim17ROCPRIM_400000_NS6detail17trampoline_kernelINS0_14default_configENS1_25partition_config_selectorILNS1_17partition_subalgoE9EffbEEZZNS1_14partition_implILS5_9ELb0ES3_jN6thrust23THRUST_200600_302600_NS6detail15normal_iteratorINS9_10device_ptrIfEEEESE_PNS0_10empty_typeENS0_5tupleIJSE_SF_EEENSH_IJSE_SG_EEENS0_18inequality_wrapperINS9_8equal_toIfEEEEPmJSF_EEE10hipError_tPvRmT3_T4_T5_T6_T7_T9_mT8_P12ihipStream_tbDpT10_ENKUlT_T0_E_clISt17integral_constantIbLb0EES17_IbLb1EEEEDaS13_S14_EUlS13_E_NS1_11comp_targetILNS1_3genE10ELNS1_11target_archE1200ELNS1_3gpuE4ELNS1_3repE0EEENS1_30default_config_static_selectorELNS0_4arch9wavefront6targetE0EEEvT1_,@function
_ZN7rocprim17ROCPRIM_400000_NS6detail17trampoline_kernelINS0_14default_configENS1_25partition_config_selectorILNS1_17partition_subalgoE9EffbEEZZNS1_14partition_implILS5_9ELb0ES3_jN6thrust23THRUST_200600_302600_NS6detail15normal_iteratorINS9_10device_ptrIfEEEESE_PNS0_10empty_typeENS0_5tupleIJSE_SF_EEENSH_IJSE_SG_EEENS0_18inequality_wrapperINS9_8equal_toIfEEEEPmJSF_EEE10hipError_tPvRmT3_T4_T5_T6_T7_T9_mT8_P12ihipStream_tbDpT10_ENKUlT_T0_E_clISt17integral_constantIbLb0EES17_IbLb1EEEEDaS13_S14_EUlS13_E_NS1_11comp_targetILNS1_3genE10ELNS1_11target_archE1200ELNS1_3gpuE4ELNS1_3repE0EEENS1_30default_config_static_selectorELNS0_4arch9wavefront6targetE0EEEvT1_: ; @_ZN7rocprim17ROCPRIM_400000_NS6detail17trampoline_kernelINS0_14default_configENS1_25partition_config_selectorILNS1_17partition_subalgoE9EffbEEZZNS1_14partition_implILS5_9ELb0ES3_jN6thrust23THRUST_200600_302600_NS6detail15normal_iteratorINS9_10device_ptrIfEEEESE_PNS0_10empty_typeENS0_5tupleIJSE_SF_EEENSH_IJSE_SG_EEENS0_18inequality_wrapperINS9_8equal_toIfEEEEPmJSF_EEE10hipError_tPvRmT3_T4_T5_T6_T7_T9_mT8_P12ihipStream_tbDpT10_ENKUlT_T0_E_clISt17integral_constantIbLb0EES17_IbLb1EEEEDaS13_S14_EUlS13_E_NS1_11comp_targetILNS1_3genE10ELNS1_11target_archE1200ELNS1_3gpuE4ELNS1_3repE0EEENS1_30default_config_static_selectorELNS0_4arch9wavefront6targetE0EEEvT1_
; %bb.0:
	.section	.rodata,"a",@progbits
	.p2align	6, 0x0
	.amdhsa_kernel _ZN7rocprim17ROCPRIM_400000_NS6detail17trampoline_kernelINS0_14default_configENS1_25partition_config_selectorILNS1_17partition_subalgoE9EffbEEZZNS1_14partition_implILS5_9ELb0ES3_jN6thrust23THRUST_200600_302600_NS6detail15normal_iteratorINS9_10device_ptrIfEEEESE_PNS0_10empty_typeENS0_5tupleIJSE_SF_EEENSH_IJSE_SG_EEENS0_18inequality_wrapperINS9_8equal_toIfEEEEPmJSF_EEE10hipError_tPvRmT3_T4_T5_T6_T7_T9_mT8_P12ihipStream_tbDpT10_ENKUlT_T0_E_clISt17integral_constantIbLb0EES17_IbLb1EEEEDaS13_S14_EUlS13_E_NS1_11comp_targetILNS1_3genE10ELNS1_11target_archE1200ELNS1_3gpuE4ELNS1_3repE0EEENS1_30default_config_static_selectorELNS0_4arch9wavefront6targetE0EEEvT1_
		.amdhsa_group_segment_fixed_size 0
		.amdhsa_private_segment_fixed_size 0
		.amdhsa_kernarg_size 128
		.amdhsa_user_sgpr_count 15
		.amdhsa_user_sgpr_dispatch_ptr 0
		.amdhsa_user_sgpr_queue_ptr 0
		.amdhsa_user_sgpr_kernarg_segment_ptr 1
		.amdhsa_user_sgpr_dispatch_id 0
		.amdhsa_user_sgpr_private_segment_size 0
		.amdhsa_wavefront_size32 1
		.amdhsa_uses_dynamic_stack 0
		.amdhsa_enable_private_segment 0
		.amdhsa_system_sgpr_workgroup_id_x 1
		.amdhsa_system_sgpr_workgroup_id_y 0
		.amdhsa_system_sgpr_workgroup_id_z 0
		.amdhsa_system_sgpr_workgroup_info 0
		.amdhsa_system_vgpr_workitem_id 0
		.amdhsa_next_free_vgpr 1
		.amdhsa_next_free_sgpr 1
		.amdhsa_reserve_vcc 0
		.amdhsa_float_round_mode_32 0
		.amdhsa_float_round_mode_16_64 0
		.amdhsa_float_denorm_mode_32 3
		.amdhsa_float_denorm_mode_16_64 3
		.amdhsa_dx10_clamp 1
		.amdhsa_ieee_mode 1
		.amdhsa_fp16_overflow 0
		.amdhsa_workgroup_processor_mode 1
		.amdhsa_memory_ordered 1
		.amdhsa_forward_progress 0
		.amdhsa_shared_vgpr_count 0
		.amdhsa_exception_fp_ieee_invalid_op 0
		.amdhsa_exception_fp_denorm_src 0
		.amdhsa_exception_fp_ieee_div_zero 0
		.amdhsa_exception_fp_ieee_overflow 0
		.amdhsa_exception_fp_ieee_underflow 0
		.amdhsa_exception_fp_ieee_inexact 0
		.amdhsa_exception_int_div_zero 0
	.end_amdhsa_kernel
	.section	.text._ZN7rocprim17ROCPRIM_400000_NS6detail17trampoline_kernelINS0_14default_configENS1_25partition_config_selectorILNS1_17partition_subalgoE9EffbEEZZNS1_14partition_implILS5_9ELb0ES3_jN6thrust23THRUST_200600_302600_NS6detail15normal_iteratorINS9_10device_ptrIfEEEESE_PNS0_10empty_typeENS0_5tupleIJSE_SF_EEENSH_IJSE_SG_EEENS0_18inequality_wrapperINS9_8equal_toIfEEEEPmJSF_EEE10hipError_tPvRmT3_T4_T5_T6_T7_T9_mT8_P12ihipStream_tbDpT10_ENKUlT_T0_E_clISt17integral_constantIbLb0EES17_IbLb1EEEEDaS13_S14_EUlS13_E_NS1_11comp_targetILNS1_3genE10ELNS1_11target_archE1200ELNS1_3gpuE4ELNS1_3repE0EEENS1_30default_config_static_selectorELNS0_4arch9wavefront6targetE0EEEvT1_,"axG",@progbits,_ZN7rocprim17ROCPRIM_400000_NS6detail17trampoline_kernelINS0_14default_configENS1_25partition_config_selectorILNS1_17partition_subalgoE9EffbEEZZNS1_14partition_implILS5_9ELb0ES3_jN6thrust23THRUST_200600_302600_NS6detail15normal_iteratorINS9_10device_ptrIfEEEESE_PNS0_10empty_typeENS0_5tupleIJSE_SF_EEENSH_IJSE_SG_EEENS0_18inequality_wrapperINS9_8equal_toIfEEEEPmJSF_EEE10hipError_tPvRmT3_T4_T5_T6_T7_T9_mT8_P12ihipStream_tbDpT10_ENKUlT_T0_E_clISt17integral_constantIbLb0EES17_IbLb1EEEEDaS13_S14_EUlS13_E_NS1_11comp_targetILNS1_3genE10ELNS1_11target_archE1200ELNS1_3gpuE4ELNS1_3repE0EEENS1_30default_config_static_selectorELNS0_4arch9wavefront6targetE0EEEvT1_,comdat
.Lfunc_end109:
	.size	_ZN7rocprim17ROCPRIM_400000_NS6detail17trampoline_kernelINS0_14default_configENS1_25partition_config_selectorILNS1_17partition_subalgoE9EffbEEZZNS1_14partition_implILS5_9ELb0ES3_jN6thrust23THRUST_200600_302600_NS6detail15normal_iteratorINS9_10device_ptrIfEEEESE_PNS0_10empty_typeENS0_5tupleIJSE_SF_EEENSH_IJSE_SG_EEENS0_18inequality_wrapperINS9_8equal_toIfEEEEPmJSF_EEE10hipError_tPvRmT3_T4_T5_T6_T7_T9_mT8_P12ihipStream_tbDpT10_ENKUlT_T0_E_clISt17integral_constantIbLb0EES17_IbLb1EEEEDaS13_S14_EUlS13_E_NS1_11comp_targetILNS1_3genE10ELNS1_11target_archE1200ELNS1_3gpuE4ELNS1_3repE0EEENS1_30default_config_static_selectorELNS0_4arch9wavefront6targetE0EEEvT1_, .Lfunc_end109-_ZN7rocprim17ROCPRIM_400000_NS6detail17trampoline_kernelINS0_14default_configENS1_25partition_config_selectorILNS1_17partition_subalgoE9EffbEEZZNS1_14partition_implILS5_9ELb0ES3_jN6thrust23THRUST_200600_302600_NS6detail15normal_iteratorINS9_10device_ptrIfEEEESE_PNS0_10empty_typeENS0_5tupleIJSE_SF_EEENSH_IJSE_SG_EEENS0_18inequality_wrapperINS9_8equal_toIfEEEEPmJSF_EEE10hipError_tPvRmT3_T4_T5_T6_T7_T9_mT8_P12ihipStream_tbDpT10_ENKUlT_T0_E_clISt17integral_constantIbLb0EES17_IbLb1EEEEDaS13_S14_EUlS13_E_NS1_11comp_targetILNS1_3genE10ELNS1_11target_archE1200ELNS1_3gpuE4ELNS1_3repE0EEENS1_30default_config_static_selectorELNS0_4arch9wavefront6targetE0EEEvT1_
                                        ; -- End function
	.section	.AMDGPU.csdata,"",@progbits
; Kernel info:
; codeLenInByte = 0
; NumSgprs: 0
; NumVgprs: 0
; ScratchSize: 0
; MemoryBound: 0
; FloatMode: 240
; IeeeMode: 1
; LDSByteSize: 0 bytes/workgroup (compile time only)
; SGPRBlocks: 0
; VGPRBlocks: 0
; NumSGPRsForWavesPerEU: 1
; NumVGPRsForWavesPerEU: 1
; Occupancy: 15
; WaveLimiterHint : 0
; COMPUTE_PGM_RSRC2:SCRATCH_EN: 0
; COMPUTE_PGM_RSRC2:USER_SGPR: 15
; COMPUTE_PGM_RSRC2:TRAP_HANDLER: 0
; COMPUTE_PGM_RSRC2:TGID_X_EN: 1
; COMPUTE_PGM_RSRC2:TGID_Y_EN: 0
; COMPUTE_PGM_RSRC2:TGID_Z_EN: 0
; COMPUTE_PGM_RSRC2:TIDIG_COMP_CNT: 0
	.section	.text._ZN7rocprim17ROCPRIM_400000_NS6detail17trampoline_kernelINS0_14default_configENS1_25partition_config_selectorILNS1_17partition_subalgoE9EffbEEZZNS1_14partition_implILS5_9ELb0ES3_jN6thrust23THRUST_200600_302600_NS6detail15normal_iteratorINS9_10device_ptrIfEEEESE_PNS0_10empty_typeENS0_5tupleIJSE_SF_EEENSH_IJSE_SG_EEENS0_18inequality_wrapperINS9_8equal_toIfEEEEPmJSF_EEE10hipError_tPvRmT3_T4_T5_T6_T7_T9_mT8_P12ihipStream_tbDpT10_ENKUlT_T0_E_clISt17integral_constantIbLb0EES17_IbLb1EEEEDaS13_S14_EUlS13_E_NS1_11comp_targetILNS1_3genE9ELNS1_11target_archE1100ELNS1_3gpuE3ELNS1_3repE0EEENS1_30default_config_static_selectorELNS0_4arch9wavefront6targetE0EEEvT1_,"axG",@progbits,_ZN7rocprim17ROCPRIM_400000_NS6detail17trampoline_kernelINS0_14default_configENS1_25partition_config_selectorILNS1_17partition_subalgoE9EffbEEZZNS1_14partition_implILS5_9ELb0ES3_jN6thrust23THRUST_200600_302600_NS6detail15normal_iteratorINS9_10device_ptrIfEEEESE_PNS0_10empty_typeENS0_5tupleIJSE_SF_EEENSH_IJSE_SG_EEENS0_18inequality_wrapperINS9_8equal_toIfEEEEPmJSF_EEE10hipError_tPvRmT3_T4_T5_T6_T7_T9_mT8_P12ihipStream_tbDpT10_ENKUlT_T0_E_clISt17integral_constantIbLb0EES17_IbLb1EEEEDaS13_S14_EUlS13_E_NS1_11comp_targetILNS1_3genE9ELNS1_11target_archE1100ELNS1_3gpuE3ELNS1_3repE0EEENS1_30default_config_static_selectorELNS0_4arch9wavefront6targetE0EEEvT1_,comdat
	.protected	_ZN7rocprim17ROCPRIM_400000_NS6detail17trampoline_kernelINS0_14default_configENS1_25partition_config_selectorILNS1_17partition_subalgoE9EffbEEZZNS1_14partition_implILS5_9ELb0ES3_jN6thrust23THRUST_200600_302600_NS6detail15normal_iteratorINS9_10device_ptrIfEEEESE_PNS0_10empty_typeENS0_5tupleIJSE_SF_EEENSH_IJSE_SG_EEENS0_18inequality_wrapperINS9_8equal_toIfEEEEPmJSF_EEE10hipError_tPvRmT3_T4_T5_T6_T7_T9_mT8_P12ihipStream_tbDpT10_ENKUlT_T0_E_clISt17integral_constantIbLb0EES17_IbLb1EEEEDaS13_S14_EUlS13_E_NS1_11comp_targetILNS1_3genE9ELNS1_11target_archE1100ELNS1_3gpuE3ELNS1_3repE0EEENS1_30default_config_static_selectorELNS0_4arch9wavefront6targetE0EEEvT1_ ; -- Begin function _ZN7rocprim17ROCPRIM_400000_NS6detail17trampoline_kernelINS0_14default_configENS1_25partition_config_selectorILNS1_17partition_subalgoE9EffbEEZZNS1_14partition_implILS5_9ELb0ES3_jN6thrust23THRUST_200600_302600_NS6detail15normal_iteratorINS9_10device_ptrIfEEEESE_PNS0_10empty_typeENS0_5tupleIJSE_SF_EEENSH_IJSE_SG_EEENS0_18inequality_wrapperINS9_8equal_toIfEEEEPmJSF_EEE10hipError_tPvRmT3_T4_T5_T6_T7_T9_mT8_P12ihipStream_tbDpT10_ENKUlT_T0_E_clISt17integral_constantIbLb0EES17_IbLb1EEEEDaS13_S14_EUlS13_E_NS1_11comp_targetILNS1_3genE9ELNS1_11target_archE1100ELNS1_3gpuE3ELNS1_3repE0EEENS1_30default_config_static_selectorELNS0_4arch9wavefront6targetE0EEEvT1_
	.globl	_ZN7rocprim17ROCPRIM_400000_NS6detail17trampoline_kernelINS0_14default_configENS1_25partition_config_selectorILNS1_17partition_subalgoE9EffbEEZZNS1_14partition_implILS5_9ELb0ES3_jN6thrust23THRUST_200600_302600_NS6detail15normal_iteratorINS9_10device_ptrIfEEEESE_PNS0_10empty_typeENS0_5tupleIJSE_SF_EEENSH_IJSE_SG_EEENS0_18inequality_wrapperINS9_8equal_toIfEEEEPmJSF_EEE10hipError_tPvRmT3_T4_T5_T6_T7_T9_mT8_P12ihipStream_tbDpT10_ENKUlT_T0_E_clISt17integral_constantIbLb0EES17_IbLb1EEEEDaS13_S14_EUlS13_E_NS1_11comp_targetILNS1_3genE9ELNS1_11target_archE1100ELNS1_3gpuE3ELNS1_3repE0EEENS1_30default_config_static_selectorELNS0_4arch9wavefront6targetE0EEEvT1_
	.p2align	8
	.type	_ZN7rocprim17ROCPRIM_400000_NS6detail17trampoline_kernelINS0_14default_configENS1_25partition_config_selectorILNS1_17partition_subalgoE9EffbEEZZNS1_14partition_implILS5_9ELb0ES3_jN6thrust23THRUST_200600_302600_NS6detail15normal_iteratorINS9_10device_ptrIfEEEESE_PNS0_10empty_typeENS0_5tupleIJSE_SF_EEENSH_IJSE_SG_EEENS0_18inequality_wrapperINS9_8equal_toIfEEEEPmJSF_EEE10hipError_tPvRmT3_T4_T5_T6_T7_T9_mT8_P12ihipStream_tbDpT10_ENKUlT_T0_E_clISt17integral_constantIbLb0EES17_IbLb1EEEEDaS13_S14_EUlS13_E_NS1_11comp_targetILNS1_3genE9ELNS1_11target_archE1100ELNS1_3gpuE3ELNS1_3repE0EEENS1_30default_config_static_selectorELNS0_4arch9wavefront6targetE0EEEvT1_,@function
_ZN7rocprim17ROCPRIM_400000_NS6detail17trampoline_kernelINS0_14default_configENS1_25partition_config_selectorILNS1_17partition_subalgoE9EffbEEZZNS1_14partition_implILS5_9ELb0ES3_jN6thrust23THRUST_200600_302600_NS6detail15normal_iteratorINS9_10device_ptrIfEEEESE_PNS0_10empty_typeENS0_5tupleIJSE_SF_EEENSH_IJSE_SG_EEENS0_18inequality_wrapperINS9_8equal_toIfEEEEPmJSF_EEE10hipError_tPvRmT3_T4_T5_T6_T7_T9_mT8_P12ihipStream_tbDpT10_ENKUlT_T0_E_clISt17integral_constantIbLb0EES17_IbLb1EEEEDaS13_S14_EUlS13_E_NS1_11comp_targetILNS1_3genE9ELNS1_11target_archE1100ELNS1_3gpuE3ELNS1_3repE0EEENS1_30default_config_static_selectorELNS0_4arch9wavefront6targetE0EEEvT1_: ; @_ZN7rocprim17ROCPRIM_400000_NS6detail17trampoline_kernelINS0_14default_configENS1_25partition_config_selectorILNS1_17partition_subalgoE9EffbEEZZNS1_14partition_implILS5_9ELb0ES3_jN6thrust23THRUST_200600_302600_NS6detail15normal_iteratorINS9_10device_ptrIfEEEESE_PNS0_10empty_typeENS0_5tupleIJSE_SF_EEENSH_IJSE_SG_EEENS0_18inequality_wrapperINS9_8equal_toIfEEEEPmJSF_EEE10hipError_tPvRmT3_T4_T5_T6_T7_T9_mT8_P12ihipStream_tbDpT10_ENKUlT_T0_E_clISt17integral_constantIbLb0EES17_IbLb1EEEEDaS13_S14_EUlS13_E_NS1_11comp_targetILNS1_3genE9ELNS1_11target_archE1100ELNS1_3gpuE3ELNS1_3repE0EEENS1_30default_config_static_selectorELNS0_4arch9wavefront6targetE0EEEvT1_
; %bb.0:
	s_clause 0x4
	s_load_b128 s[4:7], s[0:1], 0x8
	s_load_b64 s[8:9], s[0:1], 0x18
	s_load_b128 s[12:15], s[0:1], 0x40
	s_load_b64 s[10:11], s[0:1], 0x50
	s_load_b64 s[20:21], s[0:1], 0x60
	v_cmp_ne_u32_e64 s3, 0, v0
	v_cmp_eq_u32_e64 s2, 0, v0
	s_delay_alu instid0(VALU_DEP_1)
	s_and_saveexec_b32 s16, s2
	s_cbranch_execz .LBB110_4
; %bb.1:
	s_mov_b32 s18, exec_lo
	s_mov_b32 s17, exec_lo
	v_mbcnt_lo_u32_b32 v1, s18, 0
                                        ; implicit-def: $vgpr2
	s_delay_alu instid0(VALU_DEP_1)
	v_cmpx_eq_u32_e32 0, v1
	s_cbranch_execz .LBB110_3
; %bb.2:
	s_load_b64 s[22:23], s[0:1], 0x70
	s_bcnt1_i32_b32 s18, s18
	s_delay_alu instid0(SALU_CYCLE_1)
	v_dual_mov_b32 v2, 0 :: v_dual_mov_b32 v3, s18
	s_waitcnt lgkmcnt(0)
	global_atomic_add_u32 v2, v2, v3, s[22:23] glc
.LBB110_3:
	s_or_b32 exec_lo, exec_lo, s17
	s_waitcnt vmcnt(0)
	v_readfirstlane_b32 s17, v2
	s_delay_alu instid0(VALU_DEP_1)
	v_dual_mov_b32 v2, 0 :: v_dual_add_nc_u32 v1, s17, v1
	ds_store_b32 v2, v1
.LBB110_4:
	s_or_b32 exec_lo, exec_lo, s16
	v_dual_mov_b32 v1, 0 :: v_dual_add_nc_u32 v22, 0x300, v0
	s_clause 0x1
	s_load_b128 s[16:19], s[0:1], 0x28
	s_load_b32 s0, s[0:1], 0x68
	s_waitcnt lgkmcnt(0)
	s_barrier
	buffer_gl0_inv
	ds_load_b32 v3, v1
	s_waitcnt lgkmcnt(0)
	s_barrier
	buffer_gl0_inv
	global_load_b64 v[1:2], v1, s[14:15]
	s_lshl_b64 s[14:15], s[6:7], 2
	s_mov_b32 s1, 0
	s_add_u32 s27, s4, s14
	s_addc_u32 s28, s5, s15
	v_lshrrev_b32_e32 v20, 3, v0
	v_add_nc_u32_e32 v25, 0x180, v0
	v_add_nc_u32_e32 v21, 0x480, v0
	v_or_b32_e32 v23, 0x600, v0
	v_add_nc_u32_e32 v18, 0x780, v0
	v_add_nc_u32_e32 v17, 0x900, v0
	;; [unrolled: 1-line block ×3, first 2 shown]
	s_mul_i32 s22, s0, 0xc00
	s_add_i32 s0, s0, -1
	s_add_i32 s4, s22, s6
	s_delay_alu instid0(SALU_CYCLE_1) | instskip(SKIP_4) | instid1(SALU_CYCLE_1)
	s_sub_i32 s25, s10, s4
	v_readfirstlane_b32 s24, v3
	s_addk_i32 s25, 0xc00
	s_add_u32 s4, s6, s22
	s_addc_u32 s5, s7, 0
	v_cmp_ge_u64_e64 s4, s[4:5], s[10:11]
	s_cmp_eq_u32 s24, s0
	s_mul_i32 s0, s24, 0xc00
	s_cselect_b32 s22, -1, 0
	s_delay_alu instid0(VALU_DEP_1) | instid1(SALU_CYCLE_1)
	s_and_b32 s26, s4, s22
	s_lshl_b64 s[4:5], s[0:1], 2
	s_xor_b32 s23, s26, -1
	s_add_u32 s27, s27, s4
	s_addc_u32 s1, s28, s5
	s_and_b32 vcc_lo, exec_lo, s23
	s_mov_b32 s28, -1
	s_waitcnt vmcnt(0)
	v_readfirstlane_b32 s10, v1
	v_readfirstlane_b32 s11, v2
	s_cbranch_vccz .LBB110_6
; %bb.5:
	v_lshlrev_b32_e32 v7, 2, v0
	v_lshrrev_b32_e32 v11, 3, v25
	v_lshrrev_b32_e32 v12, 3, v22
	;; [unrolled: 1-line block ×4, first 2 shown]
	v_add_co_u32 v1, s0, s27, v7
	s_delay_alu instid0(VALU_DEP_1) | instskip(SKIP_1) | instid1(VALU_DEP_3)
	v_add_co_ci_u32_e64 v2, null, s1, 0, s0
	v_lshrrev_b32_e32 v15, 3, v18
	v_add_co_u32 v3, vcc_lo, 0x1000, v1
	s_delay_alu instid0(VALU_DEP_3)
	v_add_co_ci_u32_e32 v4, vcc_lo, 0, v2, vcc_lo
	v_add_co_u32 v5, vcc_lo, 0x2000, v1
	v_add_co_ci_u32_e32 v6, vcc_lo, 0, v2, vcc_lo
	s_clause 0x7
	flat_load_b32 v8, v[1:2]
	flat_load_b32 v9, v[1:2] offset:1536
	flat_load_b32 v1, v[1:2] offset:3072
	;; [unrolled: 1-line block ×7, first 2 shown]
	v_and_b32_e32 v6, 60, v20
	v_lshrrev_b32_e32 v16, 3, v17
	v_lshrrev_b32_e32 v19, 3, v24
	v_and_b32_e32 v11, 0x7c, v11
	v_and_b32_e32 v12, 0xfc, v12
	v_and_b32_e32 v13, 0xfc, v13
	v_and_b32_e32 v14, 0xfc, v14
	v_add_nc_u32_e32 v6, v6, v7
	v_and_b32_e32 v15, 0x1fc, v15
	v_and_b32_e32 v16, 0x17c, v16
	;; [unrolled: 1-line block ×3, first 2 shown]
	v_add_nc_u32_e32 v11, v11, v7
	v_add_nc_u32_e32 v12, v12, v7
	;; [unrolled: 1-line block ×4, first 2 shown]
	s_mov_b32 s28, 0
	v_add_nc_u32_e32 v15, v15, v7
	v_add_nc_u32_e32 v16, v16, v7
	;; [unrolled: 1-line block ×3, first 2 shown]
	s_waitcnt vmcnt(7) lgkmcnt(7)
	ds_store_b32 v6, v8
	s_waitcnt vmcnt(6) lgkmcnt(7)
	ds_store_b32 v11, v9 offset:1536
	s_waitcnt vmcnt(5) lgkmcnt(7)
	ds_store_b32 v12, v1 offset:3072
	;; [unrolled: 2-line block ×7, first 2 shown]
	s_waitcnt lgkmcnt(0)
	s_barrier
.LBB110_6:
	v_cmp_gt_u32_e64 s0, s25, v0
	s_and_not1_b32 vcc_lo, exec_lo, s28
	s_cbranch_vccnz .LBB110_24
; %bb.7:
                                        ; implicit-def: $vgpr1_vgpr2_vgpr3_vgpr4_vgpr5_vgpr6_vgpr7_vgpr8
	s_delay_alu instid0(VALU_DEP_1)
	s_and_saveexec_b32 s28, s0
	s_cbranch_execz .LBB110_15
; %bb.8:
	v_lshlrev_b32_e32 v1, 2, v0
	s_delay_alu instid0(VALU_DEP_1) | instskip(NEXT) | instid1(VALU_DEP_1)
	v_add_co_u32 v1, s0, s27, v1
	v_add_co_ci_u32_e64 v2, null, s1, 0, s0
	flat_load_b32 v1, v[1:2]
	s_or_b32 exec_lo, exec_lo, s28
	s_delay_alu instid0(SALU_CYCLE_1)
	s_mov_b32 s0, exec_lo
	v_cmpx_gt_u32_e64 s25, v25
	s_cbranch_execnz .LBB110_16
.LBB110_9:
	s_or_b32 exec_lo, exec_lo, s0
	s_delay_alu instid0(SALU_CYCLE_1)
	s_mov_b32 s0, exec_lo
	v_cmpx_gt_u32_e64 s25, v22
	s_cbranch_execz .LBB110_17
.LBB110_10:
	v_lshlrev_b32_e32 v3, 2, v0
	s_delay_alu instid0(VALU_DEP_1) | instskip(NEXT) | instid1(VALU_DEP_1)
	v_add_co_u32 v9, s28, s27, v3
	v_add_co_ci_u32_e64 v10, null, s1, 0, s28
	flat_load_b32 v3, v[9:10] offset:3072
	s_or_b32 exec_lo, exec_lo, s0
	s_delay_alu instid0(SALU_CYCLE_1)
	s_mov_b32 s0, exec_lo
	v_cmpx_gt_u32_e64 s25, v21
	s_cbranch_execnz .LBB110_18
.LBB110_11:
	s_or_b32 exec_lo, exec_lo, s0
	s_delay_alu instid0(SALU_CYCLE_1)
	s_mov_b32 s0, exec_lo
	v_cmpx_gt_u32_e64 s25, v23
	s_cbranch_execz .LBB110_19
.LBB110_12:
	v_lshlrev_b32_e32 v5, 2, v23
	s_delay_alu instid0(VALU_DEP_1) | instskip(NEXT) | instid1(VALU_DEP_1)
	v_add_co_u32 v9, s28, s27, v5
	v_add_co_ci_u32_e64 v10, null, s1, 0, s28
	flat_load_b32 v5, v[9:10]
	s_or_b32 exec_lo, exec_lo, s0
	s_delay_alu instid0(SALU_CYCLE_1)
	s_mov_b32 s0, exec_lo
	v_cmpx_gt_u32_e64 s25, v18
	s_cbranch_execnz .LBB110_20
.LBB110_13:
	s_or_b32 exec_lo, exec_lo, s0
	s_delay_alu instid0(SALU_CYCLE_1)
	s_mov_b32 s0, exec_lo
	v_cmpx_gt_u32_e64 s25, v17
	s_cbranch_execz .LBB110_21
.LBB110_14:
	v_lshlrev_b32_e32 v7, 2, v17
	s_delay_alu instid0(VALU_DEP_1) | instskip(NEXT) | instid1(VALU_DEP_1)
	v_add_co_u32 v9, s28, s27, v7
	v_add_co_ci_u32_e64 v10, null, s1, 0, s28
	flat_load_b32 v7, v[9:10]
	s_or_b32 exec_lo, exec_lo, s0
	s_delay_alu instid0(SALU_CYCLE_1)
	s_mov_b32 s0, exec_lo
	v_cmpx_gt_u32_e64 s25, v24
	s_cbranch_execnz .LBB110_22
	s_branch .LBB110_23
.LBB110_15:
	s_or_b32 exec_lo, exec_lo, s28
	s_delay_alu instid0(SALU_CYCLE_1)
	s_mov_b32 s0, exec_lo
	v_cmpx_gt_u32_e64 s25, v25
	s_cbranch_execz .LBB110_9
.LBB110_16:
	v_lshlrev_b32_e32 v2, 2, v0
	s_delay_alu instid0(VALU_DEP_1) | instskip(NEXT) | instid1(VALU_DEP_1)
	v_add_co_u32 v9, s28, s27, v2
	v_add_co_ci_u32_e64 v10, null, s1, 0, s28
	flat_load_b32 v2, v[9:10] offset:1536
	s_or_b32 exec_lo, exec_lo, s0
	s_delay_alu instid0(SALU_CYCLE_1)
	s_mov_b32 s0, exec_lo
	v_cmpx_gt_u32_e64 s25, v22
	s_cbranch_execnz .LBB110_10
.LBB110_17:
	s_or_b32 exec_lo, exec_lo, s0
	s_delay_alu instid0(SALU_CYCLE_1)
	s_mov_b32 s0, exec_lo
	v_cmpx_gt_u32_e64 s25, v21
	s_cbranch_execz .LBB110_11
.LBB110_18:
	v_lshlrev_b32_e32 v4, 2, v21
	s_delay_alu instid0(VALU_DEP_1) | instskip(NEXT) | instid1(VALU_DEP_1)
	v_add_co_u32 v9, s28, s27, v4
	v_add_co_ci_u32_e64 v10, null, s1, 0, s28
	flat_load_b32 v4, v[9:10]
	s_or_b32 exec_lo, exec_lo, s0
	s_delay_alu instid0(SALU_CYCLE_1)
	s_mov_b32 s0, exec_lo
	v_cmpx_gt_u32_e64 s25, v23
	s_cbranch_execnz .LBB110_12
.LBB110_19:
	s_or_b32 exec_lo, exec_lo, s0
	s_delay_alu instid0(SALU_CYCLE_1)
	s_mov_b32 s0, exec_lo
	v_cmpx_gt_u32_e64 s25, v18
	s_cbranch_execz .LBB110_13
.LBB110_20:
	v_lshlrev_b32_e32 v6, 2, v18
	s_delay_alu instid0(VALU_DEP_1) | instskip(NEXT) | instid1(VALU_DEP_1)
	v_add_co_u32 v9, s28, s27, v6
	v_add_co_ci_u32_e64 v10, null, s1, 0, s28
	flat_load_b32 v6, v[9:10]
	s_or_b32 exec_lo, exec_lo, s0
	s_delay_alu instid0(SALU_CYCLE_1)
	s_mov_b32 s0, exec_lo
	v_cmpx_gt_u32_e64 s25, v17
	s_cbranch_execnz .LBB110_14
.LBB110_21:
	s_or_b32 exec_lo, exec_lo, s0
	s_delay_alu instid0(SALU_CYCLE_1)
	s_mov_b32 s0, exec_lo
	v_cmpx_gt_u32_e64 s25, v24
	s_cbranch_execz .LBB110_23
.LBB110_22:
	v_lshlrev_b32_e32 v8, 2, v24
	s_delay_alu instid0(VALU_DEP_1) | instskip(NEXT) | instid1(VALU_DEP_1)
	v_add_co_u32 v8, s28, s27, v8
	v_add_co_ci_u32_e64 v9, null, s1, 0, s28
	flat_load_b32 v8, v[8:9]
.LBB110_23:
	s_or_b32 exec_lo, exec_lo, s0
	v_lshrrev_b32_e32 v9, 3, v25
	v_lshrrev_b32_e32 v10, 3, v22
	;; [unrolled: 1-line block ×4, first 2 shown]
	v_and_b32_e32 v11, 60, v20
	v_lshlrev_b32_e32 v12, 2, v0
	v_lshrrev_b32_e32 v15, 3, v18
	v_lshrrev_b32_e32 v16, 3, v17
	;; [unrolled: 1-line block ×3, first 2 shown]
	v_and_b32_e32 v9, 0x7c, v9
	v_and_b32_e32 v10, 0xfc, v10
	;; [unrolled: 1-line block ×4, first 2 shown]
	v_add_nc_u32_e32 v11, v11, v12
	v_and_b32_e32 v15, 0x1fc, v15
	v_and_b32_e32 v16, 0x1fc, v16
	;; [unrolled: 1-line block ×3, first 2 shown]
	v_add_nc_u32_e32 v9, v9, v12
	v_add_nc_u32_e32 v10, v10, v12
	;; [unrolled: 1-line block ×7, first 2 shown]
	s_waitcnt vmcnt(0) lgkmcnt(0)
	ds_store_b32 v11, v1
	ds_store_b32 v9, v2 offset:1536
	ds_store_b32 v10, v3 offset:3072
	;; [unrolled: 1-line block ×7, first 2 shown]
	s_waitcnt lgkmcnt(0)
	s_barrier
.LBB110_24:
	v_lshlrev_b32_e32 v19, 3, v0
	v_lshrrev_b32_e32 v1, 2, v0
	buffer_gl0_inv
	s_add_u32 s0, s8, s14
	s_addc_u32 s8, s9, s15
	s_add_u32 s0, s0, s4
	v_add_lshl_u32 v1, v1, v19, 2
	s_addc_u32 s4, s8, s5
	s_and_b32 vcc_lo, exec_lo, s23
	s_mov_b32 s5, -1
	ds_load_2addr_b32 v[15:16], v1 offset1:1
	ds_load_2addr_b32 v[13:14], v1 offset0:2 offset1:3
	ds_load_2addr_b32 v[11:12], v1 offset0:4 offset1:5
	ds_load_2addr_b32 v[9:10], v1 offset0:6 offset1:7
	s_waitcnt lgkmcnt(0)
	s_barrier
	buffer_gl0_inv
	s_cbranch_vccz .LBB110_26
; %bb.25:
	v_lshlrev_b32_e32 v8, 2, v0
	v_lshrrev_b32_e32 v29, 3, v25
	v_lshrrev_b32_e32 v30, 3, v22
	;; [unrolled: 1-line block ×4, first 2 shown]
	v_add_co_u32 v2, s5, s0, v8
	s_delay_alu instid0(VALU_DEP_1) | instskip(SKIP_1) | instid1(VALU_DEP_3)
	v_add_co_ci_u32_e64 v3, null, s4, 0, s5
	v_lshrrev_b32_e32 v33, 3, v18
	v_add_co_u32 v4, vcc_lo, 0x1000, v2
	s_delay_alu instid0(VALU_DEP_3)
	v_add_co_ci_u32_e32 v5, vcc_lo, 0, v3, vcc_lo
	v_add_co_u32 v6, vcc_lo, 0x2000, v2
	v_add_co_ci_u32_e32 v7, vcc_lo, 0, v3, vcc_lo
	s_clause 0x7
	flat_load_b32 v26, v[2:3]
	flat_load_b32 v27, v[2:3] offset:1536
	flat_load_b32 v2, v[2:3] offset:3072
	flat_load_b32 v3, v[4:5] offset:512
	flat_load_b32 v28, v[4:5] offset:2048
	flat_load_b32 v4, v[4:5] offset:3584
	flat_load_b32 v5, v[6:7] offset:1024
	flat_load_b32 v6, v[6:7] offset:2560
	v_and_b32_e32 v7, 60, v20
	v_lshrrev_b32_e32 v34, 3, v17
	v_lshrrev_b32_e32 v35, 3, v24
	v_and_b32_e32 v29, 0x7c, v29
	v_and_b32_e32 v30, 0xfc, v30
	;; [unrolled: 1-line block ×4, first 2 shown]
	v_add_nc_u32_e32 v7, v7, v8
	v_and_b32_e32 v33, 0x1fc, v33
	v_and_b32_e32 v34, 0x17c, v34
	;; [unrolled: 1-line block ×3, first 2 shown]
	v_add_nc_u32_e32 v29, v29, v8
	v_add_nc_u32_e32 v30, v30, v8
	v_add_nc_u32_e32 v31, v31, v8
	v_add_nc_u32_e32 v32, v32, v8
	s_mov_b32 s5, 0
	v_add_nc_u32_e32 v33, v33, v8
	v_add_nc_u32_e32 v34, v34, v8
	;; [unrolled: 1-line block ×3, first 2 shown]
	s_waitcnt vmcnt(7) lgkmcnt(7)
	ds_store_b32 v7, v26
	s_waitcnt vmcnt(6) lgkmcnt(7)
	ds_store_b32 v29, v27 offset:1536
	s_waitcnt vmcnt(5) lgkmcnt(7)
	ds_store_b32 v30, v2 offset:3072
	;; [unrolled: 2-line block ×7, first 2 shown]
	s_waitcnt lgkmcnt(0)
	s_barrier
.LBB110_26:
	s_and_not1_b32 vcc_lo, exec_lo, s5
	s_cbranch_vccnz .LBB110_44
; %bb.27:
	s_mov_b32 s5, exec_lo
                                        ; implicit-def: $vgpr2
	v_cmpx_gt_u32_e64 s25, v0
	s_cbranch_execz .LBB110_29
; %bb.28:
	v_lshlrev_b32_e32 v2, 2, v0
	s_delay_alu instid0(VALU_DEP_1) | instskip(NEXT) | instid1(VALU_DEP_1)
	v_add_co_u32 v2, s8, s0, v2
	v_add_co_ci_u32_e64 v3, null, s4, 0, s8
	flat_load_b32 v2, v[2:3]
.LBB110_29:
	s_or_b32 exec_lo, exec_lo, s5
	s_delay_alu instid0(SALU_CYCLE_1)
	s_mov_b32 s5, exec_lo
                                        ; implicit-def: $vgpr3
	v_cmpx_gt_u32_e64 s25, v25
	s_cbranch_execz .LBB110_31
; %bb.30:
	v_lshlrev_b32_e32 v3, 2, v0
	s_delay_alu instid0(VALU_DEP_1) | instskip(NEXT) | instid1(VALU_DEP_1)
	v_add_co_u32 v3, s8, s0, v3
	v_add_co_ci_u32_e64 v4, null, s4, 0, s8
	flat_load_b32 v3, v[3:4] offset:1536
.LBB110_31:
	s_or_b32 exec_lo, exec_lo, s5
	s_delay_alu instid0(SALU_CYCLE_1)
	s_mov_b32 s5, exec_lo
                                        ; implicit-def: $vgpr4
	v_cmpx_gt_u32_e64 s25, v22
	s_cbranch_execz .LBB110_33
; %bb.32:
	v_lshlrev_b32_e32 v4, 2, v0
	s_delay_alu instid0(VALU_DEP_1) | instskip(NEXT) | instid1(VALU_DEP_1)
	v_add_co_u32 v4, s8, s0, v4
	v_add_co_ci_u32_e64 v5, null, s4, 0, s8
	flat_load_b32 v4, v[4:5] offset:3072
.LBB110_33:
	s_or_b32 exec_lo, exec_lo, s5
	s_delay_alu instid0(SALU_CYCLE_1)
	s_mov_b32 s5, exec_lo
                                        ; implicit-def: $vgpr5
	v_cmpx_gt_u32_e64 s25, v21
	s_cbranch_execz .LBB110_35
; %bb.34:
	v_lshlrev_b32_e32 v5, 2, v21
	s_delay_alu instid0(VALU_DEP_1) | instskip(NEXT) | instid1(VALU_DEP_1)
	v_add_co_u32 v5, s8, s0, v5
	v_add_co_ci_u32_e64 v6, null, s4, 0, s8
	flat_load_b32 v5, v[5:6]
.LBB110_35:
	s_or_b32 exec_lo, exec_lo, s5
	s_delay_alu instid0(SALU_CYCLE_1)
	s_mov_b32 s5, exec_lo
                                        ; implicit-def: $vgpr6
	v_cmpx_gt_u32_e64 s25, v23
	s_cbranch_execz .LBB110_37
; %bb.36:
	v_lshlrev_b32_e32 v6, 2, v23
	s_delay_alu instid0(VALU_DEP_1) | instskip(NEXT) | instid1(VALU_DEP_1)
	v_add_co_u32 v6, s8, s0, v6
	v_add_co_ci_u32_e64 v7, null, s4, 0, s8
	flat_load_b32 v6, v[6:7]
.LBB110_37:
	s_or_b32 exec_lo, exec_lo, s5
	s_delay_alu instid0(SALU_CYCLE_1)
	s_mov_b32 s5, exec_lo
                                        ; implicit-def: $vgpr7
	v_cmpx_gt_u32_e64 s25, v18
	s_cbranch_execz .LBB110_39
; %bb.38:
	v_lshlrev_b32_e32 v7, 2, v18
	s_delay_alu instid0(VALU_DEP_1) | instskip(NEXT) | instid1(VALU_DEP_1)
	v_add_co_u32 v7, s8, s0, v7
	v_add_co_ci_u32_e64 v8, null, s4, 0, s8
	flat_load_b32 v7, v[7:8]
.LBB110_39:
	s_or_b32 exec_lo, exec_lo, s5
	s_delay_alu instid0(SALU_CYCLE_1)
	s_mov_b32 s5, exec_lo
                                        ; implicit-def: $vgpr8
	v_cmpx_gt_u32_e64 s25, v17
	s_cbranch_execz .LBB110_41
; %bb.40:
	v_lshlrev_b32_e32 v8, 2, v17
	s_delay_alu instid0(VALU_DEP_1) | instskip(NEXT) | instid1(VALU_DEP_1)
	v_add_co_u32 v26, s8, s0, v8
	v_add_co_ci_u32_e64 v27, null, s4, 0, s8
	flat_load_b32 v8, v[26:27]
.LBB110_41:
	s_or_b32 exec_lo, exec_lo, s5
	s_delay_alu instid0(SALU_CYCLE_1)
	s_mov_b32 s5, exec_lo
                                        ; implicit-def: $vgpr26
	v_cmpx_gt_u32_e64 s25, v24
	s_cbranch_execz .LBB110_43
; %bb.42:
	v_lshlrev_b32_e32 v26, 2, v24
	s_delay_alu instid0(VALU_DEP_1) | instskip(NEXT) | instid1(VALU_DEP_1)
	v_add_co_u32 v26, s0, s0, v26
	v_add_co_ci_u32_e64 v27, null, s4, 0, s0
	flat_load_b32 v26, v[26:27]
.LBB110_43:
	s_or_b32 exec_lo, exec_lo, s5
	v_lshrrev_b32_e32 v25, 3, v25
	v_lshrrev_b32_e32 v22, 3, v22
	;; [unrolled: 1-line block ×4, first 2 shown]
	v_and_b32_e32 v20, 60, v20
	v_lshlrev_b32_e32 v27, 2, v0
	v_lshrrev_b32_e32 v18, 3, v18
	v_lshrrev_b32_e32 v17, 3, v17
	;; [unrolled: 1-line block ×3, first 2 shown]
	v_and_b32_e32 v25, 0x7c, v25
	v_and_b32_e32 v22, 0xfc, v22
	;; [unrolled: 1-line block ×4, first 2 shown]
	v_add_nc_u32_e32 v20, v20, v27
	v_and_b32_e32 v18, 0x1fc, v18
	v_and_b32_e32 v17, 0x1fc, v17
	;; [unrolled: 1-line block ×3, first 2 shown]
	v_add_nc_u32_e32 v25, v25, v27
	v_add_nc_u32_e32 v22, v22, v27
	;; [unrolled: 1-line block ×7, first 2 shown]
	s_waitcnt vmcnt(0) lgkmcnt(0)
	ds_store_b32 v20, v2
	ds_store_b32 v25, v3 offset:1536
	ds_store_b32 v22, v4 offset:3072
	;; [unrolled: 1-line block ×7, first 2 shown]
	s_waitcnt lgkmcnt(0)
	s_barrier
.LBB110_44:
	buffer_gl0_inv
	ds_load_2addr_b32 v[7:8], v1 offset1:1
	ds_load_2addr_b32 v[5:6], v1 offset0:2 offset1:3
	ds_load_2addr_b32 v[3:4], v1 offset0:4 offset1:5
	;; [unrolled: 1-line block ×3, first 2 shown]
	s_cmp_lg_u32 s24, 0
	s_mov_b32 s14, 0
	s_cselect_b32 s9, -1, 0
	s_cmp_lg_u64 s[6:7], 0
	s_waitcnt lgkmcnt(0)
	s_cselect_b32 s0, -1, 0
	s_barrier
	s_or_b32 s0, s0, s9
	buffer_gl0_inv
	s_and_b32 vcc_lo, exec_lo, s0
	s_cbranch_vccz .LBB110_49
; %bb.45:
	v_add_co_u32 v17, s0, -4, s27
	s_delay_alu instid0(VALU_DEP_1)
	v_add_co_ci_u32_e64 v18, null, -1, s1, s0
	v_lshlrev_b32_e32 v21, 2, v0
	s_mov_b32 s1, -1
	s_and_b32 vcc_lo, exec_lo, s23
	flat_load_b32 v20, v[17:18]
	ds_store_b32 v21, v10
	s_cbranch_vccz .LBB110_50
; %bb.46:
	s_waitcnt vmcnt(0) lgkmcnt(1)
	v_mov_b32_e32 v17, v20
	s_waitcnt lgkmcnt(0)
	s_barrier
	buffer_gl0_inv
	s_and_saveexec_b32 s0, s3
	s_cbranch_execz .LBB110_48
; %bb.47:
	v_add_nc_u32_e32 v17, -4, v21
	ds_load_b32 v17, v17
.LBB110_48:
	s_or_b32 exec_lo, exec_lo, s0
	v_cmp_neq_f32_e32 vcc_lo, v9, v10
	s_waitcnt lgkmcnt(0)
	v_cmp_neq_f32_e64 s0, v17, v15
	v_cndmask_b32_e64 v18, 0, 1, vcc_lo
	v_cmp_neq_f32_e32 vcc_lo, v12, v9
	s_delay_alu instid0(VALU_DEP_2) | instskip(SKIP_2) | instid1(VALU_DEP_2)
	v_lshlrev_b16 v18, 8, v18
	v_cndmask_b32_e64 v22, 0, 1, vcc_lo
	v_cmp_neq_f32_e32 vcc_lo, v11, v12
	v_or_b32_e32 v18, v22, v18
	v_cndmask_b32_e64 v23, 0, 1, vcc_lo
	v_cmp_neq_f32_e32 vcc_lo, v13, v14
	s_delay_alu instid0(VALU_DEP_3) | instskip(NEXT) | instid1(VALU_DEP_3)
	v_lshlrev_b32_e32 v18, 16, v18
	v_lshlrev_b16 v23, 8, v23
	v_cndmask_b32_e64 v24, 0, 1, vcc_lo
	v_cmp_neq_f32_e32 vcc_lo, v14, v11
	s_delay_alu instid0(VALU_DEP_2) | instskip(SKIP_2) | instid1(VALU_DEP_2)
	v_lshlrev_b16 v24, 8, v24
	v_cndmask_b32_e64 v25, 0, 1, vcc_lo
	v_cmp_neq_f32_e32 vcc_lo, v16, v13
	v_or_b32_e32 v23, v25, v23
	v_cndmask_b32_e64 v26, 0, 1, vcc_lo
	v_cmp_neq_f32_e32 vcc_lo, v15, v16
	s_delay_alu instid0(VALU_DEP_3) | instskip(NEXT) | instid1(VALU_DEP_3)
	v_and_b32_e32 v23, 0xffff, v23
	v_or_b32_e32 v24, v26, v24
	v_cndmask_b32_e64 v27, 0, 1, vcc_lo
	s_delay_alu instid0(VALU_DEP_3) | instskip(NEXT) | instid1(VALU_DEP_3)
	v_or_b32_e32 v18, v23, v18
	v_lshlrev_b32_e32 v22, 16, v24
	s_delay_alu instid0(VALU_DEP_3) | instskip(NEXT) | instid1(VALU_DEP_1)
	v_lshlrev_b16 v26, 8, v27
	v_and_b32_e32 v24, 0xffff, v26
	s_delay_alu instid0(VALU_DEP_1)
	v_or_b32_e32 v17, v24, v22
	s_branch .LBB110_54
.LBB110_49:
                                        ; implicit-def: $sgpr0
                                        ; implicit-def: $vgpr18
	s_branch .LBB110_55
.LBB110_50:
                                        ; implicit-def: $sgpr0
                                        ; implicit-def: $vgpr18
	s_and_b32 vcc_lo, exec_lo, s1
	s_cbranch_vccz .LBB110_54
; %bb.51:
	s_waitcnt vmcnt(0) lgkmcnt(0)
	s_barrier
	buffer_gl0_inv
	s_and_saveexec_b32 s0, s3
	s_cbranch_execz .LBB110_53
; %bb.52:
	v_add_nc_u32_e32 v17, -4, v21
	ds_load_b32 v20, v17
.LBB110_53:
	s_or_b32 exec_lo, exec_lo, s0
	v_or_b32_e32 v17, 7, v19
	v_or_b32_e32 v18, 6, v19
	;; [unrolled: 1-line block ×3, first 2 shown]
	v_cmp_neq_f32_e32 vcc_lo, v9, v10
	v_cmp_neq_f32_e64 s1, v12, v9
	v_cmp_gt_u32_e64 s0, s25, v17
	v_cmp_gt_u32_e64 s5, s25, v18
	v_cmp_neq_f32_e64 s4, v11, v12
	v_cmp_gt_u32_e64 s6, s25, v21
	v_or_b32_e32 v18, 3, v19
	s_and_b32 s0, s0, vcc_lo
	v_or_b32_e32 v22, 4, v19
	v_cndmask_b32_e64 v17, 0, 1, s0
	s_and_b32 s0, s5, s1
	v_cmp_gt_u32_e32 vcc_lo, s25, v18
	v_cndmask_b32_e64 v21, 0, 1, s0
	s_and_b32 s0, s6, s4
	v_or_b32_e32 v18, 2, v19
	v_cndmask_b32_e64 v23, 0, 1, s0
	v_cmp_neq_f32_e64 s0, v13, v14
	v_cmp_gt_u32_e64 s1, s25, v22
	v_or_b32_e32 v22, 1, v19
	v_cmp_neq_f32_e64 s4, v14, v11
	v_cmp_neq_f32_e64 s6, v15, v16
	s_and_b32 s0, vcc_lo, s0
	v_cmp_gt_u32_e32 vcc_lo, s25, v18
	v_cndmask_b32_e64 v24, 0, 1, s0
	v_cmp_neq_f32_e64 s0, v16, v13
	v_cmp_gt_u32_e64 s5, s25, v22
	s_and_b32 s1, s1, s4
	v_lshlrev_b16 v23, 8, v23
	v_cndmask_b32_e64 v18, 0, 1, s1
	s_and_b32 s0, vcc_lo, s0
	v_lshlrev_b16 v24, 8, v24
	v_cndmask_b32_e64 v22, 0, 1, s0
	s_and_b32 s0, s5, s6
	v_lshlrev_b16 v17, 8, v17
	v_cndmask_b32_e64 v25, 0, 1, s0
	v_or_b32_e32 v18, v18, v23
	v_or_b32_e32 v22, v22, v24
	v_cmp_gt_u32_e32 vcc_lo, s25, v19
	v_or_b32_e32 v17, v21, v17
	v_lshlrev_b16 v24, 8, v25
	v_and_b32_e32 v18, 0xffff, v18
	v_lshlrev_b32_e32 v21, 16, v22
	s_waitcnt lgkmcnt(0)
	v_cmp_neq_f32_e64 s0, v20, v15
	v_lshlrev_b32_e32 v23, 16, v17
	v_and_b32_e32 v22, 0xffff, v24
	s_delay_alu instid0(VALU_DEP_3) | instskip(NEXT) | instid1(VALU_DEP_2)
	s_and_b32 s0, vcc_lo, s0
	v_or_b32_e32 v18, v18, v23
	s_delay_alu instid0(VALU_DEP_2)
	v_or_b32_e32 v17, v22, v21
.LBB110_54:
	s_mov_b32 s14, -1
	s_cbranch_execnz .LBB110_63
.LBB110_55:
	s_waitcnt vmcnt(0) lgkmcnt(1)
	v_lshlrev_b32_e32 v20, 2, v0
	v_cmp_neq_f32_e64 s1, v9, v10
	v_cmp_neq_f32_e64 s4, v12, v9
	;; [unrolled: 1-line block ×7, first 2 shown]
	s_and_b32 vcc_lo, exec_lo, s23
	ds_store_b32 v20, v10
	s_cbranch_vccz .LBB110_59
; %bb.56:
	v_cndmask_b32_e64 v17, 0, 1, s1
	v_cndmask_b32_e64 v21, 0, 1, s5
	;; [unrolled: 1-line block ×7, first 2 shown]
	v_lshlrev_b16 v21, 8, v21
	v_lshlrev_b16 v17, 8, v17
	v_lshlrev_b16 v23, 8, v23
	v_lshlrev_b16 v24, 8, v24
	s_waitcnt lgkmcnt(0)
	v_or_b32_e32 v21, v22, v21
	v_or_b32_e32 v17, v18, v17
	;; [unrolled: 1-line block ×4, first 2 shown]
	s_barrier
	v_and_b32_e32 v21, 0xffff, v21
	v_lshlrev_b32_e32 v17, 16, v17
	v_lshlrev_b32_e32 v23, 16, v18
	v_and_b32_e32 v22, 0xffff, v22
	buffer_gl0_inv
                                        ; implicit-def: $sgpr0
	v_or_b32_e32 v18, v21, v17
	v_or_b32_e32 v17, v22, v23
	s_and_saveexec_b32 s1, s3
	s_delay_alu instid0(SALU_CYCLE_1)
	s_xor_b32 s1, exec_lo, s1
	s_cbranch_execz .LBB110_58
; %bb.57:
	v_add_nc_u32_e32 v21, -4, v20
	s_or_b32 s14, s14, exec_lo
	ds_load_b32 v21, v21
	s_waitcnt lgkmcnt(0)
	v_cmp_neq_f32_e32 vcc_lo, v21, v15
	s_and_b32 s0, vcc_lo, exec_lo
.LBB110_58:
	s_or_b32 exec_lo, exec_lo, s1
	s_branch .LBB110_63
.LBB110_59:
                                        ; implicit-def: $sgpr0
                                        ; implicit-def: $vgpr18
	s_cbranch_execz .LBB110_63
; %bb.60:
	v_or_b32_e32 v17, 7, v19
	v_or_b32_e32 v18, 6, v19
	v_cmp_neq_f32_e32 vcc_lo, v9, v10
	v_cmp_neq_f32_e64 s1, v12, v9
	v_or_b32_e32 v21, 5, v19
	v_cmp_gt_u32_e64 s0, s25, v17
	v_cmp_gt_u32_e64 s4, s25, v18
	v_or_b32_e32 v17, 4, v19
	v_or_b32_e32 v22, 3, v19
	v_cmp_gt_u32_e64 s5, s25, v21
	s_and_b32 s0, s0, vcc_lo
	v_cmp_neq_f32_e32 vcc_lo, v11, v12
	v_cndmask_b32_e64 v18, 0, 1, s0
	s_and_b32 s0, s4, s1
	v_cmp_neq_f32_e64 s1, v14, v11
	v_cndmask_b32_e64 v21, 0, 1, s0
	v_cmp_gt_u32_e64 s0, s25, v17
	v_or_b32_e32 v23, 1, v19
	s_and_b32 s4, s5, vcc_lo
	v_cmp_gt_u32_e32 vcc_lo, s25, v22
	v_cndmask_b32_e64 v17, 0, 1, s4
	s_and_b32 s0, s0, s1
	v_or_b32_e32 v25, 2, v19
	v_cndmask_b32_e64 v24, 0, 1, s0
	v_cmp_neq_f32_e64 s0, v13, v14
	v_cmp_gt_u32_e64 s1, s25, v23
	v_cmp_neq_f32_e64 s4, v15, v16
	v_cmp_gt_u32_e64 s5, s25, v25
	v_cmp_neq_f32_e64 s6, v16, v13
	s_and_b32 s0, vcc_lo, s0
	v_lshlrev_b16 v17, 8, v17
	v_cndmask_b32_e64 v22, 0, 1, s0
	s_and_b32 s0, s1, s4
	v_lshlrev_b16 v18, 8, v18
	v_cndmask_b32_e64 v23, 0, 1, s0
	s_and_b32 s0, s5, s6
	v_lshlrev_b16 v22, 8, v22
	v_cndmask_b32_e64 v25, 0, 1, s0
	v_or_b32_e32 v17, v24, v17
	v_lshlrev_b16 v23, 8, v23
	v_or_b32_e32 v18, v21, v18
	s_waitcnt lgkmcnt(0)
	v_or_b32_e32 v21, v25, v22
	v_and_b32_e32 v17, 0xffff, v17
	v_or_b32_e32 v22, 1, v23
	v_lshlrev_b32_e32 v18, 16, v18
	s_barrier
	v_lshlrev_b32_e32 v21, 16, v21
	buffer_gl0_inv
	v_and_b32_e32 v22, 0xffff, v22
	v_or_b32_e32 v18, v17, v18
                                        ; implicit-def: $sgpr0
	s_delay_alu instid0(VALU_DEP_2)
	v_or_b32_e32 v17, v22, v21
	s_and_saveexec_b32 s1, s3
	s_cbranch_execz .LBB110_62
; %bb.61:
	v_add_nc_u32_e32 v20, -4, v20
	v_cmp_gt_u32_e32 vcc_lo, s25, v19
	s_or_b32 s14, s14, exec_lo
	ds_load_b32 v20, v20
	s_waitcnt lgkmcnt(0)
	v_cmp_neq_f32_e64 s0, v20, v15
	s_delay_alu instid0(VALU_DEP_1) | instskip(NEXT) | instid1(SALU_CYCLE_1)
	s_and_b32 s0, vcc_lo, s0
	s_and_b32 s0, s0, exec_lo
.LBB110_62:
	s_or_b32 exec_lo, exec_lo, s1
.LBB110_63:
	s_and_saveexec_b32 s1, s14
	s_cbranch_execz .LBB110_65
; %bb.64:
	s_waitcnt vmcnt(0) lgkmcnt(1)
	v_and_b32_e32 v20, 0xffffff00, v17
	v_cndmask_b32_e64 v21, 0, 1, s0
	s_delay_alu instid0(VALU_DEP_1) | instskip(NEXT) | instid1(VALU_DEP_1)
	v_or_b32_e32 v20, v21, v20
	v_and_b32_e32 v20, 0xffff, v20
	s_delay_alu instid0(VALU_DEP_1)
	v_and_or_b32 v17, 0xffff0000, v17, v20
.LBB110_65:
	s_or_b32 exec_lo, exec_lo, s1
	s_delay_alu instid0(SALU_CYCLE_1)
	s_and_not1_b32 vcc_lo, exec_lo, s26
	s_cbranch_vccnz .LBB110_67
; %bb.66:
	v_cmp_gt_u32_e32 vcc_lo, s25, v19
	v_or_b32_e32 v21, 1, v19
	v_and_b32_e32 v22, 0xffffff00, v18
	v_or_b32_e32 v23, 2, v19
	s_waitcnt vmcnt(0) lgkmcnt(1)
	v_cndmask_b32_e32 v20, 0, v17, vcc_lo
	v_cmp_gt_u32_e32 vcc_lo, s25, v21
	v_or_b32_e32 v21, 4, v19
	v_cmp_gt_u32_e64 s0, s25, v23
	v_or_b32_e32 v23, 3, v19
	v_and_b32_e32 v20, 0xff, v20
	s_delay_alu instid0(VALU_DEP_2) | instskip(NEXT) | instid1(VALU_DEP_2)
	v_cmp_gt_u32_e64 s1, s25, v23
	v_cndmask_b32_e32 v20, v20, v17, vcc_lo
	v_cmp_gt_u32_e32 vcc_lo, s25, v21
	s_delay_alu instid0(VALU_DEP_2) | instskip(SKIP_1) | instid1(VALU_DEP_2)
	v_dual_cndmask_b32 v21, v22, v18 :: v_dual_and_b32 v20, 0xffff, v20
	v_or_b32_e32 v22, 5, v19
	v_cndmask_b32_e64 v20, v20, v17, s0
	s_delay_alu instid0(VALU_DEP_3) | instskip(NEXT) | instid1(VALU_DEP_3)
	v_and_b32_e32 v21, 0xffff00ff, v21
	v_cmp_gt_u32_e64 s0, s25, v22
	v_or_b32_e32 v22, 6, v19
	v_or_b32_e32 v19, 7, v19
	v_and_b32_e32 v20, 0xffffff, v20
	s_delay_alu instid0(VALU_DEP_4) | instskip(NEXT) | instid1(VALU_DEP_2)
	v_cndmask_b32_e64 v21, v21, v18, s0
	v_cndmask_b32_e64 v20, v20, v17, s1
	s_delay_alu instid0(VALU_DEP_2) | instskip(NEXT) | instid1(VALU_DEP_2)
	v_and_b32_e32 v21, 0xff00ffff, v21
	v_cndmask_b32_e32 v20, v20, v17, vcc_lo
	v_cmp_gt_u32_e32 vcc_lo, s25, v22
	s_delay_alu instid0(VALU_DEP_2) | instskip(NEXT) | instid1(VALU_DEP_1)
	v_cndmask_b32_e64 v20, v20, v17, s0
	v_dual_cndmask_b32 v21, v21, v18 :: v_dual_cndmask_b32 v20, v20, v17
	s_delay_alu instid0(VALU_DEP_1) | instskip(SKIP_1) | instid1(VALU_DEP_2)
	v_and_b32_e32 v21, 0xffffff, v21
	v_cmp_gt_u32_e32 vcc_lo, s25, v19
	v_dual_cndmask_b32 v18, v21, v18 :: v_dual_cndmask_b32 v17, v20, v17
.LBB110_67:
	s_delay_alu instid0(VALU_DEP_1) | instskip(NEXT) | instid1(VALU_DEP_2)
	v_and_b32_e32 v28, 0xff, v17
	v_alignbit_b32 v19, v18, v17, 24
	v_bfe_u32 v30, v17, 8, 8
	v_bfe_u32 v32, v17, 16, 8
	v_and_b32_e32 v36, 0xff, v18
	v_bfe_u32 v38, v18, 8, 8
	v_and_b32_e32 v34, 0xff, v19
	v_add_nc_u32_e32 v19, v30, v28
	s_waitcnt vmcnt(0) lgkmcnt(1)
	v_and_b32_e32 v20, 0x1e0, v0
	v_mbcnt_lo_u32_b32 v41, -1, 0
	v_bfe_u32 v40, v18, 16, 8
	v_lshrrev_b32_e32 v39, 24, v18
	v_add3_u32 v19, v19, v32, v34
	v_min_u32_e32 v20, 0x160, v20
	v_and_b32_e32 v21, 15, v41
	v_lshrrev_b32_e32 v42, 5, v0
	s_and_b32 vcc_lo, exec_lo, s9
	v_add3_u32 v19, v19, v36, v38
	v_or_b32_e32 v20, 31, v20
	v_cmp_eq_u32_e64 s3, 0, v21
	v_cmp_lt_u32_e64 s4, 1, v21
	v_cmp_lt_u32_e64 s1, 3, v21
	v_add3_u32 v43, v19, v40, v39
	v_and_b32_e32 v19, 16, v41
	v_cmp_lt_u32_e64 s0, 7, v21
	v_cmp_eq_u32_e64 s5, v20, v0
	s_mov_b32 s7, -1
	s_waitcnt lgkmcnt(0)
	v_cmp_eq_u32_e64 s6, 0, v19
	s_barrier
	buffer_gl0_inv
	s_cbranch_vccz .LBB110_93
; %bb.68:
	v_mov_b32_dpp v19, v43 row_shr:1 row_mask:0xf bank_mask:0xf
	s_delay_alu instid0(VALU_DEP_1) | instskip(NEXT) | instid1(VALU_DEP_1)
	v_cndmask_b32_e64 v19, v19, 0, s3
	v_add_nc_u32_e32 v19, v19, v43
	s_delay_alu instid0(VALU_DEP_1) | instskip(NEXT) | instid1(VALU_DEP_1)
	v_mov_b32_dpp v20, v19 row_shr:2 row_mask:0xf bank_mask:0xf
	v_cndmask_b32_e64 v20, 0, v20, s4
	s_delay_alu instid0(VALU_DEP_1) | instskip(NEXT) | instid1(VALU_DEP_1)
	v_add_nc_u32_e32 v19, v19, v20
	v_mov_b32_dpp v20, v19 row_shr:4 row_mask:0xf bank_mask:0xf
	s_delay_alu instid0(VALU_DEP_1) | instskip(NEXT) | instid1(VALU_DEP_1)
	v_cndmask_b32_e64 v20, 0, v20, s1
	v_add_nc_u32_e32 v19, v19, v20
	s_delay_alu instid0(VALU_DEP_1) | instskip(NEXT) | instid1(VALU_DEP_1)
	v_mov_b32_dpp v20, v19 row_shr:8 row_mask:0xf bank_mask:0xf
	v_cndmask_b32_e64 v20, 0, v20, s0
	s_delay_alu instid0(VALU_DEP_1) | instskip(SKIP_3) | instid1(VALU_DEP_1)
	v_add_nc_u32_e32 v19, v19, v20
	ds_swizzle_b32 v20, v19 offset:swizzle(BROADCAST,32,15)
	s_waitcnt lgkmcnt(0)
	v_cndmask_b32_e64 v20, v20, 0, s6
	v_add_nc_u32_e32 v19, v19, v20
	s_and_saveexec_b32 s7, s5
	s_cbranch_execz .LBB110_70
; %bb.69:
	v_lshlrev_b32_e32 v20, 2, v42
	ds_store_b32 v20, v19
.LBB110_70:
	s_or_b32 exec_lo, exec_lo, s7
	s_delay_alu instid0(SALU_CYCLE_1)
	s_mov_b32 s7, exec_lo
	s_waitcnt lgkmcnt(0)
	s_barrier
	buffer_gl0_inv
	v_cmpx_gt_u32_e32 12, v0
	s_cbranch_execz .LBB110_72
; %bb.71:
	v_lshlrev_b32_e32 v20, 2, v0
	ds_load_b32 v21, v20
	s_waitcnt lgkmcnt(0)
	v_mov_b32_dpp v22, v21 row_shr:1 row_mask:0xf bank_mask:0xf
	s_delay_alu instid0(VALU_DEP_1) | instskip(NEXT) | instid1(VALU_DEP_1)
	v_cndmask_b32_e64 v22, v22, 0, s3
	v_add_nc_u32_e32 v21, v22, v21
	s_delay_alu instid0(VALU_DEP_1) | instskip(NEXT) | instid1(VALU_DEP_1)
	v_mov_b32_dpp v22, v21 row_shr:2 row_mask:0xf bank_mask:0xf
	v_cndmask_b32_e64 v22, 0, v22, s4
	s_delay_alu instid0(VALU_DEP_1) | instskip(NEXT) | instid1(VALU_DEP_1)
	v_add_nc_u32_e32 v21, v21, v22
	v_mov_b32_dpp v22, v21 row_shr:4 row_mask:0xf bank_mask:0xf
	s_delay_alu instid0(VALU_DEP_1) | instskip(NEXT) | instid1(VALU_DEP_1)
	v_cndmask_b32_e64 v22, 0, v22, s1
	v_add_nc_u32_e32 v21, v21, v22
	s_delay_alu instid0(VALU_DEP_1) | instskip(NEXT) | instid1(VALU_DEP_1)
	v_mov_b32_dpp v22, v21 row_shr:8 row_mask:0xf bank_mask:0xf
	v_cndmask_b32_e64 v22, 0, v22, s0
	s_delay_alu instid0(VALU_DEP_1)
	v_add_nc_u32_e32 v21, v21, v22
	ds_store_b32 v20, v21
.LBB110_72:
	s_or_b32 exec_lo, exec_lo, s7
	v_cmp_gt_u32_e32 vcc_lo, 32, v0
	s_mov_b32 s8, exec_lo
	s_waitcnt lgkmcnt(0)
	s_barrier
	buffer_gl0_inv
                                        ; implicit-def: $vgpr27
	v_cmpx_lt_u32_e32 31, v0
	s_cbranch_execz .LBB110_74
; %bb.73:
	v_lshl_add_u32 v20, v42, 2, -4
	ds_load_b32 v27, v20
	s_waitcnt lgkmcnt(0)
	v_add_nc_u32_e32 v19, v27, v19
.LBB110_74:
	s_or_b32 exec_lo, exec_lo, s8
	v_add_nc_u32_e32 v20, -1, v41
	s_delay_alu instid0(VALU_DEP_1) | instskip(NEXT) | instid1(VALU_DEP_1)
	v_cmp_gt_i32_e64 s7, 0, v20
	v_cndmask_b32_e64 v20, v20, v41, s7
	v_cmp_eq_u32_e64 s7, 0, v41
	s_delay_alu instid0(VALU_DEP_2)
	v_lshlrev_b32_e32 v20, 2, v20
	ds_bpermute_b32 v29, v20, v19
	s_and_saveexec_b32 s8, vcc_lo
	s_cbranch_execz .LBB110_92
; %bb.75:
	v_mov_b32_e32 v23, 0
	ds_load_b32 v19, v23 offset:44
	s_and_saveexec_b32 s9, s7
	s_cbranch_execz .LBB110_77
; %bb.76:
	s_add_i32 s14, s24, 32
	s_mov_b32 s15, 0
	v_mov_b32_e32 v20, 1
	s_lshl_b64 s[14:15], s[14:15], 3
	s_delay_alu instid0(SALU_CYCLE_1)
	s_add_u32 s14, s20, s14
	s_addc_u32 s15, s21, s15
	s_waitcnt lgkmcnt(0)
	global_store_b64 v23, v[19:20], s[14:15]
.LBB110_77:
	s_or_b32 exec_lo, exec_lo, s9
	v_xad_u32 v21, v41, -1, s24
	s_mov_b32 s14, 0
	s_mov_b32 s9, exec_lo
	s_delay_alu instid0(VALU_DEP_1) | instskip(NEXT) | instid1(VALU_DEP_1)
	v_add_nc_u32_e32 v22, 32, v21
	v_lshlrev_b64 v[22:23], 3, v[22:23]
	s_delay_alu instid0(VALU_DEP_1) | instskip(NEXT) | instid1(VALU_DEP_2)
	v_add_co_u32 v25, vcc_lo, s20, v22
	v_add_co_ci_u32_e32 v26, vcc_lo, s21, v23, vcc_lo
	global_load_b64 v[23:24], v[25:26], off glc
	s_waitcnt vmcnt(0)
	v_and_b32_e32 v20, 0xff, v24
	s_delay_alu instid0(VALU_DEP_1)
	v_cmpx_eq_u16_e32 0, v20
	s_cbranch_execz .LBB110_80
.LBB110_78:                             ; =>This Inner Loop Header: Depth=1
	global_load_b64 v[23:24], v[25:26], off glc
	s_waitcnt vmcnt(0)
	v_and_b32_e32 v20, 0xff, v24
	s_delay_alu instid0(VALU_DEP_1) | instskip(SKIP_1) | instid1(SALU_CYCLE_1)
	v_cmp_ne_u16_e32 vcc_lo, 0, v20
	s_or_b32 s14, vcc_lo, s14
	s_and_not1_b32 exec_lo, exec_lo, s14
	s_cbranch_execnz .LBB110_78
; %bb.79:
	s_or_b32 exec_lo, exec_lo, s14
.LBB110_80:
	s_delay_alu instid0(SALU_CYCLE_1)
	s_or_b32 exec_lo, exec_lo, s9
	v_cmp_ne_u32_e32 vcc_lo, 31, v41
	v_lshlrev_b32_e64 v33, v41, -1
	v_add_nc_u32_e32 v37, 2, v41
	v_add_nc_u32_e32 v45, 4, v41
	;; [unrolled: 1-line block ×3, first 2 shown]
	v_add_co_ci_u32_e32 v20, vcc_lo, 0, v41, vcc_lo
	v_add_nc_u32_e32 v49, 16, v41
	s_delay_alu instid0(VALU_DEP_2)
	v_lshlrev_b32_e32 v31, 2, v20
	v_and_b32_e32 v20, 0xff, v24
	ds_bpermute_b32 v22, v31, v23
	v_cmp_eq_u16_e32 vcc_lo, 2, v20
	v_and_or_b32 v20, vcc_lo, v33, 0x80000000
	v_cmp_gt_u32_e32 vcc_lo, 30, v41
	s_delay_alu instid0(VALU_DEP_2) | instskip(SKIP_1) | instid1(VALU_DEP_2)
	v_ctz_i32_b32_e32 v20, v20
	v_cndmask_b32_e64 v25, 0, 1, vcc_lo
	v_cmp_lt_u32_e32 vcc_lo, v41, v20
	s_waitcnt lgkmcnt(0)
	s_delay_alu instid0(VALU_DEP_2) | instskip(NEXT) | instid1(VALU_DEP_1)
	v_dual_cndmask_b32 v22, 0, v22 :: v_dual_lshlrev_b32 v25, 1, v25
	v_add_lshl_u32 v35, v25, v41, 2
	v_cmp_gt_u32_e32 vcc_lo, 28, v41
	s_delay_alu instid0(VALU_DEP_3) | instskip(SKIP_4) | instid1(VALU_DEP_1)
	v_add_nc_u32_e32 v22, v22, v23
	v_cndmask_b32_e64 v25, 0, 1, vcc_lo
	v_cmp_le_u32_e32 vcc_lo, v37, v20
	ds_bpermute_b32 v23, v35, v22
	v_lshlrev_b32_e32 v25, 2, v25
	v_add_lshl_u32 v44, v25, v41, 2
	s_waitcnt lgkmcnt(0)
	v_cndmask_b32_e32 v23, 0, v23, vcc_lo
	v_cmp_gt_u32_e32 vcc_lo, 24, v41
	s_delay_alu instid0(VALU_DEP_2) | instskip(SKIP_4) | instid1(VALU_DEP_1)
	v_add_nc_u32_e32 v22, v22, v23
	v_cndmask_b32_e64 v25, 0, 1, vcc_lo
	v_cmp_le_u32_e32 vcc_lo, v45, v20
	ds_bpermute_b32 v23, v44, v22
	v_lshlrev_b32_e32 v25, 3, v25
	v_add_lshl_u32 v46, v25, v41, 2
	s_waitcnt lgkmcnt(0)
	v_cndmask_b32_e32 v23, 0, v23, vcc_lo
	v_cmp_gt_u32_e32 vcc_lo, 16, v41
	s_delay_alu instid0(VALU_DEP_2) | instskip(SKIP_4) | instid1(VALU_DEP_1)
	v_add_nc_u32_e32 v22, v22, v23
	v_cndmask_b32_e64 v25, 0, 1, vcc_lo
	v_cmp_le_u32_e32 vcc_lo, v47, v20
	ds_bpermute_b32 v23, v46, v22
	v_lshlrev_b32_e32 v25, 4, v25
	v_add_lshl_u32 v48, v25, v41, 2
	s_waitcnt lgkmcnt(0)
	v_cndmask_b32_e32 v23, 0, v23, vcc_lo
	v_cmp_le_u32_e32 vcc_lo, v49, v20
	s_delay_alu instid0(VALU_DEP_2) | instskip(SKIP_3) | instid1(VALU_DEP_1)
	v_add_nc_u32_e32 v22, v22, v23
	ds_bpermute_b32 v23, v48, v22
	s_waitcnt lgkmcnt(0)
	v_cndmask_b32_e32 v20, 0, v23, vcc_lo
	v_dual_mov_b32 v22, 0 :: v_dual_add_nc_u32 v23, v22, v20
	s_branch .LBB110_82
.LBB110_81:                             ;   in Loop: Header=BB110_82 Depth=1
	s_or_b32 exec_lo, exec_lo, s9
	ds_bpermute_b32 v26, v31, v23
	v_and_b32_e32 v25, 0xff, v24
	v_subrev_nc_u32_e32 v21, 32, v21
	s_delay_alu instid0(VALU_DEP_2) | instskip(SKIP_1) | instid1(VALU_DEP_1)
	v_cmp_eq_u16_e32 vcc_lo, 2, v25
	v_and_or_b32 v25, vcc_lo, v33, 0x80000000
	v_ctz_i32_b32_e32 v25, v25
	s_delay_alu instid0(VALU_DEP_1) | instskip(SKIP_3) | instid1(VALU_DEP_2)
	v_cmp_lt_u32_e32 vcc_lo, v41, v25
	s_waitcnt lgkmcnt(0)
	v_cndmask_b32_e32 v26, 0, v26, vcc_lo
	v_cmp_le_u32_e32 vcc_lo, v37, v25
	v_add_nc_u32_e32 v23, v26, v23
	ds_bpermute_b32 v26, v35, v23
	s_waitcnt lgkmcnt(0)
	v_cndmask_b32_e32 v26, 0, v26, vcc_lo
	v_cmp_le_u32_e32 vcc_lo, v45, v25
	s_delay_alu instid0(VALU_DEP_2) | instskip(SKIP_4) | instid1(VALU_DEP_2)
	v_add_nc_u32_e32 v23, v23, v26
	ds_bpermute_b32 v26, v44, v23
	s_waitcnt lgkmcnt(0)
	v_cndmask_b32_e32 v26, 0, v26, vcc_lo
	v_cmp_le_u32_e32 vcc_lo, v47, v25
	v_add_nc_u32_e32 v23, v23, v26
	ds_bpermute_b32 v26, v46, v23
	s_waitcnt lgkmcnt(0)
	v_cndmask_b32_e32 v26, 0, v26, vcc_lo
	v_cmp_le_u32_e32 vcc_lo, v49, v25
	s_delay_alu instid0(VALU_DEP_2) | instskip(SKIP_3) | instid1(VALU_DEP_1)
	v_add_nc_u32_e32 v23, v23, v26
	ds_bpermute_b32 v26, v48, v23
	s_waitcnt lgkmcnt(0)
	v_cndmask_b32_e32 v25, 0, v26, vcc_lo
	v_add3_u32 v23, v25, v20, v23
.LBB110_82:                             ; =>This Loop Header: Depth=1
                                        ;     Child Loop BB110_85 Depth 2
	v_and_b32_e32 v20, 0xff, v24
	s_delay_alu instid0(VALU_DEP_1) | instskip(SKIP_2) | instid1(VALU_DEP_1)
	v_cmp_ne_u16_e32 vcc_lo, 2, v20
	v_cndmask_b32_e64 v20, 0, 1, vcc_lo
	;;#ASMSTART
	;;#ASMEND
	v_cmp_ne_u32_e32 vcc_lo, 0, v20
	v_mov_b32_e32 v20, v23
	s_cmp_lg_u32 vcc_lo, exec_lo
	s_cbranch_scc1 .LBB110_87
; %bb.83:                               ;   in Loop: Header=BB110_82 Depth=1
	v_lshlrev_b64 v[23:24], 3, v[21:22]
	s_mov_b32 s9, exec_lo
	s_delay_alu instid0(VALU_DEP_1) | instskip(NEXT) | instid1(VALU_DEP_2)
	v_add_co_u32 v25, vcc_lo, s20, v23
	v_add_co_ci_u32_e32 v26, vcc_lo, s21, v24, vcc_lo
	global_load_b64 v[23:24], v[25:26], off glc
	s_waitcnt vmcnt(0)
	v_and_b32_e32 v50, 0xff, v24
	s_delay_alu instid0(VALU_DEP_1)
	v_cmpx_eq_u16_e32 0, v50
	s_cbranch_execz .LBB110_81
; %bb.84:                               ;   in Loop: Header=BB110_82 Depth=1
	s_mov_b32 s14, 0
.LBB110_85:                             ;   Parent Loop BB110_82 Depth=1
                                        ; =>  This Inner Loop Header: Depth=2
	global_load_b64 v[23:24], v[25:26], off glc
	s_waitcnt vmcnt(0)
	v_and_b32_e32 v50, 0xff, v24
	s_delay_alu instid0(VALU_DEP_1) | instskip(SKIP_1) | instid1(SALU_CYCLE_1)
	v_cmp_ne_u16_e32 vcc_lo, 0, v50
	s_or_b32 s14, vcc_lo, s14
	s_and_not1_b32 exec_lo, exec_lo, s14
	s_cbranch_execnz .LBB110_85
; %bb.86:                               ;   in Loop: Header=BB110_82 Depth=1
	s_or_b32 exec_lo, exec_lo, s14
	s_branch .LBB110_81
.LBB110_87:                             ;   in Loop: Header=BB110_82 Depth=1
                                        ; implicit-def: $vgpr23
                                        ; implicit-def: $vgpr24
	s_cbranch_execz .LBB110_82
; %bb.88:
	s_and_saveexec_b32 s9, s7
	s_cbranch_execz .LBB110_90
; %bb.89:
	s_add_i32 s14, s24, 32
	s_mov_b32 s15, 0
	v_dual_mov_b32 v22, 2 :: v_dual_add_nc_u32 v21, v20, v19
	s_lshl_b64 s[14:15], s[14:15], 3
	v_mov_b32_e32 v23, 0
	s_add_u32 s14, s20, s14
	s_addc_u32 s15, s21, s15
	global_store_b64 v23, v[21:22], s[14:15]
	ds_store_b64 v23, v[19:20] offset:12672
.LBB110_90:
	s_or_b32 exec_lo, exec_lo, s9
	s_delay_alu instid0(SALU_CYCLE_1)
	s_and_b32 exec_lo, exec_lo, s2
	s_cbranch_execz .LBB110_92
; %bb.91:
	v_mov_b32_e32 v19, 0
	ds_store_b32 v19, v20 offset:44
.LBB110_92:
	s_or_b32 exec_lo, exec_lo, s8
	v_mov_b32_e32 v19, 0
	s_waitcnt lgkmcnt(0)
	s_waitcnt_vscnt null, 0x0
	s_barrier
	buffer_gl0_inv
	v_cndmask_b32_e64 v21, v29, v27, s7
	ds_load_b32 v20, v19 offset:44
	s_waitcnt lgkmcnt(0)
	s_barrier
	buffer_gl0_inv
	v_cndmask_b32_e64 v21, v21, 0, s2
	s_delay_alu instid0(VALU_DEP_1) | instskip(SKIP_2) | instid1(VALU_DEP_1)
	v_add_nc_u32_e32 v37, v20, v21
	ds_load_b64 v[19:20], v19 offset:12672
	v_add_nc_u32_e32 v35, v37, v28
	v_add_nc_u32_e32 v33, v35, v30
	s_delay_alu instid0(VALU_DEP_1) | instskip(NEXT) | instid1(VALU_DEP_1)
	v_add_nc_u32_e32 v31, v33, v32
	v_add_nc_u32_e32 v29, v31, v34
	s_delay_alu instid0(VALU_DEP_1) | instskip(NEXT) | instid1(VALU_DEP_1)
	v_add_nc_u32_e32 v27, v29, v36
	v_add_nc_u32_e32 v25, v27, v38
	s_delay_alu instid0(VALU_DEP_1)
	v_add_nc_u32_e32 v23, v25, v40
	v_lshrrev_b64 v[21:22], 24, v[17:18]
	s_branch .LBB110_103
.LBB110_93:
                                        ; implicit-def: $vgpr23
                                        ; implicit-def: $vgpr25
                                        ; implicit-def: $vgpr27
                                        ; implicit-def: $vgpr29
                                        ; implicit-def: $vgpr31
                                        ; implicit-def: $vgpr33
                                        ; implicit-def: $vgpr35
                                        ; implicit-def: $vgpr37
                                        ; implicit-def: $vgpr20
	v_lshrrev_b64 v[21:22], 24, v[17:18]
	s_and_b32 vcc_lo, exec_lo, s7
	s_cbranch_vccz .LBB110_103
; %bb.94:
	s_waitcnt lgkmcnt(0)
	v_mov_b32_dpp v19, v43 row_shr:1 row_mask:0xf bank_mask:0xf
	s_delay_alu instid0(VALU_DEP_1) | instskip(NEXT) | instid1(VALU_DEP_1)
	v_cndmask_b32_e64 v19, v19, 0, s3
	v_add_nc_u32_e32 v19, v19, v43
	s_delay_alu instid0(VALU_DEP_1) | instskip(NEXT) | instid1(VALU_DEP_1)
	v_mov_b32_dpp v20, v19 row_shr:2 row_mask:0xf bank_mask:0xf
	v_cndmask_b32_e64 v20, 0, v20, s4
	s_delay_alu instid0(VALU_DEP_1) | instskip(NEXT) | instid1(VALU_DEP_1)
	v_add_nc_u32_e32 v19, v19, v20
	v_mov_b32_dpp v20, v19 row_shr:4 row_mask:0xf bank_mask:0xf
	s_delay_alu instid0(VALU_DEP_1) | instskip(NEXT) | instid1(VALU_DEP_1)
	v_cndmask_b32_e64 v20, 0, v20, s1
	v_add_nc_u32_e32 v19, v19, v20
	s_delay_alu instid0(VALU_DEP_1) | instskip(NEXT) | instid1(VALU_DEP_1)
	v_mov_b32_dpp v20, v19 row_shr:8 row_mask:0xf bank_mask:0xf
	v_cndmask_b32_e64 v20, 0, v20, s0
	s_delay_alu instid0(VALU_DEP_1) | instskip(SKIP_3) | instid1(VALU_DEP_1)
	v_add_nc_u32_e32 v19, v19, v20
	ds_swizzle_b32 v20, v19 offset:swizzle(BROADCAST,32,15)
	s_waitcnt lgkmcnt(0)
	v_cndmask_b32_e64 v20, v20, 0, s6
	v_add_nc_u32_e32 v19, v19, v20
	s_and_saveexec_b32 s6, s5
	s_cbranch_execz .LBB110_96
; %bb.95:
	v_lshlrev_b32_e32 v20, 2, v42
	ds_store_b32 v20, v19
.LBB110_96:
	s_or_b32 exec_lo, exec_lo, s6
	s_delay_alu instid0(SALU_CYCLE_1)
	s_mov_b32 s5, exec_lo
	s_waitcnt lgkmcnt(0)
	s_barrier
	buffer_gl0_inv
	v_cmpx_gt_u32_e32 12, v0
	s_cbranch_execz .LBB110_98
; %bb.97:
	v_lshlrev_b32_e32 v20, 2, v0
	ds_load_b32 v22, v20
	s_waitcnt lgkmcnt(0)
	v_mov_b32_dpp v23, v22 row_shr:1 row_mask:0xf bank_mask:0xf
	s_delay_alu instid0(VALU_DEP_1) | instskip(NEXT) | instid1(VALU_DEP_1)
	v_cndmask_b32_e64 v23, v23, 0, s3
	v_add_nc_u32_e32 v22, v23, v22
	s_delay_alu instid0(VALU_DEP_1) | instskip(NEXT) | instid1(VALU_DEP_1)
	v_mov_b32_dpp v23, v22 row_shr:2 row_mask:0xf bank_mask:0xf
	v_cndmask_b32_e64 v23, 0, v23, s4
	s_delay_alu instid0(VALU_DEP_1) | instskip(NEXT) | instid1(VALU_DEP_1)
	v_add_nc_u32_e32 v22, v22, v23
	v_mov_b32_dpp v23, v22 row_shr:4 row_mask:0xf bank_mask:0xf
	s_delay_alu instid0(VALU_DEP_1) | instskip(NEXT) | instid1(VALU_DEP_1)
	v_cndmask_b32_e64 v23, 0, v23, s1
	v_add_nc_u32_e32 v22, v22, v23
	s_delay_alu instid0(VALU_DEP_1) | instskip(NEXT) | instid1(VALU_DEP_1)
	v_mov_b32_dpp v23, v22 row_shr:8 row_mask:0xf bank_mask:0xf
	v_cndmask_b32_e64 v23, 0, v23, s0
	s_delay_alu instid0(VALU_DEP_1)
	v_add_nc_u32_e32 v22, v22, v23
	ds_store_b32 v20, v22
.LBB110_98:
	s_or_b32 exec_lo, exec_lo, s5
	v_mov_b32_e32 v20, 0
	v_mov_b32_e32 v22, 0
	s_mov_b32 s0, exec_lo
	s_waitcnt lgkmcnt(0)
	s_barrier
	buffer_gl0_inv
	v_cmpx_lt_u32_e32 31, v0
	s_cbranch_execz .LBB110_100
; %bb.99:
	v_lshl_add_u32 v22, v42, 2, -4
	ds_load_b32 v22, v22
.LBB110_100:
	s_or_b32 exec_lo, exec_lo, s0
	v_add_nc_u32_e32 v23, -1, v41
	s_waitcnt lgkmcnt(0)
	v_add_nc_u32_e32 v19, v22, v19
	s_delay_alu instid0(VALU_DEP_2) | instskip(SKIP_1) | instid1(VALU_DEP_1)
	v_cmp_gt_i32_e32 vcc_lo, 0, v23
	v_cndmask_b32_e32 v23, v23, v41, vcc_lo
	v_lshlrev_b32_e32 v23, 2, v23
	ds_bpermute_b32 v23, v23, v19
	ds_load_b32 v19, v20 offset:44
	s_and_saveexec_b32 s0, s2
	s_cbranch_execz .LBB110_102
; %bb.101:
	v_mov_b32_e32 v24, 0
	v_mov_b32_e32 v20, 2
	s_waitcnt lgkmcnt(0)
	global_store_b64 v24, v[19:20], s[20:21] offset:256
.LBB110_102:
	s_or_b32 exec_lo, exec_lo, s0
	v_cmp_eq_u32_e32 vcc_lo, 0, v41
	s_waitcnt lgkmcnt(0)
	s_waitcnt_vscnt null, 0x0
	s_barrier
	buffer_gl0_inv
	v_cndmask_b32_e32 v20, v23, v22, vcc_lo
	s_delay_alu instid0(VALU_DEP_1) | instskip(NEXT) | instid1(VALU_DEP_1)
	v_cndmask_b32_e64 v37, v20, 0, s2
	v_dual_mov_b32 v20, 0 :: v_dual_add_nc_u32 v35, v37, v28
	s_delay_alu instid0(VALU_DEP_1) | instskip(NEXT) | instid1(VALU_DEP_1)
	v_add_nc_u32_e32 v33, v35, v30
	v_add_nc_u32_e32 v31, v33, v32
	s_delay_alu instid0(VALU_DEP_1) | instskip(NEXT) | instid1(VALU_DEP_1)
	v_add_nc_u32_e32 v29, v31, v34
	v_add_nc_u32_e32 v27, v29, v36
	;; [unrolled: 3-line block ×3, first 2 shown]
.LBB110_103:
	s_waitcnt lgkmcnt(0)
	v_add_nc_u32_e32 v43, v20, v19
	v_cmp_gt_u32_e64 s0, 0x181, v19
	v_lshrrev_b32_e32 v42, 8, v17
	v_lshrrev_b32_e32 v41, 16, v17
	;; [unrolled: 1-line block ×4, first 2 shown]
	v_cmp_lt_u32_e64 s1, v37, v43
	s_and_b32 vcc_lo, exec_lo, s0
	s_mov_b32 s3, -1
	s_cbranch_vccz .LBB110_129
; %bb.104:
	s_lshl_b64 s[4:5], s[10:11], 2
	s_delay_alu instid0(SALU_CYCLE_1) | instskip(SKIP_2) | instid1(SALU_CYCLE_1)
	s_add_u32 s3, s16, s4
	s_addc_u32 s4, s17, s5
	s_or_b32 s5, s23, s1
	s_and_saveexec_b32 s1, s5
	s_cbranch_execz .LBB110_107
; %bb.105:
	v_and_b32_e32 v24, 1, v17
	s_delay_alu instid0(VALU_DEP_1)
	v_cmp_eq_u32_e32 vcc_lo, 1, v24
	s_and_b32 exec_lo, exec_lo, vcc_lo
	s_cbranch_execz .LBB110_107
; %bb.106:
	v_mov_b32_e32 v38, 0
	s_delay_alu instid0(VALU_DEP_1) | instskip(NEXT) | instid1(VALU_DEP_1)
	v_lshlrev_b64 v[44:45], 2, v[37:38]
	v_add_co_u32 v44, vcc_lo, s3, v44
	s_delay_alu instid0(VALU_DEP_2)
	v_add_co_ci_u32_e32 v45, vcc_lo, s4, v45, vcc_lo
	global_store_b32 v[44:45], v15, off
.LBB110_107:
	s_or_b32 exec_lo, exec_lo, s1
	v_cmp_lt_u32_e32 vcc_lo, v35, v43
	s_or_b32 s5, s23, vcc_lo
	s_delay_alu instid0(SALU_CYCLE_1)
	s_and_saveexec_b32 s1, s5
	s_cbranch_execz .LBB110_110
; %bb.108:
	v_and_b32_e32 v24, 1, v42
	s_delay_alu instid0(VALU_DEP_1)
	v_cmp_eq_u32_e32 vcc_lo, 1, v24
	s_and_b32 exec_lo, exec_lo, vcc_lo
	s_cbranch_execz .LBB110_110
; %bb.109:
	v_mov_b32_e32 v36, 0
	s_delay_alu instid0(VALU_DEP_1) | instskip(NEXT) | instid1(VALU_DEP_1)
	v_lshlrev_b64 v[44:45], 2, v[35:36]
	v_add_co_u32 v44, vcc_lo, s3, v44
	s_delay_alu instid0(VALU_DEP_2)
	v_add_co_ci_u32_e32 v45, vcc_lo, s4, v45, vcc_lo
	global_store_b32 v[44:45], v16, off
.LBB110_110:
	s_or_b32 exec_lo, exec_lo, s1
	v_cmp_lt_u32_e32 vcc_lo, v33, v43
	s_or_b32 s5, s23, vcc_lo
	s_delay_alu instid0(SALU_CYCLE_1)
	;; [unrolled: 21-line block ×7, first 2 shown]
	s_and_saveexec_b32 s1, s5
	s_cbranch_execz .LBB110_128
; %bb.126:
	v_and_b32_e32 v24, 1, v39
	s_delay_alu instid0(VALU_DEP_1)
	v_cmp_eq_u32_e32 vcc_lo, 1, v24
	s_and_b32 exec_lo, exec_lo, vcc_lo
	s_cbranch_execz .LBB110_128
; %bb.127:
	v_mov_b32_e32 v24, 0
	s_delay_alu instid0(VALU_DEP_1) | instskip(NEXT) | instid1(VALU_DEP_1)
	v_lshlrev_b64 v[44:45], 2, v[23:24]
	v_add_co_u32 v44, vcc_lo, s3, v44
	s_delay_alu instid0(VALU_DEP_2)
	v_add_co_ci_u32_e32 v45, vcc_lo, s4, v45, vcc_lo
	global_store_b32 v[44:45], v10, off
.LBB110_128:
	s_or_b32 exec_lo, exec_lo, s1
	s_mov_b32 s3, 0
.LBB110_129:
	v_and_b32_e32 v17, 1, v17
	s_and_b32 vcc_lo, exec_lo, s3
	s_delay_alu instid0(VALU_DEP_1)
	v_cmp_eq_u32_e64 s1, 1, v17
	s_cbranch_vccz .LBB110_150
; %bb.130:
	s_delay_alu instid0(VALU_DEP_1)
	s_and_saveexec_b32 s3, s1
	s_cbranch_execz .LBB110_132
; %bb.131:
	v_sub_nc_u32_e32 v24, v37, v20
	s_delay_alu instid0(VALU_DEP_1)
	v_lshlrev_b32_e32 v24, 2, v24
	ds_store_b32 v24, v15
.LBB110_132:
	s_or_b32 exec_lo, exec_lo, s3
	v_and_b32_e32 v15, 1, v42
	s_mov_b32 s1, exec_lo
	s_delay_alu instid0(VALU_DEP_1)
	v_cmpx_eq_u32_e32 1, v15
	s_cbranch_execz .LBB110_134
; %bb.133:
	v_sub_nc_u32_e32 v15, v35, v20
	s_delay_alu instid0(VALU_DEP_1)
	v_lshlrev_b32_e32 v15, 2, v15
	ds_store_b32 v15, v16
.LBB110_134:
	s_or_b32 exec_lo, exec_lo, s1
	v_and_b32_e32 v15, 1, v41
	s_mov_b32 s1, exec_lo
	s_delay_alu instid0(VALU_DEP_1)
	v_cmpx_eq_u32_e32 1, v15
	;; [unrolled: 12-line block ×7, first 2 shown]
	s_cbranch_execz .LBB110_146
; %bb.145:
	v_sub_nc_u32_e32 v9, v23, v20
	s_delay_alu instid0(VALU_DEP_1)
	v_lshlrev_b32_e32 v9, 2, v9
	ds_store_b32 v9, v10
.LBB110_146:
	s_or_b32 exec_lo, exec_lo, s1
	s_delay_alu instid0(SALU_CYCLE_1)
	s_mov_b32 s3, exec_lo
	s_waitcnt lgkmcnt(0)
	s_waitcnt_vscnt null, 0x0
	s_barrier
	buffer_gl0_inv
	v_cmpx_lt_u32_e64 v0, v19
	s_cbranch_execz .LBB110_149
; %bb.147:
	v_dual_mov_b32 v10, 0 :: v_dual_mov_b32 v9, v20
	s_lshl_b64 s[4:5], s[10:11], 2
	v_lshlrev_b32_e32 v11, 2, v0
	s_add_u32 s1, s16, s4
	s_addc_u32 s4, s17, s5
	v_lshlrev_b64 v[12:13], 2, v[9:10]
	v_mov_b32_e32 v9, v0
	s_delay_alu instid0(VALU_DEP_2) | instskip(NEXT) | instid1(VALU_DEP_3)
	v_add_co_u32 v12, vcc_lo, s1, v12
	v_add_co_ci_u32_e32 v13, vcc_lo, s4, v13, vcc_lo
	s_mov_b32 s4, 0
	.p2align	6
.LBB110_148:                            ; =>This Inner Loop Header: Depth=1
	ds_load_b32 v16, v11
	v_lshlrev_b64 v[14:15], 2, v[9:10]
	v_add_nc_u32_e32 v9, 0x180, v9
	v_add_nc_u32_e32 v11, 0x600, v11
	s_delay_alu instid0(VALU_DEP_2) | instskip(NEXT) | instid1(VALU_DEP_4)
	v_cmp_ge_u32_e32 vcc_lo, v9, v19
	v_add_co_u32 v14, s1, v12, v14
	s_delay_alu instid0(VALU_DEP_1)
	v_add_co_ci_u32_e64 v15, s1, v13, v15, s1
	s_or_b32 s4, vcc_lo, s4
	s_waitcnt lgkmcnt(0)
	global_store_b32 v[14:15], v16, off
	s_and_not1_b32 exec_lo, exec_lo, s4
	s_cbranch_execnz .LBB110_148
.LBB110_149:
	s_or_b32 exec_lo, exec_lo, s3
.LBB110_150:
	s_delay_alu instid0(SALU_CYCLE_1)
	s_and_b32 vcc_lo, exec_lo, s0
	s_mov_b32 s0, -1
	s_waitcnt_vscnt null, 0x0
	s_barrier
	buffer_gl0_inv
	s_cbranch_vccz .LBB110_178
; %bb.151:
	v_cmp_lt_u32_e32 vcc_lo, v37, v43
	s_lshl_b64 s[0:1], s[10:11], 2
	s_delay_alu instid0(SALU_CYCLE_1) | instskip(SKIP_2) | instid1(SALU_CYCLE_1)
	s_add_u32 s0, s18, s0
	s_addc_u32 s1, s19, s1
	s_or_b32 s4, s23, vcc_lo
	s_and_saveexec_b32 s3, s4
	s_cbranch_execz .LBB110_154
; %bb.152:
	v_cmp_eq_u32_e32 vcc_lo, 1, v17
	s_and_b32 exec_lo, exec_lo, vcc_lo
	s_cbranch_execz .LBB110_154
; %bb.153:
	v_mov_b32_e32 v38, 0
	s_delay_alu instid0(VALU_DEP_1) | instskip(NEXT) | instid1(VALU_DEP_1)
	v_lshlrev_b64 v[9:10], 2, v[37:38]
	v_add_co_u32 v9, vcc_lo, s0, v9
	s_delay_alu instid0(VALU_DEP_2)
	v_add_co_ci_u32_e32 v10, vcc_lo, s1, v10, vcc_lo
	global_store_b32 v[9:10], v7, off
.LBB110_154:
	s_or_b32 exec_lo, exec_lo, s3
	v_cmp_lt_u32_e32 vcc_lo, v35, v43
	s_or_b32 s4, s23, vcc_lo
	s_delay_alu instid0(SALU_CYCLE_1)
	s_and_saveexec_b32 s3, s4
	s_cbranch_execz .LBB110_157
; %bb.155:
	v_and_b32_e32 v9, 1, v42
	s_delay_alu instid0(VALU_DEP_1)
	v_cmp_eq_u32_e32 vcc_lo, 1, v9
	s_and_b32 exec_lo, exec_lo, vcc_lo
	s_cbranch_execz .LBB110_157
; %bb.156:
	v_mov_b32_e32 v36, 0
	s_delay_alu instid0(VALU_DEP_1) | instskip(NEXT) | instid1(VALU_DEP_1)
	v_lshlrev_b64 v[9:10], 2, v[35:36]
	v_add_co_u32 v9, vcc_lo, s0, v9
	s_delay_alu instid0(VALU_DEP_2)
	v_add_co_ci_u32_e32 v10, vcc_lo, s1, v10, vcc_lo
	global_store_b32 v[9:10], v8, off
.LBB110_157:
	s_or_b32 exec_lo, exec_lo, s3
	v_cmp_lt_u32_e32 vcc_lo, v33, v43
	s_or_b32 s4, s23, vcc_lo
	s_delay_alu instid0(SALU_CYCLE_1)
	s_and_saveexec_b32 s3, s4
	s_cbranch_execz .LBB110_160
; %bb.158:
	v_and_b32_e32 v9, 1, v41
	s_delay_alu instid0(VALU_DEP_1)
	v_cmp_eq_u32_e32 vcc_lo, 1, v9
	s_and_b32 exec_lo, exec_lo, vcc_lo
	s_cbranch_execz .LBB110_160
; %bb.159:
	v_mov_b32_e32 v34, 0
	s_delay_alu instid0(VALU_DEP_1) | instskip(NEXT) | instid1(VALU_DEP_1)
	v_lshlrev_b64 v[9:10], 2, v[33:34]
	v_add_co_u32 v9, vcc_lo, s0, v9
	s_delay_alu instid0(VALU_DEP_2)
	v_add_co_ci_u32_e32 v10, vcc_lo, s1, v10, vcc_lo
	global_store_b32 v[9:10], v5, off
.LBB110_160:
	;; [unrolled: 21-line block ×7, first 2 shown]
	s_or_b32 exec_lo, exec_lo, s3
.LBB110_176:
	s_and_b32 s0, s2, s22
	s_delay_alu instid0(SALU_CYCLE_1)
	s_and_saveexec_b32 s1, s0
	s_cbranch_execz .LBB110_199
.LBB110_177:
	v_add_co_u32 v0, s0, s10, v19
	s_delay_alu instid0(VALU_DEP_1) | instskip(SKIP_1) | instid1(VALU_DEP_3)
	v_add_co_ci_u32_e64 v1, null, s11, 0, s0
	v_mov_b32_e32 v2, 0
	v_add_co_u32 v0, vcc_lo, v0, v20
	s_delay_alu instid0(VALU_DEP_3)
	v_add_co_ci_u32_e32 v1, vcc_lo, 0, v1, vcc_lo
	global_store_b64 v2, v[0:1], s[12:13]
	s_nop 0
	s_sendmsg sendmsg(MSG_DEALLOC_VGPRS)
	s_endpgm
.LBB110_178:
	s_and_b32 vcc_lo, exec_lo, s0
	s_cbranch_vccz .LBB110_176
; %bb.179:
	s_mov_b32 s0, exec_lo
	v_cmpx_eq_u32_e32 1, v17
	s_cbranch_execz .LBB110_181
; %bb.180:
	v_sub_nc_u32_e32 v9, v37, v20
	s_delay_alu instid0(VALU_DEP_1)
	v_lshlrev_b32_e32 v9, 2, v9
	ds_store_b32 v9, v7
.LBB110_181:
	s_or_b32 exec_lo, exec_lo, s0
	v_and_b32_e32 v7, 1, v42
	s_mov_b32 s0, exec_lo
	s_delay_alu instid0(VALU_DEP_1)
	v_cmpx_eq_u32_e32 1, v7
	s_cbranch_execz .LBB110_183
; %bb.182:
	v_sub_nc_u32_e32 v7, v35, v20
	s_delay_alu instid0(VALU_DEP_1)
	v_lshlrev_b32_e32 v7, 2, v7
	ds_store_b32 v7, v8
.LBB110_183:
	s_or_b32 exec_lo, exec_lo, s0
	v_and_b32_e32 v7, 1, v41
	s_mov_b32 s0, exec_lo
	s_delay_alu instid0(VALU_DEP_1)
	;; [unrolled: 12-line block ×7, first 2 shown]
	v_cmpx_eq_u32_e32 1, v1
	s_cbranch_execz .LBB110_195
; %bb.194:
	v_sub_nc_u32_e32 v1, v23, v20
	s_delay_alu instid0(VALU_DEP_1)
	v_lshlrev_b32_e32 v1, 2, v1
	ds_store_b32 v1, v2
.LBB110_195:
	s_or_b32 exec_lo, exec_lo, s0
	s_delay_alu instid0(SALU_CYCLE_1)
	s_mov_b32 s1, exec_lo
	s_waitcnt lgkmcnt(0)
	s_waitcnt_vscnt null, 0x0
	s_barrier
	buffer_gl0_inv
	v_cmpx_lt_u32_e64 v0, v19
	s_cbranch_execz .LBB110_198
; %bb.196:
	v_dual_mov_b32 v1, 0 :: v_dual_mov_b32 v2, v20
	s_lshl_b64 s[4:5], s[10:11], 2
	v_lshlrev_b32_e32 v4, 2, v0
	s_add_u32 s0, s18, s4
	s_delay_alu instid0(VALU_DEP_2) | instskip(SKIP_1) | instid1(VALU_DEP_1)
	v_mov_b32_e32 v3, v1
	s_addc_u32 s3, s19, s5
	v_lshlrev_b64 v[2:3], 2, v[2:3]
	s_delay_alu instid0(VALU_DEP_1) | instskip(NEXT) | instid1(VALU_DEP_2)
	v_add_co_u32 v2, vcc_lo, s0, v2
	v_add_co_ci_u32_e32 v3, vcc_lo, s3, v3, vcc_lo
	s_mov_b32 s3, 0
	.p2align	6
.LBB110_197:                            ; =>This Inner Loop Header: Depth=1
	ds_load_b32 v7, v4
	v_lshlrev_b64 v[5:6], 2, v[0:1]
	v_add_nc_u32_e32 v0, 0x180, v0
	v_add_nc_u32_e32 v4, 0x600, v4
	s_delay_alu instid0(VALU_DEP_2) | instskip(NEXT) | instid1(VALU_DEP_4)
	v_cmp_ge_u32_e32 vcc_lo, v0, v19
	v_add_co_u32 v5, s0, v2, v5
	s_delay_alu instid0(VALU_DEP_1)
	v_add_co_ci_u32_e64 v6, s0, v3, v6, s0
	s_or_b32 s3, vcc_lo, s3
	s_waitcnt lgkmcnt(0)
	global_store_b32 v[5:6], v7, off
	s_and_not1_b32 exec_lo, exec_lo, s3
	s_cbranch_execnz .LBB110_197
.LBB110_198:
	s_or_b32 exec_lo, exec_lo, s1
	s_and_b32 s0, s2, s22
	s_delay_alu instid0(SALU_CYCLE_1)
	s_and_saveexec_b32 s1, s0
	s_cbranch_execnz .LBB110_177
.LBB110_199:
	s_nop 0
	s_sendmsg sendmsg(MSG_DEALLOC_VGPRS)
	s_endpgm
	.section	.rodata,"a",@progbits
	.p2align	6, 0x0
	.amdhsa_kernel _ZN7rocprim17ROCPRIM_400000_NS6detail17trampoline_kernelINS0_14default_configENS1_25partition_config_selectorILNS1_17partition_subalgoE9EffbEEZZNS1_14partition_implILS5_9ELb0ES3_jN6thrust23THRUST_200600_302600_NS6detail15normal_iteratorINS9_10device_ptrIfEEEESE_PNS0_10empty_typeENS0_5tupleIJSE_SF_EEENSH_IJSE_SG_EEENS0_18inequality_wrapperINS9_8equal_toIfEEEEPmJSF_EEE10hipError_tPvRmT3_T4_T5_T6_T7_T9_mT8_P12ihipStream_tbDpT10_ENKUlT_T0_E_clISt17integral_constantIbLb0EES17_IbLb1EEEEDaS13_S14_EUlS13_E_NS1_11comp_targetILNS1_3genE9ELNS1_11target_archE1100ELNS1_3gpuE3ELNS1_3repE0EEENS1_30default_config_static_selectorELNS0_4arch9wavefront6targetE0EEEvT1_
		.amdhsa_group_segment_fixed_size 12680
		.amdhsa_private_segment_fixed_size 0
		.amdhsa_kernarg_size 128
		.amdhsa_user_sgpr_count 15
		.amdhsa_user_sgpr_dispatch_ptr 0
		.amdhsa_user_sgpr_queue_ptr 0
		.amdhsa_user_sgpr_kernarg_segment_ptr 1
		.amdhsa_user_sgpr_dispatch_id 0
		.amdhsa_user_sgpr_private_segment_size 0
		.amdhsa_wavefront_size32 1
		.amdhsa_uses_dynamic_stack 0
		.amdhsa_enable_private_segment 0
		.amdhsa_system_sgpr_workgroup_id_x 1
		.amdhsa_system_sgpr_workgroup_id_y 0
		.amdhsa_system_sgpr_workgroup_id_z 0
		.amdhsa_system_sgpr_workgroup_info 0
		.amdhsa_system_vgpr_workitem_id 0
		.amdhsa_next_free_vgpr 51
		.amdhsa_next_free_sgpr 29
		.amdhsa_reserve_vcc 1
		.amdhsa_float_round_mode_32 0
		.amdhsa_float_round_mode_16_64 0
		.amdhsa_float_denorm_mode_32 3
		.amdhsa_float_denorm_mode_16_64 3
		.amdhsa_dx10_clamp 1
		.amdhsa_ieee_mode 1
		.amdhsa_fp16_overflow 0
		.amdhsa_workgroup_processor_mode 1
		.amdhsa_memory_ordered 1
		.amdhsa_forward_progress 0
		.amdhsa_shared_vgpr_count 0
		.amdhsa_exception_fp_ieee_invalid_op 0
		.amdhsa_exception_fp_denorm_src 0
		.amdhsa_exception_fp_ieee_div_zero 0
		.amdhsa_exception_fp_ieee_overflow 0
		.amdhsa_exception_fp_ieee_underflow 0
		.amdhsa_exception_fp_ieee_inexact 0
		.amdhsa_exception_int_div_zero 0
	.end_amdhsa_kernel
	.section	.text._ZN7rocprim17ROCPRIM_400000_NS6detail17trampoline_kernelINS0_14default_configENS1_25partition_config_selectorILNS1_17partition_subalgoE9EffbEEZZNS1_14partition_implILS5_9ELb0ES3_jN6thrust23THRUST_200600_302600_NS6detail15normal_iteratorINS9_10device_ptrIfEEEESE_PNS0_10empty_typeENS0_5tupleIJSE_SF_EEENSH_IJSE_SG_EEENS0_18inequality_wrapperINS9_8equal_toIfEEEEPmJSF_EEE10hipError_tPvRmT3_T4_T5_T6_T7_T9_mT8_P12ihipStream_tbDpT10_ENKUlT_T0_E_clISt17integral_constantIbLb0EES17_IbLb1EEEEDaS13_S14_EUlS13_E_NS1_11comp_targetILNS1_3genE9ELNS1_11target_archE1100ELNS1_3gpuE3ELNS1_3repE0EEENS1_30default_config_static_selectorELNS0_4arch9wavefront6targetE0EEEvT1_,"axG",@progbits,_ZN7rocprim17ROCPRIM_400000_NS6detail17trampoline_kernelINS0_14default_configENS1_25partition_config_selectorILNS1_17partition_subalgoE9EffbEEZZNS1_14partition_implILS5_9ELb0ES3_jN6thrust23THRUST_200600_302600_NS6detail15normal_iteratorINS9_10device_ptrIfEEEESE_PNS0_10empty_typeENS0_5tupleIJSE_SF_EEENSH_IJSE_SG_EEENS0_18inequality_wrapperINS9_8equal_toIfEEEEPmJSF_EEE10hipError_tPvRmT3_T4_T5_T6_T7_T9_mT8_P12ihipStream_tbDpT10_ENKUlT_T0_E_clISt17integral_constantIbLb0EES17_IbLb1EEEEDaS13_S14_EUlS13_E_NS1_11comp_targetILNS1_3genE9ELNS1_11target_archE1100ELNS1_3gpuE3ELNS1_3repE0EEENS1_30default_config_static_selectorELNS0_4arch9wavefront6targetE0EEEvT1_,comdat
.Lfunc_end110:
	.size	_ZN7rocprim17ROCPRIM_400000_NS6detail17trampoline_kernelINS0_14default_configENS1_25partition_config_selectorILNS1_17partition_subalgoE9EffbEEZZNS1_14partition_implILS5_9ELb0ES3_jN6thrust23THRUST_200600_302600_NS6detail15normal_iteratorINS9_10device_ptrIfEEEESE_PNS0_10empty_typeENS0_5tupleIJSE_SF_EEENSH_IJSE_SG_EEENS0_18inequality_wrapperINS9_8equal_toIfEEEEPmJSF_EEE10hipError_tPvRmT3_T4_T5_T6_T7_T9_mT8_P12ihipStream_tbDpT10_ENKUlT_T0_E_clISt17integral_constantIbLb0EES17_IbLb1EEEEDaS13_S14_EUlS13_E_NS1_11comp_targetILNS1_3genE9ELNS1_11target_archE1100ELNS1_3gpuE3ELNS1_3repE0EEENS1_30default_config_static_selectorELNS0_4arch9wavefront6targetE0EEEvT1_, .Lfunc_end110-_ZN7rocprim17ROCPRIM_400000_NS6detail17trampoline_kernelINS0_14default_configENS1_25partition_config_selectorILNS1_17partition_subalgoE9EffbEEZZNS1_14partition_implILS5_9ELb0ES3_jN6thrust23THRUST_200600_302600_NS6detail15normal_iteratorINS9_10device_ptrIfEEEESE_PNS0_10empty_typeENS0_5tupleIJSE_SF_EEENSH_IJSE_SG_EEENS0_18inequality_wrapperINS9_8equal_toIfEEEEPmJSF_EEE10hipError_tPvRmT3_T4_T5_T6_T7_T9_mT8_P12ihipStream_tbDpT10_ENKUlT_T0_E_clISt17integral_constantIbLb0EES17_IbLb1EEEEDaS13_S14_EUlS13_E_NS1_11comp_targetILNS1_3genE9ELNS1_11target_archE1100ELNS1_3gpuE3ELNS1_3repE0EEENS1_30default_config_static_selectorELNS0_4arch9wavefront6targetE0EEEvT1_
                                        ; -- End function
	.section	.AMDGPU.csdata,"",@progbits
; Kernel info:
; codeLenInByte = 9360
; NumSgprs: 31
; NumVgprs: 51
; ScratchSize: 0
; MemoryBound: 0
; FloatMode: 240
; IeeeMode: 1
; LDSByteSize: 12680 bytes/workgroup (compile time only)
; SGPRBlocks: 3
; VGPRBlocks: 6
; NumSGPRsForWavesPerEU: 31
; NumVGPRsForWavesPerEU: 51
; Occupancy: 15
; WaveLimiterHint : 1
; COMPUTE_PGM_RSRC2:SCRATCH_EN: 0
; COMPUTE_PGM_RSRC2:USER_SGPR: 15
; COMPUTE_PGM_RSRC2:TRAP_HANDLER: 0
; COMPUTE_PGM_RSRC2:TGID_X_EN: 1
; COMPUTE_PGM_RSRC2:TGID_Y_EN: 0
; COMPUTE_PGM_RSRC2:TGID_Z_EN: 0
; COMPUTE_PGM_RSRC2:TIDIG_COMP_CNT: 0
	.section	.text._ZN7rocprim17ROCPRIM_400000_NS6detail17trampoline_kernelINS0_14default_configENS1_25partition_config_selectorILNS1_17partition_subalgoE9EffbEEZZNS1_14partition_implILS5_9ELb0ES3_jN6thrust23THRUST_200600_302600_NS6detail15normal_iteratorINS9_10device_ptrIfEEEESE_PNS0_10empty_typeENS0_5tupleIJSE_SF_EEENSH_IJSE_SG_EEENS0_18inequality_wrapperINS9_8equal_toIfEEEEPmJSF_EEE10hipError_tPvRmT3_T4_T5_T6_T7_T9_mT8_P12ihipStream_tbDpT10_ENKUlT_T0_E_clISt17integral_constantIbLb0EES17_IbLb1EEEEDaS13_S14_EUlS13_E_NS1_11comp_targetILNS1_3genE8ELNS1_11target_archE1030ELNS1_3gpuE2ELNS1_3repE0EEENS1_30default_config_static_selectorELNS0_4arch9wavefront6targetE0EEEvT1_,"axG",@progbits,_ZN7rocprim17ROCPRIM_400000_NS6detail17trampoline_kernelINS0_14default_configENS1_25partition_config_selectorILNS1_17partition_subalgoE9EffbEEZZNS1_14partition_implILS5_9ELb0ES3_jN6thrust23THRUST_200600_302600_NS6detail15normal_iteratorINS9_10device_ptrIfEEEESE_PNS0_10empty_typeENS0_5tupleIJSE_SF_EEENSH_IJSE_SG_EEENS0_18inequality_wrapperINS9_8equal_toIfEEEEPmJSF_EEE10hipError_tPvRmT3_T4_T5_T6_T7_T9_mT8_P12ihipStream_tbDpT10_ENKUlT_T0_E_clISt17integral_constantIbLb0EES17_IbLb1EEEEDaS13_S14_EUlS13_E_NS1_11comp_targetILNS1_3genE8ELNS1_11target_archE1030ELNS1_3gpuE2ELNS1_3repE0EEENS1_30default_config_static_selectorELNS0_4arch9wavefront6targetE0EEEvT1_,comdat
	.protected	_ZN7rocprim17ROCPRIM_400000_NS6detail17trampoline_kernelINS0_14default_configENS1_25partition_config_selectorILNS1_17partition_subalgoE9EffbEEZZNS1_14partition_implILS5_9ELb0ES3_jN6thrust23THRUST_200600_302600_NS6detail15normal_iteratorINS9_10device_ptrIfEEEESE_PNS0_10empty_typeENS0_5tupleIJSE_SF_EEENSH_IJSE_SG_EEENS0_18inequality_wrapperINS9_8equal_toIfEEEEPmJSF_EEE10hipError_tPvRmT3_T4_T5_T6_T7_T9_mT8_P12ihipStream_tbDpT10_ENKUlT_T0_E_clISt17integral_constantIbLb0EES17_IbLb1EEEEDaS13_S14_EUlS13_E_NS1_11comp_targetILNS1_3genE8ELNS1_11target_archE1030ELNS1_3gpuE2ELNS1_3repE0EEENS1_30default_config_static_selectorELNS0_4arch9wavefront6targetE0EEEvT1_ ; -- Begin function _ZN7rocprim17ROCPRIM_400000_NS6detail17trampoline_kernelINS0_14default_configENS1_25partition_config_selectorILNS1_17partition_subalgoE9EffbEEZZNS1_14partition_implILS5_9ELb0ES3_jN6thrust23THRUST_200600_302600_NS6detail15normal_iteratorINS9_10device_ptrIfEEEESE_PNS0_10empty_typeENS0_5tupleIJSE_SF_EEENSH_IJSE_SG_EEENS0_18inequality_wrapperINS9_8equal_toIfEEEEPmJSF_EEE10hipError_tPvRmT3_T4_T5_T6_T7_T9_mT8_P12ihipStream_tbDpT10_ENKUlT_T0_E_clISt17integral_constantIbLb0EES17_IbLb1EEEEDaS13_S14_EUlS13_E_NS1_11comp_targetILNS1_3genE8ELNS1_11target_archE1030ELNS1_3gpuE2ELNS1_3repE0EEENS1_30default_config_static_selectorELNS0_4arch9wavefront6targetE0EEEvT1_
	.globl	_ZN7rocprim17ROCPRIM_400000_NS6detail17trampoline_kernelINS0_14default_configENS1_25partition_config_selectorILNS1_17partition_subalgoE9EffbEEZZNS1_14partition_implILS5_9ELb0ES3_jN6thrust23THRUST_200600_302600_NS6detail15normal_iteratorINS9_10device_ptrIfEEEESE_PNS0_10empty_typeENS0_5tupleIJSE_SF_EEENSH_IJSE_SG_EEENS0_18inequality_wrapperINS9_8equal_toIfEEEEPmJSF_EEE10hipError_tPvRmT3_T4_T5_T6_T7_T9_mT8_P12ihipStream_tbDpT10_ENKUlT_T0_E_clISt17integral_constantIbLb0EES17_IbLb1EEEEDaS13_S14_EUlS13_E_NS1_11comp_targetILNS1_3genE8ELNS1_11target_archE1030ELNS1_3gpuE2ELNS1_3repE0EEENS1_30default_config_static_selectorELNS0_4arch9wavefront6targetE0EEEvT1_
	.p2align	8
	.type	_ZN7rocprim17ROCPRIM_400000_NS6detail17trampoline_kernelINS0_14default_configENS1_25partition_config_selectorILNS1_17partition_subalgoE9EffbEEZZNS1_14partition_implILS5_9ELb0ES3_jN6thrust23THRUST_200600_302600_NS6detail15normal_iteratorINS9_10device_ptrIfEEEESE_PNS0_10empty_typeENS0_5tupleIJSE_SF_EEENSH_IJSE_SG_EEENS0_18inequality_wrapperINS9_8equal_toIfEEEEPmJSF_EEE10hipError_tPvRmT3_T4_T5_T6_T7_T9_mT8_P12ihipStream_tbDpT10_ENKUlT_T0_E_clISt17integral_constantIbLb0EES17_IbLb1EEEEDaS13_S14_EUlS13_E_NS1_11comp_targetILNS1_3genE8ELNS1_11target_archE1030ELNS1_3gpuE2ELNS1_3repE0EEENS1_30default_config_static_selectorELNS0_4arch9wavefront6targetE0EEEvT1_,@function
_ZN7rocprim17ROCPRIM_400000_NS6detail17trampoline_kernelINS0_14default_configENS1_25partition_config_selectorILNS1_17partition_subalgoE9EffbEEZZNS1_14partition_implILS5_9ELb0ES3_jN6thrust23THRUST_200600_302600_NS6detail15normal_iteratorINS9_10device_ptrIfEEEESE_PNS0_10empty_typeENS0_5tupleIJSE_SF_EEENSH_IJSE_SG_EEENS0_18inequality_wrapperINS9_8equal_toIfEEEEPmJSF_EEE10hipError_tPvRmT3_T4_T5_T6_T7_T9_mT8_P12ihipStream_tbDpT10_ENKUlT_T0_E_clISt17integral_constantIbLb0EES17_IbLb1EEEEDaS13_S14_EUlS13_E_NS1_11comp_targetILNS1_3genE8ELNS1_11target_archE1030ELNS1_3gpuE2ELNS1_3repE0EEENS1_30default_config_static_selectorELNS0_4arch9wavefront6targetE0EEEvT1_: ; @_ZN7rocprim17ROCPRIM_400000_NS6detail17trampoline_kernelINS0_14default_configENS1_25partition_config_selectorILNS1_17partition_subalgoE9EffbEEZZNS1_14partition_implILS5_9ELb0ES3_jN6thrust23THRUST_200600_302600_NS6detail15normal_iteratorINS9_10device_ptrIfEEEESE_PNS0_10empty_typeENS0_5tupleIJSE_SF_EEENSH_IJSE_SG_EEENS0_18inequality_wrapperINS9_8equal_toIfEEEEPmJSF_EEE10hipError_tPvRmT3_T4_T5_T6_T7_T9_mT8_P12ihipStream_tbDpT10_ENKUlT_T0_E_clISt17integral_constantIbLb0EES17_IbLb1EEEEDaS13_S14_EUlS13_E_NS1_11comp_targetILNS1_3genE8ELNS1_11target_archE1030ELNS1_3gpuE2ELNS1_3repE0EEENS1_30default_config_static_selectorELNS0_4arch9wavefront6targetE0EEEvT1_
; %bb.0:
	.section	.rodata,"a",@progbits
	.p2align	6, 0x0
	.amdhsa_kernel _ZN7rocprim17ROCPRIM_400000_NS6detail17trampoline_kernelINS0_14default_configENS1_25partition_config_selectorILNS1_17partition_subalgoE9EffbEEZZNS1_14partition_implILS5_9ELb0ES3_jN6thrust23THRUST_200600_302600_NS6detail15normal_iteratorINS9_10device_ptrIfEEEESE_PNS0_10empty_typeENS0_5tupleIJSE_SF_EEENSH_IJSE_SG_EEENS0_18inequality_wrapperINS9_8equal_toIfEEEEPmJSF_EEE10hipError_tPvRmT3_T4_T5_T6_T7_T9_mT8_P12ihipStream_tbDpT10_ENKUlT_T0_E_clISt17integral_constantIbLb0EES17_IbLb1EEEEDaS13_S14_EUlS13_E_NS1_11comp_targetILNS1_3genE8ELNS1_11target_archE1030ELNS1_3gpuE2ELNS1_3repE0EEENS1_30default_config_static_selectorELNS0_4arch9wavefront6targetE0EEEvT1_
		.amdhsa_group_segment_fixed_size 0
		.amdhsa_private_segment_fixed_size 0
		.amdhsa_kernarg_size 128
		.amdhsa_user_sgpr_count 15
		.amdhsa_user_sgpr_dispatch_ptr 0
		.amdhsa_user_sgpr_queue_ptr 0
		.amdhsa_user_sgpr_kernarg_segment_ptr 1
		.amdhsa_user_sgpr_dispatch_id 0
		.amdhsa_user_sgpr_private_segment_size 0
		.amdhsa_wavefront_size32 1
		.amdhsa_uses_dynamic_stack 0
		.amdhsa_enable_private_segment 0
		.amdhsa_system_sgpr_workgroup_id_x 1
		.amdhsa_system_sgpr_workgroup_id_y 0
		.amdhsa_system_sgpr_workgroup_id_z 0
		.amdhsa_system_sgpr_workgroup_info 0
		.amdhsa_system_vgpr_workitem_id 0
		.amdhsa_next_free_vgpr 1
		.amdhsa_next_free_sgpr 1
		.amdhsa_reserve_vcc 0
		.amdhsa_float_round_mode_32 0
		.amdhsa_float_round_mode_16_64 0
		.amdhsa_float_denorm_mode_32 3
		.amdhsa_float_denorm_mode_16_64 3
		.amdhsa_dx10_clamp 1
		.amdhsa_ieee_mode 1
		.amdhsa_fp16_overflow 0
		.amdhsa_workgroup_processor_mode 1
		.amdhsa_memory_ordered 1
		.amdhsa_forward_progress 0
		.amdhsa_shared_vgpr_count 0
		.amdhsa_exception_fp_ieee_invalid_op 0
		.amdhsa_exception_fp_denorm_src 0
		.amdhsa_exception_fp_ieee_div_zero 0
		.amdhsa_exception_fp_ieee_overflow 0
		.amdhsa_exception_fp_ieee_underflow 0
		.amdhsa_exception_fp_ieee_inexact 0
		.amdhsa_exception_int_div_zero 0
	.end_amdhsa_kernel
	.section	.text._ZN7rocprim17ROCPRIM_400000_NS6detail17trampoline_kernelINS0_14default_configENS1_25partition_config_selectorILNS1_17partition_subalgoE9EffbEEZZNS1_14partition_implILS5_9ELb0ES3_jN6thrust23THRUST_200600_302600_NS6detail15normal_iteratorINS9_10device_ptrIfEEEESE_PNS0_10empty_typeENS0_5tupleIJSE_SF_EEENSH_IJSE_SG_EEENS0_18inequality_wrapperINS9_8equal_toIfEEEEPmJSF_EEE10hipError_tPvRmT3_T4_T5_T6_T7_T9_mT8_P12ihipStream_tbDpT10_ENKUlT_T0_E_clISt17integral_constantIbLb0EES17_IbLb1EEEEDaS13_S14_EUlS13_E_NS1_11comp_targetILNS1_3genE8ELNS1_11target_archE1030ELNS1_3gpuE2ELNS1_3repE0EEENS1_30default_config_static_selectorELNS0_4arch9wavefront6targetE0EEEvT1_,"axG",@progbits,_ZN7rocprim17ROCPRIM_400000_NS6detail17trampoline_kernelINS0_14default_configENS1_25partition_config_selectorILNS1_17partition_subalgoE9EffbEEZZNS1_14partition_implILS5_9ELb0ES3_jN6thrust23THRUST_200600_302600_NS6detail15normal_iteratorINS9_10device_ptrIfEEEESE_PNS0_10empty_typeENS0_5tupleIJSE_SF_EEENSH_IJSE_SG_EEENS0_18inequality_wrapperINS9_8equal_toIfEEEEPmJSF_EEE10hipError_tPvRmT3_T4_T5_T6_T7_T9_mT8_P12ihipStream_tbDpT10_ENKUlT_T0_E_clISt17integral_constantIbLb0EES17_IbLb1EEEEDaS13_S14_EUlS13_E_NS1_11comp_targetILNS1_3genE8ELNS1_11target_archE1030ELNS1_3gpuE2ELNS1_3repE0EEENS1_30default_config_static_selectorELNS0_4arch9wavefront6targetE0EEEvT1_,comdat
.Lfunc_end111:
	.size	_ZN7rocprim17ROCPRIM_400000_NS6detail17trampoline_kernelINS0_14default_configENS1_25partition_config_selectorILNS1_17partition_subalgoE9EffbEEZZNS1_14partition_implILS5_9ELb0ES3_jN6thrust23THRUST_200600_302600_NS6detail15normal_iteratorINS9_10device_ptrIfEEEESE_PNS0_10empty_typeENS0_5tupleIJSE_SF_EEENSH_IJSE_SG_EEENS0_18inequality_wrapperINS9_8equal_toIfEEEEPmJSF_EEE10hipError_tPvRmT3_T4_T5_T6_T7_T9_mT8_P12ihipStream_tbDpT10_ENKUlT_T0_E_clISt17integral_constantIbLb0EES17_IbLb1EEEEDaS13_S14_EUlS13_E_NS1_11comp_targetILNS1_3genE8ELNS1_11target_archE1030ELNS1_3gpuE2ELNS1_3repE0EEENS1_30default_config_static_selectorELNS0_4arch9wavefront6targetE0EEEvT1_, .Lfunc_end111-_ZN7rocprim17ROCPRIM_400000_NS6detail17trampoline_kernelINS0_14default_configENS1_25partition_config_selectorILNS1_17partition_subalgoE9EffbEEZZNS1_14partition_implILS5_9ELb0ES3_jN6thrust23THRUST_200600_302600_NS6detail15normal_iteratorINS9_10device_ptrIfEEEESE_PNS0_10empty_typeENS0_5tupleIJSE_SF_EEENSH_IJSE_SG_EEENS0_18inequality_wrapperINS9_8equal_toIfEEEEPmJSF_EEE10hipError_tPvRmT3_T4_T5_T6_T7_T9_mT8_P12ihipStream_tbDpT10_ENKUlT_T0_E_clISt17integral_constantIbLb0EES17_IbLb1EEEEDaS13_S14_EUlS13_E_NS1_11comp_targetILNS1_3genE8ELNS1_11target_archE1030ELNS1_3gpuE2ELNS1_3repE0EEENS1_30default_config_static_selectorELNS0_4arch9wavefront6targetE0EEEvT1_
                                        ; -- End function
	.section	.AMDGPU.csdata,"",@progbits
; Kernel info:
; codeLenInByte = 0
; NumSgprs: 0
; NumVgprs: 0
; ScratchSize: 0
; MemoryBound: 0
; FloatMode: 240
; IeeeMode: 1
; LDSByteSize: 0 bytes/workgroup (compile time only)
; SGPRBlocks: 0
; VGPRBlocks: 0
; NumSGPRsForWavesPerEU: 1
; NumVGPRsForWavesPerEU: 1
; Occupancy: 16
; WaveLimiterHint : 0
; COMPUTE_PGM_RSRC2:SCRATCH_EN: 0
; COMPUTE_PGM_RSRC2:USER_SGPR: 15
; COMPUTE_PGM_RSRC2:TRAP_HANDLER: 0
; COMPUTE_PGM_RSRC2:TGID_X_EN: 1
; COMPUTE_PGM_RSRC2:TGID_Y_EN: 0
; COMPUTE_PGM_RSRC2:TGID_Z_EN: 0
; COMPUTE_PGM_RSRC2:TIDIG_COMP_CNT: 0
	.section	.text._ZN7rocprim17ROCPRIM_400000_NS6detail17trampoline_kernelINS0_14default_configENS1_25partition_config_selectorILNS1_17partition_subalgoE9EffbEEZZNS1_14partition_implILS5_9ELb0ES3_jN6thrust23THRUST_200600_302600_NS6detail15normal_iteratorINS9_10device_ptrIfEEEESE_PNS0_10empty_typeENS0_5tupleIJSE_SF_EEENSH_IJSE_SG_EEENS0_18inequality_wrapperI22is_equal_div_10_uniqueIfEEEPmJSF_EEE10hipError_tPvRmT3_T4_T5_T6_T7_T9_mT8_P12ihipStream_tbDpT10_ENKUlT_T0_E_clISt17integral_constantIbLb0EES18_EEDaS13_S14_EUlS13_E_NS1_11comp_targetILNS1_3genE0ELNS1_11target_archE4294967295ELNS1_3gpuE0ELNS1_3repE0EEENS1_30default_config_static_selectorELNS0_4arch9wavefront6targetE0EEEvT1_,"axG",@progbits,_ZN7rocprim17ROCPRIM_400000_NS6detail17trampoline_kernelINS0_14default_configENS1_25partition_config_selectorILNS1_17partition_subalgoE9EffbEEZZNS1_14partition_implILS5_9ELb0ES3_jN6thrust23THRUST_200600_302600_NS6detail15normal_iteratorINS9_10device_ptrIfEEEESE_PNS0_10empty_typeENS0_5tupleIJSE_SF_EEENSH_IJSE_SG_EEENS0_18inequality_wrapperI22is_equal_div_10_uniqueIfEEEPmJSF_EEE10hipError_tPvRmT3_T4_T5_T6_T7_T9_mT8_P12ihipStream_tbDpT10_ENKUlT_T0_E_clISt17integral_constantIbLb0EES18_EEDaS13_S14_EUlS13_E_NS1_11comp_targetILNS1_3genE0ELNS1_11target_archE4294967295ELNS1_3gpuE0ELNS1_3repE0EEENS1_30default_config_static_selectorELNS0_4arch9wavefront6targetE0EEEvT1_,comdat
	.protected	_ZN7rocprim17ROCPRIM_400000_NS6detail17trampoline_kernelINS0_14default_configENS1_25partition_config_selectorILNS1_17partition_subalgoE9EffbEEZZNS1_14partition_implILS5_9ELb0ES3_jN6thrust23THRUST_200600_302600_NS6detail15normal_iteratorINS9_10device_ptrIfEEEESE_PNS0_10empty_typeENS0_5tupleIJSE_SF_EEENSH_IJSE_SG_EEENS0_18inequality_wrapperI22is_equal_div_10_uniqueIfEEEPmJSF_EEE10hipError_tPvRmT3_T4_T5_T6_T7_T9_mT8_P12ihipStream_tbDpT10_ENKUlT_T0_E_clISt17integral_constantIbLb0EES18_EEDaS13_S14_EUlS13_E_NS1_11comp_targetILNS1_3genE0ELNS1_11target_archE4294967295ELNS1_3gpuE0ELNS1_3repE0EEENS1_30default_config_static_selectorELNS0_4arch9wavefront6targetE0EEEvT1_ ; -- Begin function _ZN7rocprim17ROCPRIM_400000_NS6detail17trampoline_kernelINS0_14default_configENS1_25partition_config_selectorILNS1_17partition_subalgoE9EffbEEZZNS1_14partition_implILS5_9ELb0ES3_jN6thrust23THRUST_200600_302600_NS6detail15normal_iteratorINS9_10device_ptrIfEEEESE_PNS0_10empty_typeENS0_5tupleIJSE_SF_EEENSH_IJSE_SG_EEENS0_18inequality_wrapperI22is_equal_div_10_uniqueIfEEEPmJSF_EEE10hipError_tPvRmT3_T4_T5_T6_T7_T9_mT8_P12ihipStream_tbDpT10_ENKUlT_T0_E_clISt17integral_constantIbLb0EES18_EEDaS13_S14_EUlS13_E_NS1_11comp_targetILNS1_3genE0ELNS1_11target_archE4294967295ELNS1_3gpuE0ELNS1_3repE0EEENS1_30default_config_static_selectorELNS0_4arch9wavefront6targetE0EEEvT1_
	.globl	_ZN7rocprim17ROCPRIM_400000_NS6detail17trampoline_kernelINS0_14default_configENS1_25partition_config_selectorILNS1_17partition_subalgoE9EffbEEZZNS1_14partition_implILS5_9ELb0ES3_jN6thrust23THRUST_200600_302600_NS6detail15normal_iteratorINS9_10device_ptrIfEEEESE_PNS0_10empty_typeENS0_5tupleIJSE_SF_EEENSH_IJSE_SG_EEENS0_18inequality_wrapperI22is_equal_div_10_uniqueIfEEEPmJSF_EEE10hipError_tPvRmT3_T4_T5_T6_T7_T9_mT8_P12ihipStream_tbDpT10_ENKUlT_T0_E_clISt17integral_constantIbLb0EES18_EEDaS13_S14_EUlS13_E_NS1_11comp_targetILNS1_3genE0ELNS1_11target_archE4294967295ELNS1_3gpuE0ELNS1_3repE0EEENS1_30default_config_static_selectorELNS0_4arch9wavefront6targetE0EEEvT1_
	.p2align	8
	.type	_ZN7rocprim17ROCPRIM_400000_NS6detail17trampoline_kernelINS0_14default_configENS1_25partition_config_selectorILNS1_17partition_subalgoE9EffbEEZZNS1_14partition_implILS5_9ELb0ES3_jN6thrust23THRUST_200600_302600_NS6detail15normal_iteratorINS9_10device_ptrIfEEEESE_PNS0_10empty_typeENS0_5tupleIJSE_SF_EEENSH_IJSE_SG_EEENS0_18inequality_wrapperI22is_equal_div_10_uniqueIfEEEPmJSF_EEE10hipError_tPvRmT3_T4_T5_T6_T7_T9_mT8_P12ihipStream_tbDpT10_ENKUlT_T0_E_clISt17integral_constantIbLb0EES18_EEDaS13_S14_EUlS13_E_NS1_11comp_targetILNS1_3genE0ELNS1_11target_archE4294967295ELNS1_3gpuE0ELNS1_3repE0EEENS1_30default_config_static_selectorELNS0_4arch9wavefront6targetE0EEEvT1_,@function
_ZN7rocprim17ROCPRIM_400000_NS6detail17trampoline_kernelINS0_14default_configENS1_25partition_config_selectorILNS1_17partition_subalgoE9EffbEEZZNS1_14partition_implILS5_9ELb0ES3_jN6thrust23THRUST_200600_302600_NS6detail15normal_iteratorINS9_10device_ptrIfEEEESE_PNS0_10empty_typeENS0_5tupleIJSE_SF_EEENSH_IJSE_SG_EEENS0_18inequality_wrapperI22is_equal_div_10_uniqueIfEEEPmJSF_EEE10hipError_tPvRmT3_T4_T5_T6_T7_T9_mT8_P12ihipStream_tbDpT10_ENKUlT_T0_E_clISt17integral_constantIbLb0EES18_EEDaS13_S14_EUlS13_E_NS1_11comp_targetILNS1_3genE0ELNS1_11target_archE4294967295ELNS1_3gpuE0ELNS1_3repE0EEENS1_30default_config_static_selectorELNS0_4arch9wavefront6targetE0EEEvT1_: ; @_ZN7rocprim17ROCPRIM_400000_NS6detail17trampoline_kernelINS0_14default_configENS1_25partition_config_selectorILNS1_17partition_subalgoE9EffbEEZZNS1_14partition_implILS5_9ELb0ES3_jN6thrust23THRUST_200600_302600_NS6detail15normal_iteratorINS9_10device_ptrIfEEEESE_PNS0_10empty_typeENS0_5tupleIJSE_SF_EEENSH_IJSE_SG_EEENS0_18inequality_wrapperI22is_equal_div_10_uniqueIfEEEPmJSF_EEE10hipError_tPvRmT3_T4_T5_T6_T7_T9_mT8_P12ihipStream_tbDpT10_ENKUlT_T0_E_clISt17integral_constantIbLb0EES18_EEDaS13_S14_EUlS13_E_NS1_11comp_targetILNS1_3genE0ELNS1_11target_archE4294967295ELNS1_3gpuE0ELNS1_3repE0EEENS1_30default_config_static_selectorELNS0_4arch9wavefront6targetE0EEEvT1_
; %bb.0:
	.section	.rodata,"a",@progbits
	.p2align	6, 0x0
	.amdhsa_kernel _ZN7rocprim17ROCPRIM_400000_NS6detail17trampoline_kernelINS0_14default_configENS1_25partition_config_selectorILNS1_17partition_subalgoE9EffbEEZZNS1_14partition_implILS5_9ELb0ES3_jN6thrust23THRUST_200600_302600_NS6detail15normal_iteratorINS9_10device_ptrIfEEEESE_PNS0_10empty_typeENS0_5tupleIJSE_SF_EEENSH_IJSE_SG_EEENS0_18inequality_wrapperI22is_equal_div_10_uniqueIfEEEPmJSF_EEE10hipError_tPvRmT3_T4_T5_T6_T7_T9_mT8_P12ihipStream_tbDpT10_ENKUlT_T0_E_clISt17integral_constantIbLb0EES18_EEDaS13_S14_EUlS13_E_NS1_11comp_targetILNS1_3genE0ELNS1_11target_archE4294967295ELNS1_3gpuE0ELNS1_3repE0EEENS1_30default_config_static_selectorELNS0_4arch9wavefront6targetE0EEEvT1_
		.amdhsa_group_segment_fixed_size 0
		.amdhsa_private_segment_fixed_size 0
		.amdhsa_kernarg_size 112
		.amdhsa_user_sgpr_count 15
		.amdhsa_user_sgpr_dispatch_ptr 0
		.amdhsa_user_sgpr_queue_ptr 0
		.amdhsa_user_sgpr_kernarg_segment_ptr 1
		.amdhsa_user_sgpr_dispatch_id 0
		.amdhsa_user_sgpr_private_segment_size 0
		.amdhsa_wavefront_size32 1
		.amdhsa_uses_dynamic_stack 0
		.amdhsa_enable_private_segment 0
		.amdhsa_system_sgpr_workgroup_id_x 1
		.amdhsa_system_sgpr_workgroup_id_y 0
		.amdhsa_system_sgpr_workgroup_id_z 0
		.amdhsa_system_sgpr_workgroup_info 0
		.amdhsa_system_vgpr_workitem_id 0
		.amdhsa_next_free_vgpr 1
		.amdhsa_next_free_sgpr 1
		.amdhsa_reserve_vcc 0
		.amdhsa_float_round_mode_32 0
		.amdhsa_float_round_mode_16_64 0
		.amdhsa_float_denorm_mode_32 3
		.amdhsa_float_denorm_mode_16_64 3
		.amdhsa_dx10_clamp 1
		.amdhsa_ieee_mode 1
		.amdhsa_fp16_overflow 0
		.amdhsa_workgroup_processor_mode 1
		.amdhsa_memory_ordered 1
		.amdhsa_forward_progress 0
		.amdhsa_shared_vgpr_count 0
		.amdhsa_exception_fp_ieee_invalid_op 0
		.amdhsa_exception_fp_denorm_src 0
		.amdhsa_exception_fp_ieee_div_zero 0
		.amdhsa_exception_fp_ieee_overflow 0
		.amdhsa_exception_fp_ieee_underflow 0
		.amdhsa_exception_fp_ieee_inexact 0
		.amdhsa_exception_int_div_zero 0
	.end_amdhsa_kernel
	.section	.text._ZN7rocprim17ROCPRIM_400000_NS6detail17trampoline_kernelINS0_14default_configENS1_25partition_config_selectorILNS1_17partition_subalgoE9EffbEEZZNS1_14partition_implILS5_9ELb0ES3_jN6thrust23THRUST_200600_302600_NS6detail15normal_iteratorINS9_10device_ptrIfEEEESE_PNS0_10empty_typeENS0_5tupleIJSE_SF_EEENSH_IJSE_SG_EEENS0_18inequality_wrapperI22is_equal_div_10_uniqueIfEEEPmJSF_EEE10hipError_tPvRmT3_T4_T5_T6_T7_T9_mT8_P12ihipStream_tbDpT10_ENKUlT_T0_E_clISt17integral_constantIbLb0EES18_EEDaS13_S14_EUlS13_E_NS1_11comp_targetILNS1_3genE0ELNS1_11target_archE4294967295ELNS1_3gpuE0ELNS1_3repE0EEENS1_30default_config_static_selectorELNS0_4arch9wavefront6targetE0EEEvT1_,"axG",@progbits,_ZN7rocprim17ROCPRIM_400000_NS6detail17trampoline_kernelINS0_14default_configENS1_25partition_config_selectorILNS1_17partition_subalgoE9EffbEEZZNS1_14partition_implILS5_9ELb0ES3_jN6thrust23THRUST_200600_302600_NS6detail15normal_iteratorINS9_10device_ptrIfEEEESE_PNS0_10empty_typeENS0_5tupleIJSE_SF_EEENSH_IJSE_SG_EEENS0_18inequality_wrapperI22is_equal_div_10_uniqueIfEEEPmJSF_EEE10hipError_tPvRmT3_T4_T5_T6_T7_T9_mT8_P12ihipStream_tbDpT10_ENKUlT_T0_E_clISt17integral_constantIbLb0EES18_EEDaS13_S14_EUlS13_E_NS1_11comp_targetILNS1_3genE0ELNS1_11target_archE4294967295ELNS1_3gpuE0ELNS1_3repE0EEENS1_30default_config_static_selectorELNS0_4arch9wavefront6targetE0EEEvT1_,comdat
.Lfunc_end112:
	.size	_ZN7rocprim17ROCPRIM_400000_NS6detail17trampoline_kernelINS0_14default_configENS1_25partition_config_selectorILNS1_17partition_subalgoE9EffbEEZZNS1_14partition_implILS5_9ELb0ES3_jN6thrust23THRUST_200600_302600_NS6detail15normal_iteratorINS9_10device_ptrIfEEEESE_PNS0_10empty_typeENS0_5tupleIJSE_SF_EEENSH_IJSE_SG_EEENS0_18inequality_wrapperI22is_equal_div_10_uniqueIfEEEPmJSF_EEE10hipError_tPvRmT3_T4_T5_T6_T7_T9_mT8_P12ihipStream_tbDpT10_ENKUlT_T0_E_clISt17integral_constantIbLb0EES18_EEDaS13_S14_EUlS13_E_NS1_11comp_targetILNS1_3genE0ELNS1_11target_archE4294967295ELNS1_3gpuE0ELNS1_3repE0EEENS1_30default_config_static_selectorELNS0_4arch9wavefront6targetE0EEEvT1_, .Lfunc_end112-_ZN7rocprim17ROCPRIM_400000_NS6detail17trampoline_kernelINS0_14default_configENS1_25partition_config_selectorILNS1_17partition_subalgoE9EffbEEZZNS1_14partition_implILS5_9ELb0ES3_jN6thrust23THRUST_200600_302600_NS6detail15normal_iteratorINS9_10device_ptrIfEEEESE_PNS0_10empty_typeENS0_5tupleIJSE_SF_EEENSH_IJSE_SG_EEENS0_18inequality_wrapperI22is_equal_div_10_uniqueIfEEEPmJSF_EEE10hipError_tPvRmT3_T4_T5_T6_T7_T9_mT8_P12ihipStream_tbDpT10_ENKUlT_T0_E_clISt17integral_constantIbLb0EES18_EEDaS13_S14_EUlS13_E_NS1_11comp_targetILNS1_3genE0ELNS1_11target_archE4294967295ELNS1_3gpuE0ELNS1_3repE0EEENS1_30default_config_static_selectorELNS0_4arch9wavefront6targetE0EEEvT1_
                                        ; -- End function
	.section	.AMDGPU.csdata,"",@progbits
; Kernel info:
; codeLenInByte = 0
; NumSgprs: 0
; NumVgprs: 0
; ScratchSize: 0
; MemoryBound: 0
; FloatMode: 240
; IeeeMode: 1
; LDSByteSize: 0 bytes/workgroup (compile time only)
; SGPRBlocks: 0
; VGPRBlocks: 0
; NumSGPRsForWavesPerEU: 1
; NumVGPRsForWavesPerEU: 1
; Occupancy: 16
; WaveLimiterHint : 0
; COMPUTE_PGM_RSRC2:SCRATCH_EN: 0
; COMPUTE_PGM_RSRC2:USER_SGPR: 15
; COMPUTE_PGM_RSRC2:TRAP_HANDLER: 0
; COMPUTE_PGM_RSRC2:TGID_X_EN: 1
; COMPUTE_PGM_RSRC2:TGID_Y_EN: 0
; COMPUTE_PGM_RSRC2:TGID_Z_EN: 0
; COMPUTE_PGM_RSRC2:TIDIG_COMP_CNT: 0
	.section	.text._ZN7rocprim17ROCPRIM_400000_NS6detail17trampoline_kernelINS0_14default_configENS1_25partition_config_selectorILNS1_17partition_subalgoE9EffbEEZZNS1_14partition_implILS5_9ELb0ES3_jN6thrust23THRUST_200600_302600_NS6detail15normal_iteratorINS9_10device_ptrIfEEEESE_PNS0_10empty_typeENS0_5tupleIJSE_SF_EEENSH_IJSE_SG_EEENS0_18inequality_wrapperI22is_equal_div_10_uniqueIfEEEPmJSF_EEE10hipError_tPvRmT3_T4_T5_T6_T7_T9_mT8_P12ihipStream_tbDpT10_ENKUlT_T0_E_clISt17integral_constantIbLb0EES18_EEDaS13_S14_EUlS13_E_NS1_11comp_targetILNS1_3genE5ELNS1_11target_archE942ELNS1_3gpuE9ELNS1_3repE0EEENS1_30default_config_static_selectorELNS0_4arch9wavefront6targetE0EEEvT1_,"axG",@progbits,_ZN7rocprim17ROCPRIM_400000_NS6detail17trampoline_kernelINS0_14default_configENS1_25partition_config_selectorILNS1_17partition_subalgoE9EffbEEZZNS1_14partition_implILS5_9ELb0ES3_jN6thrust23THRUST_200600_302600_NS6detail15normal_iteratorINS9_10device_ptrIfEEEESE_PNS0_10empty_typeENS0_5tupleIJSE_SF_EEENSH_IJSE_SG_EEENS0_18inequality_wrapperI22is_equal_div_10_uniqueIfEEEPmJSF_EEE10hipError_tPvRmT3_T4_T5_T6_T7_T9_mT8_P12ihipStream_tbDpT10_ENKUlT_T0_E_clISt17integral_constantIbLb0EES18_EEDaS13_S14_EUlS13_E_NS1_11comp_targetILNS1_3genE5ELNS1_11target_archE942ELNS1_3gpuE9ELNS1_3repE0EEENS1_30default_config_static_selectorELNS0_4arch9wavefront6targetE0EEEvT1_,comdat
	.protected	_ZN7rocprim17ROCPRIM_400000_NS6detail17trampoline_kernelINS0_14default_configENS1_25partition_config_selectorILNS1_17partition_subalgoE9EffbEEZZNS1_14partition_implILS5_9ELb0ES3_jN6thrust23THRUST_200600_302600_NS6detail15normal_iteratorINS9_10device_ptrIfEEEESE_PNS0_10empty_typeENS0_5tupleIJSE_SF_EEENSH_IJSE_SG_EEENS0_18inequality_wrapperI22is_equal_div_10_uniqueIfEEEPmJSF_EEE10hipError_tPvRmT3_T4_T5_T6_T7_T9_mT8_P12ihipStream_tbDpT10_ENKUlT_T0_E_clISt17integral_constantIbLb0EES18_EEDaS13_S14_EUlS13_E_NS1_11comp_targetILNS1_3genE5ELNS1_11target_archE942ELNS1_3gpuE9ELNS1_3repE0EEENS1_30default_config_static_selectorELNS0_4arch9wavefront6targetE0EEEvT1_ ; -- Begin function _ZN7rocprim17ROCPRIM_400000_NS6detail17trampoline_kernelINS0_14default_configENS1_25partition_config_selectorILNS1_17partition_subalgoE9EffbEEZZNS1_14partition_implILS5_9ELb0ES3_jN6thrust23THRUST_200600_302600_NS6detail15normal_iteratorINS9_10device_ptrIfEEEESE_PNS0_10empty_typeENS0_5tupleIJSE_SF_EEENSH_IJSE_SG_EEENS0_18inequality_wrapperI22is_equal_div_10_uniqueIfEEEPmJSF_EEE10hipError_tPvRmT3_T4_T5_T6_T7_T9_mT8_P12ihipStream_tbDpT10_ENKUlT_T0_E_clISt17integral_constantIbLb0EES18_EEDaS13_S14_EUlS13_E_NS1_11comp_targetILNS1_3genE5ELNS1_11target_archE942ELNS1_3gpuE9ELNS1_3repE0EEENS1_30default_config_static_selectorELNS0_4arch9wavefront6targetE0EEEvT1_
	.globl	_ZN7rocprim17ROCPRIM_400000_NS6detail17trampoline_kernelINS0_14default_configENS1_25partition_config_selectorILNS1_17partition_subalgoE9EffbEEZZNS1_14partition_implILS5_9ELb0ES3_jN6thrust23THRUST_200600_302600_NS6detail15normal_iteratorINS9_10device_ptrIfEEEESE_PNS0_10empty_typeENS0_5tupleIJSE_SF_EEENSH_IJSE_SG_EEENS0_18inequality_wrapperI22is_equal_div_10_uniqueIfEEEPmJSF_EEE10hipError_tPvRmT3_T4_T5_T6_T7_T9_mT8_P12ihipStream_tbDpT10_ENKUlT_T0_E_clISt17integral_constantIbLb0EES18_EEDaS13_S14_EUlS13_E_NS1_11comp_targetILNS1_3genE5ELNS1_11target_archE942ELNS1_3gpuE9ELNS1_3repE0EEENS1_30default_config_static_selectorELNS0_4arch9wavefront6targetE0EEEvT1_
	.p2align	8
	.type	_ZN7rocprim17ROCPRIM_400000_NS6detail17trampoline_kernelINS0_14default_configENS1_25partition_config_selectorILNS1_17partition_subalgoE9EffbEEZZNS1_14partition_implILS5_9ELb0ES3_jN6thrust23THRUST_200600_302600_NS6detail15normal_iteratorINS9_10device_ptrIfEEEESE_PNS0_10empty_typeENS0_5tupleIJSE_SF_EEENSH_IJSE_SG_EEENS0_18inequality_wrapperI22is_equal_div_10_uniqueIfEEEPmJSF_EEE10hipError_tPvRmT3_T4_T5_T6_T7_T9_mT8_P12ihipStream_tbDpT10_ENKUlT_T0_E_clISt17integral_constantIbLb0EES18_EEDaS13_S14_EUlS13_E_NS1_11comp_targetILNS1_3genE5ELNS1_11target_archE942ELNS1_3gpuE9ELNS1_3repE0EEENS1_30default_config_static_selectorELNS0_4arch9wavefront6targetE0EEEvT1_,@function
_ZN7rocprim17ROCPRIM_400000_NS6detail17trampoline_kernelINS0_14default_configENS1_25partition_config_selectorILNS1_17partition_subalgoE9EffbEEZZNS1_14partition_implILS5_9ELb0ES3_jN6thrust23THRUST_200600_302600_NS6detail15normal_iteratorINS9_10device_ptrIfEEEESE_PNS0_10empty_typeENS0_5tupleIJSE_SF_EEENSH_IJSE_SG_EEENS0_18inequality_wrapperI22is_equal_div_10_uniqueIfEEEPmJSF_EEE10hipError_tPvRmT3_T4_T5_T6_T7_T9_mT8_P12ihipStream_tbDpT10_ENKUlT_T0_E_clISt17integral_constantIbLb0EES18_EEDaS13_S14_EUlS13_E_NS1_11comp_targetILNS1_3genE5ELNS1_11target_archE942ELNS1_3gpuE9ELNS1_3repE0EEENS1_30default_config_static_selectorELNS0_4arch9wavefront6targetE0EEEvT1_: ; @_ZN7rocprim17ROCPRIM_400000_NS6detail17trampoline_kernelINS0_14default_configENS1_25partition_config_selectorILNS1_17partition_subalgoE9EffbEEZZNS1_14partition_implILS5_9ELb0ES3_jN6thrust23THRUST_200600_302600_NS6detail15normal_iteratorINS9_10device_ptrIfEEEESE_PNS0_10empty_typeENS0_5tupleIJSE_SF_EEENSH_IJSE_SG_EEENS0_18inequality_wrapperI22is_equal_div_10_uniqueIfEEEPmJSF_EEE10hipError_tPvRmT3_T4_T5_T6_T7_T9_mT8_P12ihipStream_tbDpT10_ENKUlT_T0_E_clISt17integral_constantIbLb0EES18_EEDaS13_S14_EUlS13_E_NS1_11comp_targetILNS1_3genE5ELNS1_11target_archE942ELNS1_3gpuE9ELNS1_3repE0EEENS1_30default_config_static_selectorELNS0_4arch9wavefront6targetE0EEEvT1_
; %bb.0:
	.section	.rodata,"a",@progbits
	.p2align	6, 0x0
	.amdhsa_kernel _ZN7rocprim17ROCPRIM_400000_NS6detail17trampoline_kernelINS0_14default_configENS1_25partition_config_selectorILNS1_17partition_subalgoE9EffbEEZZNS1_14partition_implILS5_9ELb0ES3_jN6thrust23THRUST_200600_302600_NS6detail15normal_iteratorINS9_10device_ptrIfEEEESE_PNS0_10empty_typeENS0_5tupleIJSE_SF_EEENSH_IJSE_SG_EEENS0_18inequality_wrapperI22is_equal_div_10_uniqueIfEEEPmJSF_EEE10hipError_tPvRmT3_T4_T5_T6_T7_T9_mT8_P12ihipStream_tbDpT10_ENKUlT_T0_E_clISt17integral_constantIbLb0EES18_EEDaS13_S14_EUlS13_E_NS1_11comp_targetILNS1_3genE5ELNS1_11target_archE942ELNS1_3gpuE9ELNS1_3repE0EEENS1_30default_config_static_selectorELNS0_4arch9wavefront6targetE0EEEvT1_
		.amdhsa_group_segment_fixed_size 0
		.amdhsa_private_segment_fixed_size 0
		.amdhsa_kernarg_size 112
		.amdhsa_user_sgpr_count 15
		.amdhsa_user_sgpr_dispatch_ptr 0
		.amdhsa_user_sgpr_queue_ptr 0
		.amdhsa_user_sgpr_kernarg_segment_ptr 1
		.amdhsa_user_sgpr_dispatch_id 0
		.amdhsa_user_sgpr_private_segment_size 0
		.amdhsa_wavefront_size32 1
		.amdhsa_uses_dynamic_stack 0
		.amdhsa_enable_private_segment 0
		.amdhsa_system_sgpr_workgroup_id_x 1
		.amdhsa_system_sgpr_workgroup_id_y 0
		.amdhsa_system_sgpr_workgroup_id_z 0
		.amdhsa_system_sgpr_workgroup_info 0
		.amdhsa_system_vgpr_workitem_id 0
		.amdhsa_next_free_vgpr 1
		.amdhsa_next_free_sgpr 1
		.amdhsa_reserve_vcc 0
		.amdhsa_float_round_mode_32 0
		.amdhsa_float_round_mode_16_64 0
		.amdhsa_float_denorm_mode_32 3
		.amdhsa_float_denorm_mode_16_64 3
		.amdhsa_dx10_clamp 1
		.amdhsa_ieee_mode 1
		.amdhsa_fp16_overflow 0
		.amdhsa_workgroup_processor_mode 1
		.amdhsa_memory_ordered 1
		.amdhsa_forward_progress 0
		.amdhsa_shared_vgpr_count 0
		.amdhsa_exception_fp_ieee_invalid_op 0
		.amdhsa_exception_fp_denorm_src 0
		.amdhsa_exception_fp_ieee_div_zero 0
		.amdhsa_exception_fp_ieee_overflow 0
		.amdhsa_exception_fp_ieee_underflow 0
		.amdhsa_exception_fp_ieee_inexact 0
		.amdhsa_exception_int_div_zero 0
	.end_amdhsa_kernel
	.section	.text._ZN7rocprim17ROCPRIM_400000_NS6detail17trampoline_kernelINS0_14default_configENS1_25partition_config_selectorILNS1_17partition_subalgoE9EffbEEZZNS1_14partition_implILS5_9ELb0ES3_jN6thrust23THRUST_200600_302600_NS6detail15normal_iteratorINS9_10device_ptrIfEEEESE_PNS0_10empty_typeENS0_5tupleIJSE_SF_EEENSH_IJSE_SG_EEENS0_18inequality_wrapperI22is_equal_div_10_uniqueIfEEEPmJSF_EEE10hipError_tPvRmT3_T4_T5_T6_T7_T9_mT8_P12ihipStream_tbDpT10_ENKUlT_T0_E_clISt17integral_constantIbLb0EES18_EEDaS13_S14_EUlS13_E_NS1_11comp_targetILNS1_3genE5ELNS1_11target_archE942ELNS1_3gpuE9ELNS1_3repE0EEENS1_30default_config_static_selectorELNS0_4arch9wavefront6targetE0EEEvT1_,"axG",@progbits,_ZN7rocprim17ROCPRIM_400000_NS6detail17trampoline_kernelINS0_14default_configENS1_25partition_config_selectorILNS1_17partition_subalgoE9EffbEEZZNS1_14partition_implILS5_9ELb0ES3_jN6thrust23THRUST_200600_302600_NS6detail15normal_iteratorINS9_10device_ptrIfEEEESE_PNS0_10empty_typeENS0_5tupleIJSE_SF_EEENSH_IJSE_SG_EEENS0_18inequality_wrapperI22is_equal_div_10_uniqueIfEEEPmJSF_EEE10hipError_tPvRmT3_T4_T5_T6_T7_T9_mT8_P12ihipStream_tbDpT10_ENKUlT_T0_E_clISt17integral_constantIbLb0EES18_EEDaS13_S14_EUlS13_E_NS1_11comp_targetILNS1_3genE5ELNS1_11target_archE942ELNS1_3gpuE9ELNS1_3repE0EEENS1_30default_config_static_selectorELNS0_4arch9wavefront6targetE0EEEvT1_,comdat
.Lfunc_end113:
	.size	_ZN7rocprim17ROCPRIM_400000_NS6detail17trampoline_kernelINS0_14default_configENS1_25partition_config_selectorILNS1_17partition_subalgoE9EffbEEZZNS1_14partition_implILS5_9ELb0ES3_jN6thrust23THRUST_200600_302600_NS6detail15normal_iteratorINS9_10device_ptrIfEEEESE_PNS0_10empty_typeENS0_5tupleIJSE_SF_EEENSH_IJSE_SG_EEENS0_18inequality_wrapperI22is_equal_div_10_uniqueIfEEEPmJSF_EEE10hipError_tPvRmT3_T4_T5_T6_T7_T9_mT8_P12ihipStream_tbDpT10_ENKUlT_T0_E_clISt17integral_constantIbLb0EES18_EEDaS13_S14_EUlS13_E_NS1_11comp_targetILNS1_3genE5ELNS1_11target_archE942ELNS1_3gpuE9ELNS1_3repE0EEENS1_30default_config_static_selectorELNS0_4arch9wavefront6targetE0EEEvT1_, .Lfunc_end113-_ZN7rocprim17ROCPRIM_400000_NS6detail17trampoline_kernelINS0_14default_configENS1_25partition_config_selectorILNS1_17partition_subalgoE9EffbEEZZNS1_14partition_implILS5_9ELb0ES3_jN6thrust23THRUST_200600_302600_NS6detail15normal_iteratorINS9_10device_ptrIfEEEESE_PNS0_10empty_typeENS0_5tupleIJSE_SF_EEENSH_IJSE_SG_EEENS0_18inequality_wrapperI22is_equal_div_10_uniqueIfEEEPmJSF_EEE10hipError_tPvRmT3_T4_T5_T6_T7_T9_mT8_P12ihipStream_tbDpT10_ENKUlT_T0_E_clISt17integral_constantIbLb0EES18_EEDaS13_S14_EUlS13_E_NS1_11comp_targetILNS1_3genE5ELNS1_11target_archE942ELNS1_3gpuE9ELNS1_3repE0EEENS1_30default_config_static_selectorELNS0_4arch9wavefront6targetE0EEEvT1_
                                        ; -- End function
	.section	.AMDGPU.csdata,"",@progbits
; Kernel info:
; codeLenInByte = 0
; NumSgprs: 0
; NumVgprs: 0
; ScratchSize: 0
; MemoryBound: 0
; FloatMode: 240
; IeeeMode: 1
; LDSByteSize: 0 bytes/workgroup (compile time only)
; SGPRBlocks: 0
; VGPRBlocks: 0
; NumSGPRsForWavesPerEU: 1
; NumVGPRsForWavesPerEU: 1
; Occupancy: 16
; WaveLimiterHint : 0
; COMPUTE_PGM_RSRC2:SCRATCH_EN: 0
; COMPUTE_PGM_RSRC2:USER_SGPR: 15
; COMPUTE_PGM_RSRC2:TRAP_HANDLER: 0
; COMPUTE_PGM_RSRC2:TGID_X_EN: 1
; COMPUTE_PGM_RSRC2:TGID_Y_EN: 0
; COMPUTE_PGM_RSRC2:TGID_Z_EN: 0
; COMPUTE_PGM_RSRC2:TIDIG_COMP_CNT: 0
	.section	.text._ZN7rocprim17ROCPRIM_400000_NS6detail17trampoline_kernelINS0_14default_configENS1_25partition_config_selectorILNS1_17partition_subalgoE9EffbEEZZNS1_14partition_implILS5_9ELb0ES3_jN6thrust23THRUST_200600_302600_NS6detail15normal_iteratorINS9_10device_ptrIfEEEESE_PNS0_10empty_typeENS0_5tupleIJSE_SF_EEENSH_IJSE_SG_EEENS0_18inequality_wrapperI22is_equal_div_10_uniqueIfEEEPmJSF_EEE10hipError_tPvRmT3_T4_T5_T6_T7_T9_mT8_P12ihipStream_tbDpT10_ENKUlT_T0_E_clISt17integral_constantIbLb0EES18_EEDaS13_S14_EUlS13_E_NS1_11comp_targetILNS1_3genE4ELNS1_11target_archE910ELNS1_3gpuE8ELNS1_3repE0EEENS1_30default_config_static_selectorELNS0_4arch9wavefront6targetE0EEEvT1_,"axG",@progbits,_ZN7rocprim17ROCPRIM_400000_NS6detail17trampoline_kernelINS0_14default_configENS1_25partition_config_selectorILNS1_17partition_subalgoE9EffbEEZZNS1_14partition_implILS5_9ELb0ES3_jN6thrust23THRUST_200600_302600_NS6detail15normal_iteratorINS9_10device_ptrIfEEEESE_PNS0_10empty_typeENS0_5tupleIJSE_SF_EEENSH_IJSE_SG_EEENS0_18inequality_wrapperI22is_equal_div_10_uniqueIfEEEPmJSF_EEE10hipError_tPvRmT3_T4_T5_T6_T7_T9_mT8_P12ihipStream_tbDpT10_ENKUlT_T0_E_clISt17integral_constantIbLb0EES18_EEDaS13_S14_EUlS13_E_NS1_11comp_targetILNS1_3genE4ELNS1_11target_archE910ELNS1_3gpuE8ELNS1_3repE0EEENS1_30default_config_static_selectorELNS0_4arch9wavefront6targetE0EEEvT1_,comdat
	.protected	_ZN7rocprim17ROCPRIM_400000_NS6detail17trampoline_kernelINS0_14default_configENS1_25partition_config_selectorILNS1_17partition_subalgoE9EffbEEZZNS1_14partition_implILS5_9ELb0ES3_jN6thrust23THRUST_200600_302600_NS6detail15normal_iteratorINS9_10device_ptrIfEEEESE_PNS0_10empty_typeENS0_5tupleIJSE_SF_EEENSH_IJSE_SG_EEENS0_18inequality_wrapperI22is_equal_div_10_uniqueIfEEEPmJSF_EEE10hipError_tPvRmT3_T4_T5_T6_T7_T9_mT8_P12ihipStream_tbDpT10_ENKUlT_T0_E_clISt17integral_constantIbLb0EES18_EEDaS13_S14_EUlS13_E_NS1_11comp_targetILNS1_3genE4ELNS1_11target_archE910ELNS1_3gpuE8ELNS1_3repE0EEENS1_30default_config_static_selectorELNS0_4arch9wavefront6targetE0EEEvT1_ ; -- Begin function _ZN7rocprim17ROCPRIM_400000_NS6detail17trampoline_kernelINS0_14default_configENS1_25partition_config_selectorILNS1_17partition_subalgoE9EffbEEZZNS1_14partition_implILS5_9ELb0ES3_jN6thrust23THRUST_200600_302600_NS6detail15normal_iteratorINS9_10device_ptrIfEEEESE_PNS0_10empty_typeENS0_5tupleIJSE_SF_EEENSH_IJSE_SG_EEENS0_18inequality_wrapperI22is_equal_div_10_uniqueIfEEEPmJSF_EEE10hipError_tPvRmT3_T4_T5_T6_T7_T9_mT8_P12ihipStream_tbDpT10_ENKUlT_T0_E_clISt17integral_constantIbLb0EES18_EEDaS13_S14_EUlS13_E_NS1_11comp_targetILNS1_3genE4ELNS1_11target_archE910ELNS1_3gpuE8ELNS1_3repE0EEENS1_30default_config_static_selectorELNS0_4arch9wavefront6targetE0EEEvT1_
	.globl	_ZN7rocprim17ROCPRIM_400000_NS6detail17trampoline_kernelINS0_14default_configENS1_25partition_config_selectorILNS1_17partition_subalgoE9EffbEEZZNS1_14partition_implILS5_9ELb0ES3_jN6thrust23THRUST_200600_302600_NS6detail15normal_iteratorINS9_10device_ptrIfEEEESE_PNS0_10empty_typeENS0_5tupleIJSE_SF_EEENSH_IJSE_SG_EEENS0_18inequality_wrapperI22is_equal_div_10_uniqueIfEEEPmJSF_EEE10hipError_tPvRmT3_T4_T5_T6_T7_T9_mT8_P12ihipStream_tbDpT10_ENKUlT_T0_E_clISt17integral_constantIbLb0EES18_EEDaS13_S14_EUlS13_E_NS1_11comp_targetILNS1_3genE4ELNS1_11target_archE910ELNS1_3gpuE8ELNS1_3repE0EEENS1_30default_config_static_selectorELNS0_4arch9wavefront6targetE0EEEvT1_
	.p2align	8
	.type	_ZN7rocprim17ROCPRIM_400000_NS6detail17trampoline_kernelINS0_14default_configENS1_25partition_config_selectorILNS1_17partition_subalgoE9EffbEEZZNS1_14partition_implILS5_9ELb0ES3_jN6thrust23THRUST_200600_302600_NS6detail15normal_iteratorINS9_10device_ptrIfEEEESE_PNS0_10empty_typeENS0_5tupleIJSE_SF_EEENSH_IJSE_SG_EEENS0_18inequality_wrapperI22is_equal_div_10_uniqueIfEEEPmJSF_EEE10hipError_tPvRmT3_T4_T5_T6_T7_T9_mT8_P12ihipStream_tbDpT10_ENKUlT_T0_E_clISt17integral_constantIbLb0EES18_EEDaS13_S14_EUlS13_E_NS1_11comp_targetILNS1_3genE4ELNS1_11target_archE910ELNS1_3gpuE8ELNS1_3repE0EEENS1_30default_config_static_selectorELNS0_4arch9wavefront6targetE0EEEvT1_,@function
_ZN7rocprim17ROCPRIM_400000_NS6detail17trampoline_kernelINS0_14default_configENS1_25partition_config_selectorILNS1_17partition_subalgoE9EffbEEZZNS1_14partition_implILS5_9ELb0ES3_jN6thrust23THRUST_200600_302600_NS6detail15normal_iteratorINS9_10device_ptrIfEEEESE_PNS0_10empty_typeENS0_5tupleIJSE_SF_EEENSH_IJSE_SG_EEENS0_18inequality_wrapperI22is_equal_div_10_uniqueIfEEEPmJSF_EEE10hipError_tPvRmT3_T4_T5_T6_T7_T9_mT8_P12ihipStream_tbDpT10_ENKUlT_T0_E_clISt17integral_constantIbLb0EES18_EEDaS13_S14_EUlS13_E_NS1_11comp_targetILNS1_3genE4ELNS1_11target_archE910ELNS1_3gpuE8ELNS1_3repE0EEENS1_30default_config_static_selectorELNS0_4arch9wavefront6targetE0EEEvT1_: ; @_ZN7rocprim17ROCPRIM_400000_NS6detail17trampoline_kernelINS0_14default_configENS1_25partition_config_selectorILNS1_17partition_subalgoE9EffbEEZZNS1_14partition_implILS5_9ELb0ES3_jN6thrust23THRUST_200600_302600_NS6detail15normal_iteratorINS9_10device_ptrIfEEEESE_PNS0_10empty_typeENS0_5tupleIJSE_SF_EEENSH_IJSE_SG_EEENS0_18inequality_wrapperI22is_equal_div_10_uniqueIfEEEPmJSF_EEE10hipError_tPvRmT3_T4_T5_T6_T7_T9_mT8_P12ihipStream_tbDpT10_ENKUlT_T0_E_clISt17integral_constantIbLb0EES18_EEDaS13_S14_EUlS13_E_NS1_11comp_targetILNS1_3genE4ELNS1_11target_archE910ELNS1_3gpuE8ELNS1_3repE0EEENS1_30default_config_static_selectorELNS0_4arch9wavefront6targetE0EEEvT1_
; %bb.0:
	.section	.rodata,"a",@progbits
	.p2align	6, 0x0
	.amdhsa_kernel _ZN7rocprim17ROCPRIM_400000_NS6detail17trampoline_kernelINS0_14default_configENS1_25partition_config_selectorILNS1_17partition_subalgoE9EffbEEZZNS1_14partition_implILS5_9ELb0ES3_jN6thrust23THRUST_200600_302600_NS6detail15normal_iteratorINS9_10device_ptrIfEEEESE_PNS0_10empty_typeENS0_5tupleIJSE_SF_EEENSH_IJSE_SG_EEENS0_18inequality_wrapperI22is_equal_div_10_uniqueIfEEEPmJSF_EEE10hipError_tPvRmT3_T4_T5_T6_T7_T9_mT8_P12ihipStream_tbDpT10_ENKUlT_T0_E_clISt17integral_constantIbLb0EES18_EEDaS13_S14_EUlS13_E_NS1_11comp_targetILNS1_3genE4ELNS1_11target_archE910ELNS1_3gpuE8ELNS1_3repE0EEENS1_30default_config_static_selectorELNS0_4arch9wavefront6targetE0EEEvT1_
		.amdhsa_group_segment_fixed_size 0
		.amdhsa_private_segment_fixed_size 0
		.amdhsa_kernarg_size 112
		.amdhsa_user_sgpr_count 15
		.amdhsa_user_sgpr_dispatch_ptr 0
		.amdhsa_user_sgpr_queue_ptr 0
		.amdhsa_user_sgpr_kernarg_segment_ptr 1
		.amdhsa_user_sgpr_dispatch_id 0
		.amdhsa_user_sgpr_private_segment_size 0
		.amdhsa_wavefront_size32 1
		.amdhsa_uses_dynamic_stack 0
		.amdhsa_enable_private_segment 0
		.amdhsa_system_sgpr_workgroup_id_x 1
		.amdhsa_system_sgpr_workgroup_id_y 0
		.amdhsa_system_sgpr_workgroup_id_z 0
		.amdhsa_system_sgpr_workgroup_info 0
		.amdhsa_system_vgpr_workitem_id 0
		.amdhsa_next_free_vgpr 1
		.amdhsa_next_free_sgpr 1
		.amdhsa_reserve_vcc 0
		.amdhsa_float_round_mode_32 0
		.amdhsa_float_round_mode_16_64 0
		.amdhsa_float_denorm_mode_32 3
		.amdhsa_float_denorm_mode_16_64 3
		.amdhsa_dx10_clamp 1
		.amdhsa_ieee_mode 1
		.amdhsa_fp16_overflow 0
		.amdhsa_workgroup_processor_mode 1
		.amdhsa_memory_ordered 1
		.amdhsa_forward_progress 0
		.amdhsa_shared_vgpr_count 0
		.amdhsa_exception_fp_ieee_invalid_op 0
		.amdhsa_exception_fp_denorm_src 0
		.amdhsa_exception_fp_ieee_div_zero 0
		.amdhsa_exception_fp_ieee_overflow 0
		.amdhsa_exception_fp_ieee_underflow 0
		.amdhsa_exception_fp_ieee_inexact 0
		.amdhsa_exception_int_div_zero 0
	.end_amdhsa_kernel
	.section	.text._ZN7rocprim17ROCPRIM_400000_NS6detail17trampoline_kernelINS0_14default_configENS1_25partition_config_selectorILNS1_17partition_subalgoE9EffbEEZZNS1_14partition_implILS5_9ELb0ES3_jN6thrust23THRUST_200600_302600_NS6detail15normal_iteratorINS9_10device_ptrIfEEEESE_PNS0_10empty_typeENS0_5tupleIJSE_SF_EEENSH_IJSE_SG_EEENS0_18inequality_wrapperI22is_equal_div_10_uniqueIfEEEPmJSF_EEE10hipError_tPvRmT3_T4_T5_T6_T7_T9_mT8_P12ihipStream_tbDpT10_ENKUlT_T0_E_clISt17integral_constantIbLb0EES18_EEDaS13_S14_EUlS13_E_NS1_11comp_targetILNS1_3genE4ELNS1_11target_archE910ELNS1_3gpuE8ELNS1_3repE0EEENS1_30default_config_static_selectorELNS0_4arch9wavefront6targetE0EEEvT1_,"axG",@progbits,_ZN7rocprim17ROCPRIM_400000_NS6detail17trampoline_kernelINS0_14default_configENS1_25partition_config_selectorILNS1_17partition_subalgoE9EffbEEZZNS1_14partition_implILS5_9ELb0ES3_jN6thrust23THRUST_200600_302600_NS6detail15normal_iteratorINS9_10device_ptrIfEEEESE_PNS0_10empty_typeENS0_5tupleIJSE_SF_EEENSH_IJSE_SG_EEENS0_18inequality_wrapperI22is_equal_div_10_uniqueIfEEEPmJSF_EEE10hipError_tPvRmT3_T4_T5_T6_T7_T9_mT8_P12ihipStream_tbDpT10_ENKUlT_T0_E_clISt17integral_constantIbLb0EES18_EEDaS13_S14_EUlS13_E_NS1_11comp_targetILNS1_3genE4ELNS1_11target_archE910ELNS1_3gpuE8ELNS1_3repE0EEENS1_30default_config_static_selectorELNS0_4arch9wavefront6targetE0EEEvT1_,comdat
.Lfunc_end114:
	.size	_ZN7rocprim17ROCPRIM_400000_NS6detail17trampoline_kernelINS0_14default_configENS1_25partition_config_selectorILNS1_17partition_subalgoE9EffbEEZZNS1_14partition_implILS5_9ELb0ES3_jN6thrust23THRUST_200600_302600_NS6detail15normal_iteratorINS9_10device_ptrIfEEEESE_PNS0_10empty_typeENS0_5tupleIJSE_SF_EEENSH_IJSE_SG_EEENS0_18inequality_wrapperI22is_equal_div_10_uniqueIfEEEPmJSF_EEE10hipError_tPvRmT3_T4_T5_T6_T7_T9_mT8_P12ihipStream_tbDpT10_ENKUlT_T0_E_clISt17integral_constantIbLb0EES18_EEDaS13_S14_EUlS13_E_NS1_11comp_targetILNS1_3genE4ELNS1_11target_archE910ELNS1_3gpuE8ELNS1_3repE0EEENS1_30default_config_static_selectorELNS0_4arch9wavefront6targetE0EEEvT1_, .Lfunc_end114-_ZN7rocprim17ROCPRIM_400000_NS6detail17trampoline_kernelINS0_14default_configENS1_25partition_config_selectorILNS1_17partition_subalgoE9EffbEEZZNS1_14partition_implILS5_9ELb0ES3_jN6thrust23THRUST_200600_302600_NS6detail15normal_iteratorINS9_10device_ptrIfEEEESE_PNS0_10empty_typeENS0_5tupleIJSE_SF_EEENSH_IJSE_SG_EEENS0_18inequality_wrapperI22is_equal_div_10_uniqueIfEEEPmJSF_EEE10hipError_tPvRmT3_T4_T5_T6_T7_T9_mT8_P12ihipStream_tbDpT10_ENKUlT_T0_E_clISt17integral_constantIbLb0EES18_EEDaS13_S14_EUlS13_E_NS1_11comp_targetILNS1_3genE4ELNS1_11target_archE910ELNS1_3gpuE8ELNS1_3repE0EEENS1_30default_config_static_selectorELNS0_4arch9wavefront6targetE0EEEvT1_
                                        ; -- End function
	.section	.AMDGPU.csdata,"",@progbits
; Kernel info:
; codeLenInByte = 0
; NumSgprs: 0
; NumVgprs: 0
; ScratchSize: 0
; MemoryBound: 0
; FloatMode: 240
; IeeeMode: 1
; LDSByteSize: 0 bytes/workgroup (compile time only)
; SGPRBlocks: 0
; VGPRBlocks: 0
; NumSGPRsForWavesPerEU: 1
; NumVGPRsForWavesPerEU: 1
; Occupancy: 15
; WaveLimiterHint : 0
; COMPUTE_PGM_RSRC2:SCRATCH_EN: 0
; COMPUTE_PGM_RSRC2:USER_SGPR: 15
; COMPUTE_PGM_RSRC2:TRAP_HANDLER: 0
; COMPUTE_PGM_RSRC2:TGID_X_EN: 1
; COMPUTE_PGM_RSRC2:TGID_Y_EN: 0
; COMPUTE_PGM_RSRC2:TGID_Z_EN: 0
; COMPUTE_PGM_RSRC2:TIDIG_COMP_CNT: 0
	.section	.text._ZN7rocprim17ROCPRIM_400000_NS6detail17trampoline_kernelINS0_14default_configENS1_25partition_config_selectorILNS1_17partition_subalgoE9EffbEEZZNS1_14partition_implILS5_9ELb0ES3_jN6thrust23THRUST_200600_302600_NS6detail15normal_iteratorINS9_10device_ptrIfEEEESE_PNS0_10empty_typeENS0_5tupleIJSE_SF_EEENSH_IJSE_SG_EEENS0_18inequality_wrapperI22is_equal_div_10_uniqueIfEEEPmJSF_EEE10hipError_tPvRmT3_T4_T5_T6_T7_T9_mT8_P12ihipStream_tbDpT10_ENKUlT_T0_E_clISt17integral_constantIbLb0EES18_EEDaS13_S14_EUlS13_E_NS1_11comp_targetILNS1_3genE3ELNS1_11target_archE908ELNS1_3gpuE7ELNS1_3repE0EEENS1_30default_config_static_selectorELNS0_4arch9wavefront6targetE0EEEvT1_,"axG",@progbits,_ZN7rocprim17ROCPRIM_400000_NS6detail17trampoline_kernelINS0_14default_configENS1_25partition_config_selectorILNS1_17partition_subalgoE9EffbEEZZNS1_14partition_implILS5_9ELb0ES3_jN6thrust23THRUST_200600_302600_NS6detail15normal_iteratorINS9_10device_ptrIfEEEESE_PNS0_10empty_typeENS0_5tupleIJSE_SF_EEENSH_IJSE_SG_EEENS0_18inequality_wrapperI22is_equal_div_10_uniqueIfEEEPmJSF_EEE10hipError_tPvRmT3_T4_T5_T6_T7_T9_mT8_P12ihipStream_tbDpT10_ENKUlT_T0_E_clISt17integral_constantIbLb0EES18_EEDaS13_S14_EUlS13_E_NS1_11comp_targetILNS1_3genE3ELNS1_11target_archE908ELNS1_3gpuE7ELNS1_3repE0EEENS1_30default_config_static_selectorELNS0_4arch9wavefront6targetE0EEEvT1_,comdat
	.protected	_ZN7rocprim17ROCPRIM_400000_NS6detail17trampoline_kernelINS0_14default_configENS1_25partition_config_selectorILNS1_17partition_subalgoE9EffbEEZZNS1_14partition_implILS5_9ELb0ES3_jN6thrust23THRUST_200600_302600_NS6detail15normal_iteratorINS9_10device_ptrIfEEEESE_PNS0_10empty_typeENS0_5tupleIJSE_SF_EEENSH_IJSE_SG_EEENS0_18inequality_wrapperI22is_equal_div_10_uniqueIfEEEPmJSF_EEE10hipError_tPvRmT3_T4_T5_T6_T7_T9_mT8_P12ihipStream_tbDpT10_ENKUlT_T0_E_clISt17integral_constantIbLb0EES18_EEDaS13_S14_EUlS13_E_NS1_11comp_targetILNS1_3genE3ELNS1_11target_archE908ELNS1_3gpuE7ELNS1_3repE0EEENS1_30default_config_static_selectorELNS0_4arch9wavefront6targetE0EEEvT1_ ; -- Begin function _ZN7rocprim17ROCPRIM_400000_NS6detail17trampoline_kernelINS0_14default_configENS1_25partition_config_selectorILNS1_17partition_subalgoE9EffbEEZZNS1_14partition_implILS5_9ELb0ES3_jN6thrust23THRUST_200600_302600_NS6detail15normal_iteratorINS9_10device_ptrIfEEEESE_PNS0_10empty_typeENS0_5tupleIJSE_SF_EEENSH_IJSE_SG_EEENS0_18inequality_wrapperI22is_equal_div_10_uniqueIfEEEPmJSF_EEE10hipError_tPvRmT3_T4_T5_T6_T7_T9_mT8_P12ihipStream_tbDpT10_ENKUlT_T0_E_clISt17integral_constantIbLb0EES18_EEDaS13_S14_EUlS13_E_NS1_11comp_targetILNS1_3genE3ELNS1_11target_archE908ELNS1_3gpuE7ELNS1_3repE0EEENS1_30default_config_static_selectorELNS0_4arch9wavefront6targetE0EEEvT1_
	.globl	_ZN7rocprim17ROCPRIM_400000_NS6detail17trampoline_kernelINS0_14default_configENS1_25partition_config_selectorILNS1_17partition_subalgoE9EffbEEZZNS1_14partition_implILS5_9ELb0ES3_jN6thrust23THRUST_200600_302600_NS6detail15normal_iteratorINS9_10device_ptrIfEEEESE_PNS0_10empty_typeENS0_5tupleIJSE_SF_EEENSH_IJSE_SG_EEENS0_18inequality_wrapperI22is_equal_div_10_uniqueIfEEEPmJSF_EEE10hipError_tPvRmT3_T4_T5_T6_T7_T9_mT8_P12ihipStream_tbDpT10_ENKUlT_T0_E_clISt17integral_constantIbLb0EES18_EEDaS13_S14_EUlS13_E_NS1_11comp_targetILNS1_3genE3ELNS1_11target_archE908ELNS1_3gpuE7ELNS1_3repE0EEENS1_30default_config_static_selectorELNS0_4arch9wavefront6targetE0EEEvT1_
	.p2align	8
	.type	_ZN7rocprim17ROCPRIM_400000_NS6detail17trampoline_kernelINS0_14default_configENS1_25partition_config_selectorILNS1_17partition_subalgoE9EffbEEZZNS1_14partition_implILS5_9ELb0ES3_jN6thrust23THRUST_200600_302600_NS6detail15normal_iteratorINS9_10device_ptrIfEEEESE_PNS0_10empty_typeENS0_5tupleIJSE_SF_EEENSH_IJSE_SG_EEENS0_18inequality_wrapperI22is_equal_div_10_uniqueIfEEEPmJSF_EEE10hipError_tPvRmT3_T4_T5_T6_T7_T9_mT8_P12ihipStream_tbDpT10_ENKUlT_T0_E_clISt17integral_constantIbLb0EES18_EEDaS13_S14_EUlS13_E_NS1_11comp_targetILNS1_3genE3ELNS1_11target_archE908ELNS1_3gpuE7ELNS1_3repE0EEENS1_30default_config_static_selectorELNS0_4arch9wavefront6targetE0EEEvT1_,@function
_ZN7rocprim17ROCPRIM_400000_NS6detail17trampoline_kernelINS0_14default_configENS1_25partition_config_selectorILNS1_17partition_subalgoE9EffbEEZZNS1_14partition_implILS5_9ELb0ES3_jN6thrust23THRUST_200600_302600_NS6detail15normal_iteratorINS9_10device_ptrIfEEEESE_PNS0_10empty_typeENS0_5tupleIJSE_SF_EEENSH_IJSE_SG_EEENS0_18inequality_wrapperI22is_equal_div_10_uniqueIfEEEPmJSF_EEE10hipError_tPvRmT3_T4_T5_T6_T7_T9_mT8_P12ihipStream_tbDpT10_ENKUlT_T0_E_clISt17integral_constantIbLb0EES18_EEDaS13_S14_EUlS13_E_NS1_11comp_targetILNS1_3genE3ELNS1_11target_archE908ELNS1_3gpuE7ELNS1_3repE0EEENS1_30default_config_static_selectorELNS0_4arch9wavefront6targetE0EEEvT1_: ; @_ZN7rocprim17ROCPRIM_400000_NS6detail17trampoline_kernelINS0_14default_configENS1_25partition_config_selectorILNS1_17partition_subalgoE9EffbEEZZNS1_14partition_implILS5_9ELb0ES3_jN6thrust23THRUST_200600_302600_NS6detail15normal_iteratorINS9_10device_ptrIfEEEESE_PNS0_10empty_typeENS0_5tupleIJSE_SF_EEENSH_IJSE_SG_EEENS0_18inequality_wrapperI22is_equal_div_10_uniqueIfEEEPmJSF_EEE10hipError_tPvRmT3_T4_T5_T6_T7_T9_mT8_P12ihipStream_tbDpT10_ENKUlT_T0_E_clISt17integral_constantIbLb0EES18_EEDaS13_S14_EUlS13_E_NS1_11comp_targetILNS1_3genE3ELNS1_11target_archE908ELNS1_3gpuE7ELNS1_3repE0EEENS1_30default_config_static_selectorELNS0_4arch9wavefront6targetE0EEEvT1_
; %bb.0:
	.section	.rodata,"a",@progbits
	.p2align	6, 0x0
	.amdhsa_kernel _ZN7rocprim17ROCPRIM_400000_NS6detail17trampoline_kernelINS0_14default_configENS1_25partition_config_selectorILNS1_17partition_subalgoE9EffbEEZZNS1_14partition_implILS5_9ELb0ES3_jN6thrust23THRUST_200600_302600_NS6detail15normal_iteratorINS9_10device_ptrIfEEEESE_PNS0_10empty_typeENS0_5tupleIJSE_SF_EEENSH_IJSE_SG_EEENS0_18inequality_wrapperI22is_equal_div_10_uniqueIfEEEPmJSF_EEE10hipError_tPvRmT3_T4_T5_T6_T7_T9_mT8_P12ihipStream_tbDpT10_ENKUlT_T0_E_clISt17integral_constantIbLb0EES18_EEDaS13_S14_EUlS13_E_NS1_11comp_targetILNS1_3genE3ELNS1_11target_archE908ELNS1_3gpuE7ELNS1_3repE0EEENS1_30default_config_static_selectorELNS0_4arch9wavefront6targetE0EEEvT1_
		.amdhsa_group_segment_fixed_size 0
		.amdhsa_private_segment_fixed_size 0
		.amdhsa_kernarg_size 112
		.amdhsa_user_sgpr_count 15
		.amdhsa_user_sgpr_dispatch_ptr 0
		.amdhsa_user_sgpr_queue_ptr 0
		.amdhsa_user_sgpr_kernarg_segment_ptr 1
		.amdhsa_user_sgpr_dispatch_id 0
		.amdhsa_user_sgpr_private_segment_size 0
		.amdhsa_wavefront_size32 1
		.amdhsa_uses_dynamic_stack 0
		.amdhsa_enable_private_segment 0
		.amdhsa_system_sgpr_workgroup_id_x 1
		.amdhsa_system_sgpr_workgroup_id_y 0
		.amdhsa_system_sgpr_workgroup_id_z 0
		.amdhsa_system_sgpr_workgroup_info 0
		.amdhsa_system_vgpr_workitem_id 0
		.amdhsa_next_free_vgpr 1
		.amdhsa_next_free_sgpr 1
		.amdhsa_reserve_vcc 0
		.amdhsa_float_round_mode_32 0
		.amdhsa_float_round_mode_16_64 0
		.amdhsa_float_denorm_mode_32 3
		.amdhsa_float_denorm_mode_16_64 3
		.amdhsa_dx10_clamp 1
		.amdhsa_ieee_mode 1
		.amdhsa_fp16_overflow 0
		.amdhsa_workgroup_processor_mode 1
		.amdhsa_memory_ordered 1
		.amdhsa_forward_progress 0
		.amdhsa_shared_vgpr_count 0
		.amdhsa_exception_fp_ieee_invalid_op 0
		.amdhsa_exception_fp_denorm_src 0
		.amdhsa_exception_fp_ieee_div_zero 0
		.amdhsa_exception_fp_ieee_overflow 0
		.amdhsa_exception_fp_ieee_underflow 0
		.amdhsa_exception_fp_ieee_inexact 0
		.amdhsa_exception_int_div_zero 0
	.end_amdhsa_kernel
	.section	.text._ZN7rocprim17ROCPRIM_400000_NS6detail17trampoline_kernelINS0_14default_configENS1_25partition_config_selectorILNS1_17partition_subalgoE9EffbEEZZNS1_14partition_implILS5_9ELb0ES3_jN6thrust23THRUST_200600_302600_NS6detail15normal_iteratorINS9_10device_ptrIfEEEESE_PNS0_10empty_typeENS0_5tupleIJSE_SF_EEENSH_IJSE_SG_EEENS0_18inequality_wrapperI22is_equal_div_10_uniqueIfEEEPmJSF_EEE10hipError_tPvRmT3_T4_T5_T6_T7_T9_mT8_P12ihipStream_tbDpT10_ENKUlT_T0_E_clISt17integral_constantIbLb0EES18_EEDaS13_S14_EUlS13_E_NS1_11comp_targetILNS1_3genE3ELNS1_11target_archE908ELNS1_3gpuE7ELNS1_3repE0EEENS1_30default_config_static_selectorELNS0_4arch9wavefront6targetE0EEEvT1_,"axG",@progbits,_ZN7rocprim17ROCPRIM_400000_NS6detail17trampoline_kernelINS0_14default_configENS1_25partition_config_selectorILNS1_17partition_subalgoE9EffbEEZZNS1_14partition_implILS5_9ELb0ES3_jN6thrust23THRUST_200600_302600_NS6detail15normal_iteratorINS9_10device_ptrIfEEEESE_PNS0_10empty_typeENS0_5tupleIJSE_SF_EEENSH_IJSE_SG_EEENS0_18inequality_wrapperI22is_equal_div_10_uniqueIfEEEPmJSF_EEE10hipError_tPvRmT3_T4_T5_T6_T7_T9_mT8_P12ihipStream_tbDpT10_ENKUlT_T0_E_clISt17integral_constantIbLb0EES18_EEDaS13_S14_EUlS13_E_NS1_11comp_targetILNS1_3genE3ELNS1_11target_archE908ELNS1_3gpuE7ELNS1_3repE0EEENS1_30default_config_static_selectorELNS0_4arch9wavefront6targetE0EEEvT1_,comdat
.Lfunc_end115:
	.size	_ZN7rocprim17ROCPRIM_400000_NS6detail17trampoline_kernelINS0_14default_configENS1_25partition_config_selectorILNS1_17partition_subalgoE9EffbEEZZNS1_14partition_implILS5_9ELb0ES3_jN6thrust23THRUST_200600_302600_NS6detail15normal_iteratorINS9_10device_ptrIfEEEESE_PNS0_10empty_typeENS0_5tupleIJSE_SF_EEENSH_IJSE_SG_EEENS0_18inequality_wrapperI22is_equal_div_10_uniqueIfEEEPmJSF_EEE10hipError_tPvRmT3_T4_T5_T6_T7_T9_mT8_P12ihipStream_tbDpT10_ENKUlT_T0_E_clISt17integral_constantIbLb0EES18_EEDaS13_S14_EUlS13_E_NS1_11comp_targetILNS1_3genE3ELNS1_11target_archE908ELNS1_3gpuE7ELNS1_3repE0EEENS1_30default_config_static_selectorELNS0_4arch9wavefront6targetE0EEEvT1_, .Lfunc_end115-_ZN7rocprim17ROCPRIM_400000_NS6detail17trampoline_kernelINS0_14default_configENS1_25partition_config_selectorILNS1_17partition_subalgoE9EffbEEZZNS1_14partition_implILS5_9ELb0ES3_jN6thrust23THRUST_200600_302600_NS6detail15normal_iteratorINS9_10device_ptrIfEEEESE_PNS0_10empty_typeENS0_5tupleIJSE_SF_EEENSH_IJSE_SG_EEENS0_18inequality_wrapperI22is_equal_div_10_uniqueIfEEEPmJSF_EEE10hipError_tPvRmT3_T4_T5_T6_T7_T9_mT8_P12ihipStream_tbDpT10_ENKUlT_T0_E_clISt17integral_constantIbLb0EES18_EEDaS13_S14_EUlS13_E_NS1_11comp_targetILNS1_3genE3ELNS1_11target_archE908ELNS1_3gpuE7ELNS1_3repE0EEENS1_30default_config_static_selectorELNS0_4arch9wavefront6targetE0EEEvT1_
                                        ; -- End function
	.section	.AMDGPU.csdata,"",@progbits
; Kernel info:
; codeLenInByte = 0
; NumSgprs: 0
; NumVgprs: 0
; ScratchSize: 0
; MemoryBound: 0
; FloatMode: 240
; IeeeMode: 1
; LDSByteSize: 0 bytes/workgroup (compile time only)
; SGPRBlocks: 0
; VGPRBlocks: 0
; NumSGPRsForWavesPerEU: 1
; NumVGPRsForWavesPerEU: 1
; Occupancy: 16
; WaveLimiterHint : 0
; COMPUTE_PGM_RSRC2:SCRATCH_EN: 0
; COMPUTE_PGM_RSRC2:USER_SGPR: 15
; COMPUTE_PGM_RSRC2:TRAP_HANDLER: 0
; COMPUTE_PGM_RSRC2:TGID_X_EN: 1
; COMPUTE_PGM_RSRC2:TGID_Y_EN: 0
; COMPUTE_PGM_RSRC2:TGID_Z_EN: 0
; COMPUTE_PGM_RSRC2:TIDIG_COMP_CNT: 0
	.section	.text._ZN7rocprim17ROCPRIM_400000_NS6detail17trampoline_kernelINS0_14default_configENS1_25partition_config_selectorILNS1_17partition_subalgoE9EffbEEZZNS1_14partition_implILS5_9ELb0ES3_jN6thrust23THRUST_200600_302600_NS6detail15normal_iteratorINS9_10device_ptrIfEEEESE_PNS0_10empty_typeENS0_5tupleIJSE_SF_EEENSH_IJSE_SG_EEENS0_18inequality_wrapperI22is_equal_div_10_uniqueIfEEEPmJSF_EEE10hipError_tPvRmT3_T4_T5_T6_T7_T9_mT8_P12ihipStream_tbDpT10_ENKUlT_T0_E_clISt17integral_constantIbLb0EES18_EEDaS13_S14_EUlS13_E_NS1_11comp_targetILNS1_3genE2ELNS1_11target_archE906ELNS1_3gpuE6ELNS1_3repE0EEENS1_30default_config_static_selectorELNS0_4arch9wavefront6targetE0EEEvT1_,"axG",@progbits,_ZN7rocprim17ROCPRIM_400000_NS6detail17trampoline_kernelINS0_14default_configENS1_25partition_config_selectorILNS1_17partition_subalgoE9EffbEEZZNS1_14partition_implILS5_9ELb0ES3_jN6thrust23THRUST_200600_302600_NS6detail15normal_iteratorINS9_10device_ptrIfEEEESE_PNS0_10empty_typeENS0_5tupleIJSE_SF_EEENSH_IJSE_SG_EEENS0_18inequality_wrapperI22is_equal_div_10_uniqueIfEEEPmJSF_EEE10hipError_tPvRmT3_T4_T5_T6_T7_T9_mT8_P12ihipStream_tbDpT10_ENKUlT_T0_E_clISt17integral_constantIbLb0EES18_EEDaS13_S14_EUlS13_E_NS1_11comp_targetILNS1_3genE2ELNS1_11target_archE906ELNS1_3gpuE6ELNS1_3repE0EEENS1_30default_config_static_selectorELNS0_4arch9wavefront6targetE0EEEvT1_,comdat
	.protected	_ZN7rocprim17ROCPRIM_400000_NS6detail17trampoline_kernelINS0_14default_configENS1_25partition_config_selectorILNS1_17partition_subalgoE9EffbEEZZNS1_14partition_implILS5_9ELb0ES3_jN6thrust23THRUST_200600_302600_NS6detail15normal_iteratorINS9_10device_ptrIfEEEESE_PNS0_10empty_typeENS0_5tupleIJSE_SF_EEENSH_IJSE_SG_EEENS0_18inequality_wrapperI22is_equal_div_10_uniqueIfEEEPmJSF_EEE10hipError_tPvRmT3_T4_T5_T6_T7_T9_mT8_P12ihipStream_tbDpT10_ENKUlT_T0_E_clISt17integral_constantIbLb0EES18_EEDaS13_S14_EUlS13_E_NS1_11comp_targetILNS1_3genE2ELNS1_11target_archE906ELNS1_3gpuE6ELNS1_3repE0EEENS1_30default_config_static_selectorELNS0_4arch9wavefront6targetE0EEEvT1_ ; -- Begin function _ZN7rocprim17ROCPRIM_400000_NS6detail17trampoline_kernelINS0_14default_configENS1_25partition_config_selectorILNS1_17partition_subalgoE9EffbEEZZNS1_14partition_implILS5_9ELb0ES3_jN6thrust23THRUST_200600_302600_NS6detail15normal_iteratorINS9_10device_ptrIfEEEESE_PNS0_10empty_typeENS0_5tupleIJSE_SF_EEENSH_IJSE_SG_EEENS0_18inequality_wrapperI22is_equal_div_10_uniqueIfEEEPmJSF_EEE10hipError_tPvRmT3_T4_T5_T6_T7_T9_mT8_P12ihipStream_tbDpT10_ENKUlT_T0_E_clISt17integral_constantIbLb0EES18_EEDaS13_S14_EUlS13_E_NS1_11comp_targetILNS1_3genE2ELNS1_11target_archE906ELNS1_3gpuE6ELNS1_3repE0EEENS1_30default_config_static_selectorELNS0_4arch9wavefront6targetE0EEEvT1_
	.globl	_ZN7rocprim17ROCPRIM_400000_NS6detail17trampoline_kernelINS0_14default_configENS1_25partition_config_selectorILNS1_17partition_subalgoE9EffbEEZZNS1_14partition_implILS5_9ELb0ES3_jN6thrust23THRUST_200600_302600_NS6detail15normal_iteratorINS9_10device_ptrIfEEEESE_PNS0_10empty_typeENS0_5tupleIJSE_SF_EEENSH_IJSE_SG_EEENS0_18inequality_wrapperI22is_equal_div_10_uniqueIfEEEPmJSF_EEE10hipError_tPvRmT3_T4_T5_T6_T7_T9_mT8_P12ihipStream_tbDpT10_ENKUlT_T0_E_clISt17integral_constantIbLb0EES18_EEDaS13_S14_EUlS13_E_NS1_11comp_targetILNS1_3genE2ELNS1_11target_archE906ELNS1_3gpuE6ELNS1_3repE0EEENS1_30default_config_static_selectorELNS0_4arch9wavefront6targetE0EEEvT1_
	.p2align	8
	.type	_ZN7rocprim17ROCPRIM_400000_NS6detail17trampoline_kernelINS0_14default_configENS1_25partition_config_selectorILNS1_17partition_subalgoE9EffbEEZZNS1_14partition_implILS5_9ELb0ES3_jN6thrust23THRUST_200600_302600_NS6detail15normal_iteratorINS9_10device_ptrIfEEEESE_PNS0_10empty_typeENS0_5tupleIJSE_SF_EEENSH_IJSE_SG_EEENS0_18inequality_wrapperI22is_equal_div_10_uniqueIfEEEPmJSF_EEE10hipError_tPvRmT3_T4_T5_T6_T7_T9_mT8_P12ihipStream_tbDpT10_ENKUlT_T0_E_clISt17integral_constantIbLb0EES18_EEDaS13_S14_EUlS13_E_NS1_11comp_targetILNS1_3genE2ELNS1_11target_archE906ELNS1_3gpuE6ELNS1_3repE0EEENS1_30default_config_static_selectorELNS0_4arch9wavefront6targetE0EEEvT1_,@function
_ZN7rocprim17ROCPRIM_400000_NS6detail17trampoline_kernelINS0_14default_configENS1_25partition_config_selectorILNS1_17partition_subalgoE9EffbEEZZNS1_14partition_implILS5_9ELb0ES3_jN6thrust23THRUST_200600_302600_NS6detail15normal_iteratorINS9_10device_ptrIfEEEESE_PNS0_10empty_typeENS0_5tupleIJSE_SF_EEENSH_IJSE_SG_EEENS0_18inequality_wrapperI22is_equal_div_10_uniqueIfEEEPmJSF_EEE10hipError_tPvRmT3_T4_T5_T6_T7_T9_mT8_P12ihipStream_tbDpT10_ENKUlT_T0_E_clISt17integral_constantIbLb0EES18_EEDaS13_S14_EUlS13_E_NS1_11comp_targetILNS1_3genE2ELNS1_11target_archE906ELNS1_3gpuE6ELNS1_3repE0EEENS1_30default_config_static_selectorELNS0_4arch9wavefront6targetE0EEEvT1_: ; @_ZN7rocprim17ROCPRIM_400000_NS6detail17trampoline_kernelINS0_14default_configENS1_25partition_config_selectorILNS1_17partition_subalgoE9EffbEEZZNS1_14partition_implILS5_9ELb0ES3_jN6thrust23THRUST_200600_302600_NS6detail15normal_iteratorINS9_10device_ptrIfEEEESE_PNS0_10empty_typeENS0_5tupleIJSE_SF_EEENSH_IJSE_SG_EEENS0_18inequality_wrapperI22is_equal_div_10_uniqueIfEEEPmJSF_EEE10hipError_tPvRmT3_T4_T5_T6_T7_T9_mT8_P12ihipStream_tbDpT10_ENKUlT_T0_E_clISt17integral_constantIbLb0EES18_EEDaS13_S14_EUlS13_E_NS1_11comp_targetILNS1_3genE2ELNS1_11target_archE906ELNS1_3gpuE6ELNS1_3repE0EEENS1_30default_config_static_selectorELNS0_4arch9wavefront6targetE0EEEvT1_
; %bb.0:
	.section	.rodata,"a",@progbits
	.p2align	6, 0x0
	.amdhsa_kernel _ZN7rocprim17ROCPRIM_400000_NS6detail17trampoline_kernelINS0_14default_configENS1_25partition_config_selectorILNS1_17partition_subalgoE9EffbEEZZNS1_14partition_implILS5_9ELb0ES3_jN6thrust23THRUST_200600_302600_NS6detail15normal_iteratorINS9_10device_ptrIfEEEESE_PNS0_10empty_typeENS0_5tupleIJSE_SF_EEENSH_IJSE_SG_EEENS0_18inequality_wrapperI22is_equal_div_10_uniqueIfEEEPmJSF_EEE10hipError_tPvRmT3_T4_T5_T6_T7_T9_mT8_P12ihipStream_tbDpT10_ENKUlT_T0_E_clISt17integral_constantIbLb0EES18_EEDaS13_S14_EUlS13_E_NS1_11comp_targetILNS1_3genE2ELNS1_11target_archE906ELNS1_3gpuE6ELNS1_3repE0EEENS1_30default_config_static_selectorELNS0_4arch9wavefront6targetE0EEEvT1_
		.amdhsa_group_segment_fixed_size 0
		.amdhsa_private_segment_fixed_size 0
		.amdhsa_kernarg_size 112
		.amdhsa_user_sgpr_count 15
		.amdhsa_user_sgpr_dispatch_ptr 0
		.amdhsa_user_sgpr_queue_ptr 0
		.amdhsa_user_sgpr_kernarg_segment_ptr 1
		.amdhsa_user_sgpr_dispatch_id 0
		.amdhsa_user_sgpr_private_segment_size 0
		.amdhsa_wavefront_size32 1
		.amdhsa_uses_dynamic_stack 0
		.amdhsa_enable_private_segment 0
		.amdhsa_system_sgpr_workgroup_id_x 1
		.amdhsa_system_sgpr_workgroup_id_y 0
		.amdhsa_system_sgpr_workgroup_id_z 0
		.amdhsa_system_sgpr_workgroup_info 0
		.amdhsa_system_vgpr_workitem_id 0
		.amdhsa_next_free_vgpr 1
		.amdhsa_next_free_sgpr 1
		.amdhsa_reserve_vcc 0
		.amdhsa_float_round_mode_32 0
		.amdhsa_float_round_mode_16_64 0
		.amdhsa_float_denorm_mode_32 3
		.amdhsa_float_denorm_mode_16_64 3
		.amdhsa_dx10_clamp 1
		.amdhsa_ieee_mode 1
		.amdhsa_fp16_overflow 0
		.amdhsa_workgroup_processor_mode 1
		.amdhsa_memory_ordered 1
		.amdhsa_forward_progress 0
		.amdhsa_shared_vgpr_count 0
		.amdhsa_exception_fp_ieee_invalid_op 0
		.amdhsa_exception_fp_denorm_src 0
		.amdhsa_exception_fp_ieee_div_zero 0
		.amdhsa_exception_fp_ieee_overflow 0
		.amdhsa_exception_fp_ieee_underflow 0
		.amdhsa_exception_fp_ieee_inexact 0
		.amdhsa_exception_int_div_zero 0
	.end_amdhsa_kernel
	.section	.text._ZN7rocprim17ROCPRIM_400000_NS6detail17trampoline_kernelINS0_14default_configENS1_25partition_config_selectorILNS1_17partition_subalgoE9EffbEEZZNS1_14partition_implILS5_9ELb0ES3_jN6thrust23THRUST_200600_302600_NS6detail15normal_iteratorINS9_10device_ptrIfEEEESE_PNS0_10empty_typeENS0_5tupleIJSE_SF_EEENSH_IJSE_SG_EEENS0_18inequality_wrapperI22is_equal_div_10_uniqueIfEEEPmJSF_EEE10hipError_tPvRmT3_T4_T5_T6_T7_T9_mT8_P12ihipStream_tbDpT10_ENKUlT_T0_E_clISt17integral_constantIbLb0EES18_EEDaS13_S14_EUlS13_E_NS1_11comp_targetILNS1_3genE2ELNS1_11target_archE906ELNS1_3gpuE6ELNS1_3repE0EEENS1_30default_config_static_selectorELNS0_4arch9wavefront6targetE0EEEvT1_,"axG",@progbits,_ZN7rocprim17ROCPRIM_400000_NS6detail17trampoline_kernelINS0_14default_configENS1_25partition_config_selectorILNS1_17partition_subalgoE9EffbEEZZNS1_14partition_implILS5_9ELb0ES3_jN6thrust23THRUST_200600_302600_NS6detail15normal_iteratorINS9_10device_ptrIfEEEESE_PNS0_10empty_typeENS0_5tupleIJSE_SF_EEENSH_IJSE_SG_EEENS0_18inequality_wrapperI22is_equal_div_10_uniqueIfEEEPmJSF_EEE10hipError_tPvRmT3_T4_T5_T6_T7_T9_mT8_P12ihipStream_tbDpT10_ENKUlT_T0_E_clISt17integral_constantIbLb0EES18_EEDaS13_S14_EUlS13_E_NS1_11comp_targetILNS1_3genE2ELNS1_11target_archE906ELNS1_3gpuE6ELNS1_3repE0EEENS1_30default_config_static_selectorELNS0_4arch9wavefront6targetE0EEEvT1_,comdat
.Lfunc_end116:
	.size	_ZN7rocprim17ROCPRIM_400000_NS6detail17trampoline_kernelINS0_14default_configENS1_25partition_config_selectorILNS1_17partition_subalgoE9EffbEEZZNS1_14partition_implILS5_9ELb0ES3_jN6thrust23THRUST_200600_302600_NS6detail15normal_iteratorINS9_10device_ptrIfEEEESE_PNS0_10empty_typeENS0_5tupleIJSE_SF_EEENSH_IJSE_SG_EEENS0_18inequality_wrapperI22is_equal_div_10_uniqueIfEEEPmJSF_EEE10hipError_tPvRmT3_T4_T5_T6_T7_T9_mT8_P12ihipStream_tbDpT10_ENKUlT_T0_E_clISt17integral_constantIbLb0EES18_EEDaS13_S14_EUlS13_E_NS1_11comp_targetILNS1_3genE2ELNS1_11target_archE906ELNS1_3gpuE6ELNS1_3repE0EEENS1_30default_config_static_selectorELNS0_4arch9wavefront6targetE0EEEvT1_, .Lfunc_end116-_ZN7rocprim17ROCPRIM_400000_NS6detail17trampoline_kernelINS0_14default_configENS1_25partition_config_selectorILNS1_17partition_subalgoE9EffbEEZZNS1_14partition_implILS5_9ELb0ES3_jN6thrust23THRUST_200600_302600_NS6detail15normal_iteratorINS9_10device_ptrIfEEEESE_PNS0_10empty_typeENS0_5tupleIJSE_SF_EEENSH_IJSE_SG_EEENS0_18inequality_wrapperI22is_equal_div_10_uniqueIfEEEPmJSF_EEE10hipError_tPvRmT3_T4_T5_T6_T7_T9_mT8_P12ihipStream_tbDpT10_ENKUlT_T0_E_clISt17integral_constantIbLb0EES18_EEDaS13_S14_EUlS13_E_NS1_11comp_targetILNS1_3genE2ELNS1_11target_archE906ELNS1_3gpuE6ELNS1_3repE0EEENS1_30default_config_static_selectorELNS0_4arch9wavefront6targetE0EEEvT1_
                                        ; -- End function
	.section	.AMDGPU.csdata,"",@progbits
; Kernel info:
; codeLenInByte = 0
; NumSgprs: 0
; NumVgprs: 0
; ScratchSize: 0
; MemoryBound: 0
; FloatMode: 240
; IeeeMode: 1
; LDSByteSize: 0 bytes/workgroup (compile time only)
; SGPRBlocks: 0
; VGPRBlocks: 0
; NumSGPRsForWavesPerEU: 1
; NumVGPRsForWavesPerEU: 1
; Occupancy: 16
; WaveLimiterHint : 0
; COMPUTE_PGM_RSRC2:SCRATCH_EN: 0
; COMPUTE_PGM_RSRC2:USER_SGPR: 15
; COMPUTE_PGM_RSRC2:TRAP_HANDLER: 0
; COMPUTE_PGM_RSRC2:TGID_X_EN: 1
; COMPUTE_PGM_RSRC2:TGID_Y_EN: 0
; COMPUTE_PGM_RSRC2:TGID_Z_EN: 0
; COMPUTE_PGM_RSRC2:TIDIG_COMP_CNT: 0
	.section	.text._ZN7rocprim17ROCPRIM_400000_NS6detail17trampoline_kernelINS0_14default_configENS1_25partition_config_selectorILNS1_17partition_subalgoE9EffbEEZZNS1_14partition_implILS5_9ELb0ES3_jN6thrust23THRUST_200600_302600_NS6detail15normal_iteratorINS9_10device_ptrIfEEEESE_PNS0_10empty_typeENS0_5tupleIJSE_SF_EEENSH_IJSE_SG_EEENS0_18inequality_wrapperI22is_equal_div_10_uniqueIfEEEPmJSF_EEE10hipError_tPvRmT3_T4_T5_T6_T7_T9_mT8_P12ihipStream_tbDpT10_ENKUlT_T0_E_clISt17integral_constantIbLb0EES18_EEDaS13_S14_EUlS13_E_NS1_11comp_targetILNS1_3genE10ELNS1_11target_archE1200ELNS1_3gpuE4ELNS1_3repE0EEENS1_30default_config_static_selectorELNS0_4arch9wavefront6targetE0EEEvT1_,"axG",@progbits,_ZN7rocprim17ROCPRIM_400000_NS6detail17trampoline_kernelINS0_14default_configENS1_25partition_config_selectorILNS1_17partition_subalgoE9EffbEEZZNS1_14partition_implILS5_9ELb0ES3_jN6thrust23THRUST_200600_302600_NS6detail15normal_iteratorINS9_10device_ptrIfEEEESE_PNS0_10empty_typeENS0_5tupleIJSE_SF_EEENSH_IJSE_SG_EEENS0_18inequality_wrapperI22is_equal_div_10_uniqueIfEEEPmJSF_EEE10hipError_tPvRmT3_T4_T5_T6_T7_T9_mT8_P12ihipStream_tbDpT10_ENKUlT_T0_E_clISt17integral_constantIbLb0EES18_EEDaS13_S14_EUlS13_E_NS1_11comp_targetILNS1_3genE10ELNS1_11target_archE1200ELNS1_3gpuE4ELNS1_3repE0EEENS1_30default_config_static_selectorELNS0_4arch9wavefront6targetE0EEEvT1_,comdat
	.protected	_ZN7rocprim17ROCPRIM_400000_NS6detail17trampoline_kernelINS0_14default_configENS1_25partition_config_selectorILNS1_17partition_subalgoE9EffbEEZZNS1_14partition_implILS5_9ELb0ES3_jN6thrust23THRUST_200600_302600_NS6detail15normal_iteratorINS9_10device_ptrIfEEEESE_PNS0_10empty_typeENS0_5tupleIJSE_SF_EEENSH_IJSE_SG_EEENS0_18inequality_wrapperI22is_equal_div_10_uniqueIfEEEPmJSF_EEE10hipError_tPvRmT3_T4_T5_T6_T7_T9_mT8_P12ihipStream_tbDpT10_ENKUlT_T0_E_clISt17integral_constantIbLb0EES18_EEDaS13_S14_EUlS13_E_NS1_11comp_targetILNS1_3genE10ELNS1_11target_archE1200ELNS1_3gpuE4ELNS1_3repE0EEENS1_30default_config_static_selectorELNS0_4arch9wavefront6targetE0EEEvT1_ ; -- Begin function _ZN7rocprim17ROCPRIM_400000_NS6detail17trampoline_kernelINS0_14default_configENS1_25partition_config_selectorILNS1_17partition_subalgoE9EffbEEZZNS1_14partition_implILS5_9ELb0ES3_jN6thrust23THRUST_200600_302600_NS6detail15normal_iteratorINS9_10device_ptrIfEEEESE_PNS0_10empty_typeENS0_5tupleIJSE_SF_EEENSH_IJSE_SG_EEENS0_18inequality_wrapperI22is_equal_div_10_uniqueIfEEEPmJSF_EEE10hipError_tPvRmT3_T4_T5_T6_T7_T9_mT8_P12ihipStream_tbDpT10_ENKUlT_T0_E_clISt17integral_constantIbLb0EES18_EEDaS13_S14_EUlS13_E_NS1_11comp_targetILNS1_3genE10ELNS1_11target_archE1200ELNS1_3gpuE4ELNS1_3repE0EEENS1_30default_config_static_selectorELNS0_4arch9wavefront6targetE0EEEvT1_
	.globl	_ZN7rocprim17ROCPRIM_400000_NS6detail17trampoline_kernelINS0_14default_configENS1_25partition_config_selectorILNS1_17partition_subalgoE9EffbEEZZNS1_14partition_implILS5_9ELb0ES3_jN6thrust23THRUST_200600_302600_NS6detail15normal_iteratorINS9_10device_ptrIfEEEESE_PNS0_10empty_typeENS0_5tupleIJSE_SF_EEENSH_IJSE_SG_EEENS0_18inequality_wrapperI22is_equal_div_10_uniqueIfEEEPmJSF_EEE10hipError_tPvRmT3_T4_T5_T6_T7_T9_mT8_P12ihipStream_tbDpT10_ENKUlT_T0_E_clISt17integral_constantIbLb0EES18_EEDaS13_S14_EUlS13_E_NS1_11comp_targetILNS1_3genE10ELNS1_11target_archE1200ELNS1_3gpuE4ELNS1_3repE0EEENS1_30default_config_static_selectorELNS0_4arch9wavefront6targetE0EEEvT1_
	.p2align	8
	.type	_ZN7rocprim17ROCPRIM_400000_NS6detail17trampoline_kernelINS0_14default_configENS1_25partition_config_selectorILNS1_17partition_subalgoE9EffbEEZZNS1_14partition_implILS5_9ELb0ES3_jN6thrust23THRUST_200600_302600_NS6detail15normal_iteratorINS9_10device_ptrIfEEEESE_PNS0_10empty_typeENS0_5tupleIJSE_SF_EEENSH_IJSE_SG_EEENS0_18inequality_wrapperI22is_equal_div_10_uniqueIfEEEPmJSF_EEE10hipError_tPvRmT3_T4_T5_T6_T7_T9_mT8_P12ihipStream_tbDpT10_ENKUlT_T0_E_clISt17integral_constantIbLb0EES18_EEDaS13_S14_EUlS13_E_NS1_11comp_targetILNS1_3genE10ELNS1_11target_archE1200ELNS1_3gpuE4ELNS1_3repE0EEENS1_30default_config_static_selectorELNS0_4arch9wavefront6targetE0EEEvT1_,@function
_ZN7rocprim17ROCPRIM_400000_NS6detail17trampoline_kernelINS0_14default_configENS1_25partition_config_selectorILNS1_17partition_subalgoE9EffbEEZZNS1_14partition_implILS5_9ELb0ES3_jN6thrust23THRUST_200600_302600_NS6detail15normal_iteratorINS9_10device_ptrIfEEEESE_PNS0_10empty_typeENS0_5tupleIJSE_SF_EEENSH_IJSE_SG_EEENS0_18inequality_wrapperI22is_equal_div_10_uniqueIfEEEPmJSF_EEE10hipError_tPvRmT3_T4_T5_T6_T7_T9_mT8_P12ihipStream_tbDpT10_ENKUlT_T0_E_clISt17integral_constantIbLb0EES18_EEDaS13_S14_EUlS13_E_NS1_11comp_targetILNS1_3genE10ELNS1_11target_archE1200ELNS1_3gpuE4ELNS1_3repE0EEENS1_30default_config_static_selectorELNS0_4arch9wavefront6targetE0EEEvT1_: ; @_ZN7rocprim17ROCPRIM_400000_NS6detail17trampoline_kernelINS0_14default_configENS1_25partition_config_selectorILNS1_17partition_subalgoE9EffbEEZZNS1_14partition_implILS5_9ELb0ES3_jN6thrust23THRUST_200600_302600_NS6detail15normal_iteratorINS9_10device_ptrIfEEEESE_PNS0_10empty_typeENS0_5tupleIJSE_SF_EEENSH_IJSE_SG_EEENS0_18inequality_wrapperI22is_equal_div_10_uniqueIfEEEPmJSF_EEE10hipError_tPvRmT3_T4_T5_T6_T7_T9_mT8_P12ihipStream_tbDpT10_ENKUlT_T0_E_clISt17integral_constantIbLb0EES18_EEDaS13_S14_EUlS13_E_NS1_11comp_targetILNS1_3genE10ELNS1_11target_archE1200ELNS1_3gpuE4ELNS1_3repE0EEENS1_30default_config_static_selectorELNS0_4arch9wavefront6targetE0EEEvT1_
; %bb.0:
	.section	.rodata,"a",@progbits
	.p2align	6, 0x0
	.amdhsa_kernel _ZN7rocprim17ROCPRIM_400000_NS6detail17trampoline_kernelINS0_14default_configENS1_25partition_config_selectorILNS1_17partition_subalgoE9EffbEEZZNS1_14partition_implILS5_9ELb0ES3_jN6thrust23THRUST_200600_302600_NS6detail15normal_iteratorINS9_10device_ptrIfEEEESE_PNS0_10empty_typeENS0_5tupleIJSE_SF_EEENSH_IJSE_SG_EEENS0_18inequality_wrapperI22is_equal_div_10_uniqueIfEEEPmJSF_EEE10hipError_tPvRmT3_T4_T5_T6_T7_T9_mT8_P12ihipStream_tbDpT10_ENKUlT_T0_E_clISt17integral_constantIbLb0EES18_EEDaS13_S14_EUlS13_E_NS1_11comp_targetILNS1_3genE10ELNS1_11target_archE1200ELNS1_3gpuE4ELNS1_3repE0EEENS1_30default_config_static_selectorELNS0_4arch9wavefront6targetE0EEEvT1_
		.amdhsa_group_segment_fixed_size 0
		.amdhsa_private_segment_fixed_size 0
		.amdhsa_kernarg_size 112
		.amdhsa_user_sgpr_count 15
		.amdhsa_user_sgpr_dispatch_ptr 0
		.amdhsa_user_sgpr_queue_ptr 0
		.amdhsa_user_sgpr_kernarg_segment_ptr 1
		.amdhsa_user_sgpr_dispatch_id 0
		.amdhsa_user_sgpr_private_segment_size 0
		.amdhsa_wavefront_size32 1
		.amdhsa_uses_dynamic_stack 0
		.amdhsa_enable_private_segment 0
		.amdhsa_system_sgpr_workgroup_id_x 1
		.amdhsa_system_sgpr_workgroup_id_y 0
		.amdhsa_system_sgpr_workgroup_id_z 0
		.amdhsa_system_sgpr_workgroup_info 0
		.amdhsa_system_vgpr_workitem_id 0
		.amdhsa_next_free_vgpr 1
		.amdhsa_next_free_sgpr 1
		.amdhsa_reserve_vcc 0
		.amdhsa_float_round_mode_32 0
		.amdhsa_float_round_mode_16_64 0
		.amdhsa_float_denorm_mode_32 3
		.amdhsa_float_denorm_mode_16_64 3
		.amdhsa_dx10_clamp 1
		.amdhsa_ieee_mode 1
		.amdhsa_fp16_overflow 0
		.amdhsa_workgroup_processor_mode 1
		.amdhsa_memory_ordered 1
		.amdhsa_forward_progress 0
		.amdhsa_shared_vgpr_count 0
		.amdhsa_exception_fp_ieee_invalid_op 0
		.amdhsa_exception_fp_denorm_src 0
		.amdhsa_exception_fp_ieee_div_zero 0
		.amdhsa_exception_fp_ieee_overflow 0
		.amdhsa_exception_fp_ieee_underflow 0
		.amdhsa_exception_fp_ieee_inexact 0
		.amdhsa_exception_int_div_zero 0
	.end_amdhsa_kernel
	.section	.text._ZN7rocprim17ROCPRIM_400000_NS6detail17trampoline_kernelINS0_14default_configENS1_25partition_config_selectorILNS1_17partition_subalgoE9EffbEEZZNS1_14partition_implILS5_9ELb0ES3_jN6thrust23THRUST_200600_302600_NS6detail15normal_iteratorINS9_10device_ptrIfEEEESE_PNS0_10empty_typeENS0_5tupleIJSE_SF_EEENSH_IJSE_SG_EEENS0_18inequality_wrapperI22is_equal_div_10_uniqueIfEEEPmJSF_EEE10hipError_tPvRmT3_T4_T5_T6_T7_T9_mT8_P12ihipStream_tbDpT10_ENKUlT_T0_E_clISt17integral_constantIbLb0EES18_EEDaS13_S14_EUlS13_E_NS1_11comp_targetILNS1_3genE10ELNS1_11target_archE1200ELNS1_3gpuE4ELNS1_3repE0EEENS1_30default_config_static_selectorELNS0_4arch9wavefront6targetE0EEEvT1_,"axG",@progbits,_ZN7rocprim17ROCPRIM_400000_NS6detail17trampoline_kernelINS0_14default_configENS1_25partition_config_selectorILNS1_17partition_subalgoE9EffbEEZZNS1_14partition_implILS5_9ELb0ES3_jN6thrust23THRUST_200600_302600_NS6detail15normal_iteratorINS9_10device_ptrIfEEEESE_PNS0_10empty_typeENS0_5tupleIJSE_SF_EEENSH_IJSE_SG_EEENS0_18inequality_wrapperI22is_equal_div_10_uniqueIfEEEPmJSF_EEE10hipError_tPvRmT3_T4_T5_T6_T7_T9_mT8_P12ihipStream_tbDpT10_ENKUlT_T0_E_clISt17integral_constantIbLb0EES18_EEDaS13_S14_EUlS13_E_NS1_11comp_targetILNS1_3genE10ELNS1_11target_archE1200ELNS1_3gpuE4ELNS1_3repE0EEENS1_30default_config_static_selectorELNS0_4arch9wavefront6targetE0EEEvT1_,comdat
.Lfunc_end117:
	.size	_ZN7rocprim17ROCPRIM_400000_NS6detail17trampoline_kernelINS0_14default_configENS1_25partition_config_selectorILNS1_17partition_subalgoE9EffbEEZZNS1_14partition_implILS5_9ELb0ES3_jN6thrust23THRUST_200600_302600_NS6detail15normal_iteratorINS9_10device_ptrIfEEEESE_PNS0_10empty_typeENS0_5tupleIJSE_SF_EEENSH_IJSE_SG_EEENS0_18inequality_wrapperI22is_equal_div_10_uniqueIfEEEPmJSF_EEE10hipError_tPvRmT3_T4_T5_T6_T7_T9_mT8_P12ihipStream_tbDpT10_ENKUlT_T0_E_clISt17integral_constantIbLb0EES18_EEDaS13_S14_EUlS13_E_NS1_11comp_targetILNS1_3genE10ELNS1_11target_archE1200ELNS1_3gpuE4ELNS1_3repE0EEENS1_30default_config_static_selectorELNS0_4arch9wavefront6targetE0EEEvT1_, .Lfunc_end117-_ZN7rocprim17ROCPRIM_400000_NS6detail17trampoline_kernelINS0_14default_configENS1_25partition_config_selectorILNS1_17partition_subalgoE9EffbEEZZNS1_14partition_implILS5_9ELb0ES3_jN6thrust23THRUST_200600_302600_NS6detail15normal_iteratorINS9_10device_ptrIfEEEESE_PNS0_10empty_typeENS0_5tupleIJSE_SF_EEENSH_IJSE_SG_EEENS0_18inequality_wrapperI22is_equal_div_10_uniqueIfEEEPmJSF_EEE10hipError_tPvRmT3_T4_T5_T6_T7_T9_mT8_P12ihipStream_tbDpT10_ENKUlT_T0_E_clISt17integral_constantIbLb0EES18_EEDaS13_S14_EUlS13_E_NS1_11comp_targetILNS1_3genE10ELNS1_11target_archE1200ELNS1_3gpuE4ELNS1_3repE0EEENS1_30default_config_static_selectorELNS0_4arch9wavefront6targetE0EEEvT1_
                                        ; -- End function
	.section	.AMDGPU.csdata,"",@progbits
; Kernel info:
; codeLenInByte = 0
; NumSgprs: 0
; NumVgprs: 0
; ScratchSize: 0
; MemoryBound: 0
; FloatMode: 240
; IeeeMode: 1
; LDSByteSize: 0 bytes/workgroup (compile time only)
; SGPRBlocks: 0
; VGPRBlocks: 0
; NumSGPRsForWavesPerEU: 1
; NumVGPRsForWavesPerEU: 1
; Occupancy: 15
; WaveLimiterHint : 0
; COMPUTE_PGM_RSRC2:SCRATCH_EN: 0
; COMPUTE_PGM_RSRC2:USER_SGPR: 15
; COMPUTE_PGM_RSRC2:TRAP_HANDLER: 0
; COMPUTE_PGM_RSRC2:TGID_X_EN: 1
; COMPUTE_PGM_RSRC2:TGID_Y_EN: 0
; COMPUTE_PGM_RSRC2:TGID_Z_EN: 0
; COMPUTE_PGM_RSRC2:TIDIG_COMP_CNT: 0
	.section	.text._ZN7rocprim17ROCPRIM_400000_NS6detail17trampoline_kernelINS0_14default_configENS1_25partition_config_selectorILNS1_17partition_subalgoE9EffbEEZZNS1_14partition_implILS5_9ELb0ES3_jN6thrust23THRUST_200600_302600_NS6detail15normal_iteratorINS9_10device_ptrIfEEEESE_PNS0_10empty_typeENS0_5tupleIJSE_SF_EEENSH_IJSE_SG_EEENS0_18inequality_wrapperI22is_equal_div_10_uniqueIfEEEPmJSF_EEE10hipError_tPvRmT3_T4_T5_T6_T7_T9_mT8_P12ihipStream_tbDpT10_ENKUlT_T0_E_clISt17integral_constantIbLb0EES18_EEDaS13_S14_EUlS13_E_NS1_11comp_targetILNS1_3genE9ELNS1_11target_archE1100ELNS1_3gpuE3ELNS1_3repE0EEENS1_30default_config_static_selectorELNS0_4arch9wavefront6targetE0EEEvT1_,"axG",@progbits,_ZN7rocprim17ROCPRIM_400000_NS6detail17trampoline_kernelINS0_14default_configENS1_25partition_config_selectorILNS1_17partition_subalgoE9EffbEEZZNS1_14partition_implILS5_9ELb0ES3_jN6thrust23THRUST_200600_302600_NS6detail15normal_iteratorINS9_10device_ptrIfEEEESE_PNS0_10empty_typeENS0_5tupleIJSE_SF_EEENSH_IJSE_SG_EEENS0_18inequality_wrapperI22is_equal_div_10_uniqueIfEEEPmJSF_EEE10hipError_tPvRmT3_T4_T5_T6_T7_T9_mT8_P12ihipStream_tbDpT10_ENKUlT_T0_E_clISt17integral_constantIbLb0EES18_EEDaS13_S14_EUlS13_E_NS1_11comp_targetILNS1_3genE9ELNS1_11target_archE1100ELNS1_3gpuE3ELNS1_3repE0EEENS1_30default_config_static_selectorELNS0_4arch9wavefront6targetE0EEEvT1_,comdat
	.protected	_ZN7rocprim17ROCPRIM_400000_NS6detail17trampoline_kernelINS0_14default_configENS1_25partition_config_selectorILNS1_17partition_subalgoE9EffbEEZZNS1_14partition_implILS5_9ELb0ES3_jN6thrust23THRUST_200600_302600_NS6detail15normal_iteratorINS9_10device_ptrIfEEEESE_PNS0_10empty_typeENS0_5tupleIJSE_SF_EEENSH_IJSE_SG_EEENS0_18inequality_wrapperI22is_equal_div_10_uniqueIfEEEPmJSF_EEE10hipError_tPvRmT3_T4_T5_T6_T7_T9_mT8_P12ihipStream_tbDpT10_ENKUlT_T0_E_clISt17integral_constantIbLb0EES18_EEDaS13_S14_EUlS13_E_NS1_11comp_targetILNS1_3genE9ELNS1_11target_archE1100ELNS1_3gpuE3ELNS1_3repE0EEENS1_30default_config_static_selectorELNS0_4arch9wavefront6targetE0EEEvT1_ ; -- Begin function _ZN7rocprim17ROCPRIM_400000_NS6detail17trampoline_kernelINS0_14default_configENS1_25partition_config_selectorILNS1_17partition_subalgoE9EffbEEZZNS1_14partition_implILS5_9ELb0ES3_jN6thrust23THRUST_200600_302600_NS6detail15normal_iteratorINS9_10device_ptrIfEEEESE_PNS0_10empty_typeENS0_5tupleIJSE_SF_EEENSH_IJSE_SG_EEENS0_18inequality_wrapperI22is_equal_div_10_uniqueIfEEEPmJSF_EEE10hipError_tPvRmT3_T4_T5_T6_T7_T9_mT8_P12ihipStream_tbDpT10_ENKUlT_T0_E_clISt17integral_constantIbLb0EES18_EEDaS13_S14_EUlS13_E_NS1_11comp_targetILNS1_3genE9ELNS1_11target_archE1100ELNS1_3gpuE3ELNS1_3repE0EEENS1_30default_config_static_selectorELNS0_4arch9wavefront6targetE0EEEvT1_
	.globl	_ZN7rocprim17ROCPRIM_400000_NS6detail17trampoline_kernelINS0_14default_configENS1_25partition_config_selectorILNS1_17partition_subalgoE9EffbEEZZNS1_14partition_implILS5_9ELb0ES3_jN6thrust23THRUST_200600_302600_NS6detail15normal_iteratorINS9_10device_ptrIfEEEESE_PNS0_10empty_typeENS0_5tupleIJSE_SF_EEENSH_IJSE_SG_EEENS0_18inequality_wrapperI22is_equal_div_10_uniqueIfEEEPmJSF_EEE10hipError_tPvRmT3_T4_T5_T6_T7_T9_mT8_P12ihipStream_tbDpT10_ENKUlT_T0_E_clISt17integral_constantIbLb0EES18_EEDaS13_S14_EUlS13_E_NS1_11comp_targetILNS1_3genE9ELNS1_11target_archE1100ELNS1_3gpuE3ELNS1_3repE0EEENS1_30default_config_static_selectorELNS0_4arch9wavefront6targetE0EEEvT1_
	.p2align	8
	.type	_ZN7rocprim17ROCPRIM_400000_NS6detail17trampoline_kernelINS0_14default_configENS1_25partition_config_selectorILNS1_17partition_subalgoE9EffbEEZZNS1_14partition_implILS5_9ELb0ES3_jN6thrust23THRUST_200600_302600_NS6detail15normal_iteratorINS9_10device_ptrIfEEEESE_PNS0_10empty_typeENS0_5tupleIJSE_SF_EEENSH_IJSE_SG_EEENS0_18inequality_wrapperI22is_equal_div_10_uniqueIfEEEPmJSF_EEE10hipError_tPvRmT3_T4_T5_T6_T7_T9_mT8_P12ihipStream_tbDpT10_ENKUlT_T0_E_clISt17integral_constantIbLb0EES18_EEDaS13_S14_EUlS13_E_NS1_11comp_targetILNS1_3genE9ELNS1_11target_archE1100ELNS1_3gpuE3ELNS1_3repE0EEENS1_30default_config_static_selectorELNS0_4arch9wavefront6targetE0EEEvT1_,@function
_ZN7rocprim17ROCPRIM_400000_NS6detail17trampoline_kernelINS0_14default_configENS1_25partition_config_selectorILNS1_17partition_subalgoE9EffbEEZZNS1_14partition_implILS5_9ELb0ES3_jN6thrust23THRUST_200600_302600_NS6detail15normal_iteratorINS9_10device_ptrIfEEEESE_PNS0_10empty_typeENS0_5tupleIJSE_SF_EEENSH_IJSE_SG_EEENS0_18inequality_wrapperI22is_equal_div_10_uniqueIfEEEPmJSF_EEE10hipError_tPvRmT3_T4_T5_T6_T7_T9_mT8_P12ihipStream_tbDpT10_ENKUlT_T0_E_clISt17integral_constantIbLb0EES18_EEDaS13_S14_EUlS13_E_NS1_11comp_targetILNS1_3genE9ELNS1_11target_archE1100ELNS1_3gpuE3ELNS1_3repE0EEENS1_30default_config_static_selectorELNS0_4arch9wavefront6targetE0EEEvT1_: ; @_ZN7rocprim17ROCPRIM_400000_NS6detail17trampoline_kernelINS0_14default_configENS1_25partition_config_selectorILNS1_17partition_subalgoE9EffbEEZZNS1_14partition_implILS5_9ELb0ES3_jN6thrust23THRUST_200600_302600_NS6detail15normal_iteratorINS9_10device_ptrIfEEEESE_PNS0_10empty_typeENS0_5tupleIJSE_SF_EEENSH_IJSE_SG_EEENS0_18inequality_wrapperI22is_equal_div_10_uniqueIfEEEPmJSF_EEE10hipError_tPvRmT3_T4_T5_T6_T7_T9_mT8_P12ihipStream_tbDpT10_ENKUlT_T0_E_clISt17integral_constantIbLb0EES18_EEDaS13_S14_EUlS13_E_NS1_11comp_targetILNS1_3genE9ELNS1_11target_archE1100ELNS1_3gpuE3ELNS1_3repE0EEENS1_30default_config_static_selectorELNS0_4arch9wavefront6targetE0EEEvT1_
; %bb.0:
	s_clause 0x4
	s_load_b128 s[4:7], s[0:1], 0x8
	s_load_b32 s14, s[0:1], 0x68
	s_load_b128 s[16:19], s[0:1], 0x40
	s_load_b64 s[2:3], s[0:1], 0x50
	s_load_b64 s[8:9], s[0:1], 0x18
	s_mov_b32 s21, 0
	s_mul_i32 s20, s15, 0xc00
	v_lshrrev_b32_e32 v18, 3, v0
	v_add_nc_u32_e32 v23, 0x180, v0
	v_add_nc_u32_e32 v22, 0x300, v0
	;; [unrolled: 1-line block ×3, first 2 shown]
	v_or_b32_e32 v24, 0x600, v0
	v_add_nc_u32_e32 v20, 0x780, v0
	v_add_nc_u32_e32 v17, 0x900, v0
	;; [unrolled: 1-line block ×3, first 2 shown]
	s_waitcnt lgkmcnt(0)
	s_lshl_b64 s[12:13], s[6:7], 2
	s_mul_i32 s22, s14, 0xc00
	s_add_u32 s23, s4, s12
	s_addc_u32 s24, s5, s13
	s_add_i32 s4, s22, s6
	s_load_b64 s[10:11], s[18:19], 0x0
	s_sub_i32 s19, s2, s4
	s_add_i32 s14, s14, -1
	s_addk_i32 s19, 0xc00
	s_add_u32 s4, s6, s22
	s_addc_u32 s5, s7, 0
	s_cmp_eq_u32 s15, s14
	v_cmp_ge_u64_e64 s2, s[4:5], s[2:3]
	s_cselect_b32 s14, -1, 0
	s_lshl_b64 s[4:5], s[20:21], 2
	s_mov_b32 s22, -1
	s_delay_alu instid0(VALU_DEP_1) | instskip(NEXT) | instid1(SALU_CYCLE_1)
	s_and_b32 s3, s14, s2
	s_xor_b32 s18, s3, -1
	s_add_u32 s21, s23, s4
	s_addc_u32 s20, s24, s5
	s_and_b32 vcc_lo, exec_lo, s18
	s_cbranch_vccz .LBB118_2
; %bb.1:
	v_lshlrev_b32_e32 v7, 2, v0
	v_lshrrev_b32_e32 v11, 3, v23
	v_lshrrev_b32_e32 v12, 3, v22
	;; [unrolled: 1-line block ×4, first 2 shown]
	v_add_co_u32 v1, s2, s21, v7
	s_delay_alu instid0(VALU_DEP_1) | instskip(SKIP_1) | instid1(VALU_DEP_3)
	v_add_co_ci_u32_e64 v2, null, s20, 0, s2
	v_lshrrev_b32_e32 v15, 3, v20
	v_add_co_u32 v3, vcc_lo, 0x1000, v1
	s_delay_alu instid0(VALU_DEP_3)
	v_add_co_ci_u32_e32 v4, vcc_lo, 0, v2, vcc_lo
	v_add_co_u32 v5, vcc_lo, 0x2000, v1
	v_add_co_ci_u32_e32 v6, vcc_lo, 0, v2, vcc_lo
	s_clause 0x7
	flat_load_b32 v8, v[1:2]
	flat_load_b32 v9, v[1:2] offset:1536
	flat_load_b32 v1, v[1:2] offset:3072
	;; [unrolled: 1-line block ×7, first 2 shown]
	v_and_b32_e32 v6, 60, v18
	v_lshrrev_b32_e32 v16, 3, v17
	v_lshrrev_b32_e32 v19, 3, v21
	v_and_b32_e32 v11, 0x7c, v11
	v_and_b32_e32 v12, 0xfc, v12
	;; [unrolled: 1-line block ×4, first 2 shown]
	v_add_nc_u32_e32 v6, v6, v7
	v_and_b32_e32 v15, 0x1fc, v15
	v_and_b32_e32 v16, 0x17c, v16
	;; [unrolled: 1-line block ×3, first 2 shown]
	v_add_nc_u32_e32 v11, v11, v7
	v_add_nc_u32_e32 v12, v12, v7
	;; [unrolled: 1-line block ×4, first 2 shown]
	s_mov_b32 s22, 0
	v_add_nc_u32_e32 v15, v15, v7
	v_add_nc_u32_e32 v16, v16, v7
	;; [unrolled: 1-line block ×3, first 2 shown]
	s_waitcnt vmcnt(7) lgkmcnt(0)
	ds_store_b32 v6, v8
	s_waitcnt vmcnt(6)
	ds_store_b32 v11, v9 offset:1536
	s_waitcnt vmcnt(5)
	ds_store_b32 v12, v1 offset:3072
	;; [unrolled: 2-line block ×7, first 2 shown]
	s_waitcnt lgkmcnt(0)
	s_barrier
.LBB118_2:
	v_cmp_gt_u32_e64 s2, s19, v0
	s_and_not1_b32 vcc_lo, exec_lo, s22
	s_cbranch_vccnz .LBB118_20
; %bb.3:
                                        ; implicit-def: $vgpr1_vgpr2_vgpr3_vgpr4_vgpr5_vgpr6_vgpr7_vgpr8
	s_delay_alu instid0(VALU_DEP_1)
	s_and_saveexec_b32 s22, s2
	s_cbranch_execz .LBB118_11
; %bb.4:
	v_lshlrev_b32_e32 v1, 2, v0
	s_delay_alu instid0(VALU_DEP_1) | instskip(NEXT) | instid1(VALU_DEP_1)
	v_add_co_u32 v1, s2, s21, v1
	v_add_co_ci_u32_e64 v2, null, s20, 0, s2
	flat_load_b32 v1, v[1:2]
	s_or_b32 exec_lo, exec_lo, s22
	s_delay_alu instid0(SALU_CYCLE_1)
	s_mov_b32 s2, exec_lo
	v_cmpx_gt_u32_e64 s19, v23
	s_cbranch_execnz .LBB118_12
.LBB118_5:
	s_or_b32 exec_lo, exec_lo, s2
	s_delay_alu instid0(SALU_CYCLE_1)
	s_mov_b32 s2, exec_lo
	v_cmpx_gt_u32_e64 s19, v22
	s_cbranch_execz .LBB118_13
.LBB118_6:
	v_lshlrev_b32_e32 v3, 2, v0
	s_delay_alu instid0(VALU_DEP_1) | instskip(NEXT) | instid1(VALU_DEP_1)
	v_add_co_u32 v9, s22, s21, v3
	v_add_co_ci_u32_e64 v10, null, s20, 0, s22
	flat_load_b32 v3, v[9:10] offset:3072
	s_or_b32 exec_lo, exec_lo, s2
	s_delay_alu instid0(SALU_CYCLE_1)
	s_mov_b32 s2, exec_lo
	v_cmpx_gt_u32_e64 s19, v25
	s_cbranch_execnz .LBB118_14
.LBB118_7:
	s_or_b32 exec_lo, exec_lo, s2
	s_delay_alu instid0(SALU_CYCLE_1)
	s_mov_b32 s2, exec_lo
	v_cmpx_gt_u32_e64 s19, v24
	s_cbranch_execz .LBB118_15
.LBB118_8:
	v_lshlrev_b32_e32 v5, 2, v24
	s_delay_alu instid0(VALU_DEP_1) | instskip(NEXT) | instid1(VALU_DEP_1)
	v_add_co_u32 v9, s22, s21, v5
	v_add_co_ci_u32_e64 v10, null, s20, 0, s22
	flat_load_b32 v5, v[9:10]
	s_or_b32 exec_lo, exec_lo, s2
	s_delay_alu instid0(SALU_CYCLE_1)
	s_mov_b32 s2, exec_lo
	v_cmpx_gt_u32_e64 s19, v20
	s_cbranch_execnz .LBB118_16
.LBB118_9:
	s_or_b32 exec_lo, exec_lo, s2
	s_delay_alu instid0(SALU_CYCLE_1)
	s_mov_b32 s2, exec_lo
	v_cmpx_gt_u32_e64 s19, v17
	s_cbranch_execz .LBB118_17
.LBB118_10:
	v_lshlrev_b32_e32 v7, 2, v17
	s_delay_alu instid0(VALU_DEP_1) | instskip(NEXT) | instid1(VALU_DEP_1)
	v_add_co_u32 v9, s22, s21, v7
	v_add_co_ci_u32_e64 v10, null, s20, 0, s22
	flat_load_b32 v7, v[9:10]
	s_or_b32 exec_lo, exec_lo, s2
	s_delay_alu instid0(SALU_CYCLE_1)
	s_mov_b32 s2, exec_lo
	v_cmpx_gt_u32_e64 s19, v21
	s_cbranch_execnz .LBB118_18
	s_branch .LBB118_19
.LBB118_11:
	s_or_b32 exec_lo, exec_lo, s22
	s_delay_alu instid0(SALU_CYCLE_1)
	s_mov_b32 s2, exec_lo
	v_cmpx_gt_u32_e64 s19, v23
	s_cbranch_execz .LBB118_5
.LBB118_12:
	v_lshlrev_b32_e32 v2, 2, v0
	s_delay_alu instid0(VALU_DEP_1) | instskip(NEXT) | instid1(VALU_DEP_1)
	v_add_co_u32 v9, s22, s21, v2
	v_add_co_ci_u32_e64 v10, null, s20, 0, s22
	flat_load_b32 v2, v[9:10] offset:1536
	s_or_b32 exec_lo, exec_lo, s2
	s_delay_alu instid0(SALU_CYCLE_1)
	s_mov_b32 s2, exec_lo
	v_cmpx_gt_u32_e64 s19, v22
	s_cbranch_execnz .LBB118_6
.LBB118_13:
	s_or_b32 exec_lo, exec_lo, s2
	s_delay_alu instid0(SALU_CYCLE_1)
	s_mov_b32 s2, exec_lo
	v_cmpx_gt_u32_e64 s19, v25
	s_cbranch_execz .LBB118_7
.LBB118_14:
	v_lshlrev_b32_e32 v4, 2, v25
	s_delay_alu instid0(VALU_DEP_1) | instskip(NEXT) | instid1(VALU_DEP_1)
	v_add_co_u32 v9, s22, s21, v4
	v_add_co_ci_u32_e64 v10, null, s20, 0, s22
	flat_load_b32 v4, v[9:10]
	s_or_b32 exec_lo, exec_lo, s2
	s_delay_alu instid0(SALU_CYCLE_1)
	s_mov_b32 s2, exec_lo
	v_cmpx_gt_u32_e64 s19, v24
	s_cbranch_execnz .LBB118_8
.LBB118_15:
	s_or_b32 exec_lo, exec_lo, s2
	s_delay_alu instid0(SALU_CYCLE_1)
	s_mov_b32 s2, exec_lo
	v_cmpx_gt_u32_e64 s19, v20
	s_cbranch_execz .LBB118_9
.LBB118_16:
	v_lshlrev_b32_e32 v6, 2, v20
	s_delay_alu instid0(VALU_DEP_1) | instskip(NEXT) | instid1(VALU_DEP_1)
	v_add_co_u32 v9, s22, s21, v6
	v_add_co_ci_u32_e64 v10, null, s20, 0, s22
	flat_load_b32 v6, v[9:10]
	s_or_b32 exec_lo, exec_lo, s2
	s_delay_alu instid0(SALU_CYCLE_1)
	s_mov_b32 s2, exec_lo
	v_cmpx_gt_u32_e64 s19, v17
	s_cbranch_execnz .LBB118_10
.LBB118_17:
	s_or_b32 exec_lo, exec_lo, s2
	s_delay_alu instid0(SALU_CYCLE_1)
	s_mov_b32 s2, exec_lo
	v_cmpx_gt_u32_e64 s19, v21
	s_cbranch_execz .LBB118_19
.LBB118_18:
	v_lshlrev_b32_e32 v8, 2, v21
	s_delay_alu instid0(VALU_DEP_1) | instskip(NEXT) | instid1(VALU_DEP_1)
	v_add_co_u32 v8, s22, s21, v8
	v_add_co_ci_u32_e64 v9, null, s20, 0, s22
	flat_load_b32 v8, v[8:9]
.LBB118_19:
	s_or_b32 exec_lo, exec_lo, s2
	v_lshrrev_b32_e32 v9, 3, v23
	v_lshrrev_b32_e32 v10, 3, v22
	;; [unrolled: 1-line block ×4, first 2 shown]
	v_and_b32_e32 v11, 60, v18
	v_lshlrev_b32_e32 v12, 2, v0
	v_lshrrev_b32_e32 v15, 3, v20
	v_lshrrev_b32_e32 v16, 3, v17
	;; [unrolled: 1-line block ×3, first 2 shown]
	v_and_b32_e32 v9, 0x7c, v9
	v_and_b32_e32 v10, 0xfc, v10
	;; [unrolled: 1-line block ×4, first 2 shown]
	v_add_nc_u32_e32 v11, v11, v12
	v_and_b32_e32 v15, 0x1fc, v15
	v_and_b32_e32 v16, 0x1fc, v16
	;; [unrolled: 1-line block ×3, first 2 shown]
	v_add_nc_u32_e32 v9, v9, v12
	v_add_nc_u32_e32 v10, v10, v12
	;; [unrolled: 1-line block ×7, first 2 shown]
	s_waitcnt vmcnt(0) lgkmcnt(0)
	ds_store_b32 v11, v1
	ds_store_b32 v9, v2 offset:1536
	ds_store_b32 v10, v3 offset:3072
	;; [unrolled: 1-line block ×7, first 2 shown]
	s_waitcnt lgkmcnt(0)
	s_barrier
.LBB118_20:
	v_lshlrev_b32_e32 v19, 3, v0
	v_lshrrev_b32_e32 v1, 2, v0
	s_waitcnt lgkmcnt(0)
	buffer_gl0_inv
	s_add_u32 s2, s8, s12
	s_addc_u32 s8, s9, s13
	s_add_u32 s2, s2, s4
	v_add_lshl_u32 v1, v1, v19, 2
	s_addc_u32 s4, s8, s5
	s_and_b32 vcc_lo, exec_lo, s18
	s_mov_b32 s5, -1
	ds_load_2addr_b32 v[15:16], v1 offset1:1
	ds_load_2addr_b32 v[13:14], v1 offset0:2 offset1:3
	ds_load_2addr_b32 v[11:12], v1 offset0:4 offset1:5
	;; [unrolled: 1-line block ×3, first 2 shown]
	s_waitcnt lgkmcnt(0)
	s_barrier
	buffer_gl0_inv
	s_cbranch_vccz .LBB118_22
; %bb.21:
	v_lshlrev_b32_e32 v8, 2, v0
	v_lshrrev_b32_e32 v29, 3, v23
	v_lshrrev_b32_e32 v30, 3, v22
	;; [unrolled: 1-line block ×4, first 2 shown]
	v_add_co_u32 v2, s5, s2, v8
	s_delay_alu instid0(VALU_DEP_1) | instskip(SKIP_1) | instid1(VALU_DEP_3)
	v_add_co_ci_u32_e64 v3, null, s4, 0, s5
	v_lshrrev_b32_e32 v33, 3, v20
	v_add_co_u32 v4, vcc_lo, 0x1000, v2
	s_delay_alu instid0(VALU_DEP_3)
	v_add_co_ci_u32_e32 v5, vcc_lo, 0, v3, vcc_lo
	v_add_co_u32 v6, vcc_lo, 0x2000, v2
	v_add_co_ci_u32_e32 v7, vcc_lo, 0, v3, vcc_lo
	s_clause 0x7
	flat_load_b32 v26, v[2:3]
	flat_load_b32 v27, v[2:3] offset:1536
	flat_load_b32 v2, v[2:3] offset:3072
	flat_load_b32 v3, v[4:5] offset:512
	flat_load_b32 v28, v[4:5] offset:2048
	flat_load_b32 v4, v[4:5] offset:3584
	flat_load_b32 v5, v[6:7] offset:1024
	flat_load_b32 v6, v[6:7] offset:2560
	v_and_b32_e32 v7, 60, v18
	v_lshrrev_b32_e32 v34, 3, v17
	v_lshrrev_b32_e32 v35, 3, v21
	v_and_b32_e32 v29, 0x7c, v29
	v_and_b32_e32 v30, 0xfc, v30
	;; [unrolled: 1-line block ×4, first 2 shown]
	v_add_nc_u32_e32 v7, v7, v8
	v_and_b32_e32 v33, 0x1fc, v33
	v_and_b32_e32 v34, 0x17c, v34
	;; [unrolled: 1-line block ×3, first 2 shown]
	v_add_nc_u32_e32 v29, v29, v8
	v_add_nc_u32_e32 v30, v30, v8
	;; [unrolled: 1-line block ×4, first 2 shown]
	s_mov_b32 s5, 0
	v_add_nc_u32_e32 v33, v33, v8
	v_add_nc_u32_e32 v34, v34, v8
	;; [unrolled: 1-line block ×3, first 2 shown]
	s_waitcnt vmcnt(7) lgkmcnt(7)
	ds_store_b32 v7, v26
	s_waitcnt vmcnt(6) lgkmcnt(7)
	ds_store_b32 v29, v27 offset:1536
	s_waitcnt vmcnt(5) lgkmcnt(7)
	ds_store_b32 v30, v2 offset:3072
	s_waitcnt vmcnt(4) lgkmcnt(7)
	ds_store_b32 v31, v3 offset:4608
	s_waitcnt vmcnt(3) lgkmcnt(7)
	ds_store_b32 v32, v28 offset:6144
	s_waitcnt vmcnt(2) lgkmcnt(7)
	ds_store_b32 v33, v4 offset:7680
	s_waitcnt vmcnt(1) lgkmcnt(7)
	ds_store_b32 v34, v5 offset:9216
	s_waitcnt vmcnt(0) lgkmcnt(7)
	ds_store_b32 v8, v6 offset:10752
	s_waitcnt lgkmcnt(0)
	s_barrier
.LBB118_22:
	s_and_not1_b32 vcc_lo, exec_lo, s5
	s_cbranch_vccnz .LBB118_40
; %bb.23:
	s_mov_b32 s5, exec_lo
                                        ; implicit-def: $vgpr2
	v_cmpx_gt_u32_e64 s19, v0
	s_cbranch_execz .LBB118_25
; %bb.24:
	v_lshlrev_b32_e32 v2, 2, v0
	s_delay_alu instid0(VALU_DEP_1) | instskip(NEXT) | instid1(VALU_DEP_1)
	v_add_co_u32 v2, s8, s2, v2
	v_add_co_ci_u32_e64 v3, null, s4, 0, s8
	flat_load_b32 v2, v[2:3]
.LBB118_25:
	s_or_b32 exec_lo, exec_lo, s5
	s_delay_alu instid0(SALU_CYCLE_1)
	s_mov_b32 s5, exec_lo
                                        ; implicit-def: $vgpr3
	v_cmpx_gt_u32_e64 s19, v23
	s_cbranch_execz .LBB118_27
; %bb.26:
	v_lshlrev_b32_e32 v3, 2, v0
	s_delay_alu instid0(VALU_DEP_1) | instskip(NEXT) | instid1(VALU_DEP_1)
	v_add_co_u32 v3, s8, s2, v3
	v_add_co_ci_u32_e64 v4, null, s4, 0, s8
	flat_load_b32 v3, v[3:4] offset:1536
.LBB118_27:
	s_or_b32 exec_lo, exec_lo, s5
	s_delay_alu instid0(SALU_CYCLE_1)
	s_mov_b32 s5, exec_lo
                                        ; implicit-def: $vgpr4
	v_cmpx_gt_u32_e64 s19, v22
	s_cbranch_execz .LBB118_29
; %bb.28:
	v_lshlrev_b32_e32 v4, 2, v0
	s_delay_alu instid0(VALU_DEP_1) | instskip(NEXT) | instid1(VALU_DEP_1)
	v_add_co_u32 v4, s8, s2, v4
	v_add_co_ci_u32_e64 v5, null, s4, 0, s8
	flat_load_b32 v4, v[4:5] offset:3072
.LBB118_29:
	s_or_b32 exec_lo, exec_lo, s5
	s_delay_alu instid0(SALU_CYCLE_1)
	s_mov_b32 s5, exec_lo
                                        ; implicit-def: $vgpr5
	v_cmpx_gt_u32_e64 s19, v25
	s_cbranch_execz .LBB118_31
; %bb.30:
	v_lshlrev_b32_e32 v5, 2, v25
	s_delay_alu instid0(VALU_DEP_1) | instskip(NEXT) | instid1(VALU_DEP_1)
	v_add_co_u32 v5, s8, s2, v5
	v_add_co_ci_u32_e64 v6, null, s4, 0, s8
	flat_load_b32 v5, v[5:6]
.LBB118_31:
	s_or_b32 exec_lo, exec_lo, s5
	s_delay_alu instid0(SALU_CYCLE_1)
	s_mov_b32 s5, exec_lo
                                        ; implicit-def: $vgpr6
	v_cmpx_gt_u32_e64 s19, v24
	s_cbranch_execz .LBB118_33
; %bb.32:
	v_lshlrev_b32_e32 v6, 2, v24
	s_delay_alu instid0(VALU_DEP_1) | instskip(NEXT) | instid1(VALU_DEP_1)
	v_add_co_u32 v6, s8, s2, v6
	v_add_co_ci_u32_e64 v7, null, s4, 0, s8
	flat_load_b32 v6, v[6:7]
.LBB118_33:
	s_or_b32 exec_lo, exec_lo, s5
	s_delay_alu instid0(SALU_CYCLE_1)
	s_mov_b32 s5, exec_lo
                                        ; implicit-def: $vgpr7
	v_cmpx_gt_u32_e64 s19, v20
	s_cbranch_execz .LBB118_35
; %bb.34:
	v_lshlrev_b32_e32 v7, 2, v20
	s_delay_alu instid0(VALU_DEP_1) | instskip(NEXT) | instid1(VALU_DEP_1)
	v_add_co_u32 v7, s8, s2, v7
	v_add_co_ci_u32_e64 v8, null, s4, 0, s8
	flat_load_b32 v7, v[7:8]
.LBB118_35:
	s_or_b32 exec_lo, exec_lo, s5
	s_delay_alu instid0(SALU_CYCLE_1)
	s_mov_b32 s5, exec_lo
                                        ; implicit-def: $vgpr8
	v_cmpx_gt_u32_e64 s19, v17
	s_cbranch_execz .LBB118_37
; %bb.36:
	v_lshlrev_b32_e32 v8, 2, v17
	s_delay_alu instid0(VALU_DEP_1) | instskip(NEXT) | instid1(VALU_DEP_1)
	v_add_co_u32 v26, s8, s2, v8
	v_add_co_ci_u32_e64 v27, null, s4, 0, s8
	flat_load_b32 v8, v[26:27]
.LBB118_37:
	s_or_b32 exec_lo, exec_lo, s5
	s_delay_alu instid0(SALU_CYCLE_1)
	s_mov_b32 s5, exec_lo
                                        ; implicit-def: $vgpr26
	v_cmpx_gt_u32_e64 s19, v21
	s_cbranch_execz .LBB118_39
; %bb.38:
	v_lshlrev_b32_e32 v26, 2, v21
	s_delay_alu instid0(VALU_DEP_1) | instskip(NEXT) | instid1(VALU_DEP_1)
	v_add_co_u32 v26, s2, s2, v26
	v_add_co_ci_u32_e64 v27, null, s4, 0, s2
	flat_load_b32 v26, v[26:27]
.LBB118_39:
	s_or_b32 exec_lo, exec_lo, s5
	v_lshrrev_b32_e32 v23, 3, v23
	v_lshrrev_b32_e32 v22, 3, v22
	v_lshrrev_b32_e32 v25, 3, v25
	v_lshrrev_b32_e32 v24, 3, v24
	v_and_b32_e32 v18, 60, v18
	v_lshlrev_b32_e32 v27, 2, v0
	v_lshrrev_b32_e32 v20, 3, v20
	v_lshrrev_b32_e32 v17, 3, v17
	;; [unrolled: 1-line block ×3, first 2 shown]
	v_and_b32_e32 v23, 0x7c, v23
	v_and_b32_e32 v22, 0xfc, v22
	;; [unrolled: 1-line block ×4, first 2 shown]
	v_add_nc_u32_e32 v18, v18, v27
	v_and_b32_e32 v20, 0x1fc, v20
	v_and_b32_e32 v17, 0x1fc, v17
	;; [unrolled: 1-line block ×3, first 2 shown]
	v_add_nc_u32_e32 v23, v23, v27
	v_add_nc_u32_e32 v22, v22, v27
	;; [unrolled: 1-line block ×7, first 2 shown]
	s_waitcnt vmcnt(0) lgkmcnt(0)
	ds_store_b32 v18, v2
	ds_store_b32 v23, v3 offset:1536
	ds_store_b32 v22, v4 offset:3072
	;; [unrolled: 1-line block ×7, first 2 shown]
	s_waitcnt lgkmcnt(0)
	s_barrier
.LBB118_40:
	buffer_gl0_inv
	ds_load_2addr_b32 v[7:8], v1 offset1:1
	ds_load_2addr_b32 v[5:6], v1 offset0:2 offset1:3
	ds_load_2addr_b32 v[3:4], v1 offset0:4 offset1:5
	;; [unrolled: 1-line block ×3, first 2 shown]
	s_cmp_lg_u32 s15, 0
	s_waitcnt lgkmcnt(0)
	s_cselect_b32 s8, -1, 0
	s_cmp_lg_u64 s[6:7], 0
	s_barrier
	s_cselect_b32 s2, -1, 0
	buffer_gl0_inv
	s_or_b32 s2, s8, s2
	s_delay_alu instid0(SALU_CYCLE_1)
	s_and_b32 vcc_lo, exec_lo, s2
	s_mov_b32 s2, 0
	s_cbranch_vccz .LBB118_45
; %bb.41:
	v_add_co_u32 v17, s2, -4, s21
	s_delay_alu instid0(VALU_DEP_1)
	v_add_co_ci_u32_e64 v18, null, -1, s20, s2
	v_lshlrev_b32_e32 v21, 2, v0
	s_mov_b32 s2, -1
	s_and_b32 vcc_lo, exec_lo, s18
	flat_load_b32 v20, v[17:18]
	ds_store_b32 v21, v10
	s_cbranch_vccz .LBB118_46
; %bb.42:
	s_waitcnt vmcnt(0) lgkmcnt(1)
	v_mov_b32_e32 v17, v20
	s_mov_b32 s2, 0
	s_mov_b32 s4, exec_lo
	s_waitcnt lgkmcnt(0)
	s_barrier
	buffer_gl0_inv
	v_cmpx_ne_u32_e32 0, v0
	s_cbranch_execz .LBB118_44
; %bb.43:
	v_add_nc_u32_e32 v17, -4, v21
	ds_load_b32 v17, v17
.LBB118_44:
	s_or_b32 exec_lo, exec_lo, s4
	v_cvt_i32_f32_e32 v18, v9
	v_cvt_i32_f32_e32 v22, v10
	;; [unrolled: 1-line block ×5, first 2 shown]
	v_mul_hi_i32 v18, 0x66666667, v18
	v_mul_hi_i32 v22, 0x66666667, v22
	;; [unrolled: 1-line block ×4, first 2 shown]
	v_cvt_i32_f32_e32 v28, v13
	v_mul_hi_i32 v25, 0x66666667, v25
	s_waitcnt lgkmcnt(0)
	v_cvt_i32_f32_e32 v17, v17
	v_lshrrev_b32_e32 v26, 31, v18
	v_ashrrev_i32_e32 v18, 2, v18
	v_lshrrev_b32_e32 v27, 31, v22
	v_ashrrev_i32_e32 v22, 2, v22
	v_lshrrev_b32_e32 v29, 31, v23
	v_ashrrev_i32_e32 v23, 2, v23
	v_add_nc_u32_e32 v18, v18, v26
	v_lshrrev_b32_e32 v26, 31, v24
	v_add_nc_u32_e32 v22, v22, v27
	v_ashrrev_i32_e32 v24, 2, v24
	v_add_nc_u32_e32 v23, v23, v29
	v_mul_hi_i32 v27, 0x66666667, v28
	v_cvt_i32_f32_e32 v28, v16
	v_cmp_ne_u32_e32 vcc_lo, v18, v22
	v_add_nc_u32_e32 v24, v24, v26
	v_lshrrev_b32_e32 v26, 31, v25
	v_ashrrev_i32_e32 v25, 2, v25
	v_cvt_i32_f32_e32 v29, v15
	v_cndmask_b32_e64 v22, 0, 1, vcc_lo
	v_cmp_ne_u32_e32 vcc_lo, v23, v18
	v_mul_hi_i32 v28, 0x66666667, v28
	v_lshrrev_b32_e32 v30, 31, v27
	v_ashrrev_i32_e32 v27, 2, v27
	v_add_nc_u32_e32 v25, v25, v26
	v_cndmask_b32_e64 v18, 0, 1, vcc_lo
	v_cmp_ne_u32_e32 vcc_lo, v24, v23
	v_mul_hi_i32 v29, 0x66666667, v29
	v_add_nc_u32_e32 v26, v27, v30
	v_lshrrev_b32_e32 v27, 31, v28
	v_ashrrev_i32_e32 v28, 2, v28
	v_cndmask_b32_e64 v23, 0, 1, vcc_lo
	v_cmp_ne_u32_e32 vcc_lo, v25, v24
	v_mul_hi_i32 v17, 0x66666667, v17
	v_lshlrev_b16 v22, 8, v22
	v_lshrrev_b32_e32 v30, 31, v29
	v_ashrrev_i32_e32 v29, 2, v29
	v_cndmask_b32_e64 v24, 0, 1, vcc_lo
	v_add_nc_u32_e32 v27, v28, v27
	v_cmp_ne_u32_e32 vcc_lo, v26, v25
	v_lshlrev_b16 v23, 8, v23
	v_add_nc_u32_e32 v28, v29, v30
	v_lshrrev_b32_e32 v29, 31, v17
	v_ashrrev_i32_e32 v17, 2, v17
	v_cndmask_b32_e64 v25, 0, 1, vcc_lo
	v_cmp_ne_u32_e32 vcc_lo, v27, v26
	v_or_b32_e32 v23, v24, v23
	v_or_b32_e32 v18, v18, v22
	v_add_nc_u32_e32 v17, v17, v29
	v_lshlrev_b16 v25, 8, v25
	v_cndmask_b32_e64 v26, 0, 1, vcc_lo
	v_cmp_ne_u32_e32 vcc_lo, v28, v27
	v_and_b32_e32 v23, 0xffff, v23
	v_lshlrev_b32_e32 v18, 16, v18
	v_cmp_ne_u32_e64 s4, v17, v28
	v_or_b32_e32 v25, v26, v25
	v_cndmask_b32_e64 v27, 0, 1, vcc_lo
	s_delay_alu instid0(VALU_DEP_4) | instskip(NEXT) | instid1(VALU_DEP_3)
	v_or_b32_e32 v18, v23, v18
	v_lshlrev_b32_e32 v22, 16, v25
	s_delay_alu instid0(VALU_DEP_3) | instskip(NEXT) | instid1(VALU_DEP_1)
	v_lshlrev_b16 v26, 8, v27
	v_and_b32_e32 v24, 0xffff, v26
	s_delay_alu instid0(VALU_DEP_1)
	v_or_b32_e32 v17, v24, v22
	s_and_b32 vcc_lo, exec_lo, s2
	s_cbranch_vccnz .LBB118_47
	s_branch .LBB118_66
.LBB118_45:
                                        ; implicit-def: $sgpr4
                                        ; implicit-def: $vgpr18
	s_branch .LBB118_67
.LBB118_46:
                                        ; implicit-def: $sgpr4
                                        ; implicit-def: $vgpr18
	s_and_b32 vcc_lo, exec_lo, s2
	s_cbranch_vccz .LBB118_66
.LBB118_47:
	v_or_b32_e32 v17, 7, v19
	s_mov_b32 s2, 0
	s_mov_b32 s4, 0
	s_mov_b32 s5, exec_lo
	s_delay_alu instid0(VALU_DEP_1)
	v_cmpx_gt_u32_e64 s19, v17
	s_cbranch_execz .LBB118_49
; %bb.48:
	v_cvt_i32_f32_e32 v17, v9
	v_cvt_i32_f32_e32 v18, v10
	s_delay_alu instid0(VALU_DEP_2) | instskip(NEXT) | instid1(VALU_DEP_2)
	v_mul_hi_i32 v17, 0x66666667, v17
	v_mul_hi_i32 v18, 0x66666667, v18
	s_delay_alu instid0(VALU_DEP_2) | instskip(SKIP_1) | instid1(VALU_DEP_3)
	v_lshrrev_b32_e32 v22, 31, v17
	v_ashrrev_i32_e32 v17, 2, v17
	v_lshrrev_b32_e32 v23, 31, v18
	v_ashrrev_i32_e32 v18, 2, v18
	s_delay_alu instid0(VALU_DEP_3) | instskip(NEXT) | instid1(VALU_DEP_2)
	v_add_nc_u32_e32 v17, v17, v22
	v_add_nc_u32_e32 v18, v18, v23
	s_delay_alu instid0(VALU_DEP_1)
	v_cmp_ne_u32_e32 vcc_lo, v17, v18
	s_and_b32 s4, vcc_lo, exec_lo
.LBB118_49:
	s_or_b32 exec_lo, exec_lo, s5
	v_or_b32_e32 v17, 6, v19
	s_mov_b32 s5, exec_lo
	s_delay_alu instid0(VALU_DEP_1)
	v_cmpx_gt_u32_e64 s19, v17
	s_cbranch_execz .LBB118_51
; %bb.50:
	v_cvt_i32_f32_e32 v17, v12
	v_cvt_i32_f32_e32 v18, v9
	s_delay_alu instid0(VALU_DEP_2) | instskip(NEXT) | instid1(VALU_DEP_2)
	v_mul_hi_i32 v17, 0x66666667, v17
	v_mul_hi_i32 v18, 0x66666667, v18
	s_delay_alu instid0(VALU_DEP_2) | instskip(SKIP_1) | instid1(VALU_DEP_3)
	v_lshrrev_b32_e32 v22, 31, v17
	v_ashrrev_i32_e32 v17, 2, v17
	v_lshrrev_b32_e32 v23, 31, v18
	v_ashrrev_i32_e32 v18, 2, v18
	s_delay_alu instid0(VALU_DEP_3) | instskip(NEXT) | instid1(VALU_DEP_2)
	v_add_nc_u32_e32 v17, v17, v22
	v_add_nc_u32_e32 v18, v18, v23
	s_delay_alu instid0(VALU_DEP_1)
	v_cmp_ne_u32_e32 vcc_lo, v17, v18
	s_and_b32 s2, vcc_lo, exec_lo
.LBB118_51:
	s_or_b32 exec_lo, exec_lo, s5
	v_or_b32_e32 v17, 5, v19
	s_mov_b32 s6, 0
	s_mov_b32 s5, 0
	s_mov_b32 s7, exec_lo
	s_delay_alu instid0(VALU_DEP_1)
	v_cmpx_gt_u32_e64 s19, v17
	s_cbranch_execz .LBB118_53
; %bb.52:
	v_cvt_i32_f32_e32 v17, v11
	v_cvt_i32_f32_e32 v18, v12
	s_delay_alu instid0(VALU_DEP_2) | instskip(NEXT) | instid1(VALU_DEP_2)
	v_mul_hi_i32 v17, 0x66666667, v17
	v_mul_hi_i32 v18, 0x66666667, v18
	s_delay_alu instid0(VALU_DEP_2) | instskip(SKIP_1) | instid1(VALU_DEP_3)
	v_lshrrev_b32_e32 v22, 31, v17
	v_ashrrev_i32_e32 v17, 2, v17
	v_lshrrev_b32_e32 v23, 31, v18
	v_ashrrev_i32_e32 v18, 2, v18
	s_delay_alu instid0(VALU_DEP_3) | instskip(NEXT) | instid1(VALU_DEP_2)
	v_add_nc_u32_e32 v17, v17, v22
	v_add_nc_u32_e32 v18, v18, v23
	s_delay_alu instid0(VALU_DEP_1)
	v_cmp_ne_u32_e32 vcc_lo, v17, v18
	s_and_b32 s5, vcc_lo, exec_lo
.LBB118_53:
	s_or_b32 exec_lo, exec_lo, s7
	v_or_b32_e32 v17, 4, v19
	s_mov_b32 s7, exec_lo
	s_delay_alu instid0(VALU_DEP_1)
	v_cmpx_gt_u32_e64 s19, v17
	s_cbranch_execz .LBB118_55
; %bb.54:
	v_cvt_i32_f32_e32 v17, v14
	v_cvt_i32_f32_e32 v18, v11
	s_delay_alu instid0(VALU_DEP_2) | instskip(NEXT) | instid1(VALU_DEP_2)
	v_mul_hi_i32 v17, 0x66666667, v17
	v_mul_hi_i32 v18, 0x66666667, v18
	s_delay_alu instid0(VALU_DEP_2) | instskip(SKIP_1) | instid1(VALU_DEP_3)
	v_lshrrev_b32_e32 v22, 31, v17
	v_ashrrev_i32_e32 v17, 2, v17
	v_lshrrev_b32_e32 v23, 31, v18
	v_ashrrev_i32_e32 v18, 2, v18
	s_delay_alu instid0(VALU_DEP_3) | instskip(NEXT) | instid1(VALU_DEP_2)
	v_add_nc_u32_e32 v17, v17, v22
	v_add_nc_u32_e32 v18, v18, v23
	s_delay_alu instid0(VALU_DEP_1)
	v_cmp_ne_u32_e32 vcc_lo, v17, v18
	s_and_b32 s6, vcc_lo, exec_lo
.LBB118_55:
	s_or_b32 exec_lo, exec_lo, s7
	;; [unrolled: 50-line block ×3, first 2 shown]
	v_or_b32_e32 v17, 1, v19
	s_mov_b32 s12, 0
	s_mov_b32 s13, exec_lo
	s_delay_alu instid0(VALU_DEP_1)
	v_cmpx_gt_u32_e64 s19, v17
	s_cbranch_execz .LBB118_61
; %bb.60:
	v_cvt_i32_f32_e32 v17, v15
	v_cvt_i32_f32_e32 v18, v16
	s_delay_alu instid0(VALU_DEP_2) | instskip(NEXT) | instid1(VALU_DEP_2)
	v_mul_hi_i32 v17, 0x66666667, v17
	v_mul_hi_i32 v18, 0x66666667, v18
	s_delay_alu instid0(VALU_DEP_2) | instskip(SKIP_1) | instid1(VALU_DEP_3)
	v_lshrrev_b32_e32 v22, 31, v17
	v_ashrrev_i32_e32 v17, 2, v17
	v_lshrrev_b32_e32 v23, 31, v18
	v_ashrrev_i32_e32 v18, 2, v18
	s_delay_alu instid0(VALU_DEP_3) | instskip(NEXT) | instid1(VALU_DEP_2)
	v_add_nc_u32_e32 v17, v17, v22
	v_add_nc_u32_e32 v18, v18, v23
	s_delay_alu instid0(VALU_DEP_1)
	v_cmp_ne_u32_e32 vcc_lo, v17, v18
	s_and_b32 s12, vcc_lo, exec_lo
.LBB118_61:
	s_or_b32 exec_lo, exec_lo, s13
	s_delay_alu instid0(SALU_CYCLE_1)
	s_mov_b32 s13, exec_lo
	s_waitcnt vmcnt(0) lgkmcnt(0)
	s_barrier
	buffer_gl0_inv
	v_cmpx_ne_u32_e32 0, v0
	s_cbranch_execz .LBB118_63
; %bb.62:
	v_add_nc_u32_e32 v17, -4, v21
	ds_load_b32 v20, v17
.LBB118_63:
	s_or_b32 exec_lo, exec_lo, s13
	v_cndmask_b32_e64 v18, 0, 1, s7
	v_cndmask_b32_e64 v22, 0, 1, s5
	;; [unrolled: 1-line block ×7, first 2 shown]
	v_lshlrev_b16 v18, 8, v18
	v_lshlrev_b16 v22, 8, v22
	;; [unrolled: 1-line block ×3, first 2 shown]
	s_mov_b32 s4, 0
	v_lshlrev_b16 v25, 8, v25
	v_or_b32_e32 v18, v17, v18
	v_or_b32_e32 v21, v21, v22
	;; [unrolled: 1-line block ×3, first 2 shown]
	s_mov_b32 s2, exec_lo
	v_and_b32_e32 v17, 0xffff, v25
	v_lshlrev_b32_e32 v18, 16, v18
	v_and_b32_e32 v21, 0xffff, v21
	v_lshlrev_b32_e32 v22, 16, v22
	v_cmpx_gt_u32_e64 s19, v19
	s_cbranch_execz .LBB118_65
; %bb.64:
	s_waitcnt lgkmcnt(0)
	v_cvt_i32_f32_e32 v20, v20
	v_cvt_i32_f32_e32 v23, v15
	s_delay_alu instid0(VALU_DEP_2) | instskip(NEXT) | instid1(VALU_DEP_2)
	v_mul_hi_i32 v20, 0x66666667, v20
	v_mul_hi_i32 v23, 0x66666667, v23
	s_delay_alu instid0(VALU_DEP_2) | instskip(SKIP_1) | instid1(VALU_DEP_3)
	v_lshrrev_b32_e32 v24, 31, v20
	v_ashrrev_i32_e32 v20, 2, v20
	v_lshrrev_b32_e32 v25, 31, v23
	v_ashrrev_i32_e32 v23, 2, v23
	s_delay_alu instid0(VALU_DEP_3) | instskip(NEXT) | instid1(VALU_DEP_2)
	v_add_nc_u32_e32 v20, v20, v24
	v_add_nc_u32_e32 v23, v23, v25
	s_delay_alu instid0(VALU_DEP_1)
	v_cmp_ne_u32_e32 vcc_lo, v20, v23
	s_and_b32 s4, vcc_lo, exec_lo
.LBB118_65:
	s_or_b32 exec_lo, exec_lo, s2
	v_or_b32_e32 v17, v17, v18
	v_or_b32_e32 v18, v21, v22
.LBB118_66:
	s_mov_b32 s2, -1
	s_cbranch_execnz .LBB118_91
.LBB118_67:
	v_cvt_i32_f32_e32 v17, v9
	v_cvt_i32_f32_e32 v18, v12
	;; [unrolled: 1-line block ×6, first 2 shown]
	v_mul_hi_i32 v26, 0x66666667, v17
	v_mul_hi_i32 v25, 0x66666667, v18
	;; [unrolled: 1-line block ×6, first 2 shown]
	s_waitcnt vmcnt(0) lgkmcnt(0)
	v_lshlrev_b32_e32 v20, 2, v0
	s_and_b32 vcc_lo, exec_lo, s18
	ds_store_b32 v20, v10
	s_cbranch_vccz .LBB118_71
; %bb.68:
	v_cvt_i32_f32_e32 v17, v10
	v_lshrrev_b32_e32 v18, 31, v26
	v_ashrrev_i32_e32 v27, 2, v26
	v_lshrrev_b32_e32 v28, 31, v25
	v_ashrrev_i32_e32 v29, 2, v25
	v_mul_hi_i32 v17, 0x66666667, v17
	v_lshrrev_b32_e32 v30, 31, v24
	v_add_nc_u32_e32 v18, v27, v18
	v_ashrrev_i32_e32 v31, 2, v24
	v_add_nc_u32_e32 v27, v29, v28
	v_cvt_i32_f32_e32 v36, v15
	v_lshrrev_b32_e32 v32, 31, v23
	v_ashrrev_i32_e32 v33, 2, v23
	v_lshrrev_b32_e32 v35, 31, v17
	v_ashrrev_i32_e32 v17, 2, v17
	v_cmp_ne_u32_e32 vcc_lo, v27, v18
	v_add_nc_u32_e32 v28, v31, v30
	v_mul_hi_i32 v30, 0x66666667, v36
	v_lshrrev_b32_e32 v34, 31, v22
	v_add_nc_u32_e32 v17, v17, v35
	v_cndmask_b32_e64 v31, 0, 1, vcc_lo
	v_add_nc_u32_e32 v29, v33, v32
	v_lshrrev_b32_e32 v32, 31, v21
	v_ashrrev_i32_e32 v33, 2, v21
	v_cmp_ne_u32_e32 vcc_lo, v18, v17
	v_ashrrev_i32_e32 v18, 2, v22
	v_lshrrev_b32_e32 v35, 31, v30
	v_ashrrev_i32_e32 v30, 2, v30
	v_add_nc_u32_e32 v32, v33, v32
	v_cndmask_b32_e64 v17, 0, 1, vcc_lo
	v_cmp_ne_u32_e32 vcc_lo, v28, v27
	v_add_nc_u32_e32 v18, v18, v34
	v_add_nc_u32_e32 v27, v30, v35
	s_mov_b32 s5, 0
	v_lshlrev_b16 v17, 8, v17
	v_cndmask_b32_e64 v36, 0, 1, vcc_lo
	v_cmp_ne_u32_e32 vcc_lo, v29, v28
	s_mov_b32 s6, exec_lo
	s_waitcnt lgkmcnt(0)
	v_or_b32_e32 v17, v31, v17
	s_barrier
	v_cndmask_b32_e64 v28, 0, 1, vcc_lo
	v_cmp_ne_u32_e32 vcc_lo, v18, v29
	buffer_gl0_inv
	v_lshlrev_b32_e32 v17, 16, v17
                                        ; implicit-def: $sgpr4
	v_cndmask_b32_e64 v29, 0, 1, vcc_lo
	v_cmp_ne_u32_e32 vcc_lo, v27, v32
	s_delay_alu instid0(VALU_DEP_2) | instskip(SKIP_3) | instid1(VALU_DEP_3)
	v_lshlrev_b16 v29, 8, v29
	v_cndmask_b32_e64 v30, 0, 1, vcc_lo
	v_cmp_ne_u32_e32 vcc_lo, v32, v18
	v_lshlrev_b16 v32, 8, v36
	v_lshlrev_b16 v30, 8, v30
	v_cndmask_b32_e64 v18, 0, 1, vcc_lo
	s_delay_alu instid0(VALU_DEP_3) | instskip(NEXT) | instid1(VALU_DEP_2)
	v_or_b32_e32 v28, v28, v32
	v_or_b32_e32 v18, v18, v29
	s_delay_alu instid0(VALU_DEP_4) | instskip(NEXT) | instid1(VALU_DEP_3)
	v_or_b32_e32 v29, 1, v30
	v_and_b32_e32 v28, 0xffff, v28
	s_delay_alu instid0(VALU_DEP_3) | instskip(NEXT) | instid1(VALU_DEP_3)
	v_lshlrev_b32_e32 v30, 16, v18
	v_and_b32_e32 v29, 0xffff, v29
	s_delay_alu instid0(VALU_DEP_3) | instskip(NEXT) | instid1(VALU_DEP_2)
	v_or_b32_e32 v18, v28, v17
	v_or_b32_e32 v17, v29, v30
	v_cmpx_ne_u32_e32 0, v0
	s_xor_b32 s6, exec_lo, s6
	s_cbranch_execz .LBB118_70
; %bb.69:
	v_add_nc_u32_e32 v28, -4, v20
	s_or_b32 s2, s2, exec_lo
	ds_load_b32 v28, v28
	s_waitcnt lgkmcnt(0)
	v_cvt_i32_f32_e32 v28, v28
	s_delay_alu instid0(VALU_DEP_1) | instskip(NEXT) | instid1(VALU_DEP_1)
	v_mul_hi_i32 v28, 0x66666667, v28
	v_lshrrev_b32_e32 v29, 31, v28
	v_ashrrev_i32_e32 v28, 2, v28
	s_delay_alu instid0(VALU_DEP_1) | instskip(NEXT) | instid1(VALU_DEP_1)
	v_add_nc_u32_e32 v28, v28, v29
	v_cmp_ne_u32_e32 vcc_lo, v28, v27
	s_and_b32 s4, vcc_lo, exec_lo
.LBB118_70:
	s_or_b32 exec_lo, exec_lo, s6
	s_delay_alu instid0(SALU_CYCLE_1)
	s_and_b32 vcc_lo, exec_lo, s5
	s_cbranch_vccnz .LBB118_72
	s_branch .LBB118_91
.LBB118_71:
                                        ; implicit-def: $sgpr4
                                        ; implicit-def: $vgpr18
	s_cbranch_execz .LBB118_91
.LBB118_72:
	v_or_b32_e32 v17, 7, v19
	s_mov_b32 s4, 0
	s_mov_b32 s5, 0
	s_mov_b32 s6, exec_lo
	s_delay_alu instid0(VALU_DEP_1)
	v_cmpx_gt_u32_e64 s19, v17
; %bb.73:
	v_cvt_i32_f32_e32 v17, v10
	v_lshrrev_b32_e32 v18, 31, v26
	v_ashrrev_i32_e32 v27, 2, v26
	s_delay_alu instid0(VALU_DEP_3) | instskip(NEXT) | instid1(VALU_DEP_2)
	v_mul_hi_i32 v17, 0x66666667, v17
	v_add_nc_u32_e32 v18, v27, v18
	s_delay_alu instid0(VALU_DEP_2) | instskip(SKIP_1) | instid1(VALU_DEP_1)
	v_lshrrev_b32_e32 v28, 31, v17
	v_ashrrev_i32_e32 v17, 2, v17
	v_add_nc_u32_e32 v17, v17, v28
	s_delay_alu instid0(VALU_DEP_1)
	v_cmp_ne_u32_e32 vcc_lo, v18, v17
	s_and_b32 s5, vcc_lo, exec_lo
; %bb.74:
	s_or_b32 exec_lo, exec_lo, s6
	v_or_b32_e32 v17, 6, v19
	s_mov_b32 s6, exec_lo
	s_delay_alu instid0(VALU_DEP_1)
	v_cmpx_gt_u32_e64 s19, v17
; %bb.75:
	v_lshrrev_b32_e32 v17, 31, v25
	v_ashrrev_i32_e32 v18, 2, v25
	v_lshrrev_b32_e32 v27, 31, v26
	v_ashrrev_i32_e32 v26, 2, v26
	s_delay_alu instid0(VALU_DEP_3) | instskip(NEXT) | instid1(VALU_DEP_2)
	v_add_nc_u32_e32 v17, v18, v17
	v_add_nc_u32_e32 v18, v26, v27
	s_delay_alu instid0(VALU_DEP_1)
	v_cmp_ne_u32_e32 vcc_lo, v17, v18
	s_and_b32 s4, vcc_lo, exec_lo
; %bb.76:
	s_or_b32 exec_lo, exec_lo, s6
	v_or_b32_e32 v17, 5, v19
	s_mov_b32 s6, 0
	s_mov_b32 s7, 0
	s_mov_b32 s9, exec_lo
	s_delay_alu instid0(VALU_DEP_1)
	v_cmpx_gt_u32_e64 s19, v17
; %bb.77:
	v_lshrrev_b32_e32 v17, 31, v24
	v_ashrrev_i32_e32 v18, 2, v24
	v_lshrrev_b32_e32 v26, 31, v25
	v_ashrrev_i32_e32 v25, 2, v25
	s_delay_alu instid0(VALU_DEP_3) | instskip(NEXT) | instid1(VALU_DEP_2)
	v_add_nc_u32_e32 v17, v18, v17
	v_add_nc_u32_e32 v18, v25, v26
	s_delay_alu instid0(VALU_DEP_1)
	v_cmp_ne_u32_e32 vcc_lo, v17, v18
	s_and_b32 s7, vcc_lo, exec_lo
; %bb.78:
	s_or_b32 exec_lo, exec_lo, s9
	v_or_b32_e32 v17, 4, v19
	s_mov_b32 s9, exec_lo
	s_delay_alu instid0(VALU_DEP_1)
	v_cmpx_gt_u32_e64 s19, v17
; %bb.79:
	v_lshrrev_b32_e32 v17, 31, v23
	v_ashrrev_i32_e32 v18, 2, v23
	v_lshrrev_b32_e32 v25, 31, v24
	v_ashrrev_i32_e32 v24, 2, v24
	s_delay_alu instid0(VALU_DEP_3) | instskip(NEXT) | instid1(VALU_DEP_2)
	v_add_nc_u32_e32 v17, v18, v17
	v_add_nc_u32_e32 v18, v24, v25
	s_delay_alu instid0(VALU_DEP_1)
	v_cmp_ne_u32_e32 vcc_lo, v17, v18
	s_and_b32 s6, vcc_lo, exec_lo
; %bb.80:
	s_or_b32 exec_lo, exec_lo, s9
	v_or_b32_e32 v17, 3, v19
	s_mov_b32 s12, 0
	s_mov_b32 s9, 0
	s_mov_b32 s13, exec_lo
	s_delay_alu instid0(VALU_DEP_1)
	v_cmpx_gt_u32_e64 s19, v17
; %bb.81:
	v_lshrrev_b32_e32 v17, 31, v22
	v_ashrrev_i32_e32 v18, 2, v22
	v_lshrrev_b32_e32 v24, 31, v23
	v_ashrrev_i32_e32 v23, 2, v23
	s_delay_alu instid0(VALU_DEP_3) | instskip(NEXT) | instid1(VALU_DEP_2)
	v_add_nc_u32_e32 v17, v18, v17
	v_add_nc_u32_e32 v18, v23, v24
	s_delay_alu instid0(VALU_DEP_1)
	v_cmp_ne_u32_e32 vcc_lo, v17, v18
	s_and_b32 s9, vcc_lo, exec_lo
; %bb.82:
	s_or_b32 exec_lo, exec_lo, s13
	v_or_b32_e32 v17, 2, v19
	s_mov_b32 s13, exec_lo
	s_delay_alu instid0(VALU_DEP_1)
	v_cmpx_gt_u32_e64 s19, v17
; %bb.83:
	v_lshrrev_b32_e32 v17, 31, v21
	v_ashrrev_i32_e32 v18, 2, v21
	v_lshrrev_b32_e32 v23, 31, v22
	v_ashrrev_i32_e32 v22, 2, v22
	s_delay_alu instid0(VALU_DEP_3) | instskip(NEXT) | instid1(VALU_DEP_2)
	v_add_nc_u32_e32 v17, v18, v17
	v_add_nc_u32_e32 v18, v22, v23
	s_delay_alu instid0(VALU_DEP_1)
	v_cmp_ne_u32_e32 vcc_lo, v17, v18
	s_and_b32 s12, vcc_lo, exec_lo
; %bb.84:
	s_or_b32 exec_lo, exec_lo, s13
	v_or_b32_e32 v17, 1, v19
	s_mov_b32 s20, 0
	s_mov_b32 s13, exec_lo
	s_delay_alu instid0(VALU_DEP_1)
	v_cmpx_gt_u32_e64 s19, v17
; %bb.85:
	v_cvt_i32_f32_e32 v17, v15
	v_lshrrev_b32_e32 v18, 31, v21
	v_ashrrev_i32_e32 v21, 2, v21
	s_delay_alu instid0(VALU_DEP_3) | instskip(NEXT) | instid1(VALU_DEP_2)
	v_mul_hi_i32 v17, 0x66666667, v17
	v_add_nc_u32_e32 v18, v21, v18
	s_delay_alu instid0(VALU_DEP_2) | instskip(SKIP_1) | instid1(VALU_DEP_1)
	v_lshrrev_b32_e32 v22, 31, v17
	v_ashrrev_i32_e32 v17, 2, v17
	v_add_nc_u32_e32 v17, v17, v22
	s_delay_alu instid0(VALU_DEP_1)
	v_cmp_ne_u32_e32 vcc_lo, v17, v18
	s_and_b32 s20, vcc_lo, exec_lo
; %bb.86:
	s_or_b32 exec_lo, exec_lo, s13
	v_cndmask_b32_e64 v18, 0, 1, s9
	v_cndmask_b32_e64 v21, 0, 1, s7
	;; [unrolled: 1-line block ×7, first 2 shown]
	v_lshlrev_b16 v21, 8, v21
	v_lshlrev_b16 v22, 8, v22
	;; [unrolled: 1-line block ×4, first 2 shown]
	s_mov_b32 s5, exec_lo
	v_or_b32_e32 v21, v24, v21
	v_or_b32_e32 v22, v25, v22
	;; [unrolled: 1-line block ×4, first 2 shown]
	s_waitcnt lgkmcnt(0)
	v_and_b32_e32 v18, 0xffff, v21
	v_lshlrev_b32_e32 v21, 16, v22
	v_and_b32_e32 v22, 0xffff, v23
	v_lshlrev_b32_e32 v17, 16, v17
	s_barrier
	buffer_gl0_inv
	v_or_b32_e32 v18, v18, v21
                                        ; implicit-def: $sgpr4
	v_or_b32_e32 v17, v22, v17
	v_cmpx_ne_u32_e32 0, v0
	s_cbranch_execz .LBB118_90
; %bb.87:
	s_mov_b32 s6, 0
	s_mov_b32 s4, exec_lo
	v_cmpx_gt_u32_e64 s19, v19
	s_cbranch_execz .LBB118_89
; %bb.88:
	v_add_nc_u32_e32 v20, -4, v20
	v_cvt_i32_f32_e32 v21, v15
	ds_load_b32 v20, v20
	v_mul_hi_i32 v21, 0x66666667, v21
	s_delay_alu instid0(VALU_DEP_1) | instskip(SKIP_1) | instid1(VALU_DEP_1)
	v_lshrrev_b32_e32 v22, 31, v21
	v_ashrrev_i32_e32 v21, 2, v21
	v_add_nc_u32_e32 v21, v21, v22
	s_waitcnt lgkmcnt(0)
	v_cvt_i32_f32_e32 v20, v20
	s_delay_alu instid0(VALU_DEP_1) | instskip(NEXT) | instid1(VALU_DEP_1)
	v_mul_hi_i32 v20, 0x66666667, v20
	v_lshrrev_b32_e32 v23, 31, v20
	v_ashrrev_i32_e32 v20, 2, v20
	s_delay_alu instid0(VALU_DEP_1) | instskip(NEXT) | instid1(VALU_DEP_1)
	v_add_nc_u32_e32 v20, v20, v23
	v_cmp_ne_u32_e32 vcc_lo, v20, v21
	s_and_b32 s6, vcc_lo, exec_lo
.LBB118_89:
	s_or_b32 exec_lo, exec_lo, s4
	s_delay_alu instid0(SALU_CYCLE_1)
	s_and_b32 s4, s6, exec_lo
	s_or_b32 s2, s2, exec_lo
.LBB118_90:
	s_or_b32 exec_lo, exec_lo, s5
.LBB118_91:
	s_and_saveexec_b32 s5, s2
	s_cbranch_execz .LBB118_93
; %bb.92:
	s_waitcnt vmcnt(0) lgkmcnt(0)
	v_and_b32_e32 v20, 0xffffff00, v17
	v_cndmask_b32_e64 v21, 0, 1, s4
	s_delay_alu instid0(VALU_DEP_1) | instskip(NEXT) | instid1(VALU_DEP_1)
	v_or_b32_e32 v20, v21, v20
	v_and_b32_e32 v20, 0xffff, v20
	s_delay_alu instid0(VALU_DEP_1)
	v_and_or_b32 v17, 0xffff0000, v17, v20
.LBB118_93:
	s_or_b32 exec_lo, exec_lo, s5
	s_load_b64 s[12:13], s[0:1], 0x60
	s_and_not1_b32 vcc_lo, exec_lo, s3
	s_cbranch_vccnz .LBB118_95
; %bb.94:
	v_cmp_gt_u32_e32 vcc_lo, s19, v19
	v_or_b32_e32 v21, 1, v19
	v_and_b32_e32 v22, 0xffffff00, v18
	v_or_b32_e32 v23, 2, v19
	s_waitcnt vmcnt(0) lgkmcnt(0)
	v_cndmask_b32_e32 v20, 0, v17, vcc_lo
	v_cmp_gt_u32_e32 vcc_lo, s19, v21
	v_or_b32_e32 v21, 4, v19
	v_cmp_gt_u32_e64 s2, s19, v23
	v_or_b32_e32 v23, 3, v19
	v_and_b32_e32 v20, 0xff, v20
	s_delay_alu instid0(VALU_DEP_2) | instskip(NEXT) | instid1(VALU_DEP_2)
	v_cmp_gt_u32_e64 s3, s19, v23
	v_cndmask_b32_e32 v20, v20, v17, vcc_lo
	v_cmp_gt_u32_e32 vcc_lo, s19, v21
	s_delay_alu instid0(VALU_DEP_2) | instskip(SKIP_1) | instid1(VALU_DEP_2)
	v_dual_cndmask_b32 v21, v22, v18 :: v_dual_and_b32 v20, 0xffff, v20
	v_or_b32_e32 v22, 5, v19
	v_cndmask_b32_e64 v20, v20, v17, s2
	s_delay_alu instid0(VALU_DEP_3) | instskip(NEXT) | instid1(VALU_DEP_3)
	v_and_b32_e32 v21, 0xffff00ff, v21
	v_cmp_gt_u32_e64 s2, s19, v22
	v_or_b32_e32 v22, 6, v19
	v_or_b32_e32 v19, 7, v19
	v_and_b32_e32 v20, 0xffffff, v20
	s_delay_alu instid0(VALU_DEP_4) | instskip(NEXT) | instid1(VALU_DEP_2)
	v_cndmask_b32_e64 v21, v21, v18, s2
	v_cndmask_b32_e64 v20, v20, v17, s3
	s_delay_alu instid0(VALU_DEP_2) | instskip(NEXT) | instid1(VALU_DEP_2)
	v_and_b32_e32 v21, 0xff00ffff, v21
	v_cndmask_b32_e32 v20, v20, v17, vcc_lo
	v_cmp_gt_u32_e32 vcc_lo, s19, v22
	s_delay_alu instid0(VALU_DEP_2) | instskip(NEXT) | instid1(VALU_DEP_1)
	v_cndmask_b32_e64 v20, v20, v17, s2
	v_dual_cndmask_b32 v21, v21, v18 :: v_dual_cndmask_b32 v20, v20, v17
	s_delay_alu instid0(VALU_DEP_1) | instskip(SKIP_1) | instid1(VALU_DEP_2)
	v_and_b32_e32 v21, 0xffffff, v21
	v_cmp_gt_u32_e32 vcc_lo, s19, v19
	v_dual_cndmask_b32 v18, v21, v18 :: v_dual_cndmask_b32 v17, v20, v17
.LBB118_95:
	s_delay_alu instid0(VALU_DEP_1) | instskip(NEXT) | instid1(VALU_DEP_2)
	v_and_b32_e32 v28, 0xff, v17
	v_alignbit_b32 v19, v18, v17, 24
	v_bfe_u32 v30, v17, 8, 8
	v_bfe_u32 v32, v17, 16, 8
	v_and_b32_e32 v36, 0xff, v18
	v_bfe_u32 v38, v18, 8, 8
	v_and_b32_e32 v34, 0xff, v19
	v_add_nc_u32_e32 v19, v30, v28
	s_waitcnt vmcnt(0) lgkmcnt(0)
	v_and_b32_e32 v20, 0x1e0, v0
	v_mbcnt_lo_u32_b32 v41, -1, 0
	v_bfe_u32 v40, v18, 16, 8
	v_lshrrev_b32_e32 v39, 24, v18
	v_add3_u32 v19, v19, v32, v34
	v_min_u32_e32 v20, 0x160, v20
	v_and_b32_e32 v21, 15, v41
	v_lshrrev_b32_e32 v42, 5, v0
	s_and_b32 vcc_lo, exec_lo, s8
	v_add3_u32 v19, v19, v36, v38
	v_or_b32_e32 v20, 31, v20
	v_cmp_eq_u32_e64 s4, 0, v21
	v_cmp_lt_u32_e64 s5, 1, v21
	v_cmp_lt_u32_e64 s3, 3, v21
	v_add3_u32 v43, v19, v40, v39
	v_and_b32_e32 v19, 16, v41
	v_cmp_lt_u32_e64 s2, 7, v21
	v_cmp_eq_u32_e64 s6, v20, v0
	s_mov_b32 s8, -1
	s_delay_alu instid0(VALU_DEP_3)
	v_cmp_eq_u32_e64 s7, 0, v19
	s_barrier
	buffer_gl0_inv
	s_cbranch_vccz .LBB118_121
; %bb.96:
	v_mov_b32_dpp v19, v43 row_shr:1 row_mask:0xf bank_mask:0xf
	s_delay_alu instid0(VALU_DEP_1) | instskip(NEXT) | instid1(VALU_DEP_1)
	v_cndmask_b32_e64 v19, v19, 0, s4
	v_add_nc_u32_e32 v19, v19, v43
	s_delay_alu instid0(VALU_DEP_1) | instskip(NEXT) | instid1(VALU_DEP_1)
	v_mov_b32_dpp v20, v19 row_shr:2 row_mask:0xf bank_mask:0xf
	v_cndmask_b32_e64 v20, 0, v20, s5
	s_delay_alu instid0(VALU_DEP_1) | instskip(NEXT) | instid1(VALU_DEP_1)
	v_add_nc_u32_e32 v19, v19, v20
	v_mov_b32_dpp v20, v19 row_shr:4 row_mask:0xf bank_mask:0xf
	s_delay_alu instid0(VALU_DEP_1) | instskip(NEXT) | instid1(VALU_DEP_1)
	v_cndmask_b32_e64 v20, 0, v20, s3
	v_add_nc_u32_e32 v19, v19, v20
	s_delay_alu instid0(VALU_DEP_1) | instskip(NEXT) | instid1(VALU_DEP_1)
	v_mov_b32_dpp v20, v19 row_shr:8 row_mask:0xf bank_mask:0xf
	v_cndmask_b32_e64 v20, 0, v20, s2
	s_delay_alu instid0(VALU_DEP_1) | instskip(SKIP_3) | instid1(VALU_DEP_1)
	v_add_nc_u32_e32 v19, v19, v20
	ds_swizzle_b32 v20, v19 offset:swizzle(BROADCAST,32,15)
	s_waitcnt lgkmcnt(0)
	v_cndmask_b32_e64 v20, v20, 0, s7
	v_add_nc_u32_e32 v19, v19, v20
	s_and_saveexec_b32 s8, s6
	s_cbranch_execz .LBB118_98
; %bb.97:
	v_lshlrev_b32_e32 v20, 2, v42
	ds_store_b32 v20, v19
.LBB118_98:
	s_or_b32 exec_lo, exec_lo, s8
	s_delay_alu instid0(SALU_CYCLE_1)
	s_mov_b32 s8, exec_lo
	s_waitcnt lgkmcnt(0)
	s_barrier
	buffer_gl0_inv
	v_cmpx_gt_u32_e32 12, v0
	s_cbranch_execz .LBB118_100
; %bb.99:
	v_lshlrev_b32_e32 v20, 2, v0
	ds_load_b32 v21, v20
	s_waitcnt lgkmcnt(0)
	v_mov_b32_dpp v22, v21 row_shr:1 row_mask:0xf bank_mask:0xf
	s_delay_alu instid0(VALU_DEP_1) | instskip(NEXT) | instid1(VALU_DEP_1)
	v_cndmask_b32_e64 v22, v22, 0, s4
	v_add_nc_u32_e32 v21, v22, v21
	s_delay_alu instid0(VALU_DEP_1) | instskip(NEXT) | instid1(VALU_DEP_1)
	v_mov_b32_dpp v22, v21 row_shr:2 row_mask:0xf bank_mask:0xf
	v_cndmask_b32_e64 v22, 0, v22, s5
	s_delay_alu instid0(VALU_DEP_1) | instskip(NEXT) | instid1(VALU_DEP_1)
	v_add_nc_u32_e32 v21, v21, v22
	v_mov_b32_dpp v22, v21 row_shr:4 row_mask:0xf bank_mask:0xf
	s_delay_alu instid0(VALU_DEP_1) | instskip(NEXT) | instid1(VALU_DEP_1)
	v_cndmask_b32_e64 v22, 0, v22, s3
	v_add_nc_u32_e32 v21, v21, v22
	s_delay_alu instid0(VALU_DEP_1) | instskip(NEXT) | instid1(VALU_DEP_1)
	v_mov_b32_dpp v22, v21 row_shr:8 row_mask:0xf bank_mask:0xf
	v_cndmask_b32_e64 v22, 0, v22, s2
	s_delay_alu instid0(VALU_DEP_1)
	v_add_nc_u32_e32 v21, v21, v22
	ds_store_b32 v20, v21
.LBB118_100:
	s_or_b32 exec_lo, exec_lo, s8
	v_cmp_gt_u32_e32 vcc_lo, 32, v0
	s_mov_b32 s9, exec_lo
	s_waitcnt lgkmcnt(0)
	s_barrier
	buffer_gl0_inv
                                        ; implicit-def: $vgpr27
	v_cmpx_lt_u32_e32 31, v0
	s_cbranch_execz .LBB118_102
; %bb.101:
	v_lshl_add_u32 v20, v42, 2, -4
	ds_load_b32 v27, v20
	s_waitcnt lgkmcnt(0)
	v_add_nc_u32_e32 v19, v27, v19
.LBB118_102:
	s_or_b32 exec_lo, exec_lo, s9
	v_add_nc_u32_e32 v20, -1, v41
	s_delay_alu instid0(VALU_DEP_1) | instskip(NEXT) | instid1(VALU_DEP_1)
	v_cmp_gt_i32_e64 s8, 0, v20
	v_cndmask_b32_e64 v20, v20, v41, s8
	v_cmp_eq_u32_e64 s8, 0, v41
	s_delay_alu instid0(VALU_DEP_2)
	v_lshlrev_b32_e32 v20, 2, v20
	ds_bpermute_b32 v29, v20, v19
	s_and_saveexec_b32 s9, vcc_lo
	s_cbranch_execz .LBB118_120
; %bb.103:
	v_mov_b32_e32 v23, 0
	ds_load_b32 v19, v23 offset:44
	s_and_saveexec_b32 s19, s8
	s_cbranch_execz .LBB118_105
; %bb.104:
	s_add_i32 s20, s15, 32
	s_mov_b32 s21, 0
	v_mov_b32_e32 v20, 1
	s_lshl_b64 s[20:21], s[20:21], 3
	s_delay_alu instid0(SALU_CYCLE_1)
	s_add_u32 s20, s12, s20
	s_addc_u32 s21, s13, s21
	s_waitcnt lgkmcnt(0)
	global_store_b64 v23, v[19:20], s[20:21]
.LBB118_105:
	s_or_b32 exec_lo, exec_lo, s19
	v_xad_u32 v21, v41, -1, s15
	s_mov_b32 s20, 0
	s_mov_b32 s19, exec_lo
	s_delay_alu instid0(VALU_DEP_1) | instskip(NEXT) | instid1(VALU_DEP_1)
	v_add_nc_u32_e32 v22, 32, v21
	v_lshlrev_b64 v[22:23], 3, v[22:23]
	s_delay_alu instid0(VALU_DEP_1) | instskip(NEXT) | instid1(VALU_DEP_2)
	v_add_co_u32 v25, vcc_lo, s12, v22
	v_add_co_ci_u32_e32 v26, vcc_lo, s13, v23, vcc_lo
	global_load_b64 v[23:24], v[25:26], off glc
	s_waitcnt vmcnt(0)
	v_and_b32_e32 v20, 0xff, v24
	s_delay_alu instid0(VALU_DEP_1)
	v_cmpx_eq_u16_e32 0, v20
	s_cbranch_execz .LBB118_108
.LBB118_106:                            ; =>This Inner Loop Header: Depth=1
	global_load_b64 v[23:24], v[25:26], off glc
	s_waitcnt vmcnt(0)
	v_and_b32_e32 v20, 0xff, v24
	s_delay_alu instid0(VALU_DEP_1) | instskip(SKIP_1) | instid1(SALU_CYCLE_1)
	v_cmp_ne_u16_e32 vcc_lo, 0, v20
	s_or_b32 s20, vcc_lo, s20
	s_and_not1_b32 exec_lo, exec_lo, s20
	s_cbranch_execnz .LBB118_106
; %bb.107:
	s_or_b32 exec_lo, exec_lo, s20
.LBB118_108:
	s_delay_alu instid0(SALU_CYCLE_1)
	s_or_b32 exec_lo, exec_lo, s19
	v_cmp_ne_u32_e32 vcc_lo, 31, v41
	v_lshlrev_b32_e64 v33, v41, -1
	v_add_nc_u32_e32 v37, 2, v41
	v_add_nc_u32_e32 v45, 4, v41
	v_add_nc_u32_e32 v47, 8, v41
	v_add_co_ci_u32_e32 v20, vcc_lo, 0, v41, vcc_lo
	v_add_nc_u32_e32 v49, 16, v41
	s_delay_alu instid0(VALU_DEP_2)
	v_lshlrev_b32_e32 v31, 2, v20
	v_and_b32_e32 v20, 0xff, v24
	ds_bpermute_b32 v22, v31, v23
	v_cmp_eq_u16_e32 vcc_lo, 2, v20
	v_and_or_b32 v20, vcc_lo, v33, 0x80000000
	v_cmp_gt_u32_e32 vcc_lo, 30, v41
	s_delay_alu instid0(VALU_DEP_2) | instskip(SKIP_1) | instid1(VALU_DEP_2)
	v_ctz_i32_b32_e32 v20, v20
	v_cndmask_b32_e64 v25, 0, 1, vcc_lo
	v_cmp_lt_u32_e32 vcc_lo, v41, v20
	s_waitcnt lgkmcnt(0)
	s_delay_alu instid0(VALU_DEP_2) | instskip(NEXT) | instid1(VALU_DEP_1)
	v_dual_cndmask_b32 v22, 0, v22 :: v_dual_lshlrev_b32 v25, 1, v25
	v_add_lshl_u32 v35, v25, v41, 2
	v_cmp_gt_u32_e32 vcc_lo, 28, v41
	s_delay_alu instid0(VALU_DEP_3) | instskip(SKIP_4) | instid1(VALU_DEP_1)
	v_add_nc_u32_e32 v22, v22, v23
	v_cndmask_b32_e64 v25, 0, 1, vcc_lo
	v_cmp_le_u32_e32 vcc_lo, v37, v20
	ds_bpermute_b32 v23, v35, v22
	v_lshlrev_b32_e32 v25, 2, v25
	v_add_lshl_u32 v44, v25, v41, 2
	s_waitcnt lgkmcnt(0)
	v_cndmask_b32_e32 v23, 0, v23, vcc_lo
	v_cmp_gt_u32_e32 vcc_lo, 24, v41
	s_delay_alu instid0(VALU_DEP_2) | instskip(SKIP_4) | instid1(VALU_DEP_1)
	v_add_nc_u32_e32 v22, v22, v23
	v_cndmask_b32_e64 v25, 0, 1, vcc_lo
	v_cmp_le_u32_e32 vcc_lo, v45, v20
	ds_bpermute_b32 v23, v44, v22
	v_lshlrev_b32_e32 v25, 3, v25
	v_add_lshl_u32 v46, v25, v41, 2
	s_waitcnt lgkmcnt(0)
	v_cndmask_b32_e32 v23, 0, v23, vcc_lo
	v_cmp_gt_u32_e32 vcc_lo, 16, v41
	s_delay_alu instid0(VALU_DEP_2) | instskip(SKIP_4) | instid1(VALU_DEP_1)
	v_add_nc_u32_e32 v22, v22, v23
	v_cndmask_b32_e64 v25, 0, 1, vcc_lo
	v_cmp_le_u32_e32 vcc_lo, v47, v20
	ds_bpermute_b32 v23, v46, v22
	v_lshlrev_b32_e32 v25, 4, v25
	v_add_lshl_u32 v48, v25, v41, 2
	s_waitcnt lgkmcnt(0)
	v_cndmask_b32_e32 v23, 0, v23, vcc_lo
	v_cmp_le_u32_e32 vcc_lo, v49, v20
	s_delay_alu instid0(VALU_DEP_2) | instskip(SKIP_3) | instid1(VALU_DEP_1)
	v_add_nc_u32_e32 v22, v22, v23
	ds_bpermute_b32 v23, v48, v22
	s_waitcnt lgkmcnt(0)
	v_cndmask_b32_e32 v20, 0, v23, vcc_lo
	v_dual_mov_b32 v22, 0 :: v_dual_add_nc_u32 v23, v22, v20
	s_branch .LBB118_110
.LBB118_109:                            ;   in Loop: Header=BB118_110 Depth=1
	s_or_b32 exec_lo, exec_lo, s19
	ds_bpermute_b32 v26, v31, v23
	v_and_b32_e32 v25, 0xff, v24
	v_subrev_nc_u32_e32 v21, 32, v21
	s_delay_alu instid0(VALU_DEP_2) | instskip(SKIP_1) | instid1(VALU_DEP_1)
	v_cmp_eq_u16_e32 vcc_lo, 2, v25
	v_and_or_b32 v25, vcc_lo, v33, 0x80000000
	v_ctz_i32_b32_e32 v25, v25
	s_delay_alu instid0(VALU_DEP_1) | instskip(SKIP_3) | instid1(VALU_DEP_2)
	v_cmp_lt_u32_e32 vcc_lo, v41, v25
	s_waitcnt lgkmcnt(0)
	v_cndmask_b32_e32 v26, 0, v26, vcc_lo
	v_cmp_le_u32_e32 vcc_lo, v37, v25
	v_add_nc_u32_e32 v23, v26, v23
	ds_bpermute_b32 v26, v35, v23
	s_waitcnt lgkmcnt(0)
	v_cndmask_b32_e32 v26, 0, v26, vcc_lo
	v_cmp_le_u32_e32 vcc_lo, v45, v25
	s_delay_alu instid0(VALU_DEP_2) | instskip(SKIP_4) | instid1(VALU_DEP_2)
	v_add_nc_u32_e32 v23, v23, v26
	ds_bpermute_b32 v26, v44, v23
	s_waitcnt lgkmcnt(0)
	v_cndmask_b32_e32 v26, 0, v26, vcc_lo
	v_cmp_le_u32_e32 vcc_lo, v47, v25
	v_add_nc_u32_e32 v23, v23, v26
	ds_bpermute_b32 v26, v46, v23
	s_waitcnt lgkmcnt(0)
	v_cndmask_b32_e32 v26, 0, v26, vcc_lo
	v_cmp_le_u32_e32 vcc_lo, v49, v25
	s_delay_alu instid0(VALU_DEP_2) | instskip(SKIP_3) | instid1(VALU_DEP_1)
	v_add_nc_u32_e32 v23, v23, v26
	ds_bpermute_b32 v26, v48, v23
	s_waitcnt lgkmcnt(0)
	v_cndmask_b32_e32 v25, 0, v26, vcc_lo
	v_add3_u32 v23, v25, v20, v23
.LBB118_110:                            ; =>This Loop Header: Depth=1
                                        ;     Child Loop BB118_113 Depth 2
	v_and_b32_e32 v20, 0xff, v24
	s_delay_alu instid0(VALU_DEP_1) | instskip(SKIP_2) | instid1(VALU_DEP_1)
	v_cmp_ne_u16_e32 vcc_lo, 2, v20
	v_cndmask_b32_e64 v20, 0, 1, vcc_lo
	;;#ASMSTART
	;;#ASMEND
	v_cmp_ne_u32_e32 vcc_lo, 0, v20
	v_mov_b32_e32 v20, v23
	s_cmp_lg_u32 vcc_lo, exec_lo
	s_cbranch_scc1 .LBB118_115
; %bb.111:                              ;   in Loop: Header=BB118_110 Depth=1
	v_lshlrev_b64 v[23:24], 3, v[21:22]
	s_mov_b32 s19, exec_lo
	s_delay_alu instid0(VALU_DEP_1) | instskip(NEXT) | instid1(VALU_DEP_2)
	v_add_co_u32 v25, vcc_lo, s12, v23
	v_add_co_ci_u32_e32 v26, vcc_lo, s13, v24, vcc_lo
	global_load_b64 v[23:24], v[25:26], off glc
	s_waitcnt vmcnt(0)
	v_and_b32_e32 v50, 0xff, v24
	s_delay_alu instid0(VALU_DEP_1)
	v_cmpx_eq_u16_e32 0, v50
	s_cbranch_execz .LBB118_109
; %bb.112:                              ;   in Loop: Header=BB118_110 Depth=1
	s_mov_b32 s20, 0
.LBB118_113:                            ;   Parent Loop BB118_110 Depth=1
                                        ; =>  This Inner Loop Header: Depth=2
	global_load_b64 v[23:24], v[25:26], off glc
	s_waitcnt vmcnt(0)
	v_and_b32_e32 v50, 0xff, v24
	s_delay_alu instid0(VALU_DEP_1) | instskip(SKIP_1) | instid1(SALU_CYCLE_1)
	v_cmp_ne_u16_e32 vcc_lo, 0, v50
	s_or_b32 s20, vcc_lo, s20
	s_and_not1_b32 exec_lo, exec_lo, s20
	s_cbranch_execnz .LBB118_113
; %bb.114:                              ;   in Loop: Header=BB118_110 Depth=1
	s_or_b32 exec_lo, exec_lo, s20
	s_branch .LBB118_109
.LBB118_115:                            ;   in Loop: Header=BB118_110 Depth=1
                                        ; implicit-def: $vgpr23
                                        ; implicit-def: $vgpr24
	s_cbranch_execz .LBB118_110
; %bb.116:
	s_and_saveexec_b32 s19, s8
	s_cbranch_execz .LBB118_118
; %bb.117:
	s_add_i32 s20, s15, 32
	s_mov_b32 s21, 0
	v_dual_mov_b32 v22, 2 :: v_dual_add_nc_u32 v21, v20, v19
	s_lshl_b64 s[20:21], s[20:21], 3
	v_mov_b32_e32 v23, 0
	s_add_u32 s20, s12, s20
	s_addc_u32 s21, s13, s21
	global_store_b64 v23, v[21:22], s[20:21]
	ds_store_b64 v23, v[19:20] offset:12672
.LBB118_118:
	s_or_b32 exec_lo, exec_lo, s19
	v_cmp_eq_u32_e32 vcc_lo, 0, v0
	s_and_b32 exec_lo, exec_lo, vcc_lo
	s_cbranch_execz .LBB118_120
; %bb.119:
	v_mov_b32_e32 v19, 0
	ds_store_b32 v19, v20 offset:44
.LBB118_120:
	s_or_b32 exec_lo, exec_lo, s9
	v_mov_b32_e32 v19, 0
	s_waitcnt lgkmcnt(0)
	s_waitcnt_vscnt null, 0x0
	s_barrier
	buffer_gl0_inv
	v_cndmask_b32_e64 v21, v29, v27, s8
	ds_load_b32 v20, v19 offset:44
	v_cmp_ne_u32_e32 vcc_lo, 0, v0
	s_waitcnt lgkmcnt(0)
	s_barrier
	buffer_gl0_inv
	v_cndmask_b32_e32 v21, 0, v21, vcc_lo
	s_delay_alu instid0(VALU_DEP_1) | instskip(SKIP_2) | instid1(VALU_DEP_1)
	v_add_nc_u32_e32 v37, v20, v21
	ds_load_b64 v[19:20], v19 offset:12672
	v_add_nc_u32_e32 v35, v37, v28
	v_add_nc_u32_e32 v33, v35, v30
	s_delay_alu instid0(VALU_DEP_1) | instskip(NEXT) | instid1(VALU_DEP_1)
	v_add_nc_u32_e32 v31, v33, v32
	v_add_nc_u32_e32 v29, v31, v34
	s_delay_alu instid0(VALU_DEP_1) | instskip(NEXT) | instid1(VALU_DEP_1)
	v_add_nc_u32_e32 v27, v29, v36
	v_add_nc_u32_e32 v25, v27, v38
	s_delay_alu instid0(VALU_DEP_1)
	v_add_nc_u32_e32 v23, v25, v40
	v_lshrrev_b64 v[21:22], 24, v[17:18]
	s_branch .LBB118_131
.LBB118_121:
                                        ; implicit-def: $vgpr23
                                        ; implicit-def: $vgpr25
                                        ; implicit-def: $vgpr27
                                        ; implicit-def: $vgpr29
                                        ; implicit-def: $vgpr31
                                        ; implicit-def: $vgpr33
                                        ; implicit-def: $vgpr35
                                        ; implicit-def: $vgpr37
                                        ; implicit-def: $vgpr20
	v_lshrrev_b64 v[21:22], 24, v[17:18]
	s_and_b32 vcc_lo, exec_lo, s8
	s_cbranch_vccz .LBB118_131
; %bb.122:
	s_waitcnt lgkmcnt(0)
	v_mov_b32_dpp v19, v43 row_shr:1 row_mask:0xf bank_mask:0xf
	s_delay_alu instid0(VALU_DEP_1) | instskip(NEXT) | instid1(VALU_DEP_1)
	v_cndmask_b32_e64 v19, v19, 0, s4
	v_add_nc_u32_e32 v19, v19, v43
	s_delay_alu instid0(VALU_DEP_1) | instskip(NEXT) | instid1(VALU_DEP_1)
	v_mov_b32_dpp v20, v19 row_shr:2 row_mask:0xf bank_mask:0xf
	v_cndmask_b32_e64 v20, 0, v20, s5
	s_delay_alu instid0(VALU_DEP_1) | instskip(NEXT) | instid1(VALU_DEP_1)
	v_add_nc_u32_e32 v19, v19, v20
	v_mov_b32_dpp v20, v19 row_shr:4 row_mask:0xf bank_mask:0xf
	s_delay_alu instid0(VALU_DEP_1) | instskip(NEXT) | instid1(VALU_DEP_1)
	v_cndmask_b32_e64 v20, 0, v20, s3
	v_add_nc_u32_e32 v19, v19, v20
	s_delay_alu instid0(VALU_DEP_1) | instskip(NEXT) | instid1(VALU_DEP_1)
	v_mov_b32_dpp v20, v19 row_shr:8 row_mask:0xf bank_mask:0xf
	v_cndmask_b32_e64 v20, 0, v20, s2
	s_delay_alu instid0(VALU_DEP_1) | instskip(SKIP_3) | instid1(VALU_DEP_1)
	v_add_nc_u32_e32 v19, v19, v20
	ds_swizzle_b32 v20, v19 offset:swizzle(BROADCAST,32,15)
	s_waitcnt lgkmcnt(0)
	v_cndmask_b32_e64 v20, v20, 0, s7
	v_add_nc_u32_e32 v19, v19, v20
	s_and_saveexec_b32 s7, s6
	s_cbranch_execz .LBB118_124
; %bb.123:
	v_lshlrev_b32_e32 v20, 2, v42
	ds_store_b32 v20, v19
.LBB118_124:
	s_or_b32 exec_lo, exec_lo, s7
	s_delay_alu instid0(SALU_CYCLE_1)
	s_mov_b32 s6, exec_lo
	s_waitcnt lgkmcnt(0)
	s_barrier
	buffer_gl0_inv
	v_cmpx_gt_u32_e32 12, v0
	s_cbranch_execz .LBB118_126
; %bb.125:
	v_lshlrev_b32_e32 v20, 2, v0
	ds_load_b32 v22, v20
	s_waitcnt lgkmcnt(0)
	v_mov_b32_dpp v23, v22 row_shr:1 row_mask:0xf bank_mask:0xf
	s_delay_alu instid0(VALU_DEP_1) | instskip(NEXT) | instid1(VALU_DEP_1)
	v_cndmask_b32_e64 v23, v23, 0, s4
	v_add_nc_u32_e32 v22, v23, v22
	s_delay_alu instid0(VALU_DEP_1) | instskip(NEXT) | instid1(VALU_DEP_1)
	v_mov_b32_dpp v23, v22 row_shr:2 row_mask:0xf bank_mask:0xf
	v_cndmask_b32_e64 v23, 0, v23, s5
	s_delay_alu instid0(VALU_DEP_1) | instskip(NEXT) | instid1(VALU_DEP_1)
	v_add_nc_u32_e32 v22, v22, v23
	v_mov_b32_dpp v23, v22 row_shr:4 row_mask:0xf bank_mask:0xf
	s_delay_alu instid0(VALU_DEP_1) | instskip(NEXT) | instid1(VALU_DEP_1)
	v_cndmask_b32_e64 v23, 0, v23, s3
	v_add_nc_u32_e32 v22, v22, v23
	s_delay_alu instid0(VALU_DEP_1) | instskip(NEXT) | instid1(VALU_DEP_1)
	v_mov_b32_dpp v23, v22 row_shr:8 row_mask:0xf bank_mask:0xf
	v_cndmask_b32_e64 v23, 0, v23, s2
	s_delay_alu instid0(VALU_DEP_1)
	v_add_nc_u32_e32 v22, v22, v23
	ds_store_b32 v20, v22
.LBB118_126:
	s_or_b32 exec_lo, exec_lo, s6
	v_mov_b32_e32 v20, 0
	v_mov_b32_e32 v22, 0
	s_mov_b32 s2, exec_lo
	s_waitcnt lgkmcnt(0)
	s_barrier
	buffer_gl0_inv
	v_cmpx_lt_u32_e32 31, v0
	s_cbranch_execz .LBB118_128
; %bb.127:
	v_lshl_add_u32 v22, v42, 2, -4
	ds_load_b32 v22, v22
.LBB118_128:
	s_or_b32 exec_lo, exec_lo, s2
	v_add_nc_u32_e32 v23, -1, v41
	s_waitcnt lgkmcnt(0)
	v_add_nc_u32_e32 v19, v22, v19
	s_delay_alu instid0(VALU_DEP_2) | instskip(SKIP_2) | instid1(VALU_DEP_2)
	v_cmp_gt_i32_e32 vcc_lo, 0, v23
	v_cndmask_b32_e32 v23, v23, v41, vcc_lo
	v_cmp_eq_u32_e32 vcc_lo, 0, v0
	v_lshlrev_b32_e32 v23, 2, v23
	ds_bpermute_b32 v23, v23, v19
	ds_load_b32 v19, v20 offset:44
	s_and_saveexec_b32 s2, vcc_lo
	s_cbranch_execz .LBB118_130
; %bb.129:
	v_mov_b32_e32 v24, 0
	v_mov_b32_e32 v20, 2
	s_waitcnt lgkmcnt(0)
	global_store_b64 v24, v[19:20], s[12:13] offset:256
.LBB118_130:
	s_or_b32 exec_lo, exec_lo, s2
	v_cmp_eq_u32_e64 s2, 0, v41
	s_waitcnt lgkmcnt(0)
	s_waitcnt_vscnt null, 0x0
	s_barrier
	buffer_gl0_inv
	v_cndmask_b32_e64 v20, v23, v22, s2
	s_delay_alu instid0(VALU_DEP_1) | instskip(NEXT) | instid1(VALU_DEP_1)
	v_cndmask_b32_e64 v37, v20, 0, vcc_lo
	v_dual_mov_b32 v20, 0 :: v_dual_add_nc_u32 v35, v37, v28
	s_delay_alu instid0(VALU_DEP_1) | instskip(NEXT) | instid1(VALU_DEP_1)
	v_add_nc_u32_e32 v33, v35, v30
	v_add_nc_u32_e32 v31, v33, v32
	s_delay_alu instid0(VALU_DEP_1) | instskip(NEXT) | instid1(VALU_DEP_1)
	v_add_nc_u32_e32 v29, v31, v34
	v_add_nc_u32_e32 v27, v29, v36
	;; [unrolled: 3-line block ×3, first 2 shown]
.LBB118_131:
	s_load_b128 s[4:7], s[0:1], 0x28
	s_waitcnt lgkmcnt(0)
	v_add_nc_u32_e32 v43, v20, v19
	v_cmp_gt_u32_e64 s0, 0x181, v19
	v_lshrrev_b32_e32 v42, 8, v17
	v_lshrrev_b32_e32 v41, 16, v17
	;; [unrolled: 1-line block ×4, first 2 shown]
	v_cmp_lt_u32_e64 s1, v37, v43
	s_and_b32 vcc_lo, exec_lo, s0
	s_mov_b32 s2, -1
	s_cbranch_vccz .LBB118_157
; %bb.132:
	s_lshl_b64 s[2:3], s[10:11], 2
	s_delay_alu instid0(SALU_CYCLE_1) | instskip(SKIP_2) | instid1(SALU_CYCLE_1)
	s_add_u32 s2, s4, s2
	s_addc_u32 s3, s5, s3
	s_or_b32 s8, s18, s1
	s_and_saveexec_b32 s1, s8
	s_cbranch_execz .LBB118_135
; %bb.133:
	v_and_b32_e32 v24, 1, v17
	s_delay_alu instid0(VALU_DEP_1)
	v_cmp_eq_u32_e32 vcc_lo, 1, v24
	s_and_b32 exec_lo, exec_lo, vcc_lo
	s_cbranch_execz .LBB118_135
; %bb.134:
	v_mov_b32_e32 v38, 0
	s_delay_alu instid0(VALU_DEP_1) | instskip(NEXT) | instid1(VALU_DEP_1)
	v_lshlrev_b64 v[44:45], 2, v[37:38]
	v_add_co_u32 v44, vcc_lo, s2, v44
	s_delay_alu instid0(VALU_DEP_2)
	v_add_co_ci_u32_e32 v45, vcc_lo, s3, v45, vcc_lo
	global_store_b32 v[44:45], v15, off
.LBB118_135:
	s_or_b32 exec_lo, exec_lo, s1
	v_cmp_lt_u32_e32 vcc_lo, v35, v43
	s_or_b32 s8, s18, vcc_lo
	s_delay_alu instid0(SALU_CYCLE_1)
	s_and_saveexec_b32 s1, s8
	s_cbranch_execz .LBB118_138
; %bb.136:
	v_and_b32_e32 v24, 1, v42
	s_delay_alu instid0(VALU_DEP_1)
	v_cmp_eq_u32_e32 vcc_lo, 1, v24
	s_and_b32 exec_lo, exec_lo, vcc_lo
	s_cbranch_execz .LBB118_138
; %bb.137:
	v_mov_b32_e32 v36, 0
	s_delay_alu instid0(VALU_DEP_1) | instskip(NEXT) | instid1(VALU_DEP_1)
	v_lshlrev_b64 v[44:45], 2, v[35:36]
	v_add_co_u32 v44, vcc_lo, s2, v44
	s_delay_alu instid0(VALU_DEP_2)
	v_add_co_ci_u32_e32 v45, vcc_lo, s3, v45, vcc_lo
	global_store_b32 v[44:45], v16, off
.LBB118_138:
	s_or_b32 exec_lo, exec_lo, s1
	v_cmp_lt_u32_e32 vcc_lo, v33, v43
	s_or_b32 s8, s18, vcc_lo
	s_delay_alu instid0(SALU_CYCLE_1)
	s_and_saveexec_b32 s1, s8
	s_cbranch_execz .LBB118_141
; %bb.139:
	v_and_b32_e32 v24, 1, v41
	s_delay_alu instid0(VALU_DEP_1)
	v_cmp_eq_u32_e32 vcc_lo, 1, v24
	s_and_b32 exec_lo, exec_lo, vcc_lo
	s_cbranch_execz .LBB118_141
; %bb.140:
	v_mov_b32_e32 v34, 0
	s_delay_alu instid0(VALU_DEP_1) | instskip(NEXT) | instid1(VALU_DEP_1)
	v_lshlrev_b64 v[44:45], 2, v[33:34]
	v_add_co_u32 v44, vcc_lo, s2, v44
	s_delay_alu instid0(VALU_DEP_2)
	v_add_co_ci_u32_e32 v45, vcc_lo, s3, v45, vcc_lo
	global_store_b32 v[44:45], v13, off
.LBB118_141:
	s_or_b32 exec_lo, exec_lo, s1
	v_cmp_lt_u32_e32 vcc_lo, v31, v43
	s_or_b32 s8, s18, vcc_lo
	s_delay_alu instid0(SALU_CYCLE_1)
	s_and_saveexec_b32 s1, s8
	s_cbranch_execz .LBB118_144
; %bb.142:
	v_and_b32_e32 v24, 1, v21
	s_delay_alu instid0(VALU_DEP_1)
	v_cmp_eq_u32_e32 vcc_lo, 1, v24
	s_and_b32 exec_lo, exec_lo, vcc_lo
	s_cbranch_execz .LBB118_144
; %bb.143:
	v_mov_b32_e32 v32, 0
	s_delay_alu instid0(VALU_DEP_1) | instskip(NEXT) | instid1(VALU_DEP_1)
	v_lshlrev_b64 v[44:45], 2, v[31:32]
	v_add_co_u32 v44, vcc_lo, s2, v44
	s_delay_alu instid0(VALU_DEP_2)
	v_add_co_ci_u32_e32 v45, vcc_lo, s3, v45, vcc_lo
	global_store_b32 v[44:45], v14, off
.LBB118_144:
	s_or_b32 exec_lo, exec_lo, s1
	v_cmp_lt_u32_e32 vcc_lo, v29, v43
	s_or_b32 s8, s18, vcc_lo
	s_delay_alu instid0(SALU_CYCLE_1)
	s_and_saveexec_b32 s1, s8
	s_cbranch_execz .LBB118_147
; %bb.145:
	v_and_b32_e32 v24, 1, v18
	s_delay_alu instid0(VALU_DEP_1)
	v_cmp_eq_u32_e32 vcc_lo, 1, v24
	s_and_b32 exec_lo, exec_lo, vcc_lo
	s_cbranch_execz .LBB118_147
; %bb.146:
	v_mov_b32_e32 v30, 0
	s_delay_alu instid0(VALU_DEP_1) | instskip(NEXT) | instid1(VALU_DEP_1)
	v_lshlrev_b64 v[44:45], 2, v[29:30]
	v_add_co_u32 v44, vcc_lo, s2, v44
	s_delay_alu instid0(VALU_DEP_2)
	v_add_co_ci_u32_e32 v45, vcc_lo, s3, v45, vcc_lo
	global_store_b32 v[44:45], v11, off
.LBB118_147:
	s_or_b32 exec_lo, exec_lo, s1
	v_cmp_lt_u32_e32 vcc_lo, v27, v43
	s_or_b32 s8, s18, vcc_lo
	s_delay_alu instid0(SALU_CYCLE_1)
	s_and_saveexec_b32 s1, s8
	s_cbranch_execz .LBB118_150
; %bb.148:
	v_and_b32_e32 v24, 1, v40
	s_delay_alu instid0(VALU_DEP_1)
	v_cmp_eq_u32_e32 vcc_lo, 1, v24
	s_and_b32 exec_lo, exec_lo, vcc_lo
	s_cbranch_execz .LBB118_150
; %bb.149:
	v_mov_b32_e32 v28, 0
	s_delay_alu instid0(VALU_DEP_1) | instskip(NEXT) | instid1(VALU_DEP_1)
	v_lshlrev_b64 v[44:45], 2, v[27:28]
	v_add_co_u32 v44, vcc_lo, s2, v44
	s_delay_alu instid0(VALU_DEP_2)
	v_add_co_ci_u32_e32 v45, vcc_lo, s3, v45, vcc_lo
	global_store_b32 v[44:45], v12, off
.LBB118_150:
	s_or_b32 exec_lo, exec_lo, s1
	v_cmp_lt_u32_e32 vcc_lo, v25, v43
	s_or_b32 s8, s18, vcc_lo
	s_delay_alu instid0(SALU_CYCLE_1)
	s_and_saveexec_b32 s1, s8
	s_cbranch_execz .LBB118_153
; %bb.151:
	v_and_b32_e32 v24, 1, v22
	s_delay_alu instid0(VALU_DEP_1)
	v_cmp_eq_u32_e32 vcc_lo, 1, v24
	s_and_b32 exec_lo, exec_lo, vcc_lo
	s_cbranch_execz .LBB118_153
; %bb.152:
	v_mov_b32_e32 v26, 0
	s_delay_alu instid0(VALU_DEP_1) | instskip(NEXT) | instid1(VALU_DEP_1)
	v_lshlrev_b64 v[44:45], 2, v[25:26]
	v_add_co_u32 v44, vcc_lo, s2, v44
	s_delay_alu instid0(VALU_DEP_2)
	v_add_co_ci_u32_e32 v45, vcc_lo, s3, v45, vcc_lo
	global_store_b32 v[44:45], v9, off
.LBB118_153:
	s_or_b32 exec_lo, exec_lo, s1
	v_cmp_lt_u32_e32 vcc_lo, v23, v43
	s_or_b32 s8, s18, vcc_lo
	s_delay_alu instid0(SALU_CYCLE_1)
	s_and_saveexec_b32 s1, s8
	s_cbranch_execz .LBB118_156
; %bb.154:
	v_and_b32_e32 v24, 1, v39
	s_delay_alu instid0(VALU_DEP_1)
	v_cmp_eq_u32_e32 vcc_lo, 1, v24
	s_and_b32 exec_lo, exec_lo, vcc_lo
	s_cbranch_execz .LBB118_156
; %bb.155:
	v_mov_b32_e32 v24, 0
	s_delay_alu instid0(VALU_DEP_1) | instskip(NEXT) | instid1(VALU_DEP_1)
	v_lshlrev_b64 v[44:45], 2, v[23:24]
	v_add_co_u32 v44, vcc_lo, s2, v44
	s_delay_alu instid0(VALU_DEP_2)
	v_add_co_ci_u32_e32 v45, vcc_lo, s3, v45, vcc_lo
	global_store_b32 v[44:45], v10, off
.LBB118_156:
	s_or_b32 exec_lo, exec_lo, s1
	s_mov_b32 s2, 0
.LBB118_157:
	v_and_b32_e32 v17, 1, v17
	s_and_b32 vcc_lo, exec_lo, s2
	s_delay_alu instid0(VALU_DEP_1)
	v_cmp_eq_u32_e64 s1, 1, v17
	s_cbranch_vccz .LBB118_178
; %bb.158:
	s_delay_alu instid0(VALU_DEP_1)
	s_and_saveexec_b32 s2, s1
	s_cbranch_execz .LBB118_160
; %bb.159:
	v_sub_nc_u32_e32 v24, v37, v20
	s_delay_alu instid0(VALU_DEP_1)
	v_lshlrev_b32_e32 v24, 2, v24
	ds_store_b32 v24, v15
.LBB118_160:
	s_or_b32 exec_lo, exec_lo, s2
	v_and_b32_e32 v15, 1, v42
	s_mov_b32 s1, exec_lo
	s_delay_alu instid0(VALU_DEP_1)
	v_cmpx_eq_u32_e32 1, v15
	s_cbranch_execz .LBB118_162
; %bb.161:
	v_sub_nc_u32_e32 v15, v35, v20
	s_delay_alu instid0(VALU_DEP_1)
	v_lshlrev_b32_e32 v15, 2, v15
	ds_store_b32 v15, v16
.LBB118_162:
	s_or_b32 exec_lo, exec_lo, s1
	v_and_b32_e32 v15, 1, v41
	s_mov_b32 s1, exec_lo
	s_delay_alu instid0(VALU_DEP_1)
	v_cmpx_eq_u32_e32 1, v15
	;; [unrolled: 12-line block ×7, first 2 shown]
	s_cbranch_execz .LBB118_174
; %bb.173:
	v_sub_nc_u32_e32 v9, v23, v20
	s_delay_alu instid0(VALU_DEP_1)
	v_lshlrev_b32_e32 v9, 2, v9
	ds_store_b32 v9, v10
.LBB118_174:
	s_or_b32 exec_lo, exec_lo, s1
	s_delay_alu instid0(SALU_CYCLE_1)
	s_mov_b32 s2, exec_lo
	s_waitcnt lgkmcnt(0)
	s_waitcnt_vscnt null, 0x0
	s_barrier
	buffer_gl0_inv
	v_cmpx_lt_u32_e64 v0, v19
	s_cbranch_execz .LBB118_177
; %bb.175:
	v_dual_mov_b32 v10, 0 :: v_dual_mov_b32 v9, v20
	s_lshl_b64 s[8:9], s[10:11], 2
	v_lshlrev_b32_e32 v11, 2, v0
	s_add_u32 s1, s4, s8
	s_addc_u32 s3, s5, s9
	v_lshlrev_b64 v[12:13], 2, v[9:10]
	v_mov_b32_e32 v9, v0
	s_delay_alu instid0(VALU_DEP_2) | instskip(NEXT) | instid1(VALU_DEP_3)
	v_add_co_u32 v12, vcc_lo, s1, v12
	v_add_co_ci_u32_e32 v13, vcc_lo, s3, v13, vcc_lo
	s_mov_b32 s3, 0
	.p2align	6
.LBB118_176:                            ; =>This Inner Loop Header: Depth=1
	ds_load_b32 v16, v11
	v_lshlrev_b64 v[14:15], 2, v[9:10]
	v_add_nc_u32_e32 v9, 0x180, v9
	v_add_nc_u32_e32 v11, 0x600, v11
	s_delay_alu instid0(VALU_DEP_2) | instskip(NEXT) | instid1(VALU_DEP_4)
	v_cmp_ge_u32_e32 vcc_lo, v9, v19
	v_add_co_u32 v14, s1, v12, v14
	s_delay_alu instid0(VALU_DEP_1)
	v_add_co_ci_u32_e64 v15, s1, v13, v15, s1
	s_or_b32 s3, vcc_lo, s3
	s_waitcnt lgkmcnt(0)
	global_store_b32 v[14:15], v16, off
	s_and_not1_b32 exec_lo, exec_lo, s3
	s_cbranch_execnz .LBB118_176
.LBB118_177:
	s_or_b32 exec_lo, exec_lo, s2
.LBB118_178:
	s_delay_alu instid0(SALU_CYCLE_1)
	s_and_b32 vcc_lo, exec_lo, s0
	s_mov_b32 s0, -1
	s_waitcnt_vscnt null, 0x0
	s_barrier
	buffer_gl0_inv
	s_cbranch_vccz .LBB118_206
; %bb.179:
	v_cmp_lt_u32_e32 vcc_lo, v37, v43
	s_lshl_b64 s[0:1], s[10:11], 2
	s_delay_alu instid0(SALU_CYCLE_1) | instskip(SKIP_2) | instid1(SALU_CYCLE_1)
	s_add_u32 s0, s6, s0
	s_addc_u32 s1, s7, s1
	s_or_b32 s3, s18, vcc_lo
	s_and_saveexec_b32 s2, s3
	s_cbranch_execz .LBB118_182
; %bb.180:
	v_cmp_eq_u32_e32 vcc_lo, 1, v17
	s_and_b32 exec_lo, exec_lo, vcc_lo
	s_cbranch_execz .LBB118_182
; %bb.181:
	v_mov_b32_e32 v38, 0
	s_delay_alu instid0(VALU_DEP_1) | instskip(NEXT) | instid1(VALU_DEP_1)
	v_lshlrev_b64 v[9:10], 2, v[37:38]
	v_add_co_u32 v9, vcc_lo, s0, v9
	s_delay_alu instid0(VALU_DEP_2)
	v_add_co_ci_u32_e32 v10, vcc_lo, s1, v10, vcc_lo
	global_store_b32 v[9:10], v7, off
.LBB118_182:
	s_or_b32 exec_lo, exec_lo, s2
	v_cmp_lt_u32_e32 vcc_lo, v35, v43
	s_or_b32 s3, s18, vcc_lo
	s_delay_alu instid0(SALU_CYCLE_1)
	s_and_saveexec_b32 s2, s3
	s_cbranch_execz .LBB118_185
; %bb.183:
	v_and_b32_e32 v9, 1, v42
	s_delay_alu instid0(VALU_DEP_1)
	v_cmp_eq_u32_e32 vcc_lo, 1, v9
	s_and_b32 exec_lo, exec_lo, vcc_lo
	s_cbranch_execz .LBB118_185
; %bb.184:
	v_mov_b32_e32 v36, 0
	s_delay_alu instid0(VALU_DEP_1) | instskip(NEXT) | instid1(VALU_DEP_1)
	v_lshlrev_b64 v[9:10], 2, v[35:36]
	v_add_co_u32 v9, vcc_lo, s0, v9
	s_delay_alu instid0(VALU_DEP_2)
	v_add_co_ci_u32_e32 v10, vcc_lo, s1, v10, vcc_lo
	global_store_b32 v[9:10], v8, off
.LBB118_185:
	s_or_b32 exec_lo, exec_lo, s2
	v_cmp_lt_u32_e32 vcc_lo, v33, v43
	s_or_b32 s3, s18, vcc_lo
	s_delay_alu instid0(SALU_CYCLE_1)
	s_and_saveexec_b32 s2, s3
	s_cbranch_execz .LBB118_188
; %bb.186:
	v_and_b32_e32 v9, 1, v41
	s_delay_alu instid0(VALU_DEP_1)
	v_cmp_eq_u32_e32 vcc_lo, 1, v9
	s_and_b32 exec_lo, exec_lo, vcc_lo
	s_cbranch_execz .LBB118_188
; %bb.187:
	v_mov_b32_e32 v34, 0
	s_delay_alu instid0(VALU_DEP_1) | instskip(NEXT) | instid1(VALU_DEP_1)
	v_lshlrev_b64 v[9:10], 2, v[33:34]
	v_add_co_u32 v9, vcc_lo, s0, v9
	s_delay_alu instid0(VALU_DEP_2)
	v_add_co_ci_u32_e32 v10, vcc_lo, s1, v10, vcc_lo
	global_store_b32 v[9:10], v5, off
.LBB118_188:
	s_or_b32 exec_lo, exec_lo, s2
	v_cmp_lt_u32_e32 vcc_lo, v31, v43
	s_or_b32 s3, s18, vcc_lo
	s_delay_alu instid0(SALU_CYCLE_1)
	s_and_saveexec_b32 s2, s3
	s_cbranch_execz .LBB118_191
; %bb.189:
	v_and_b32_e32 v9, 1, v21
	s_delay_alu instid0(VALU_DEP_1)
	v_cmp_eq_u32_e32 vcc_lo, 1, v9
	s_and_b32 exec_lo, exec_lo, vcc_lo
	s_cbranch_execz .LBB118_191
; %bb.190:
	v_mov_b32_e32 v32, 0
	s_delay_alu instid0(VALU_DEP_1) | instskip(NEXT) | instid1(VALU_DEP_1)
	v_lshlrev_b64 v[9:10], 2, v[31:32]
	v_add_co_u32 v9, vcc_lo, s0, v9
	s_delay_alu instid0(VALU_DEP_2)
	v_add_co_ci_u32_e32 v10, vcc_lo, s1, v10, vcc_lo
	global_store_b32 v[9:10], v6, off
.LBB118_191:
	s_or_b32 exec_lo, exec_lo, s2
	v_cmp_lt_u32_e32 vcc_lo, v29, v43
	s_or_b32 s3, s18, vcc_lo
	s_delay_alu instid0(SALU_CYCLE_1)
	s_and_saveexec_b32 s2, s3
	s_cbranch_execz .LBB118_194
; %bb.192:
	v_and_b32_e32 v9, 1, v18
	s_delay_alu instid0(VALU_DEP_1)
	v_cmp_eq_u32_e32 vcc_lo, 1, v9
	s_and_b32 exec_lo, exec_lo, vcc_lo
	s_cbranch_execz .LBB118_194
; %bb.193:
	v_mov_b32_e32 v30, 0
	s_delay_alu instid0(VALU_DEP_1) | instskip(NEXT) | instid1(VALU_DEP_1)
	v_lshlrev_b64 v[9:10], 2, v[29:30]
	v_add_co_u32 v9, vcc_lo, s0, v9
	s_delay_alu instid0(VALU_DEP_2)
	v_add_co_ci_u32_e32 v10, vcc_lo, s1, v10, vcc_lo
	global_store_b32 v[9:10], v3, off
.LBB118_194:
	s_or_b32 exec_lo, exec_lo, s2
	v_cmp_lt_u32_e32 vcc_lo, v27, v43
	s_or_b32 s3, s18, vcc_lo
	s_delay_alu instid0(SALU_CYCLE_1)
	s_and_saveexec_b32 s2, s3
	s_cbranch_execz .LBB118_197
; %bb.195:
	v_and_b32_e32 v9, 1, v40
	s_delay_alu instid0(VALU_DEP_1)
	v_cmp_eq_u32_e32 vcc_lo, 1, v9
	s_and_b32 exec_lo, exec_lo, vcc_lo
	s_cbranch_execz .LBB118_197
; %bb.196:
	v_mov_b32_e32 v28, 0
	s_delay_alu instid0(VALU_DEP_1) | instskip(NEXT) | instid1(VALU_DEP_1)
	v_lshlrev_b64 v[9:10], 2, v[27:28]
	v_add_co_u32 v9, vcc_lo, s0, v9
	s_delay_alu instid0(VALU_DEP_2)
	v_add_co_ci_u32_e32 v10, vcc_lo, s1, v10, vcc_lo
	global_store_b32 v[9:10], v4, off
.LBB118_197:
	s_or_b32 exec_lo, exec_lo, s2
	v_cmp_lt_u32_e32 vcc_lo, v25, v43
	s_or_b32 s3, s18, vcc_lo
	s_delay_alu instid0(SALU_CYCLE_1)
	s_and_saveexec_b32 s2, s3
	s_cbranch_execz .LBB118_200
; %bb.198:
	v_and_b32_e32 v9, 1, v22
	s_delay_alu instid0(VALU_DEP_1)
	v_cmp_eq_u32_e32 vcc_lo, 1, v9
	s_and_b32 exec_lo, exec_lo, vcc_lo
	s_cbranch_execz .LBB118_200
; %bb.199:
	v_mov_b32_e32 v26, 0
	s_delay_alu instid0(VALU_DEP_1) | instskip(NEXT) | instid1(VALU_DEP_1)
	v_lshlrev_b64 v[9:10], 2, v[25:26]
	v_add_co_u32 v9, vcc_lo, s0, v9
	s_delay_alu instid0(VALU_DEP_2)
	v_add_co_ci_u32_e32 v10, vcc_lo, s1, v10, vcc_lo
	global_store_b32 v[9:10], v1, off
.LBB118_200:
	s_or_b32 exec_lo, exec_lo, s2
	v_cmp_lt_u32_e32 vcc_lo, v23, v43
	s_or_b32 s3, s18, vcc_lo
	s_delay_alu instid0(SALU_CYCLE_1)
	s_and_saveexec_b32 s2, s3
	s_cbranch_execz .LBB118_203
; %bb.201:
	v_and_b32_e32 v9, 1, v39
	s_delay_alu instid0(VALU_DEP_1)
	v_cmp_eq_u32_e32 vcc_lo, 1, v9
	s_and_b32 exec_lo, exec_lo, vcc_lo
	s_cbranch_execz .LBB118_203
; %bb.202:
	v_mov_b32_e32 v24, 0
	s_delay_alu instid0(VALU_DEP_1) | instskip(NEXT) | instid1(VALU_DEP_1)
	v_lshlrev_b64 v[9:10], 2, v[23:24]
	v_add_co_u32 v9, vcc_lo, s0, v9
	s_delay_alu instid0(VALU_DEP_2)
	v_add_co_ci_u32_e32 v10, vcc_lo, s1, v10, vcc_lo
	global_store_b32 v[9:10], v2, off
.LBB118_203:
	s_or_b32 exec_lo, exec_lo, s2
.LBB118_204:
	v_cmp_eq_u32_e32 vcc_lo, 0, v0
	s_and_b32 s0, vcc_lo, s14
	s_delay_alu instid0(SALU_CYCLE_1)
	s_and_saveexec_b32 s1, s0
	s_cbranch_execz .LBB118_227
.LBB118_205:
	v_add_co_u32 v0, s0, s10, v19
	s_delay_alu instid0(VALU_DEP_1) | instskip(SKIP_1) | instid1(VALU_DEP_3)
	v_add_co_ci_u32_e64 v1, null, s11, 0, s0
	v_mov_b32_e32 v2, 0
	v_add_co_u32 v0, vcc_lo, v0, v20
	s_delay_alu instid0(VALU_DEP_3)
	v_add_co_ci_u32_e32 v1, vcc_lo, 0, v1, vcc_lo
	global_store_b64 v2, v[0:1], s[16:17]
	s_nop 0
	s_sendmsg sendmsg(MSG_DEALLOC_VGPRS)
	s_endpgm
.LBB118_206:
	s_and_b32 vcc_lo, exec_lo, s0
	s_cbranch_vccz .LBB118_204
; %bb.207:
	s_mov_b32 s0, exec_lo
	v_cmpx_eq_u32_e32 1, v17
	s_cbranch_execz .LBB118_209
; %bb.208:
	v_sub_nc_u32_e32 v9, v37, v20
	s_delay_alu instid0(VALU_DEP_1)
	v_lshlrev_b32_e32 v9, 2, v9
	ds_store_b32 v9, v7
.LBB118_209:
	s_or_b32 exec_lo, exec_lo, s0
	v_and_b32_e32 v7, 1, v42
	s_mov_b32 s0, exec_lo
	s_delay_alu instid0(VALU_DEP_1)
	v_cmpx_eq_u32_e32 1, v7
	s_cbranch_execz .LBB118_211
; %bb.210:
	v_sub_nc_u32_e32 v7, v35, v20
	s_delay_alu instid0(VALU_DEP_1)
	v_lshlrev_b32_e32 v7, 2, v7
	ds_store_b32 v7, v8
.LBB118_211:
	s_or_b32 exec_lo, exec_lo, s0
	v_and_b32_e32 v7, 1, v41
	s_mov_b32 s0, exec_lo
	s_delay_alu instid0(VALU_DEP_1)
	;; [unrolled: 12-line block ×7, first 2 shown]
	v_cmpx_eq_u32_e32 1, v1
	s_cbranch_execz .LBB118_223
; %bb.222:
	v_sub_nc_u32_e32 v1, v23, v20
	s_delay_alu instid0(VALU_DEP_1)
	v_lshlrev_b32_e32 v1, 2, v1
	ds_store_b32 v1, v2
.LBB118_223:
	s_or_b32 exec_lo, exec_lo, s0
	s_delay_alu instid0(SALU_CYCLE_1)
	s_mov_b32 s1, exec_lo
	s_waitcnt lgkmcnt(0)
	s_waitcnt_vscnt null, 0x0
	s_barrier
	buffer_gl0_inv
	v_cmpx_lt_u32_e64 v0, v19
	s_cbranch_execz .LBB118_226
; %bb.224:
	v_dual_mov_b32 v2, 0 :: v_dual_mov_b32 v1, v20
	s_lshl_b64 s[2:3], s[10:11], 2
	v_lshlrev_b32_e32 v3, 2, v0
	s_add_u32 s0, s6, s2
	s_addc_u32 s2, s7, s3
	v_lshlrev_b64 v[4:5], 2, v[1:2]
	v_mov_b32_e32 v1, v0
	s_delay_alu instid0(VALU_DEP_2) | instskip(NEXT) | instid1(VALU_DEP_3)
	v_add_co_u32 v4, vcc_lo, s0, v4
	v_add_co_ci_u32_e32 v5, vcc_lo, s2, v5, vcc_lo
	s_mov_b32 s2, 0
	.p2align	6
.LBB118_225:                            ; =>This Inner Loop Header: Depth=1
	ds_load_b32 v8, v3
	v_lshlrev_b64 v[6:7], 2, v[1:2]
	v_add_nc_u32_e32 v1, 0x180, v1
	v_add_nc_u32_e32 v3, 0x600, v3
	s_delay_alu instid0(VALU_DEP_2) | instskip(NEXT) | instid1(VALU_DEP_4)
	v_cmp_ge_u32_e32 vcc_lo, v1, v19
	v_add_co_u32 v6, s0, v4, v6
	s_delay_alu instid0(VALU_DEP_1)
	v_add_co_ci_u32_e64 v7, s0, v5, v7, s0
	s_or_b32 s2, vcc_lo, s2
	s_waitcnt lgkmcnt(0)
	global_store_b32 v[6:7], v8, off
	s_and_not1_b32 exec_lo, exec_lo, s2
	s_cbranch_execnz .LBB118_225
.LBB118_226:
	s_or_b32 exec_lo, exec_lo, s1
	v_cmp_eq_u32_e32 vcc_lo, 0, v0
	s_and_b32 s0, vcc_lo, s14
	s_delay_alu instid0(SALU_CYCLE_1)
	s_and_saveexec_b32 s1, s0
	s_cbranch_execnz .LBB118_205
.LBB118_227:
	s_nop 0
	s_sendmsg sendmsg(MSG_DEALLOC_VGPRS)
	s_endpgm
	.section	.rodata,"a",@progbits
	.p2align	6, 0x0
	.amdhsa_kernel _ZN7rocprim17ROCPRIM_400000_NS6detail17trampoline_kernelINS0_14default_configENS1_25partition_config_selectorILNS1_17partition_subalgoE9EffbEEZZNS1_14partition_implILS5_9ELb0ES3_jN6thrust23THRUST_200600_302600_NS6detail15normal_iteratorINS9_10device_ptrIfEEEESE_PNS0_10empty_typeENS0_5tupleIJSE_SF_EEENSH_IJSE_SG_EEENS0_18inequality_wrapperI22is_equal_div_10_uniqueIfEEEPmJSF_EEE10hipError_tPvRmT3_T4_T5_T6_T7_T9_mT8_P12ihipStream_tbDpT10_ENKUlT_T0_E_clISt17integral_constantIbLb0EES18_EEDaS13_S14_EUlS13_E_NS1_11comp_targetILNS1_3genE9ELNS1_11target_archE1100ELNS1_3gpuE3ELNS1_3repE0EEENS1_30default_config_static_selectorELNS0_4arch9wavefront6targetE0EEEvT1_
		.amdhsa_group_segment_fixed_size 12680
		.amdhsa_private_segment_fixed_size 0
		.amdhsa_kernarg_size 112
		.amdhsa_user_sgpr_count 15
		.amdhsa_user_sgpr_dispatch_ptr 0
		.amdhsa_user_sgpr_queue_ptr 0
		.amdhsa_user_sgpr_kernarg_segment_ptr 1
		.amdhsa_user_sgpr_dispatch_id 0
		.amdhsa_user_sgpr_private_segment_size 0
		.amdhsa_wavefront_size32 1
		.amdhsa_uses_dynamic_stack 0
		.amdhsa_enable_private_segment 0
		.amdhsa_system_sgpr_workgroup_id_x 1
		.amdhsa_system_sgpr_workgroup_id_y 0
		.amdhsa_system_sgpr_workgroup_id_z 0
		.amdhsa_system_sgpr_workgroup_info 0
		.amdhsa_system_vgpr_workitem_id 0
		.amdhsa_next_free_vgpr 51
		.amdhsa_next_free_sgpr 25
		.amdhsa_reserve_vcc 1
		.amdhsa_float_round_mode_32 0
		.amdhsa_float_round_mode_16_64 0
		.amdhsa_float_denorm_mode_32 3
		.amdhsa_float_denorm_mode_16_64 3
		.amdhsa_dx10_clamp 1
		.amdhsa_ieee_mode 1
		.amdhsa_fp16_overflow 0
		.amdhsa_workgroup_processor_mode 1
		.amdhsa_memory_ordered 1
		.amdhsa_forward_progress 0
		.amdhsa_shared_vgpr_count 0
		.amdhsa_exception_fp_ieee_invalid_op 0
		.amdhsa_exception_fp_denorm_src 0
		.amdhsa_exception_fp_ieee_div_zero 0
		.amdhsa_exception_fp_ieee_overflow 0
		.amdhsa_exception_fp_ieee_underflow 0
		.amdhsa_exception_fp_ieee_inexact 0
		.amdhsa_exception_int_div_zero 0
	.end_amdhsa_kernel
	.section	.text._ZN7rocprim17ROCPRIM_400000_NS6detail17trampoline_kernelINS0_14default_configENS1_25partition_config_selectorILNS1_17partition_subalgoE9EffbEEZZNS1_14partition_implILS5_9ELb0ES3_jN6thrust23THRUST_200600_302600_NS6detail15normal_iteratorINS9_10device_ptrIfEEEESE_PNS0_10empty_typeENS0_5tupleIJSE_SF_EEENSH_IJSE_SG_EEENS0_18inequality_wrapperI22is_equal_div_10_uniqueIfEEEPmJSF_EEE10hipError_tPvRmT3_T4_T5_T6_T7_T9_mT8_P12ihipStream_tbDpT10_ENKUlT_T0_E_clISt17integral_constantIbLb0EES18_EEDaS13_S14_EUlS13_E_NS1_11comp_targetILNS1_3genE9ELNS1_11target_archE1100ELNS1_3gpuE3ELNS1_3repE0EEENS1_30default_config_static_selectorELNS0_4arch9wavefront6targetE0EEEvT1_,"axG",@progbits,_ZN7rocprim17ROCPRIM_400000_NS6detail17trampoline_kernelINS0_14default_configENS1_25partition_config_selectorILNS1_17partition_subalgoE9EffbEEZZNS1_14partition_implILS5_9ELb0ES3_jN6thrust23THRUST_200600_302600_NS6detail15normal_iteratorINS9_10device_ptrIfEEEESE_PNS0_10empty_typeENS0_5tupleIJSE_SF_EEENSH_IJSE_SG_EEENS0_18inequality_wrapperI22is_equal_div_10_uniqueIfEEEPmJSF_EEE10hipError_tPvRmT3_T4_T5_T6_T7_T9_mT8_P12ihipStream_tbDpT10_ENKUlT_T0_E_clISt17integral_constantIbLb0EES18_EEDaS13_S14_EUlS13_E_NS1_11comp_targetILNS1_3genE9ELNS1_11target_archE1100ELNS1_3gpuE3ELNS1_3repE0EEENS1_30default_config_static_selectorELNS0_4arch9wavefront6targetE0EEEvT1_,comdat
.Lfunc_end118:
	.size	_ZN7rocprim17ROCPRIM_400000_NS6detail17trampoline_kernelINS0_14default_configENS1_25partition_config_selectorILNS1_17partition_subalgoE9EffbEEZZNS1_14partition_implILS5_9ELb0ES3_jN6thrust23THRUST_200600_302600_NS6detail15normal_iteratorINS9_10device_ptrIfEEEESE_PNS0_10empty_typeENS0_5tupleIJSE_SF_EEENSH_IJSE_SG_EEENS0_18inequality_wrapperI22is_equal_div_10_uniqueIfEEEPmJSF_EEE10hipError_tPvRmT3_T4_T5_T6_T7_T9_mT8_P12ihipStream_tbDpT10_ENKUlT_T0_E_clISt17integral_constantIbLb0EES18_EEDaS13_S14_EUlS13_E_NS1_11comp_targetILNS1_3genE9ELNS1_11target_archE1100ELNS1_3gpuE3ELNS1_3repE0EEENS1_30default_config_static_selectorELNS0_4arch9wavefront6targetE0EEEvT1_, .Lfunc_end118-_ZN7rocprim17ROCPRIM_400000_NS6detail17trampoline_kernelINS0_14default_configENS1_25partition_config_selectorILNS1_17partition_subalgoE9EffbEEZZNS1_14partition_implILS5_9ELb0ES3_jN6thrust23THRUST_200600_302600_NS6detail15normal_iteratorINS9_10device_ptrIfEEEESE_PNS0_10empty_typeENS0_5tupleIJSE_SF_EEENSH_IJSE_SG_EEENS0_18inequality_wrapperI22is_equal_div_10_uniqueIfEEEPmJSF_EEE10hipError_tPvRmT3_T4_T5_T6_T7_T9_mT8_P12ihipStream_tbDpT10_ENKUlT_T0_E_clISt17integral_constantIbLb0EES18_EEDaS13_S14_EUlS13_E_NS1_11comp_targetILNS1_3genE9ELNS1_11target_archE1100ELNS1_3gpuE3ELNS1_3repE0EEENS1_30default_config_static_selectorELNS0_4arch9wavefront6targetE0EEEvT1_
                                        ; -- End function
	.section	.AMDGPU.csdata,"",@progbits
; Kernel info:
; codeLenInByte = 10868
; NumSgprs: 27
; NumVgprs: 51
; ScratchSize: 0
; MemoryBound: 0
; FloatMode: 240
; IeeeMode: 1
; LDSByteSize: 12680 bytes/workgroup (compile time only)
; SGPRBlocks: 3
; VGPRBlocks: 6
; NumSGPRsForWavesPerEU: 27
; NumVGPRsForWavesPerEU: 51
; Occupancy: 15
; WaveLimiterHint : 1
; COMPUTE_PGM_RSRC2:SCRATCH_EN: 0
; COMPUTE_PGM_RSRC2:USER_SGPR: 15
; COMPUTE_PGM_RSRC2:TRAP_HANDLER: 0
; COMPUTE_PGM_RSRC2:TGID_X_EN: 1
; COMPUTE_PGM_RSRC2:TGID_Y_EN: 0
; COMPUTE_PGM_RSRC2:TGID_Z_EN: 0
; COMPUTE_PGM_RSRC2:TIDIG_COMP_CNT: 0
	.section	.text._ZN7rocprim17ROCPRIM_400000_NS6detail17trampoline_kernelINS0_14default_configENS1_25partition_config_selectorILNS1_17partition_subalgoE9EffbEEZZNS1_14partition_implILS5_9ELb0ES3_jN6thrust23THRUST_200600_302600_NS6detail15normal_iteratorINS9_10device_ptrIfEEEESE_PNS0_10empty_typeENS0_5tupleIJSE_SF_EEENSH_IJSE_SG_EEENS0_18inequality_wrapperI22is_equal_div_10_uniqueIfEEEPmJSF_EEE10hipError_tPvRmT3_T4_T5_T6_T7_T9_mT8_P12ihipStream_tbDpT10_ENKUlT_T0_E_clISt17integral_constantIbLb0EES18_EEDaS13_S14_EUlS13_E_NS1_11comp_targetILNS1_3genE8ELNS1_11target_archE1030ELNS1_3gpuE2ELNS1_3repE0EEENS1_30default_config_static_selectorELNS0_4arch9wavefront6targetE0EEEvT1_,"axG",@progbits,_ZN7rocprim17ROCPRIM_400000_NS6detail17trampoline_kernelINS0_14default_configENS1_25partition_config_selectorILNS1_17partition_subalgoE9EffbEEZZNS1_14partition_implILS5_9ELb0ES3_jN6thrust23THRUST_200600_302600_NS6detail15normal_iteratorINS9_10device_ptrIfEEEESE_PNS0_10empty_typeENS0_5tupleIJSE_SF_EEENSH_IJSE_SG_EEENS0_18inequality_wrapperI22is_equal_div_10_uniqueIfEEEPmJSF_EEE10hipError_tPvRmT3_T4_T5_T6_T7_T9_mT8_P12ihipStream_tbDpT10_ENKUlT_T0_E_clISt17integral_constantIbLb0EES18_EEDaS13_S14_EUlS13_E_NS1_11comp_targetILNS1_3genE8ELNS1_11target_archE1030ELNS1_3gpuE2ELNS1_3repE0EEENS1_30default_config_static_selectorELNS0_4arch9wavefront6targetE0EEEvT1_,comdat
	.protected	_ZN7rocprim17ROCPRIM_400000_NS6detail17trampoline_kernelINS0_14default_configENS1_25partition_config_selectorILNS1_17partition_subalgoE9EffbEEZZNS1_14partition_implILS5_9ELb0ES3_jN6thrust23THRUST_200600_302600_NS6detail15normal_iteratorINS9_10device_ptrIfEEEESE_PNS0_10empty_typeENS0_5tupleIJSE_SF_EEENSH_IJSE_SG_EEENS0_18inequality_wrapperI22is_equal_div_10_uniqueIfEEEPmJSF_EEE10hipError_tPvRmT3_T4_T5_T6_T7_T9_mT8_P12ihipStream_tbDpT10_ENKUlT_T0_E_clISt17integral_constantIbLb0EES18_EEDaS13_S14_EUlS13_E_NS1_11comp_targetILNS1_3genE8ELNS1_11target_archE1030ELNS1_3gpuE2ELNS1_3repE0EEENS1_30default_config_static_selectorELNS0_4arch9wavefront6targetE0EEEvT1_ ; -- Begin function _ZN7rocprim17ROCPRIM_400000_NS6detail17trampoline_kernelINS0_14default_configENS1_25partition_config_selectorILNS1_17partition_subalgoE9EffbEEZZNS1_14partition_implILS5_9ELb0ES3_jN6thrust23THRUST_200600_302600_NS6detail15normal_iteratorINS9_10device_ptrIfEEEESE_PNS0_10empty_typeENS0_5tupleIJSE_SF_EEENSH_IJSE_SG_EEENS0_18inequality_wrapperI22is_equal_div_10_uniqueIfEEEPmJSF_EEE10hipError_tPvRmT3_T4_T5_T6_T7_T9_mT8_P12ihipStream_tbDpT10_ENKUlT_T0_E_clISt17integral_constantIbLb0EES18_EEDaS13_S14_EUlS13_E_NS1_11comp_targetILNS1_3genE8ELNS1_11target_archE1030ELNS1_3gpuE2ELNS1_3repE0EEENS1_30default_config_static_selectorELNS0_4arch9wavefront6targetE0EEEvT1_
	.globl	_ZN7rocprim17ROCPRIM_400000_NS6detail17trampoline_kernelINS0_14default_configENS1_25partition_config_selectorILNS1_17partition_subalgoE9EffbEEZZNS1_14partition_implILS5_9ELb0ES3_jN6thrust23THRUST_200600_302600_NS6detail15normal_iteratorINS9_10device_ptrIfEEEESE_PNS0_10empty_typeENS0_5tupleIJSE_SF_EEENSH_IJSE_SG_EEENS0_18inequality_wrapperI22is_equal_div_10_uniqueIfEEEPmJSF_EEE10hipError_tPvRmT3_T4_T5_T6_T7_T9_mT8_P12ihipStream_tbDpT10_ENKUlT_T0_E_clISt17integral_constantIbLb0EES18_EEDaS13_S14_EUlS13_E_NS1_11comp_targetILNS1_3genE8ELNS1_11target_archE1030ELNS1_3gpuE2ELNS1_3repE0EEENS1_30default_config_static_selectorELNS0_4arch9wavefront6targetE0EEEvT1_
	.p2align	8
	.type	_ZN7rocprim17ROCPRIM_400000_NS6detail17trampoline_kernelINS0_14default_configENS1_25partition_config_selectorILNS1_17partition_subalgoE9EffbEEZZNS1_14partition_implILS5_9ELb0ES3_jN6thrust23THRUST_200600_302600_NS6detail15normal_iteratorINS9_10device_ptrIfEEEESE_PNS0_10empty_typeENS0_5tupleIJSE_SF_EEENSH_IJSE_SG_EEENS0_18inequality_wrapperI22is_equal_div_10_uniqueIfEEEPmJSF_EEE10hipError_tPvRmT3_T4_T5_T6_T7_T9_mT8_P12ihipStream_tbDpT10_ENKUlT_T0_E_clISt17integral_constantIbLb0EES18_EEDaS13_S14_EUlS13_E_NS1_11comp_targetILNS1_3genE8ELNS1_11target_archE1030ELNS1_3gpuE2ELNS1_3repE0EEENS1_30default_config_static_selectorELNS0_4arch9wavefront6targetE0EEEvT1_,@function
_ZN7rocprim17ROCPRIM_400000_NS6detail17trampoline_kernelINS0_14default_configENS1_25partition_config_selectorILNS1_17partition_subalgoE9EffbEEZZNS1_14partition_implILS5_9ELb0ES3_jN6thrust23THRUST_200600_302600_NS6detail15normal_iteratorINS9_10device_ptrIfEEEESE_PNS0_10empty_typeENS0_5tupleIJSE_SF_EEENSH_IJSE_SG_EEENS0_18inequality_wrapperI22is_equal_div_10_uniqueIfEEEPmJSF_EEE10hipError_tPvRmT3_T4_T5_T6_T7_T9_mT8_P12ihipStream_tbDpT10_ENKUlT_T0_E_clISt17integral_constantIbLb0EES18_EEDaS13_S14_EUlS13_E_NS1_11comp_targetILNS1_3genE8ELNS1_11target_archE1030ELNS1_3gpuE2ELNS1_3repE0EEENS1_30default_config_static_selectorELNS0_4arch9wavefront6targetE0EEEvT1_: ; @_ZN7rocprim17ROCPRIM_400000_NS6detail17trampoline_kernelINS0_14default_configENS1_25partition_config_selectorILNS1_17partition_subalgoE9EffbEEZZNS1_14partition_implILS5_9ELb0ES3_jN6thrust23THRUST_200600_302600_NS6detail15normal_iteratorINS9_10device_ptrIfEEEESE_PNS0_10empty_typeENS0_5tupleIJSE_SF_EEENSH_IJSE_SG_EEENS0_18inequality_wrapperI22is_equal_div_10_uniqueIfEEEPmJSF_EEE10hipError_tPvRmT3_T4_T5_T6_T7_T9_mT8_P12ihipStream_tbDpT10_ENKUlT_T0_E_clISt17integral_constantIbLb0EES18_EEDaS13_S14_EUlS13_E_NS1_11comp_targetILNS1_3genE8ELNS1_11target_archE1030ELNS1_3gpuE2ELNS1_3repE0EEENS1_30default_config_static_selectorELNS0_4arch9wavefront6targetE0EEEvT1_
; %bb.0:
	.section	.rodata,"a",@progbits
	.p2align	6, 0x0
	.amdhsa_kernel _ZN7rocprim17ROCPRIM_400000_NS6detail17trampoline_kernelINS0_14default_configENS1_25partition_config_selectorILNS1_17partition_subalgoE9EffbEEZZNS1_14partition_implILS5_9ELb0ES3_jN6thrust23THRUST_200600_302600_NS6detail15normal_iteratorINS9_10device_ptrIfEEEESE_PNS0_10empty_typeENS0_5tupleIJSE_SF_EEENSH_IJSE_SG_EEENS0_18inequality_wrapperI22is_equal_div_10_uniqueIfEEEPmJSF_EEE10hipError_tPvRmT3_T4_T5_T6_T7_T9_mT8_P12ihipStream_tbDpT10_ENKUlT_T0_E_clISt17integral_constantIbLb0EES18_EEDaS13_S14_EUlS13_E_NS1_11comp_targetILNS1_3genE8ELNS1_11target_archE1030ELNS1_3gpuE2ELNS1_3repE0EEENS1_30default_config_static_selectorELNS0_4arch9wavefront6targetE0EEEvT1_
		.amdhsa_group_segment_fixed_size 0
		.amdhsa_private_segment_fixed_size 0
		.amdhsa_kernarg_size 112
		.amdhsa_user_sgpr_count 15
		.amdhsa_user_sgpr_dispatch_ptr 0
		.amdhsa_user_sgpr_queue_ptr 0
		.amdhsa_user_sgpr_kernarg_segment_ptr 1
		.amdhsa_user_sgpr_dispatch_id 0
		.amdhsa_user_sgpr_private_segment_size 0
		.amdhsa_wavefront_size32 1
		.amdhsa_uses_dynamic_stack 0
		.amdhsa_enable_private_segment 0
		.amdhsa_system_sgpr_workgroup_id_x 1
		.amdhsa_system_sgpr_workgroup_id_y 0
		.amdhsa_system_sgpr_workgroup_id_z 0
		.amdhsa_system_sgpr_workgroup_info 0
		.amdhsa_system_vgpr_workitem_id 0
		.amdhsa_next_free_vgpr 1
		.amdhsa_next_free_sgpr 1
		.amdhsa_reserve_vcc 0
		.amdhsa_float_round_mode_32 0
		.amdhsa_float_round_mode_16_64 0
		.amdhsa_float_denorm_mode_32 3
		.amdhsa_float_denorm_mode_16_64 3
		.amdhsa_dx10_clamp 1
		.amdhsa_ieee_mode 1
		.amdhsa_fp16_overflow 0
		.amdhsa_workgroup_processor_mode 1
		.amdhsa_memory_ordered 1
		.amdhsa_forward_progress 0
		.amdhsa_shared_vgpr_count 0
		.amdhsa_exception_fp_ieee_invalid_op 0
		.amdhsa_exception_fp_denorm_src 0
		.amdhsa_exception_fp_ieee_div_zero 0
		.amdhsa_exception_fp_ieee_overflow 0
		.amdhsa_exception_fp_ieee_underflow 0
		.amdhsa_exception_fp_ieee_inexact 0
		.amdhsa_exception_int_div_zero 0
	.end_amdhsa_kernel
	.section	.text._ZN7rocprim17ROCPRIM_400000_NS6detail17trampoline_kernelINS0_14default_configENS1_25partition_config_selectorILNS1_17partition_subalgoE9EffbEEZZNS1_14partition_implILS5_9ELb0ES3_jN6thrust23THRUST_200600_302600_NS6detail15normal_iteratorINS9_10device_ptrIfEEEESE_PNS0_10empty_typeENS0_5tupleIJSE_SF_EEENSH_IJSE_SG_EEENS0_18inequality_wrapperI22is_equal_div_10_uniqueIfEEEPmJSF_EEE10hipError_tPvRmT3_T4_T5_T6_T7_T9_mT8_P12ihipStream_tbDpT10_ENKUlT_T0_E_clISt17integral_constantIbLb0EES18_EEDaS13_S14_EUlS13_E_NS1_11comp_targetILNS1_3genE8ELNS1_11target_archE1030ELNS1_3gpuE2ELNS1_3repE0EEENS1_30default_config_static_selectorELNS0_4arch9wavefront6targetE0EEEvT1_,"axG",@progbits,_ZN7rocprim17ROCPRIM_400000_NS6detail17trampoline_kernelINS0_14default_configENS1_25partition_config_selectorILNS1_17partition_subalgoE9EffbEEZZNS1_14partition_implILS5_9ELb0ES3_jN6thrust23THRUST_200600_302600_NS6detail15normal_iteratorINS9_10device_ptrIfEEEESE_PNS0_10empty_typeENS0_5tupleIJSE_SF_EEENSH_IJSE_SG_EEENS0_18inequality_wrapperI22is_equal_div_10_uniqueIfEEEPmJSF_EEE10hipError_tPvRmT3_T4_T5_T6_T7_T9_mT8_P12ihipStream_tbDpT10_ENKUlT_T0_E_clISt17integral_constantIbLb0EES18_EEDaS13_S14_EUlS13_E_NS1_11comp_targetILNS1_3genE8ELNS1_11target_archE1030ELNS1_3gpuE2ELNS1_3repE0EEENS1_30default_config_static_selectorELNS0_4arch9wavefront6targetE0EEEvT1_,comdat
.Lfunc_end119:
	.size	_ZN7rocprim17ROCPRIM_400000_NS6detail17trampoline_kernelINS0_14default_configENS1_25partition_config_selectorILNS1_17partition_subalgoE9EffbEEZZNS1_14partition_implILS5_9ELb0ES3_jN6thrust23THRUST_200600_302600_NS6detail15normal_iteratorINS9_10device_ptrIfEEEESE_PNS0_10empty_typeENS0_5tupleIJSE_SF_EEENSH_IJSE_SG_EEENS0_18inequality_wrapperI22is_equal_div_10_uniqueIfEEEPmJSF_EEE10hipError_tPvRmT3_T4_T5_T6_T7_T9_mT8_P12ihipStream_tbDpT10_ENKUlT_T0_E_clISt17integral_constantIbLb0EES18_EEDaS13_S14_EUlS13_E_NS1_11comp_targetILNS1_3genE8ELNS1_11target_archE1030ELNS1_3gpuE2ELNS1_3repE0EEENS1_30default_config_static_selectorELNS0_4arch9wavefront6targetE0EEEvT1_, .Lfunc_end119-_ZN7rocprim17ROCPRIM_400000_NS6detail17trampoline_kernelINS0_14default_configENS1_25partition_config_selectorILNS1_17partition_subalgoE9EffbEEZZNS1_14partition_implILS5_9ELb0ES3_jN6thrust23THRUST_200600_302600_NS6detail15normal_iteratorINS9_10device_ptrIfEEEESE_PNS0_10empty_typeENS0_5tupleIJSE_SF_EEENSH_IJSE_SG_EEENS0_18inequality_wrapperI22is_equal_div_10_uniqueIfEEEPmJSF_EEE10hipError_tPvRmT3_T4_T5_T6_T7_T9_mT8_P12ihipStream_tbDpT10_ENKUlT_T0_E_clISt17integral_constantIbLb0EES18_EEDaS13_S14_EUlS13_E_NS1_11comp_targetILNS1_3genE8ELNS1_11target_archE1030ELNS1_3gpuE2ELNS1_3repE0EEENS1_30default_config_static_selectorELNS0_4arch9wavefront6targetE0EEEvT1_
                                        ; -- End function
	.section	.AMDGPU.csdata,"",@progbits
; Kernel info:
; codeLenInByte = 0
; NumSgprs: 0
; NumVgprs: 0
; ScratchSize: 0
; MemoryBound: 0
; FloatMode: 240
; IeeeMode: 1
; LDSByteSize: 0 bytes/workgroup (compile time only)
; SGPRBlocks: 0
; VGPRBlocks: 0
; NumSGPRsForWavesPerEU: 1
; NumVGPRsForWavesPerEU: 1
; Occupancy: 16
; WaveLimiterHint : 0
; COMPUTE_PGM_RSRC2:SCRATCH_EN: 0
; COMPUTE_PGM_RSRC2:USER_SGPR: 15
; COMPUTE_PGM_RSRC2:TRAP_HANDLER: 0
; COMPUTE_PGM_RSRC2:TGID_X_EN: 1
; COMPUTE_PGM_RSRC2:TGID_Y_EN: 0
; COMPUTE_PGM_RSRC2:TGID_Z_EN: 0
; COMPUTE_PGM_RSRC2:TIDIG_COMP_CNT: 0
	.section	.text._ZN7rocprim17ROCPRIM_400000_NS6detail17trampoline_kernelINS0_14default_configENS1_25partition_config_selectorILNS1_17partition_subalgoE9EffbEEZZNS1_14partition_implILS5_9ELb0ES3_jN6thrust23THRUST_200600_302600_NS6detail15normal_iteratorINS9_10device_ptrIfEEEESE_PNS0_10empty_typeENS0_5tupleIJSE_SF_EEENSH_IJSE_SG_EEENS0_18inequality_wrapperI22is_equal_div_10_uniqueIfEEEPmJSF_EEE10hipError_tPvRmT3_T4_T5_T6_T7_T9_mT8_P12ihipStream_tbDpT10_ENKUlT_T0_E_clISt17integral_constantIbLb1EES18_EEDaS13_S14_EUlS13_E_NS1_11comp_targetILNS1_3genE0ELNS1_11target_archE4294967295ELNS1_3gpuE0ELNS1_3repE0EEENS1_30default_config_static_selectorELNS0_4arch9wavefront6targetE0EEEvT1_,"axG",@progbits,_ZN7rocprim17ROCPRIM_400000_NS6detail17trampoline_kernelINS0_14default_configENS1_25partition_config_selectorILNS1_17partition_subalgoE9EffbEEZZNS1_14partition_implILS5_9ELb0ES3_jN6thrust23THRUST_200600_302600_NS6detail15normal_iteratorINS9_10device_ptrIfEEEESE_PNS0_10empty_typeENS0_5tupleIJSE_SF_EEENSH_IJSE_SG_EEENS0_18inequality_wrapperI22is_equal_div_10_uniqueIfEEEPmJSF_EEE10hipError_tPvRmT3_T4_T5_T6_T7_T9_mT8_P12ihipStream_tbDpT10_ENKUlT_T0_E_clISt17integral_constantIbLb1EES18_EEDaS13_S14_EUlS13_E_NS1_11comp_targetILNS1_3genE0ELNS1_11target_archE4294967295ELNS1_3gpuE0ELNS1_3repE0EEENS1_30default_config_static_selectorELNS0_4arch9wavefront6targetE0EEEvT1_,comdat
	.protected	_ZN7rocprim17ROCPRIM_400000_NS6detail17trampoline_kernelINS0_14default_configENS1_25partition_config_selectorILNS1_17partition_subalgoE9EffbEEZZNS1_14partition_implILS5_9ELb0ES3_jN6thrust23THRUST_200600_302600_NS6detail15normal_iteratorINS9_10device_ptrIfEEEESE_PNS0_10empty_typeENS0_5tupleIJSE_SF_EEENSH_IJSE_SG_EEENS0_18inequality_wrapperI22is_equal_div_10_uniqueIfEEEPmJSF_EEE10hipError_tPvRmT3_T4_T5_T6_T7_T9_mT8_P12ihipStream_tbDpT10_ENKUlT_T0_E_clISt17integral_constantIbLb1EES18_EEDaS13_S14_EUlS13_E_NS1_11comp_targetILNS1_3genE0ELNS1_11target_archE4294967295ELNS1_3gpuE0ELNS1_3repE0EEENS1_30default_config_static_selectorELNS0_4arch9wavefront6targetE0EEEvT1_ ; -- Begin function _ZN7rocprim17ROCPRIM_400000_NS6detail17trampoline_kernelINS0_14default_configENS1_25partition_config_selectorILNS1_17partition_subalgoE9EffbEEZZNS1_14partition_implILS5_9ELb0ES3_jN6thrust23THRUST_200600_302600_NS6detail15normal_iteratorINS9_10device_ptrIfEEEESE_PNS0_10empty_typeENS0_5tupleIJSE_SF_EEENSH_IJSE_SG_EEENS0_18inequality_wrapperI22is_equal_div_10_uniqueIfEEEPmJSF_EEE10hipError_tPvRmT3_T4_T5_T6_T7_T9_mT8_P12ihipStream_tbDpT10_ENKUlT_T0_E_clISt17integral_constantIbLb1EES18_EEDaS13_S14_EUlS13_E_NS1_11comp_targetILNS1_3genE0ELNS1_11target_archE4294967295ELNS1_3gpuE0ELNS1_3repE0EEENS1_30default_config_static_selectorELNS0_4arch9wavefront6targetE0EEEvT1_
	.globl	_ZN7rocprim17ROCPRIM_400000_NS6detail17trampoline_kernelINS0_14default_configENS1_25partition_config_selectorILNS1_17partition_subalgoE9EffbEEZZNS1_14partition_implILS5_9ELb0ES3_jN6thrust23THRUST_200600_302600_NS6detail15normal_iteratorINS9_10device_ptrIfEEEESE_PNS0_10empty_typeENS0_5tupleIJSE_SF_EEENSH_IJSE_SG_EEENS0_18inequality_wrapperI22is_equal_div_10_uniqueIfEEEPmJSF_EEE10hipError_tPvRmT3_T4_T5_T6_T7_T9_mT8_P12ihipStream_tbDpT10_ENKUlT_T0_E_clISt17integral_constantIbLb1EES18_EEDaS13_S14_EUlS13_E_NS1_11comp_targetILNS1_3genE0ELNS1_11target_archE4294967295ELNS1_3gpuE0ELNS1_3repE0EEENS1_30default_config_static_selectorELNS0_4arch9wavefront6targetE0EEEvT1_
	.p2align	8
	.type	_ZN7rocprim17ROCPRIM_400000_NS6detail17trampoline_kernelINS0_14default_configENS1_25partition_config_selectorILNS1_17partition_subalgoE9EffbEEZZNS1_14partition_implILS5_9ELb0ES3_jN6thrust23THRUST_200600_302600_NS6detail15normal_iteratorINS9_10device_ptrIfEEEESE_PNS0_10empty_typeENS0_5tupleIJSE_SF_EEENSH_IJSE_SG_EEENS0_18inequality_wrapperI22is_equal_div_10_uniqueIfEEEPmJSF_EEE10hipError_tPvRmT3_T4_T5_T6_T7_T9_mT8_P12ihipStream_tbDpT10_ENKUlT_T0_E_clISt17integral_constantIbLb1EES18_EEDaS13_S14_EUlS13_E_NS1_11comp_targetILNS1_3genE0ELNS1_11target_archE4294967295ELNS1_3gpuE0ELNS1_3repE0EEENS1_30default_config_static_selectorELNS0_4arch9wavefront6targetE0EEEvT1_,@function
_ZN7rocprim17ROCPRIM_400000_NS6detail17trampoline_kernelINS0_14default_configENS1_25partition_config_selectorILNS1_17partition_subalgoE9EffbEEZZNS1_14partition_implILS5_9ELb0ES3_jN6thrust23THRUST_200600_302600_NS6detail15normal_iteratorINS9_10device_ptrIfEEEESE_PNS0_10empty_typeENS0_5tupleIJSE_SF_EEENSH_IJSE_SG_EEENS0_18inequality_wrapperI22is_equal_div_10_uniqueIfEEEPmJSF_EEE10hipError_tPvRmT3_T4_T5_T6_T7_T9_mT8_P12ihipStream_tbDpT10_ENKUlT_T0_E_clISt17integral_constantIbLb1EES18_EEDaS13_S14_EUlS13_E_NS1_11comp_targetILNS1_3genE0ELNS1_11target_archE4294967295ELNS1_3gpuE0ELNS1_3repE0EEENS1_30default_config_static_selectorELNS0_4arch9wavefront6targetE0EEEvT1_: ; @_ZN7rocprim17ROCPRIM_400000_NS6detail17trampoline_kernelINS0_14default_configENS1_25partition_config_selectorILNS1_17partition_subalgoE9EffbEEZZNS1_14partition_implILS5_9ELb0ES3_jN6thrust23THRUST_200600_302600_NS6detail15normal_iteratorINS9_10device_ptrIfEEEESE_PNS0_10empty_typeENS0_5tupleIJSE_SF_EEENSH_IJSE_SG_EEENS0_18inequality_wrapperI22is_equal_div_10_uniqueIfEEEPmJSF_EEE10hipError_tPvRmT3_T4_T5_T6_T7_T9_mT8_P12ihipStream_tbDpT10_ENKUlT_T0_E_clISt17integral_constantIbLb1EES18_EEDaS13_S14_EUlS13_E_NS1_11comp_targetILNS1_3genE0ELNS1_11target_archE4294967295ELNS1_3gpuE0ELNS1_3repE0EEENS1_30default_config_static_selectorELNS0_4arch9wavefront6targetE0EEEvT1_
; %bb.0:
	.section	.rodata,"a",@progbits
	.p2align	6, 0x0
	.amdhsa_kernel _ZN7rocprim17ROCPRIM_400000_NS6detail17trampoline_kernelINS0_14default_configENS1_25partition_config_selectorILNS1_17partition_subalgoE9EffbEEZZNS1_14partition_implILS5_9ELb0ES3_jN6thrust23THRUST_200600_302600_NS6detail15normal_iteratorINS9_10device_ptrIfEEEESE_PNS0_10empty_typeENS0_5tupleIJSE_SF_EEENSH_IJSE_SG_EEENS0_18inequality_wrapperI22is_equal_div_10_uniqueIfEEEPmJSF_EEE10hipError_tPvRmT3_T4_T5_T6_T7_T9_mT8_P12ihipStream_tbDpT10_ENKUlT_T0_E_clISt17integral_constantIbLb1EES18_EEDaS13_S14_EUlS13_E_NS1_11comp_targetILNS1_3genE0ELNS1_11target_archE4294967295ELNS1_3gpuE0ELNS1_3repE0EEENS1_30default_config_static_selectorELNS0_4arch9wavefront6targetE0EEEvT1_
		.amdhsa_group_segment_fixed_size 0
		.amdhsa_private_segment_fixed_size 0
		.amdhsa_kernarg_size 128
		.amdhsa_user_sgpr_count 15
		.amdhsa_user_sgpr_dispatch_ptr 0
		.amdhsa_user_sgpr_queue_ptr 0
		.amdhsa_user_sgpr_kernarg_segment_ptr 1
		.amdhsa_user_sgpr_dispatch_id 0
		.amdhsa_user_sgpr_private_segment_size 0
		.amdhsa_wavefront_size32 1
		.amdhsa_uses_dynamic_stack 0
		.amdhsa_enable_private_segment 0
		.amdhsa_system_sgpr_workgroup_id_x 1
		.amdhsa_system_sgpr_workgroup_id_y 0
		.amdhsa_system_sgpr_workgroup_id_z 0
		.amdhsa_system_sgpr_workgroup_info 0
		.amdhsa_system_vgpr_workitem_id 0
		.amdhsa_next_free_vgpr 1
		.amdhsa_next_free_sgpr 1
		.amdhsa_reserve_vcc 0
		.amdhsa_float_round_mode_32 0
		.amdhsa_float_round_mode_16_64 0
		.amdhsa_float_denorm_mode_32 3
		.amdhsa_float_denorm_mode_16_64 3
		.amdhsa_dx10_clamp 1
		.amdhsa_ieee_mode 1
		.amdhsa_fp16_overflow 0
		.amdhsa_workgroup_processor_mode 1
		.amdhsa_memory_ordered 1
		.amdhsa_forward_progress 0
		.amdhsa_shared_vgpr_count 0
		.amdhsa_exception_fp_ieee_invalid_op 0
		.amdhsa_exception_fp_denorm_src 0
		.amdhsa_exception_fp_ieee_div_zero 0
		.amdhsa_exception_fp_ieee_overflow 0
		.amdhsa_exception_fp_ieee_underflow 0
		.amdhsa_exception_fp_ieee_inexact 0
		.amdhsa_exception_int_div_zero 0
	.end_amdhsa_kernel
	.section	.text._ZN7rocprim17ROCPRIM_400000_NS6detail17trampoline_kernelINS0_14default_configENS1_25partition_config_selectorILNS1_17partition_subalgoE9EffbEEZZNS1_14partition_implILS5_9ELb0ES3_jN6thrust23THRUST_200600_302600_NS6detail15normal_iteratorINS9_10device_ptrIfEEEESE_PNS0_10empty_typeENS0_5tupleIJSE_SF_EEENSH_IJSE_SG_EEENS0_18inequality_wrapperI22is_equal_div_10_uniqueIfEEEPmJSF_EEE10hipError_tPvRmT3_T4_T5_T6_T7_T9_mT8_P12ihipStream_tbDpT10_ENKUlT_T0_E_clISt17integral_constantIbLb1EES18_EEDaS13_S14_EUlS13_E_NS1_11comp_targetILNS1_3genE0ELNS1_11target_archE4294967295ELNS1_3gpuE0ELNS1_3repE0EEENS1_30default_config_static_selectorELNS0_4arch9wavefront6targetE0EEEvT1_,"axG",@progbits,_ZN7rocprim17ROCPRIM_400000_NS6detail17trampoline_kernelINS0_14default_configENS1_25partition_config_selectorILNS1_17partition_subalgoE9EffbEEZZNS1_14partition_implILS5_9ELb0ES3_jN6thrust23THRUST_200600_302600_NS6detail15normal_iteratorINS9_10device_ptrIfEEEESE_PNS0_10empty_typeENS0_5tupleIJSE_SF_EEENSH_IJSE_SG_EEENS0_18inequality_wrapperI22is_equal_div_10_uniqueIfEEEPmJSF_EEE10hipError_tPvRmT3_T4_T5_T6_T7_T9_mT8_P12ihipStream_tbDpT10_ENKUlT_T0_E_clISt17integral_constantIbLb1EES18_EEDaS13_S14_EUlS13_E_NS1_11comp_targetILNS1_3genE0ELNS1_11target_archE4294967295ELNS1_3gpuE0ELNS1_3repE0EEENS1_30default_config_static_selectorELNS0_4arch9wavefront6targetE0EEEvT1_,comdat
.Lfunc_end120:
	.size	_ZN7rocprim17ROCPRIM_400000_NS6detail17trampoline_kernelINS0_14default_configENS1_25partition_config_selectorILNS1_17partition_subalgoE9EffbEEZZNS1_14partition_implILS5_9ELb0ES3_jN6thrust23THRUST_200600_302600_NS6detail15normal_iteratorINS9_10device_ptrIfEEEESE_PNS0_10empty_typeENS0_5tupleIJSE_SF_EEENSH_IJSE_SG_EEENS0_18inequality_wrapperI22is_equal_div_10_uniqueIfEEEPmJSF_EEE10hipError_tPvRmT3_T4_T5_T6_T7_T9_mT8_P12ihipStream_tbDpT10_ENKUlT_T0_E_clISt17integral_constantIbLb1EES18_EEDaS13_S14_EUlS13_E_NS1_11comp_targetILNS1_3genE0ELNS1_11target_archE4294967295ELNS1_3gpuE0ELNS1_3repE0EEENS1_30default_config_static_selectorELNS0_4arch9wavefront6targetE0EEEvT1_, .Lfunc_end120-_ZN7rocprim17ROCPRIM_400000_NS6detail17trampoline_kernelINS0_14default_configENS1_25partition_config_selectorILNS1_17partition_subalgoE9EffbEEZZNS1_14partition_implILS5_9ELb0ES3_jN6thrust23THRUST_200600_302600_NS6detail15normal_iteratorINS9_10device_ptrIfEEEESE_PNS0_10empty_typeENS0_5tupleIJSE_SF_EEENSH_IJSE_SG_EEENS0_18inequality_wrapperI22is_equal_div_10_uniqueIfEEEPmJSF_EEE10hipError_tPvRmT3_T4_T5_T6_T7_T9_mT8_P12ihipStream_tbDpT10_ENKUlT_T0_E_clISt17integral_constantIbLb1EES18_EEDaS13_S14_EUlS13_E_NS1_11comp_targetILNS1_3genE0ELNS1_11target_archE4294967295ELNS1_3gpuE0ELNS1_3repE0EEENS1_30default_config_static_selectorELNS0_4arch9wavefront6targetE0EEEvT1_
                                        ; -- End function
	.section	.AMDGPU.csdata,"",@progbits
; Kernel info:
; codeLenInByte = 0
; NumSgprs: 0
; NumVgprs: 0
; ScratchSize: 0
; MemoryBound: 0
; FloatMode: 240
; IeeeMode: 1
; LDSByteSize: 0 bytes/workgroup (compile time only)
; SGPRBlocks: 0
; VGPRBlocks: 0
; NumSGPRsForWavesPerEU: 1
; NumVGPRsForWavesPerEU: 1
; Occupancy: 16
; WaveLimiterHint : 0
; COMPUTE_PGM_RSRC2:SCRATCH_EN: 0
; COMPUTE_PGM_RSRC2:USER_SGPR: 15
; COMPUTE_PGM_RSRC2:TRAP_HANDLER: 0
; COMPUTE_PGM_RSRC2:TGID_X_EN: 1
; COMPUTE_PGM_RSRC2:TGID_Y_EN: 0
; COMPUTE_PGM_RSRC2:TGID_Z_EN: 0
; COMPUTE_PGM_RSRC2:TIDIG_COMP_CNT: 0
	.section	.text._ZN7rocprim17ROCPRIM_400000_NS6detail17trampoline_kernelINS0_14default_configENS1_25partition_config_selectorILNS1_17partition_subalgoE9EffbEEZZNS1_14partition_implILS5_9ELb0ES3_jN6thrust23THRUST_200600_302600_NS6detail15normal_iteratorINS9_10device_ptrIfEEEESE_PNS0_10empty_typeENS0_5tupleIJSE_SF_EEENSH_IJSE_SG_EEENS0_18inequality_wrapperI22is_equal_div_10_uniqueIfEEEPmJSF_EEE10hipError_tPvRmT3_T4_T5_T6_T7_T9_mT8_P12ihipStream_tbDpT10_ENKUlT_T0_E_clISt17integral_constantIbLb1EES18_EEDaS13_S14_EUlS13_E_NS1_11comp_targetILNS1_3genE5ELNS1_11target_archE942ELNS1_3gpuE9ELNS1_3repE0EEENS1_30default_config_static_selectorELNS0_4arch9wavefront6targetE0EEEvT1_,"axG",@progbits,_ZN7rocprim17ROCPRIM_400000_NS6detail17trampoline_kernelINS0_14default_configENS1_25partition_config_selectorILNS1_17partition_subalgoE9EffbEEZZNS1_14partition_implILS5_9ELb0ES3_jN6thrust23THRUST_200600_302600_NS6detail15normal_iteratorINS9_10device_ptrIfEEEESE_PNS0_10empty_typeENS0_5tupleIJSE_SF_EEENSH_IJSE_SG_EEENS0_18inequality_wrapperI22is_equal_div_10_uniqueIfEEEPmJSF_EEE10hipError_tPvRmT3_T4_T5_T6_T7_T9_mT8_P12ihipStream_tbDpT10_ENKUlT_T0_E_clISt17integral_constantIbLb1EES18_EEDaS13_S14_EUlS13_E_NS1_11comp_targetILNS1_3genE5ELNS1_11target_archE942ELNS1_3gpuE9ELNS1_3repE0EEENS1_30default_config_static_selectorELNS0_4arch9wavefront6targetE0EEEvT1_,comdat
	.protected	_ZN7rocprim17ROCPRIM_400000_NS6detail17trampoline_kernelINS0_14default_configENS1_25partition_config_selectorILNS1_17partition_subalgoE9EffbEEZZNS1_14partition_implILS5_9ELb0ES3_jN6thrust23THRUST_200600_302600_NS6detail15normal_iteratorINS9_10device_ptrIfEEEESE_PNS0_10empty_typeENS0_5tupleIJSE_SF_EEENSH_IJSE_SG_EEENS0_18inequality_wrapperI22is_equal_div_10_uniqueIfEEEPmJSF_EEE10hipError_tPvRmT3_T4_T5_T6_T7_T9_mT8_P12ihipStream_tbDpT10_ENKUlT_T0_E_clISt17integral_constantIbLb1EES18_EEDaS13_S14_EUlS13_E_NS1_11comp_targetILNS1_3genE5ELNS1_11target_archE942ELNS1_3gpuE9ELNS1_3repE0EEENS1_30default_config_static_selectorELNS0_4arch9wavefront6targetE0EEEvT1_ ; -- Begin function _ZN7rocprim17ROCPRIM_400000_NS6detail17trampoline_kernelINS0_14default_configENS1_25partition_config_selectorILNS1_17partition_subalgoE9EffbEEZZNS1_14partition_implILS5_9ELb0ES3_jN6thrust23THRUST_200600_302600_NS6detail15normal_iteratorINS9_10device_ptrIfEEEESE_PNS0_10empty_typeENS0_5tupleIJSE_SF_EEENSH_IJSE_SG_EEENS0_18inequality_wrapperI22is_equal_div_10_uniqueIfEEEPmJSF_EEE10hipError_tPvRmT3_T4_T5_T6_T7_T9_mT8_P12ihipStream_tbDpT10_ENKUlT_T0_E_clISt17integral_constantIbLb1EES18_EEDaS13_S14_EUlS13_E_NS1_11comp_targetILNS1_3genE5ELNS1_11target_archE942ELNS1_3gpuE9ELNS1_3repE0EEENS1_30default_config_static_selectorELNS0_4arch9wavefront6targetE0EEEvT1_
	.globl	_ZN7rocprim17ROCPRIM_400000_NS6detail17trampoline_kernelINS0_14default_configENS1_25partition_config_selectorILNS1_17partition_subalgoE9EffbEEZZNS1_14partition_implILS5_9ELb0ES3_jN6thrust23THRUST_200600_302600_NS6detail15normal_iteratorINS9_10device_ptrIfEEEESE_PNS0_10empty_typeENS0_5tupleIJSE_SF_EEENSH_IJSE_SG_EEENS0_18inequality_wrapperI22is_equal_div_10_uniqueIfEEEPmJSF_EEE10hipError_tPvRmT3_T4_T5_T6_T7_T9_mT8_P12ihipStream_tbDpT10_ENKUlT_T0_E_clISt17integral_constantIbLb1EES18_EEDaS13_S14_EUlS13_E_NS1_11comp_targetILNS1_3genE5ELNS1_11target_archE942ELNS1_3gpuE9ELNS1_3repE0EEENS1_30default_config_static_selectorELNS0_4arch9wavefront6targetE0EEEvT1_
	.p2align	8
	.type	_ZN7rocprim17ROCPRIM_400000_NS6detail17trampoline_kernelINS0_14default_configENS1_25partition_config_selectorILNS1_17partition_subalgoE9EffbEEZZNS1_14partition_implILS5_9ELb0ES3_jN6thrust23THRUST_200600_302600_NS6detail15normal_iteratorINS9_10device_ptrIfEEEESE_PNS0_10empty_typeENS0_5tupleIJSE_SF_EEENSH_IJSE_SG_EEENS0_18inequality_wrapperI22is_equal_div_10_uniqueIfEEEPmJSF_EEE10hipError_tPvRmT3_T4_T5_T6_T7_T9_mT8_P12ihipStream_tbDpT10_ENKUlT_T0_E_clISt17integral_constantIbLb1EES18_EEDaS13_S14_EUlS13_E_NS1_11comp_targetILNS1_3genE5ELNS1_11target_archE942ELNS1_3gpuE9ELNS1_3repE0EEENS1_30default_config_static_selectorELNS0_4arch9wavefront6targetE0EEEvT1_,@function
_ZN7rocprim17ROCPRIM_400000_NS6detail17trampoline_kernelINS0_14default_configENS1_25partition_config_selectorILNS1_17partition_subalgoE9EffbEEZZNS1_14partition_implILS5_9ELb0ES3_jN6thrust23THRUST_200600_302600_NS6detail15normal_iteratorINS9_10device_ptrIfEEEESE_PNS0_10empty_typeENS0_5tupleIJSE_SF_EEENSH_IJSE_SG_EEENS0_18inequality_wrapperI22is_equal_div_10_uniqueIfEEEPmJSF_EEE10hipError_tPvRmT3_T4_T5_T6_T7_T9_mT8_P12ihipStream_tbDpT10_ENKUlT_T0_E_clISt17integral_constantIbLb1EES18_EEDaS13_S14_EUlS13_E_NS1_11comp_targetILNS1_3genE5ELNS1_11target_archE942ELNS1_3gpuE9ELNS1_3repE0EEENS1_30default_config_static_selectorELNS0_4arch9wavefront6targetE0EEEvT1_: ; @_ZN7rocprim17ROCPRIM_400000_NS6detail17trampoline_kernelINS0_14default_configENS1_25partition_config_selectorILNS1_17partition_subalgoE9EffbEEZZNS1_14partition_implILS5_9ELb0ES3_jN6thrust23THRUST_200600_302600_NS6detail15normal_iteratorINS9_10device_ptrIfEEEESE_PNS0_10empty_typeENS0_5tupleIJSE_SF_EEENSH_IJSE_SG_EEENS0_18inequality_wrapperI22is_equal_div_10_uniqueIfEEEPmJSF_EEE10hipError_tPvRmT3_T4_T5_T6_T7_T9_mT8_P12ihipStream_tbDpT10_ENKUlT_T0_E_clISt17integral_constantIbLb1EES18_EEDaS13_S14_EUlS13_E_NS1_11comp_targetILNS1_3genE5ELNS1_11target_archE942ELNS1_3gpuE9ELNS1_3repE0EEENS1_30default_config_static_selectorELNS0_4arch9wavefront6targetE0EEEvT1_
; %bb.0:
	.section	.rodata,"a",@progbits
	.p2align	6, 0x0
	.amdhsa_kernel _ZN7rocprim17ROCPRIM_400000_NS6detail17trampoline_kernelINS0_14default_configENS1_25partition_config_selectorILNS1_17partition_subalgoE9EffbEEZZNS1_14partition_implILS5_9ELb0ES3_jN6thrust23THRUST_200600_302600_NS6detail15normal_iteratorINS9_10device_ptrIfEEEESE_PNS0_10empty_typeENS0_5tupleIJSE_SF_EEENSH_IJSE_SG_EEENS0_18inequality_wrapperI22is_equal_div_10_uniqueIfEEEPmJSF_EEE10hipError_tPvRmT3_T4_T5_T6_T7_T9_mT8_P12ihipStream_tbDpT10_ENKUlT_T0_E_clISt17integral_constantIbLb1EES18_EEDaS13_S14_EUlS13_E_NS1_11comp_targetILNS1_3genE5ELNS1_11target_archE942ELNS1_3gpuE9ELNS1_3repE0EEENS1_30default_config_static_selectorELNS0_4arch9wavefront6targetE0EEEvT1_
		.amdhsa_group_segment_fixed_size 0
		.amdhsa_private_segment_fixed_size 0
		.amdhsa_kernarg_size 128
		.amdhsa_user_sgpr_count 15
		.amdhsa_user_sgpr_dispatch_ptr 0
		.amdhsa_user_sgpr_queue_ptr 0
		.amdhsa_user_sgpr_kernarg_segment_ptr 1
		.amdhsa_user_sgpr_dispatch_id 0
		.amdhsa_user_sgpr_private_segment_size 0
		.amdhsa_wavefront_size32 1
		.amdhsa_uses_dynamic_stack 0
		.amdhsa_enable_private_segment 0
		.amdhsa_system_sgpr_workgroup_id_x 1
		.amdhsa_system_sgpr_workgroup_id_y 0
		.amdhsa_system_sgpr_workgroup_id_z 0
		.amdhsa_system_sgpr_workgroup_info 0
		.amdhsa_system_vgpr_workitem_id 0
		.amdhsa_next_free_vgpr 1
		.amdhsa_next_free_sgpr 1
		.amdhsa_reserve_vcc 0
		.amdhsa_float_round_mode_32 0
		.amdhsa_float_round_mode_16_64 0
		.amdhsa_float_denorm_mode_32 3
		.amdhsa_float_denorm_mode_16_64 3
		.amdhsa_dx10_clamp 1
		.amdhsa_ieee_mode 1
		.amdhsa_fp16_overflow 0
		.amdhsa_workgroup_processor_mode 1
		.amdhsa_memory_ordered 1
		.amdhsa_forward_progress 0
		.amdhsa_shared_vgpr_count 0
		.amdhsa_exception_fp_ieee_invalid_op 0
		.amdhsa_exception_fp_denorm_src 0
		.amdhsa_exception_fp_ieee_div_zero 0
		.amdhsa_exception_fp_ieee_overflow 0
		.amdhsa_exception_fp_ieee_underflow 0
		.amdhsa_exception_fp_ieee_inexact 0
		.amdhsa_exception_int_div_zero 0
	.end_amdhsa_kernel
	.section	.text._ZN7rocprim17ROCPRIM_400000_NS6detail17trampoline_kernelINS0_14default_configENS1_25partition_config_selectorILNS1_17partition_subalgoE9EffbEEZZNS1_14partition_implILS5_9ELb0ES3_jN6thrust23THRUST_200600_302600_NS6detail15normal_iteratorINS9_10device_ptrIfEEEESE_PNS0_10empty_typeENS0_5tupleIJSE_SF_EEENSH_IJSE_SG_EEENS0_18inequality_wrapperI22is_equal_div_10_uniqueIfEEEPmJSF_EEE10hipError_tPvRmT3_T4_T5_T6_T7_T9_mT8_P12ihipStream_tbDpT10_ENKUlT_T0_E_clISt17integral_constantIbLb1EES18_EEDaS13_S14_EUlS13_E_NS1_11comp_targetILNS1_3genE5ELNS1_11target_archE942ELNS1_3gpuE9ELNS1_3repE0EEENS1_30default_config_static_selectorELNS0_4arch9wavefront6targetE0EEEvT1_,"axG",@progbits,_ZN7rocprim17ROCPRIM_400000_NS6detail17trampoline_kernelINS0_14default_configENS1_25partition_config_selectorILNS1_17partition_subalgoE9EffbEEZZNS1_14partition_implILS5_9ELb0ES3_jN6thrust23THRUST_200600_302600_NS6detail15normal_iteratorINS9_10device_ptrIfEEEESE_PNS0_10empty_typeENS0_5tupleIJSE_SF_EEENSH_IJSE_SG_EEENS0_18inequality_wrapperI22is_equal_div_10_uniqueIfEEEPmJSF_EEE10hipError_tPvRmT3_T4_T5_T6_T7_T9_mT8_P12ihipStream_tbDpT10_ENKUlT_T0_E_clISt17integral_constantIbLb1EES18_EEDaS13_S14_EUlS13_E_NS1_11comp_targetILNS1_3genE5ELNS1_11target_archE942ELNS1_3gpuE9ELNS1_3repE0EEENS1_30default_config_static_selectorELNS0_4arch9wavefront6targetE0EEEvT1_,comdat
.Lfunc_end121:
	.size	_ZN7rocprim17ROCPRIM_400000_NS6detail17trampoline_kernelINS0_14default_configENS1_25partition_config_selectorILNS1_17partition_subalgoE9EffbEEZZNS1_14partition_implILS5_9ELb0ES3_jN6thrust23THRUST_200600_302600_NS6detail15normal_iteratorINS9_10device_ptrIfEEEESE_PNS0_10empty_typeENS0_5tupleIJSE_SF_EEENSH_IJSE_SG_EEENS0_18inequality_wrapperI22is_equal_div_10_uniqueIfEEEPmJSF_EEE10hipError_tPvRmT3_T4_T5_T6_T7_T9_mT8_P12ihipStream_tbDpT10_ENKUlT_T0_E_clISt17integral_constantIbLb1EES18_EEDaS13_S14_EUlS13_E_NS1_11comp_targetILNS1_3genE5ELNS1_11target_archE942ELNS1_3gpuE9ELNS1_3repE0EEENS1_30default_config_static_selectorELNS0_4arch9wavefront6targetE0EEEvT1_, .Lfunc_end121-_ZN7rocprim17ROCPRIM_400000_NS6detail17trampoline_kernelINS0_14default_configENS1_25partition_config_selectorILNS1_17partition_subalgoE9EffbEEZZNS1_14partition_implILS5_9ELb0ES3_jN6thrust23THRUST_200600_302600_NS6detail15normal_iteratorINS9_10device_ptrIfEEEESE_PNS0_10empty_typeENS0_5tupleIJSE_SF_EEENSH_IJSE_SG_EEENS0_18inequality_wrapperI22is_equal_div_10_uniqueIfEEEPmJSF_EEE10hipError_tPvRmT3_T4_T5_T6_T7_T9_mT8_P12ihipStream_tbDpT10_ENKUlT_T0_E_clISt17integral_constantIbLb1EES18_EEDaS13_S14_EUlS13_E_NS1_11comp_targetILNS1_3genE5ELNS1_11target_archE942ELNS1_3gpuE9ELNS1_3repE0EEENS1_30default_config_static_selectorELNS0_4arch9wavefront6targetE0EEEvT1_
                                        ; -- End function
	.section	.AMDGPU.csdata,"",@progbits
; Kernel info:
; codeLenInByte = 0
; NumSgprs: 0
; NumVgprs: 0
; ScratchSize: 0
; MemoryBound: 0
; FloatMode: 240
; IeeeMode: 1
; LDSByteSize: 0 bytes/workgroup (compile time only)
; SGPRBlocks: 0
; VGPRBlocks: 0
; NumSGPRsForWavesPerEU: 1
; NumVGPRsForWavesPerEU: 1
; Occupancy: 16
; WaveLimiterHint : 0
; COMPUTE_PGM_RSRC2:SCRATCH_EN: 0
; COMPUTE_PGM_RSRC2:USER_SGPR: 15
; COMPUTE_PGM_RSRC2:TRAP_HANDLER: 0
; COMPUTE_PGM_RSRC2:TGID_X_EN: 1
; COMPUTE_PGM_RSRC2:TGID_Y_EN: 0
; COMPUTE_PGM_RSRC2:TGID_Z_EN: 0
; COMPUTE_PGM_RSRC2:TIDIG_COMP_CNT: 0
	.section	.text._ZN7rocprim17ROCPRIM_400000_NS6detail17trampoline_kernelINS0_14default_configENS1_25partition_config_selectorILNS1_17partition_subalgoE9EffbEEZZNS1_14partition_implILS5_9ELb0ES3_jN6thrust23THRUST_200600_302600_NS6detail15normal_iteratorINS9_10device_ptrIfEEEESE_PNS0_10empty_typeENS0_5tupleIJSE_SF_EEENSH_IJSE_SG_EEENS0_18inequality_wrapperI22is_equal_div_10_uniqueIfEEEPmJSF_EEE10hipError_tPvRmT3_T4_T5_T6_T7_T9_mT8_P12ihipStream_tbDpT10_ENKUlT_T0_E_clISt17integral_constantIbLb1EES18_EEDaS13_S14_EUlS13_E_NS1_11comp_targetILNS1_3genE4ELNS1_11target_archE910ELNS1_3gpuE8ELNS1_3repE0EEENS1_30default_config_static_selectorELNS0_4arch9wavefront6targetE0EEEvT1_,"axG",@progbits,_ZN7rocprim17ROCPRIM_400000_NS6detail17trampoline_kernelINS0_14default_configENS1_25partition_config_selectorILNS1_17partition_subalgoE9EffbEEZZNS1_14partition_implILS5_9ELb0ES3_jN6thrust23THRUST_200600_302600_NS6detail15normal_iteratorINS9_10device_ptrIfEEEESE_PNS0_10empty_typeENS0_5tupleIJSE_SF_EEENSH_IJSE_SG_EEENS0_18inequality_wrapperI22is_equal_div_10_uniqueIfEEEPmJSF_EEE10hipError_tPvRmT3_T4_T5_T6_T7_T9_mT8_P12ihipStream_tbDpT10_ENKUlT_T0_E_clISt17integral_constantIbLb1EES18_EEDaS13_S14_EUlS13_E_NS1_11comp_targetILNS1_3genE4ELNS1_11target_archE910ELNS1_3gpuE8ELNS1_3repE0EEENS1_30default_config_static_selectorELNS0_4arch9wavefront6targetE0EEEvT1_,comdat
	.protected	_ZN7rocprim17ROCPRIM_400000_NS6detail17trampoline_kernelINS0_14default_configENS1_25partition_config_selectorILNS1_17partition_subalgoE9EffbEEZZNS1_14partition_implILS5_9ELb0ES3_jN6thrust23THRUST_200600_302600_NS6detail15normal_iteratorINS9_10device_ptrIfEEEESE_PNS0_10empty_typeENS0_5tupleIJSE_SF_EEENSH_IJSE_SG_EEENS0_18inequality_wrapperI22is_equal_div_10_uniqueIfEEEPmJSF_EEE10hipError_tPvRmT3_T4_T5_T6_T7_T9_mT8_P12ihipStream_tbDpT10_ENKUlT_T0_E_clISt17integral_constantIbLb1EES18_EEDaS13_S14_EUlS13_E_NS1_11comp_targetILNS1_3genE4ELNS1_11target_archE910ELNS1_3gpuE8ELNS1_3repE0EEENS1_30default_config_static_selectorELNS0_4arch9wavefront6targetE0EEEvT1_ ; -- Begin function _ZN7rocprim17ROCPRIM_400000_NS6detail17trampoline_kernelINS0_14default_configENS1_25partition_config_selectorILNS1_17partition_subalgoE9EffbEEZZNS1_14partition_implILS5_9ELb0ES3_jN6thrust23THRUST_200600_302600_NS6detail15normal_iteratorINS9_10device_ptrIfEEEESE_PNS0_10empty_typeENS0_5tupleIJSE_SF_EEENSH_IJSE_SG_EEENS0_18inequality_wrapperI22is_equal_div_10_uniqueIfEEEPmJSF_EEE10hipError_tPvRmT3_T4_T5_T6_T7_T9_mT8_P12ihipStream_tbDpT10_ENKUlT_T0_E_clISt17integral_constantIbLb1EES18_EEDaS13_S14_EUlS13_E_NS1_11comp_targetILNS1_3genE4ELNS1_11target_archE910ELNS1_3gpuE8ELNS1_3repE0EEENS1_30default_config_static_selectorELNS0_4arch9wavefront6targetE0EEEvT1_
	.globl	_ZN7rocprim17ROCPRIM_400000_NS6detail17trampoline_kernelINS0_14default_configENS1_25partition_config_selectorILNS1_17partition_subalgoE9EffbEEZZNS1_14partition_implILS5_9ELb0ES3_jN6thrust23THRUST_200600_302600_NS6detail15normal_iteratorINS9_10device_ptrIfEEEESE_PNS0_10empty_typeENS0_5tupleIJSE_SF_EEENSH_IJSE_SG_EEENS0_18inequality_wrapperI22is_equal_div_10_uniqueIfEEEPmJSF_EEE10hipError_tPvRmT3_T4_T5_T6_T7_T9_mT8_P12ihipStream_tbDpT10_ENKUlT_T0_E_clISt17integral_constantIbLb1EES18_EEDaS13_S14_EUlS13_E_NS1_11comp_targetILNS1_3genE4ELNS1_11target_archE910ELNS1_3gpuE8ELNS1_3repE0EEENS1_30default_config_static_selectorELNS0_4arch9wavefront6targetE0EEEvT1_
	.p2align	8
	.type	_ZN7rocprim17ROCPRIM_400000_NS6detail17trampoline_kernelINS0_14default_configENS1_25partition_config_selectorILNS1_17partition_subalgoE9EffbEEZZNS1_14partition_implILS5_9ELb0ES3_jN6thrust23THRUST_200600_302600_NS6detail15normal_iteratorINS9_10device_ptrIfEEEESE_PNS0_10empty_typeENS0_5tupleIJSE_SF_EEENSH_IJSE_SG_EEENS0_18inequality_wrapperI22is_equal_div_10_uniqueIfEEEPmJSF_EEE10hipError_tPvRmT3_T4_T5_T6_T7_T9_mT8_P12ihipStream_tbDpT10_ENKUlT_T0_E_clISt17integral_constantIbLb1EES18_EEDaS13_S14_EUlS13_E_NS1_11comp_targetILNS1_3genE4ELNS1_11target_archE910ELNS1_3gpuE8ELNS1_3repE0EEENS1_30default_config_static_selectorELNS0_4arch9wavefront6targetE0EEEvT1_,@function
_ZN7rocprim17ROCPRIM_400000_NS6detail17trampoline_kernelINS0_14default_configENS1_25partition_config_selectorILNS1_17partition_subalgoE9EffbEEZZNS1_14partition_implILS5_9ELb0ES3_jN6thrust23THRUST_200600_302600_NS6detail15normal_iteratorINS9_10device_ptrIfEEEESE_PNS0_10empty_typeENS0_5tupleIJSE_SF_EEENSH_IJSE_SG_EEENS0_18inequality_wrapperI22is_equal_div_10_uniqueIfEEEPmJSF_EEE10hipError_tPvRmT3_T4_T5_T6_T7_T9_mT8_P12ihipStream_tbDpT10_ENKUlT_T0_E_clISt17integral_constantIbLb1EES18_EEDaS13_S14_EUlS13_E_NS1_11comp_targetILNS1_3genE4ELNS1_11target_archE910ELNS1_3gpuE8ELNS1_3repE0EEENS1_30default_config_static_selectorELNS0_4arch9wavefront6targetE0EEEvT1_: ; @_ZN7rocprim17ROCPRIM_400000_NS6detail17trampoline_kernelINS0_14default_configENS1_25partition_config_selectorILNS1_17partition_subalgoE9EffbEEZZNS1_14partition_implILS5_9ELb0ES3_jN6thrust23THRUST_200600_302600_NS6detail15normal_iteratorINS9_10device_ptrIfEEEESE_PNS0_10empty_typeENS0_5tupleIJSE_SF_EEENSH_IJSE_SG_EEENS0_18inequality_wrapperI22is_equal_div_10_uniqueIfEEEPmJSF_EEE10hipError_tPvRmT3_T4_T5_T6_T7_T9_mT8_P12ihipStream_tbDpT10_ENKUlT_T0_E_clISt17integral_constantIbLb1EES18_EEDaS13_S14_EUlS13_E_NS1_11comp_targetILNS1_3genE4ELNS1_11target_archE910ELNS1_3gpuE8ELNS1_3repE0EEENS1_30default_config_static_selectorELNS0_4arch9wavefront6targetE0EEEvT1_
; %bb.0:
	.section	.rodata,"a",@progbits
	.p2align	6, 0x0
	.amdhsa_kernel _ZN7rocprim17ROCPRIM_400000_NS6detail17trampoline_kernelINS0_14default_configENS1_25partition_config_selectorILNS1_17partition_subalgoE9EffbEEZZNS1_14partition_implILS5_9ELb0ES3_jN6thrust23THRUST_200600_302600_NS6detail15normal_iteratorINS9_10device_ptrIfEEEESE_PNS0_10empty_typeENS0_5tupleIJSE_SF_EEENSH_IJSE_SG_EEENS0_18inequality_wrapperI22is_equal_div_10_uniqueIfEEEPmJSF_EEE10hipError_tPvRmT3_T4_T5_T6_T7_T9_mT8_P12ihipStream_tbDpT10_ENKUlT_T0_E_clISt17integral_constantIbLb1EES18_EEDaS13_S14_EUlS13_E_NS1_11comp_targetILNS1_3genE4ELNS1_11target_archE910ELNS1_3gpuE8ELNS1_3repE0EEENS1_30default_config_static_selectorELNS0_4arch9wavefront6targetE0EEEvT1_
		.amdhsa_group_segment_fixed_size 0
		.amdhsa_private_segment_fixed_size 0
		.amdhsa_kernarg_size 128
		.amdhsa_user_sgpr_count 15
		.amdhsa_user_sgpr_dispatch_ptr 0
		.amdhsa_user_sgpr_queue_ptr 0
		.amdhsa_user_sgpr_kernarg_segment_ptr 1
		.amdhsa_user_sgpr_dispatch_id 0
		.amdhsa_user_sgpr_private_segment_size 0
		.amdhsa_wavefront_size32 1
		.amdhsa_uses_dynamic_stack 0
		.amdhsa_enable_private_segment 0
		.amdhsa_system_sgpr_workgroup_id_x 1
		.amdhsa_system_sgpr_workgroup_id_y 0
		.amdhsa_system_sgpr_workgroup_id_z 0
		.amdhsa_system_sgpr_workgroup_info 0
		.amdhsa_system_vgpr_workitem_id 0
		.amdhsa_next_free_vgpr 1
		.amdhsa_next_free_sgpr 1
		.amdhsa_reserve_vcc 0
		.amdhsa_float_round_mode_32 0
		.amdhsa_float_round_mode_16_64 0
		.amdhsa_float_denorm_mode_32 3
		.amdhsa_float_denorm_mode_16_64 3
		.amdhsa_dx10_clamp 1
		.amdhsa_ieee_mode 1
		.amdhsa_fp16_overflow 0
		.amdhsa_workgroup_processor_mode 1
		.amdhsa_memory_ordered 1
		.amdhsa_forward_progress 0
		.amdhsa_shared_vgpr_count 0
		.amdhsa_exception_fp_ieee_invalid_op 0
		.amdhsa_exception_fp_denorm_src 0
		.amdhsa_exception_fp_ieee_div_zero 0
		.amdhsa_exception_fp_ieee_overflow 0
		.amdhsa_exception_fp_ieee_underflow 0
		.amdhsa_exception_fp_ieee_inexact 0
		.amdhsa_exception_int_div_zero 0
	.end_amdhsa_kernel
	.section	.text._ZN7rocprim17ROCPRIM_400000_NS6detail17trampoline_kernelINS0_14default_configENS1_25partition_config_selectorILNS1_17partition_subalgoE9EffbEEZZNS1_14partition_implILS5_9ELb0ES3_jN6thrust23THRUST_200600_302600_NS6detail15normal_iteratorINS9_10device_ptrIfEEEESE_PNS0_10empty_typeENS0_5tupleIJSE_SF_EEENSH_IJSE_SG_EEENS0_18inequality_wrapperI22is_equal_div_10_uniqueIfEEEPmJSF_EEE10hipError_tPvRmT3_T4_T5_T6_T7_T9_mT8_P12ihipStream_tbDpT10_ENKUlT_T0_E_clISt17integral_constantIbLb1EES18_EEDaS13_S14_EUlS13_E_NS1_11comp_targetILNS1_3genE4ELNS1_11target_archE910ELNS1_3gpuE8ELNS1_3repE0EEENS1_30default_config_static_selectorELNS0_4arch9wavefront6targetE0EEEvT1_,"axG",@progbits,_ZN7rocprim17ROCPRIM_400000_NS6detail17trampoline_kernelINS0_14default_configENS1_25partition_config_selectorILNS1_17partition_subalgoE9EffbEEZZNS1_14partition_implILS5_9ELb0ES3_jN6thrust23THRUST_200600_302600_NS6detail15normal_iteratorINS9_10device_ptrIfEEEESE_PNS0_10empty_typeENS0_5tupleIJSE_SF_EEENSH_IJSE_SG_EEENS0_18inequality_wrapperI22is_equal_div_10_uniqueIfEEEPmJSF_EEE10hipError_tPvRmT3_T4_T5_T6_T7_T9_mT8_P12ihipStream_tbDpT10_ENKUlT_T0_E_clISt17integral_constantIbLb1EES18_EEDaS13_S14_EUlS13_E_NS1_11comp_targetILNS1_3genE4ELNS1_11target_archE910ELNS1_3gpuE8ELNS1_3repE0EEENS1_30default_config_static_selectorELNS0_4arch9wavefront6targetE0EEEvT1_,comdat
.Lfunc_end122:
	.size	_ZN7rocprim17ROCPRIM_400000_NS6detail17trampoline_kernelINS0_14default_configENS1_25partition_config_selectorILNS1_17partition_subalgoE9EffbEEZZNS1_14partition_implILS5_9ELb0ES3_jN6thrust23THRUST_200600_302600_NS6detail15normal_iteratorINS9_10device_ptrIfEEEESE_PNS0_10empty_typeENS0_5tupleIJSE_SF_EEENSH_IJSE_SG_EEENS0_18inequality_wrapperI22is_equal_div_10_uniqueIfEEEPmJSF_EEE10hipError_tPvRmT3_T4_T5_T6_T7_T9_mT8_P12ihipStream_tbDpT10_ENKUlT_T0_E_clISt17integral_constantIbLb1EES18_EEDaS13_S14_EUlS13_E_NS1_11comp_targetILNS1_3genE4ELNS1_11target_archE910ELNS1_3gpuE8ELNS1_3repE0EEENS1_30default_config_static_selectorELNS0_4arch9wavefront6targetE0EEEvT1_, .Lfunc_end122-_ZN7rocprim17ROCPRIM_400000_NS6detail17trampoline_kernelINS0_14default_configENS1_25partition_config_selectorILNS1_17partition_subalgoE9EffbEEZZNS1_14partition_implILS5_9ELb0ES3_jN6thrust23THRUST_200600_302600_NS6detail15normal_iteratorINS9_10device_ptrIfEEEESE_PNS0_10empty_typeENS0_5tupleIJSE_SF_EEENSH_IJSE_SG_EEENS0_18inequality_wrapperI22is_equal_div_10_uniqueIfEEEPmJSF_EEE10hipError_tPvRmT3_T4_T5_T6_T7_T9_mT8_P12ihipStream_tbDpT10_ENKUlT_T0_E_clISt17integral_constantIbLb1EES18_EEDaS13_S14_EUlS13_E_NS1_11comp_targetILNS1_3genE4ELNS1_11target_archE910ELNS1_3gpuE8ELNS1_3repE0EEENS1_30default_config_static_selectorELNS0_4arch9wavefront6targetE0EEEvT1_
                                        ; -- End function
	.section	.AMDGPU.csdata,"",@progbits
; Kernel info:
; codeLenInByte = 0
; NumSgprs: 0
; NumVgprs: 0
; ScratchSize: 0
; MemoryBound: 0
; FloatMode: 240
; IeeeMode: 1
; LDSByteSize: 0 bytes/workgroup (compile time only)
; SGPRBlocks: 0
; VGPRBlocks: 0
; NumSGPRsForWavesPerEU: 1
; NumVGPRsForWavesPerEU: 1
; Occupancy: 15
; WaveLimiterHint : 0
; COMPUTE_PGM_RSRC2:SCRATCH_EN: 0
; COMPUTE_PGM_RSRC2:USER_SGPR: 15
; COMPUTE_PGM_RSRC2:TRAP_HANDLER: 0
; COMPUTE_PGM_RSRC2:TGID_X_EN: 1
; COMPUTE_PGM_RSRC2:TGID_Y_EN: 0
; COMPUTE_PGM_RSRC2:TGID_Z_EN: 0
; COMPUTE_PGM_RSRC2:TIDIG_COMP_CNT: 0
	.section	.text._ZN7rocprim17ROCPRIM_400000_NS6detail17trampoline_kernelINS0_14default_configENS1_25partition_config_selectorILNS1_17partition_subalgoE9EffbEEZZNS1_14partition_implILS5_9ELb0ES3_jN6thrust23THRUST_200600_302600_NS6detail15normal_iteratorINS9_10device_ptrIfEEEESE_PNS0_10empty_typeENS0_5tupleIJSE_SF_EEENSH_IJSE_SG_EEENS0_18inequality_wrapperI22is_equal_div_10_uniqueIfEEEPmJSF_EEE10hipError_tPvRmT3_T4_T5_T6_T7_T9_mT8_P12ihipStream_tbDpT10_ENKUlT_T0_E_clISt17integral_constantIbLb1EES18_EEDaS13_S14_EUlS13_E_NS1_11comp_targetILNS1_3genE3ELNS1_11target_archE908ELNS1_3gpuE7ELNS1_3repE0EEENS1_30default_config_static_selectorELNS0_4arch9wavefront6targetE0EEEvT1_,"axG",@progbits,_ZN7rocprim17ROCPRIM_400000_NS6detail17trampoline_kernelINS0_14default_configENS1_25partition_config_selectorILNS1_17partition_subalgoE9EffbEEZZNS1_14partition_implILS5_9ELb0ES3_jN6thrust23THRUST_200600_302600_NS6detail15normal_iteratorINS9_10device_ptrIfEEEESE_PNS0_10empty_typeENS0_5tupleIJSE_SF_EEENSH_IJSE_SG_EEENS0_18inequality_wrapperI22is_equal_div_10_uniqueIfEEEPmJSF_EEE10hipError_tPvRmT3_T4_T5_T6_T7_T9_mT8_P12ihipStream_tbDpT10_ENKUlT_T0_E_clISt17integral_constantIbLb1EES18_EEDaS13_S14_EUlS13_E_NS1_11comp_targetILNS1_3genE3ELNS1_11target_archE908ELNS1_3gpuE7ELNS1_3repE0EEENS1_30default_config_static_selectorELNS0_4arch9wavefront6targetE0EEEvT1_,comdat
	.protected	_ZN7rocprim17ROCPRIM_400000_NS6detail17trampoline_kernelINS0_14default_configENS1_25partition_config_selectorILNS1_17partition_subalgoE9EffbEEZZNS1_14partition_implILS5_9ELb0ES3_jN6thrust23THRUST_200600_302600_NS6detail15normal_iteratorINS9_10device_ptrIfEEEESE_PNS0_10empty_typeENS0_5tupleIJSE_SF_EEENSH_IJSE_SG_EEENS0_18inequality_wrapperI22is_equal_div_10_uniqueIfEEEPmJSF_EEE10hipError_tPvRmT3_T4_T5_T6_T7_T9_mT8_P12ihipStream_tbDpT10_ENKUlT_T0_E_clISt17integral_constantIbLb1EES18_EEDaS13_S14_EUlS13_E_NS1_11comp_targetILNS1_3genE3ELNS1_11target_archE908ELNS1_3gpuE7ELNS1_3repE0EEENS1_30default_config_static_selectorELNS0_4arch9wavefront6targetE0EEEvT1_ ; -- Begin function _ZN7rocprim17ROCPRIM_400000_NS6detail17trampoline_kernelINS0_14default_configENS1_25partition_config_selectorILNS1_17partition_subalgoE9EffbEEZZNS1_14partition_implILS5_9ELb0ES3_jN6thrust23THRUST_200600_302600_NS6detail15normal_iteratorINS9_10device_ptrIfEEEESE_PNS0_10empty_typeENS0_5tupleIJSE_SF_EEENSH_IJSE_SG_EEENS0_18inequality_wrapperI22is_equal_div_10_uniqueIfEEEPmJSF_EEE10hipError_tPvRmT3_T4_T5_T6_T7_T9_mT8_P12ihipStream_tbDpT10_ENKUlT_T0_E_clISt17integral_constantIbLb1EES18_EEDaS13_S14_EUlS13_E_NS1_11comp_targetILNS1_3genE3ELNS1_11target_archE908ELNS1_3gpuE7ELNS1_3repE0EEENS1_30default_config_static_selectorELNS0_4arch9wavefront6targetE0EEEvT1_
	.globl	_ZN7rocprim17ROCPRIM_400000_NS6detail17trampoline_kernelINS0_14default_configENS1_25partition_config_selectorILNS1_17partition_subalgoE9EffbEEZZNS1_14partition_implILS5_9ELb0ES3_jN6thrust23THRUST_200600_302600_NS6detail15normal_iteratorINS9_10device_ptrIfEEEESE_PNS0_10empty_typeENS0_5tupleIJSE_SF_EEENSH_IJSE_SG_EEENS0_18inequality_wrapperI22is_equal_div_10_uniqueIfEEEPmJSF_EEE10hipError_tPvRmT3_T4_T5_T6_T7_T9_mT8_P12ihipStream_tbDpT10_ENKUlT_T0_E_clISt17integral_constantIbLb1EES18_EEDaS13_S14_EUlS13_E_NS1_11comp_targetILNS1_3genE3ELNS1_11target_archE908ELNS1_3gpuE7ELNS1_3repE0EEENS1_30default_config_static_selectorELNS0_4arch9wavefront6targetE0EEEvT1_
	.p2align	8
	.type	_ZN7rocprim17ROCPRIM_400000_NS6detail17trampoline_kernelINS0_14default_configENS1_25partition_config_selectorILNS1_17partition_subalgoE9EffbEEZZNS1_14partition_implILS5_9ELb0ES3_jN6thrust23THRUST_200600_302600_NS6detail15normal_iteratorINS9_10device_ptrIfEEEESE_PNS0_10empty_typeENS0_5tupleIJSE_SF_EEENSH_IJSE_SG_EEENS0_18inequality_wrapperI22is_equal_div_10_uniqueIfEEEPmJSF_EEE10hipError_tPvRmT3_T4_T5_T6_T7_T9_mT8_P12ihipStream_tbDpT10_ENKUlT_T0_E_clISt17integral_constantIbLb1EES18_EEDaS13_S14_EUlS13_E_NS1_11comp_targetILNS1_3genE3ELNS1_11target_archE908ELNS1_3gpuE7ELNS1_3repE0EEENS1_30default_config_static_selectorELNS0_4arch9wavefront6targetE0EEEvT1_,@function
_ZN7rocprim17ROCPRIM_400000_NS6detail17trampoline_kernelINS0_14default_configENS1_25partition_config_selectorILNS1_17partition_subalgoE9EffbEEZZNS1_14partition_implILS5_9ELb0ES3_jN6thrust23THRUST_200600_302600_NS6detail15normal_iteratorINS9_10device_ptrIfEEEESE_PNS0_10empty_typeENS0_5tupleIJSE_SF_EEENSH_IJSE_SG_EEENS0_18inequality_wrapperI22is_equal_div_10_uniqueIfEEEPmJSF_EEE10hipError_tPvRmT3_T4_T5_T6_T7_T9_mT8_P12ihipStream_tbDpT10_ENKUlT_T0_E_clISt17integral_constantIbLb1EES18_EEDaS13_S14_EUlS13_E_NS1_11comp_targetILNS1_3genE3ELNS1_11target_archE908ELNS1_3gpuE7ELNS1_3repE0EEENS1_30default_config_static_selectorELNS0_4arch9wavefront6targetE0EEEvT1_: ; @_ZN7rocprim17ROCPRIM_400000_NS6detail17trampoline_kernelINS0_14default_configENS1_25partition_config_selectorILNS1_17partition_subalgoE9EffbEEZZNS1_14partition_implILS5_9ELb0ES3_jN6thrust23THRUST_200600_302600_NS6detail15normal_iteratorINS9_10device_ptrIfEEEESE_PNS0_10empty_typeENS0_5tupleIJSE_SF_EEENSH_IJSE_SG_EEENS0_18inequality_wrapperI22is_equal_div_10_uniqueIfEEEPmJSF_EEE10hipError_tPvRmT3_T4_T5_T6_T7_T9_mT8_P12ihipStream_tbDpT10_ENKUlT_T0_E_clISt17integral_constantIbLb1EES18_EEDaS13_S14_EUlS13_E_NS1_11comp_targetILNS1_3genE3ELNS1_11target_archE908ELNS1_3gpuE7ELNS1_3repE0EEENS1_30default_config_static_selectorELNS0_4arch9wavefront6targetE0EEEvT1_
; %bb.0:
	.section	.rodata,"a",@progbits
	.p2align	6, 0x0
	.amdhsa_kernel _ZN7rocprim17ROCPRIM_400000_NS6detail17trampoline_kernelINS0_14default_configENS1_25partition_config_selectorILNS1_17partition_subalgoE9EffbEEZZNS1_14partition_implILS5_9ELb0ES3_jN6thrust23THRUST_200600_302600_NS6detail15normal_iteratorINS9_10device_ptrIfEEEESE_PNS0_10empty_typeENS0_5tupleIJSE_SF_EEENSH_IJSE_SG_EEENS0_18inequality_wrapperI22is_equal_div_10_uniqueIfEEEPmJSF_EEE10hipError_tPvRmT3_T4_T5_T6_T7_T9_mT8_P12ihipStream_tbDpT10_ENKUlT_T0_E_clISt17integral_constantIbLb1EES18_EEDaS13_S14_EUlS13_E_NS1_11comp_targetILNS1_3genE3ELNS1_11target_archE908ELNS1_3gpuE7ELNS1_3repE0EEENS1_30default_config_static_selectorELNS0_4arch9wavefront6targetE0EEEvT1_
		.amdhsa_group_segment_fixed_size 0
		.amdhsa_private_segment_fixed_size 0
		.amdhsa_kernarg_size 128
		.amdhsa_user_sgpr_count 15
		.amdhsa_user_sgpr_dispatch_ptr 0
		.amdhsa_user_sgpr_queue_ptr 0
		.amdhsa_user_sgpr_kernarg_segment_ptr 1
		.amdhsa_user_sgpr_dispatch_id 0
		.amdhsa_user_sgpr_private_segment_size 0
		.amdhsa_wavefront_size32 1
		.amdhsa_uses_dynamic_stack 0
		.amdhsa_enable_private_segment 0
		.amdhsa_system_sgpr_workgroup_id_x 1
		.amdhsa_system_sgpr_workgroup_id_y 0
		.amdhsa_system_sgpr_workgroup_id_z 0
		.amdhsa_system_sgpr_workgroup_info 0
		.amdhsa_system_vgpr_workitem_id 0
		.amdhsa_next_free_vgpr 1
		.amdhsa_next_free_sgpr 1
		.amdhsa_reserve_vcc 0
		.amdhsa_float_round_mode_32 0
		.amdhsa_float_round_mode_16_64 0
		.amdhsa_float_denorm_mode_32 3
		.amdhsa_float_denorm_mode_16_64 3
		.amdhsa_dx10_clamp 1
		.amdhsa_ieee_mode 1
		.amdhsa_fp16_overflow 0
		.amdhsa_workgroup_processor_mode 1
		.amdhsa_memory_ordered 1
		.amdhsa_forward_progress 0
		.amdhsa_shared_vgpr_count 0
		.amdhsa_exception_fp_ieee_invalid_op 0
		.amdhsa_exception_fp_denorm_src 0
		.amdhsa_exception_fp_ieee_div_zero 0
		.amdhsa_exception_fp_ieee_overflow 0
		.amdhsa_exception_fp_ieee_underflow 0
		.amdhsa_exception_fp_ieee_inexact 0
		.amdhsa_exception_int_div_zero 0
	.end_amdhsa_kernel
	.section	.text._ZN7rocprim17ROCPRIM_400000_NS6detail17trampoline_kernelINS0_14default_configENS1_25partition_config_selectorILNS1_17partition_subalgoE9EffbEEZZNS1_14partition_implILS5_9ELb0ES3_jN6thrust23THRUST_200600_302600_NS6detail15normal_iteratorINS9_10device_ptrIfEEEESE_PNS0_10empty_typeENS0_5tupleIJSE_SF_EEENSH_IJSE_SG_EEENS0_18inequality_wrapperI22is_equal_div_10_uniqueIfEEEPmJSF_EEE10hipError_tPvRmT3_T4_T5_T6_T7_T9_mT8_P12ihipStream_tbDpT10_ENKUlT_T0_E_clISt17integral_constantIbLb1EES18_EEDaS13_S14_EUlS13_E_NS1_11comp_targetILNS1_3genE3ELNS1_11target_archE908ELNS1_3gpuE7ELNS1_3repE0EEENS1_30default_config_static_selectorELNS0_4arch9wavefront6targetE0EEEvT1_,"axG",@progbits,_ZN7rocprim17ROCPRIM_400000_NS6detail17trampoline_kernelINS0_14default_configENS1_25partition_config_selectorILNS1_17partition_subalgoE9EffbEEZZNS1_14partition_implILS5_9ELb0ES3_jN6thrust23THRUST_200600_302600_NS6detail15normal_iteratorINS9_10device_ptrIfEEEESE_PNS0_10empty_typeENS0_5tupleIJSE_SF_EEENSH_IJSE_SG_EEENS0_18inequality_wrapperI22is_equal_div_10_uniqueIfEEEPmJSF_EEE10hipError_tPvRmT3_T4_T5_T6_T7_T9_mT8_P12ihipStream_tbDpT10_ENKUlT_T0_E_clISt17integral_constantIbLb1EES18_EEDaS13_S14_EUlS13_E_NS1_11comp_targetILNS1_3genE3ELNS1_11target_archE908ELNS1_3gpuE7ELNS1_3repE0EEENS1_30default_config_static_selectorELNS0_4arch9wavefront6targetE0EEEvT1_,comdat
.Lfunc_end123:
	.size	_ZN7rocprim17ROCPRIM_400000_NS6detail17trampoline_kernelINS0_14default_configENS1_25partition_config_selectorILNS1_17partition_subalgoE9EffbEEZZNS1_14partition_implILS5_9ELb0ES3_jN6thrust23THRUST_200600_302600_NS6detail15normal_iteratorINS9_10device_ptrIfEEEESE_PNS0_10empty_typeENS0_5tupleIJSE_SF_EEENSH_IJSE_SG_EEENS0_18inequality_wrapperI22is_equal_div_10_uniqueIfEEEPmJSF_EEE10hipError_tPvRmT3_T4_T5_T6_T7_T9_mT8_P12ihipStream_tbDpT10_ENKUlT_T0_E_clISt17integral_constantIbLb1EES18_EEDaS13_S14_EUlS13_E_NS1_11comp_targetILNS1_3genE3ELNS1_11target_archE908ELNS1_3gpuE7ELNS1_3repE0EEENS1_30default_config_static_selectorELNS0_4arch9wavefront6targetE0EEEvT1_, .Lfunc_end123-_ZN7rocprim17ROCPRIM_400000_NS6detail17trampoline_kernelINS0_14default_configENS1_25partition_config_selectorILNS1_17partition_subalgoE9EffbEEZZNS1_14partition_implILS5_9ELb0ES3_jN6thrust23THRUST_200600_302600_NS6detail15normal_iteratorINS9_10device_ptrIfEEEESE_PNS0_10empty_typeENS0_5tupleIJSE_SF_EEENSH_IJSE_SG_EEENS0_18inequality_wrapperI22is_equal_div_10_uniqueIfEEEPmJSF_EEE10hipError_tPvRmT3_T4_T5_T6_T7_T9_mT8_P12ihipStream_tbDpT10_ENKUlT_T0_E_clISt17integral_constantIbLb1EES18_EEDaS13_S14_EUlS13_E_NS1_11comp_targetILNS1_3genE3ELNS1_11target_archE908ELNS1_3gpuE7ELNS1_3repE0EEENS1_30default_config_static_selectorELNS0_4arch9wavefront6targetE0EEEvT1_
                                        ; -- End function
	.section	.AMDGPU.csdata,"",@progbits
; Kernel info:
; codeLenInByte = 0
; NumSgprs: 0
; NumVgprs: 0
; ScratchSize: 0
; MemoryBound: 0
; FloatMode: 240
; IeeeMode: 1
; LDSByteSize: 0 bytes/workgroup (compile time only)
; SGPRBlocks: 0
; VGPRBlocks: 0
; NumSGPRsForWavesPerEU: 1
; NumVGPRsForWavesPerEU: 1
; Occupancy: 16
; WaveLimiterHint : 0
; COMPUTE_PGM_RSRC2:SCRATCH_EN: 0
; COMPUTE_PGM_RSRC2:USER_SGPR: 15
; COMPUTE_PGM_RSRC2:TRAP_HANDLER: 0
; COMPUTE_PGM_RSRC2:TGID_X_EN: 1
; COMPUTE_PGM_RSRC2:TGID_Y_EN: 0
; COMPUTE_PGM_RSRC2:TGID_Z_EN: 0
; COMPUTE_PGM_RSRC2:TIDIG_COMP_CNT: 0
	.section	.text._ZN7rocprim17ROCPRIM_400000_NS6detail17trampoline_kernelINS0_14default_configENS1_25partition_config_selectorILNS1_17partition_subalgoE9EffbEEZZNS1_14partition_implILS5_9ELb0ES3_jN6thrust23THRUST_200600_302600_NS6detail15normal_iteratorINS9_10device_ptrIfEEEESE_PNS0_10empty_typeENS0_5tupleIJSE_SF_EEENSH_IJSE_SG_EEENS0_18inequality_wrapperI22is_equal_div_10_uniqueIfEEEPmJSF_EEE10hipError_tPvRmT3_T4_T5_T6_T7_T9_mT8_P12ihipStream_tbDpT10_ENKUlT_T0_E_clISt17integral_constantIbLb1EES18_EEDaS13_S14_EUlS13_E_NS1_11comp_targetILNS1_3genE2ELNS1_11target_archE906ELNS1_3gpuE6ELNS1_3repE0EEENS1_30default_config_static_selectorELNS0_4arch9wavefront6targetE0EEEvT1_,"axG",@progbits,_ZN7rocprim17ROCPRIM_400000_NS6detail17trampoline_kernelINS0_14default_configENS1_25partition_config_selectorILNS1_17partition_subalgoE9EffbEEZZNS1_14partition_implILS5_9ELb0ES3_jN6thrust23THRUST_200600_302600_NS6detail15normal_iteratorINS9_10device_ptrIfEEEESE_PNS0_10empty_typeENS0_5tupleIJSE_SF_EEENSH_IJSE_SG_EEENS0_18inequality_wrapperI22is_equal_div_10_uniqueIfEEEPmJSF_EEE10hipError_tPvRmT3_T4_T5_T6_T7_T9_mT8_P12ihipStream_tbDpT10_ENKUlT_T0_E_clISt17integral_constantIbLb1EES18_EEDaS13_S14_EUlS13_E_NS1_11comp_targetILNS1_3genE2ELNS1_11target_archE906ELNS1_3gpuE6ELNS1_3repE0EEENS1_30default_config_static_selectorELNS0_4arch9wavefront6targetE0EEEvT1_,comdat
	.protected	_ZN7rocprim17ROCPRIM_400000_NS6detail17trampoline_kernelINS0_14default_configENS1_25partition_config_selectorILNS1_17partition_subalgoE9EffbEEZZNS1_14partition_implILS5_9ELb0ES3_jN6thrust23THRUST_200600_302600_NS6detail15normal_iteratorINS9_10device_ptrIfEEEESE_PNS0_10empty_typeENS0_5tupleIJSE_SF_EEENSH_IJSE_SG_EEENS0_18inequality_wrapperI22is_equal_div_10_uniqueIfEEEPmJSF_EEE10hipError_tPvRmT3_T4_T5_T6_T7_T9_mT8_P12ihipStream_tbDpT10_ENKUlT_T0_E_clISt17integral_constantIbLb1EES18_EEDaS13_S14_EUlS13_E_NS1_11comp_targetILNS1_3genE2ELNS1_11target_archE906ELNS1_3gpuE6ELNS1_3repE0EEENS1_30default_config_static_selectorELNS0_4arch9wavefront6targetE0EEEvT1_ ; -- Begin function _ZN7rocprim17ROCPRIM_400000_NS6detail17trampoline_kernelINS0_14default_configENS1_25partition_config_selectorILNS1_17partition_subalgoE9EffbEEZZNS1_14partition_implILS5_9ELb0ES3_jN6thrust23THRUST_200600_302600_NS6detail15normal_iteratorINS9_10device_ptrIfEEEESE_PNS0_10empty_typeENS0_5tupleIJSE_SF_EEENSH_IJSE_SG_EEENS0_18inequality_wrapperI22is_equal_div_10_uniqueIfEEEPmJSF_EEE10hipError_tPvRmT3_T4_T5_T6_T7_T9_mT8_P12ihipStream_tbDpT10_ENKUlT_T0_E_clISt17integral_constantIbLb1EES18_EEDaS13_S14_EUlS13_E_NS1_11comp_targetILNS1_3genE2ELNS1_11target_archE906ELNS1_3gpuE6ELNS1_3repE0EEENS1_30default_config_static_selectorELNS0_4arch9wavefront6targetE0EEEvT1_
	.globl	_ZN7rocprim17ROCPRIM_400000_NS6detail17trampoline_kernelINS0_14default_configENS1_25partition_config_selectorILNS1_17partition_subalgoE9EffbEEZZNS1_14partition_implILS5_9ELb0ES3_jN6thrust23THRUST_200600_302600_NS6detail15normal_iteratorINS9_10device_ptrIfEEEESE_PNS0_10empty_typeENS0_5tupleIJSE_SF_EEENSH_IJSE_SG_EEENS0_18inequality_wrapperI22is_equal_div_10_uniqueIfEEEPmJSF_EEE10hipError_tPvRmT3_T4_T5_T6_T7_T9_mT8_P12ihipStream_tbDpT10_ENKUlT_T0_E_clISt17integral_constantIbLb1EES18_EEDaS13_S14_EUlS13_E_NS1_11comp_targetILNS1_3genE2ELNS1_11target_archE906ELNS1_3gpuE6ELNS1_3repE0EEENS1_30default_config_static_selectorELNS0_4arch9wavefront6targetE0EEEvT1_
	.p2align	8
	.type	_ZN7rocprim17ROCPRIM_400000_NS6detail17trampoline_kernelINS0_14default_configENS1_25partition_config_selectorILNS1_17partition_subalgoE9EffbEEZZNS1_14partition_implILS5_9ELb0ES3_jN6thrust23THRUST_200600_302600_NS6detail15normal_iteratorINS9_10device_ptrIfEEEESE_PNS0_10empty_typeENS0_5tupleIJSE_SF_EEENSH_IJSE_SG_EEENS0_18inequality_wrapperI22is_equal_div_10_uniqueIfEEEPmJSF_EEE10hipError_tPvRmT3_T4_T5_T6_T7_T9_mT8_P12ihipStream_tbDpT10_ENKUlT_T0_E_clISt17integral_constantIbLb1EES18_EEDaS13_S14_EUlS13_E_NS1_11comp_targetILNS1_3genE2ELNS1_11target_archE906ELNS1_3gpuE6ELNS1_3repE0EEENS1_30default_config_static_selectorELNS0_4arch9wavefront6targetE0EEEvT1_,@function
_ZN7rocprim17ROCPRIM_400000_NS6detail17trampoline_kernelINS0_14default_configENS1_25partition_config_selectorILNS1_17partition_subalgoE9EffbEEZZNS1_14partition_implILS5_9ELb0ES3_jN6thrust23THRUST_200600_302600_NS6detail15normal_iteratorINS9_10device_ptrIfEEEESE_PNS0_10empty_typeENS0_5tupleIJSE_SF_EEENSH_IJSE_SG_EEENS0_18inequality_wrapperI22is_equal_div_10_uniqueIfEEEPmJSF_EEE10hipError_tPvRmT3_T4_T5_T6_T7_T9_mT8_P12ihipStream_tbDpT10_ENKUlT_T0_E_clISt17integral_constantIbLb1EES18_EEDaS13_S14_EUlS13_E_NS1_11comp_targetILNS1_3genE2ELNS1_11target_archE906ELNS1_3gpuE6ELNS1_3repE0EEENS1_30default_config_static_selectorELNS0_4arch9wavefront6targetE0EEEvT1_: ; @_ZN7rocprim17ROCPRIM_400000_NS6detail17trampoline_kernelINS0_14default_configENS1_25partition_config_selectorILNS1_17partition_subalgoE9EffbEEZZNS1_14partition_implILS5_9ELb0ES3_jN6thrust23THRUST_200600_302600_NS6detail15normal_iteratorINS9_10device_ptrIfEEEESE_PNS0_10empty_typeENS0_5tupleIJSE_SF_EEENSH_IJSE_SG_EEENS0_18inequality_wrapperI22is_equal_div_10_uniqueIfEEEPmJSF_EEE10hipError_tPvRmT3_T4_T5_T6_T7_T9_mT8_P12ihipStream_tbDpT10_ENKUlT_T0_E_clISt17integral_constantIbLb1EES18_EEDaS13_S14_EUlS13_E_NS1_11comp_targetILNS1_3genE2ELNS1_11target_archE906ELNS1_3gpuE6ELNS1_3repE0EEENS1_30default_config_static_selectorELNS0_4arch9wavefront6targetE0EEEvT1_
; %bb.0:
	.section	.rodata,"a",@progbits
	.p2align	6, 0x0
	.amdhsa_kernel _ZN7rocprim17ROCPRIM_400000_NS6detail17trampoline_kernelINS0_14default_configENS1_25partition_config_selectorILNS1_17partition_subalgoE9EffbEEZZNS1_14partition_implILS5_9ELb0ES3_jN6thrust23THRUST_200600_302600_NS6detail15normal_iteratorINS9_10device_ptrIfEEEESE_PNS0_10empty_typeENS0_5tupleIJSE_SF_EEENSH_IJSE_SG_EEENS0_18inequality_wrapperI22is_equal_div_10_uniqueIfEEEPmJSF_EEE10hipError_tPvRmT3_T4_T5_T6_T7_T9_mT8_P12ihipStream_tbDpT10_ENKUlT_T0_E_clISt17integral_constantIbLb1EES18_EEDaS13_S14_EUlS13_E_NS1_11comp_targetILNS1_3genE2ELNS1_11target_archE906ELNS1_3gpuE6ELNS1_3repE0EEENS1_30default_config_static_selectorELNS0_4arch9wavefront6targetE0EEEvT1_
		.amdhsa_group_segment_fixed_size 0
		.amdhsa_private_segment_fixed_size 0
		.amdhsa_kernarg_size 128
		.amdhsa_user_sgpr_count 15
		.amdhsa_user_sgpr_dispatch_ptr 0
		.amdhsa_user_sgpr_queue_ptr 0
		.amdhsa_user_sgpr_kernarg_segment_ptr 1
		.amdhsa_user_sgpr_dispatch_id 0
		.amdhsa_user_sgpr_private_segment_size 0
		.amdhsa_wavefront_size32 1
		.amdhsa_uses_dynamic_stack 0
		.amdhsa_enable_private_segment 0
		.amdhsa_system_sgpr_workgroup_id_x 1
		.amdhsa_system_sgpr_workgroup_id_y 0
		.amdhsa_system_sgpr_workgroup_id_z 0
		.amdhsa_system_sgpr_workgroup_info 0
		.amdhsa_system_vgpr_workitem_id 0
		.amdhsa_next_free_vgpr 1
		.amdhsa_next_free_sgpr 1
		.amdhsa_reserve_vcc 0
		.amdhsa_float_round_mode_32 0
		.amdhsa_float_round_mode_16_64 0
		.amdhsa_float_denorm_mode_32 3
		.amdhsa_float_denorm_mode_16_64 3
		.amdhsa_dx10_clamp 1
		.amdhsa_ieee_mode 1
		.amdhsa_fp16_overflow 0
		.amdhsa_workgroup_processor_mode 1
		.amdhsa_memory_ordered 1
		.amdhsa_forward_progress 0
		.amdhsa_shared_vgpr_count 0
		.amdhsa_exception_fp_ieee_invalid_op 0
		.amdhsa_exception_fp_denorm_src 0
		.amdhsa_exception_fp_ieee_div_zero 0
		.amdhsa_exception_fp_ieee_overflow 0
		.amdhsa_exception_fp_ieee_underflow 0
		.amdhsa_exception_fp_ieee_inexact 0
		.amdhsa_exception_int_div_zero 0
	.end_amdhsa_kernel
	.section	.text._ZN7rocprim17ROCPRIM_400000_NS6detail17trampoline_kernelINS0_14default_configENS1_25partition_config_selectorILNS1_17partition_subalgoE9EffbEEZZNS1_14partition_implILS5_9ELb0ES3_jN6thrust23THRUST_200600_302600_NS6detail15normal_iteratorINS9_10device_ptrIfEEEESE_PNS0_10empty_typeENS0_5tupleIJSE_SF_EEENSH_IJSE_SG_EEENS0_18inequality_wrapperI22is_equal_div_10_uniqueIfEEEPmJSF_EEE10hipError_tPvRmT3_T4_T5_T6_T7_T9_mT8_P12ihipStream_tbDpT10_ENKUlT_T0_E_clISt17integral_constantIbLb1EES18_EEDaS13_S14_EUlS13_E_NS1_11comp_targetILNS1_3genE2ELNS1_11target_archE906ELNS1_3gpuE6ELNS1_3repE0EEENS1_30default_config_static_selectorELNS0_4arch9wavefront6targetE0EEEvT1_,"axG",@progbits,_ZN7rocprim17ROCPRIM_400000_NS6detail17trampoline_kernelINS0_14default_configENS1_25partition_config_selectorILNS1_17partition_subalgoE9EffbEEZZNS1_14partition_implILS5_9ELb0ES3_jN6thrust23THRUST_200600_302600_NS6detail15normal_iteratorINS9_10device_ptrIfEEEESE_PNS0_10empty_typeENS0_5tupleIJSE_SF_EEENSH_IJSE_SG_EEENS0_18inequality_wrapperI22is_equal_div_10_uniqueIfEEEPmJSF_EEE10hipError_tPvRmT3_T4_T5_T6_T7_T9_mT8_P12ihipStream_tbDpT10_ENKUlT_T0_E_clISt17integral_constantIbLb1EES18_EEDaS13_S14_EUlS13_E_NS1_11comp_targetILNS1_3genE2ELNS1_11target_archE906ELNS1_3gpuE6ELNS1_3repE0EEENS1_30default_config_static_selectorELNS0_4arch9wavefront6targetE0EEEvT1_,comdat
.Lfunc_end124:
	.size	_ZN7rocprim17ROCPRIM_400000_NS6detail17trampoline_kernelINS0_14default_configENS1_25partition_config_selectorILNS1_17partition_subalgoE9EffbEEZZNS1_14partition_implILS5_9ELb0ES3_jN6thrust23THRUST_200600_302600_NS6detail15normal_iteratorINS9_10device_ptrIfEEEESE_PNS0_10empty_typeENS0_5tupleIJSE_SF_EEENSH_IJSE_SG_EEENS0_18inequality_wrapperI22is_equal_div_10_uniqueIfEEEPmJSF_EEE10hipError_tPvRmT3_T4_T5_T6_T7_T9_mT8_P12ihipStream_tbDpT10_ENKUlT_T0_E_clISt17integral_constantIbLb1EES18_EEDaS13_S14_EUlS13_E_NS1_11comp_targetILNS1_3genE2ELNS1_11target_archE906ELNS1_3gpuE6ELNS1_3repE0EEENS1_30default_config_static_selectorELNS0_4arch9wavefront6targetE0EEEvT1_, .Lfunc_end124-_ZN7rocprim17ROCPRIM_400000_NS6detail17trampoline_kernelINS0_14default_configENS1_25partition_config_selectorILNS1_17partition_subalgoE9EffbEEZZNS1_14partition_implILS5_9ELb0ES3_jN6thrust23THRUST_200600_302600_NS6detail15normal_iteratorINS9_10device_ptrIfEEEESE_PNS0_10empty_typeENS0_5tupleIJSE_SF_EEENSH_IJSE_SG_EEENS0_18inequality_wrapperI22is_equal_div_10_uniqueIfEEEPmJSF_EEE10hipError_tPvRmT3_T4_T5_T6_T7_T9_mT8_P12ihipStream_tbDpT10_ENKUlT_T0_E_clISt17integral_constantIbLb1EES18_EEDaS13_S14_EUlS13_E_NS1_11comp_targetILNS1_3genE2ELNS1_11target_archE906ELNS1_3gpuE6ELNS1_3repE0EEENS1_30default_config_static_selectorELNS0_4arch9wavefront6targetE0EEEvT1_
                                        ; -- End function
	.section	.AMDGPU.csdata,"",@progbits
; Kernel info:
; codeLenInByte = 0
; NumSgprs: 0
; NumVgprs: 0
; ScratchSize: 0
; MemoryBound: 0
; FloatMode: 240
; IeeeMode: 1
; LDSByteSize: 0 bytes/workgroup (compile time only)
; SGPRBlocks: 0
; VGPRBlocks: 0
; NumSGPRsForWavesPerEU: 1
; NumVGPRsForWavesPerEU: 1
; Occupancy: 16
; WaveLimiterHint : 0
; COMPUTE_PGM_RSRC2:SCRATCH_EN: 0
; COMPUTE_PGM_RSRC2:USER_SGPR: 15
; COMPUTE_PGM_RSRC2:TRAP_HANDLER: 0
; COMPUTE_PGM_RSRC2:TGID_X_EN: 1
; COMPUTE_PGM_RSRC2:TGID_Y_EN: 0
; COMPUTE_PGM_RSRC2:TGID_Z_EN: 0
; COMPUTE_PGM_RSRC2:TIDIG_COMP_CNT: 0
	.section	.text._ZN7rocprim17ROCPRIM_400000_NS6detail17trampoline_kernelINS0_14default_configENS1_25partition_config_selectorILNS1_17partition_subalgoE9EffbEEZZNS1_14partition_implILS5_9ELb0ES3_jN6thrust23THRUST_200600_302600_NS6detail15normal_iteratorINS9_10device_ptrIfEEEESE_PNS0_10empty_typeENS0_5tupleIJSE_SF_EEENSH_IJSE_SG_EEENS0_18inequality_wrapperI22is_equal_div_10_uniqueIfEEEPmJSF_EEE10hipError_tPvRmT3_T4_T5_T6_T7_T9_mT8_P12ihipStream_tbDpT10_ENKUlT_T0_E_clISt17integral_constantIbLb1EES18_EEDaS13_S14_EUlS13_E_NS1_11comp_targetILNS1_3genE10ELNS1_11target_archE1200ELNS1_3gpuE4ELNS1_3repE0EEENS1_30default_config_static_selectorELNS0_4arch9wavefront6targetE0EEEvT1_,"axG",@progbits,_ZN7rocprim17ROCPRIM_400000_NS6detail17trampoline_kernelINS0_14default_configENS1_25partition_config_selectorILNS1_17partition_subalgoE9EffbEEZZNS1_14partition_implILS5_9ELb0ES3_jN6thrust23THRUST_200600_302600_NS6detail15normal_iteratorINS9_10device_ptrIfEEEESE_PNS0_10empty_typeENS0_5tupleIJSE_SF_EEENSH_IJSE_SG_EEENS0_18inequality_wrapperI22is_equal_div_10_uniqueIfEEEPmJSF_EEE10hipError_tPvRmT3_T4_T5_T6_T7_T9_mT8_P12ihipStream_tbDpT10_ENKUlT_T0_E_clISt17integral_constantIbLb1EES18_EEDaS13_S14_EUlS13_E_NS1_11comp_targetILNS1_3genE10ELNS1_11target_archE1200ELNS1_3gpuE4ELNS1_3repE0EEENS1_30default_config_static_selectorELNS0_4arch9wavefront6targetE0EEEvT1_,comdat
	.protected	_ZN7rocprim17ROCPRIM_400000_NS6detail17trampoline_kernelINS0_14default_configENS1_25partition_config_selectorILNS1_17partition_subalgoE9EffbEEZZNS1_14partition_implILS5_9ELb0ES3_jN6thrust23THRUST_200600_302600_NS6detail15normal_iteratorINS9_10device_ptrIfEEEESE_PNS0_10empty_typeENS0_5tupleIJSE_SF_EEENSH_IJSE_SG_EEENS0_18inequality_wrapperI22is_equal_div_10_uniqueIfEEEPmJSF_EEE10hipError_tPvRmT3_T4_T5_T6_T7_T9_mT8_P12ihipStream_tbDpT10_ENKUlT_T0_E_clISt17integral_constantIbLb1EES18_EEDaS13_S14_EUlS13_E_NS1_11comp_targetILNS1_3genE10ELNS1_11target_archE1200ELNS1_3gpuE4ELNS1_3repE0EEENS1_30default_config_static_selectorELNS0_4arch9wavefront6targetE0EEEvT1_ ; -- Begin function _ZN7rocprim17ROCPRIM_400000_NS6detail17trampoline_kernelINS0_14default_configENS1_25partition_config_selectorILNS1_17partition_subalgoE9EffbEEZZNS1_14partition_implILS5_9ELb0ES3_jN6thrust23THRUST_200600_302600_NS6detail15normal_iteratorINS9_10device_ptrIfEEEESE_PNS0_10empty_typeENS0_5tupleIJSE_SF_EEENSH_IJSE_SG_EEENS0_18inequality_wrapperI22is_equal_div_10_uniqueIfEEEPmJSF_EEE10hipError_tPvRmT3_T4_T5_T6_T7_T9_mT8_P12ihipStream_tbDpT10_ENKUlT_T0_E_clISt17integral_constantIbLb1EES18_EEDaS13_S14_EUlS13_E_NS1_11comp_targetILNS1_3genE10ELNS1_11target_archE1200ELNS1_3gpuE4ELNS1_3repE0EEENS1_30default_config_static_selectorELNS0_4arch9wavefront6targetE0EEEvT1_
	.globl	_ZN7rocprim17ROCPRIM_400000_NS6detail17trampoline_kernelINS0_14default_configENS1_25partition_config_selectorILNS1_17partition_subalgoE9EffbEEZZNS1_14partition_implILS5_9ELb0ES3_jN6thrust23THRUST_200600_302600_NS6detail15normal_iteratorINS9_10device_ptrIfEEEESE_PNS0_10empty_typeENS0_5tupleIJSE_SF_EEENSH_IJSE_SG_EEENS0_18inequality_wrapperI22is_equal_div_10_uniqueIfEEEPmJSF_EEE10hipError_tPvRmT3_T4_T5_T6_T7_T9_mT8_P12ihipStream_tbDpT10_ENKUlT_T0_E_clISt17integral_constantIbLb1EES18_EEDaS13_S14_EUlS13_E_NS1_11comp_targetILNS1_3genE10ELNS1_11target_archE1200ELNS1_3gpuE4ELNS1_3repE0EEENS1_30default_config_static_selectorELNS0_4arch9wavefront6targetE0EEEvT1_
	.p2align	8
	.type	_ZN7rocprim17ROCPRIM_400000_NS6detail17trampoline_kernelINS0_14default_configENS1_25partition_config_selectorILNS1_17partition_subalgoE9EffbEEZZNS1_14partition_implILS5_9ELb0ES3_jN6thrust23THRUST_200600_302600_NS6detail15normal_iteratorINS9_10device_ptrIfEEEESE_PNS0_10empty_typeENS0_5tupleIJSE_SF_EEENSH_IJSE_SG_EEENS0_18inequality_wrapperI22is_equal_div_10_uniqueIfEEEPmJSF_EEE10hipError_tPvRmT3_T4_T5_T6_T7_T9_mT8_P12ihipStream_tbDpT10_ENKUlT_T0_E_clISt17integral_constantIbLb1EES18_EEDaS13_S14_EUlS13_E_NS1_11comp_targetILNS1_3genE10ELNS1_11target_archE1200ELNS1_3gpuE4ELNS1_3repE0EEENS1_30default_config_static_selectorELNS0_4arch9wavefront6targetE0EEEvT1_,@function
_ZN7rocprim17ROCPRIM_400000_NS6detail17trampoline_kernelINS0_14default_configENS1_25partition_config_selectorILNS1_17partition_subalgoE9EffbEEZZNS1_14partition_implILS5_9ELb0ES3_jN6thrust23THRUST_200600_302600_NS6detail15normal_iteratorINS9_10device_ptrIfEEEESE_PNS0_10empty_typeENS0_5tupleIJSE_SF_EEENSH_IJSE_SG_EEENS0_18inequality_wrapperI22is_equal_div_10_uniqueIfEEEPmJSF_EEE10hipError_tPvRmT3_T4_T5_T6_T7_T9_mT8_P12ihipStream_tbDpT10_ENKUlT_T0_E_clISt17integral_constantIbLb1EES18_EEDaS13_S14_EUlS13_E_NS1_11comp_targetILNS1_3genE10ELNS1_11target_archE1200ELNS1_3gpuE4ELNS1_3repE0EEENS1_30default_config_static_selectorELNS0_4arch9wavefront6targetE0EEEvT1_: ; @_ZN7rocprim17ROCPRIM_400000_NS6detail17trampoline_kernelINS0_14default_configENS1_25partition_config_selectorILNS1_17partition_subalgoE9EffbEEZZNS1_14partition_implILS5_9ELb0ES3_jN6thrust23THRUST_200600_302600_NS6detail15normal_iteratorINS9_10device_ptrIfEEEESE_PNS0_10empty_typeENS0_5tupleIJSE_SF_EEENSH_IJSE_SG_EEENS0_18inequality_wrapperI22is_equal_div_10_uniqueIfEEEPmJSF_EEE10hipError_tPvRmT3_T4_T5_T6_T7_T9_mT8_P12ihipStream_tbDpT10_ENKUlT_T0_E_clISt17integral_constantIbLb1EES18_EEDaS13_S14_EUlS13_E_NS1_11comp_targetILNS1_3genE10ELNS1_11target_archE1200ELNS1_3gpuE4ELNS1_3repE0EEENS1_30default_config_static_selectorELNS0_4arch9wavefront6targetE0EEEvT1_
; %bb.0:
	.section	.rodata,"a",@progbits
	.p2align	6, 0x0
	.amdhsa_kernel _ZN7rocprim17ROCPRIM_400000_NS6detail17trampoline_kernelINS0_14default_configENS1_25partition_config_selectorILNS1_17partition_subalgoE9EffbEEZZNS1_14partition_implILS5_9ELb0ES3_jN6thrust23THRUST_200600_302600_NS6detail15normal_iteratorINS9_10device_ptrIfEEEESE_PNS0_10empty_typeENS0_5tupleIJSE_SF_EEENSH_IJSE_SG_EEENS0_18inequality_wrapperI22is_equal_div_10_uniqueIfEEEPmJSF_EEE10hipError_tPvRmT3_T4_T5_T6_T7_T9_mT8_P12ihipStream_tbDpT10_ENKUlT_T0_E_clISt17integral_constantIbLb1EES18_EEDaS13_S14_EUlS13_E_NS1_11comp_targetILNS1_3genE10ELNS1_11target_archE1200ELNS1_3gpuE4ELNS1_3repE0EEENS1_30default_config_static_selectorELNS0_4arch9wavefront6targetE0EEEvT1_
		.amdhsa_group_segment_fixed_size 0
		.amdhsa_private_segment_fixed_size 0
		.amdhsa_kernarg_size 128
		.amdhsa_user_sgpr_count 15
		.amdhsa_user_sgpr_dispatch_ptr 0
		.amdhsa_user_sgpr_queue_ptr 0
		.amdhsa_user_sgpr_kernarg_segment_ptr 1
		.amdhsa_user_sgpr_dispatch_id 0
		.amdhsa_user_sgpr_private_segment_size 0
		.amdhsa_wavefront_size32 1
		.amdhsa_uses_dynamic_stack 0
		.amdhsa_enable_private_segment 0
		.amdhsa_system_sgpr_workgroup_id_x 1
		.amdhsa_system_sgpr_workgroup_id_y 0
		.amdhsa_system_sgpr_workgroup_id_z 0
		.amdhsa_system_sgpr_workgroup_info 0
		.amdhsa_system_vgpr_workitem_id 0
		.amdhsa_next_free_vgpr 1
		.amdhsa_next_free_sgpr 1
		.amdhsa_reserve_vcc 0
		.amdhsa_float_round_mode_32 0
		.amdhsa_float_round_mode_16_64 0
		.amdhsa_float_denorm_mode_32 3
		.amdhsa_float_denorm_mode_16_64 3
		.amdhsa_dx10_clamp 1
		.amdhsa_ieee_mode 1
		.amdhsa_fp16_overflow 0
		.amdhsa_workgroup_processor_mode 1
		.amdhsa_memory_ordered 1
		.amdhsa_forward_progress 0
		.amdhsa_shared_vgpr_count 0
		.amdhsa_exception_fp_ieee_invalid_op 0
		.amdhsa_exception_fp_denorm_src 0
		.amdhsa_exception_fp_ieee_div_zero 0
		.amdhsa_exception_fp_ieee_overflow 0
		.amdhsa_exception_fp_ieee_underflow 0
		.amdhsa_exception_fp_ieee_inexact 0
		.amdhsa_exception_int_div_zero 0
	.end_amdhsa_kernel
	.section	.text._ZN7rocprim17ROCPRIM_400000_NS6detail17trampoline_kernelINS0_14default_configENS1_25partition_config_selectorILNS1_17partition_subalgoE9EffbEEZZNS1_14partition_implILS5_9ELb0ES3_jN6thrust23THRUST_200600_302600_NS6detail15normal_iteratorINS9_10device_ptrIfEEEESE_PNS0_10empty_typeENS0_5tupleIJSE_SF_EEENSH_IJSE_SG_EEENS0_18inequality_wrapperI22is_equal_div_10_uniqueIfEEEPmJSF_EEE10hipError_tPvRmT3_T4_T5_T6_T7_T9_mT8_P12ihipStream_tbDpT10_ENKUlT_T0_E_clISt17integral_constantIbLb1EES18_EEDaS13_S14_EUlS13_E_NS1_11comp_targetILNS1_3genE10ELNS1_11target_archE1200ELNS1_3gpuE4ELNS1_3repE0EEENS1_30default_config_static_selectorELNS0_4arch9wavefront6targetE0EEEvT1_,"axG",@progbits,_ZN7rocprim17ROCPRIM_400000_NS6detail17trampoline_kernelINS0_14default_configENS1_25partition_config_selectorILNS1_17partition_subalgoE9EffbEEZZNS1_14partition_implILS5_9ELb0ES3_jN6thrust23THRUST_200600_302600_NS6detail15normal_iteratorINS9_10device_ptrIfEEEESE_PNS0_10empty_typeENS0_5tupleIJSE_SF_EEENSH_IJSE_SG_EEENS0_18inequality_wrapperI22is_equal_div_10_uniqueIfEEEPmJSF_EEE10hipError_tPvRmT3_T4_T5_T6_T7_T9_mT8_P12ihipStream_tbDpT10_ENKUlT_T0_E_clISt17integral_constantIbLb1EES18_EEDaS13_S14_EUlS13_E_NS1_11comp_targetILNS1_3genE10ELNS1_11target_archE1200ELNS1_3gpuE4ELNS1_3repE0EEENS1_30default_config_static_selectorELNS0_4arch9wavefront6targetE0EEEvT1_,comdat
.Lfunc_end125:
	.size	_ZN7rocprim17ROCPRIM_400000_NS6detail17trampoline_kernelINS0_14default_configENS1_25partition_config_selectorILNS1_17partition_subalgoE9EffbEEZZNS1_14partition_implILS5_9ELb0ES3_jN6thrust23THRUST_200600_302600_NS6detail15normal_iteratorINS9_10device_ptrIfEEEESE_PNS0_10empty_typeENS0_5tupleIJSE_SF_EEENSH_IJSE_SG_EEENS0_18inequality_wrapperI22is_equal_div_10_uniqueIfEEEPmJSF_EEE10hipError_tPvRmT3_T4_T5_T6_T7_T9_mT8_P12ihipStream_tbDpT10_ENKUlT_T0_E_clISt17integral_constantIbLb1EES18_EEDaS13_S14_EUlS13_E_NS1_11comp_targetILNS1_3genE10ELNS1_11target_archE1200ELNS1_3gpuE4ELNS1_3repE0EEENS1_30default_config_static_selectorELNS0_4arch9wavefront6targetE0EEEvT1_, .Lfunc_end125-_ZN7rocprim17ROCPRIM_400000_NS6detail17trampoline_kernelINS0_14default_configENS1_25partition_config_selectorILNS1_17partition_subalgoE9EffbEEZZNS1_14partition_implILS5_9ELb0ES3_jN6thrust23THRUST_200600_302600_NS6detail15normal_iteratorINS9_10device_ptrIfEEEESE_PNS0_10empty_typeENS0_5tupleIJSE_SF_EEENSH_IJSE_SG_EEENS0_18inequality_wrapperI22is_equal_div_10_uniqueIfEEEPmJSF_EEE10hipError_tPvRmT3_T4_T5_T6_T7_T9_mT8_P12ihipStream_tbDpT10_ENKUlT_T0_E_clISt17integral_constantIbLb1EES18_EEDaS13_S14_EUlS13_E_NS1_11comp_targetILNS1_3genE10ELNS1_11target_archE1200ELNS1_3gpuE4ELNS1_3repE0EEENS1_30default_config_static_selectorELNS0_4arch9wavefront6targetE0EEEvT1_
                                        ; -- End function
	.section	.AMDGPU.csdata,"",@progbits
; Kernel info:
; codeLenInByte = 0
; NumSgprs: 0
; NumVgprs: 0
; ScratchSize: 0
; MemoryBound: 0
; FloatMode: 240
; IeeeMode: 1
; LDSByteSize: 0 bytes/workgroup (compile time only)
; SGPRBlocks: 0
; VGPRBlocks: 0
; NumSGPRsForWavesPerEU: 1
; NumVGPRsForWavesPerEU: 1
; Occupancy: 15
; WaveLimiterHint : 0
; COMPUTE_PGM_RSRC2:SCRATCH_EN: 0
; COMPUTE_PGM_RSRC2:USER_SGPR: 15
; COMPUTE_PGM_RSRC2:TRAP_HANDLER: 0
; COMPUTE_PGM_RSRC2:TGID_X_EN: 1
; COMPUTE_PGM_RSRC2:TGID_Y_EN: 0
; COMPUTE_PGM_RSRC2:TGID_Z_EN: 0
; COMPUTE_PGM_RSRC2:TIDIG_COMP_CNT: 0
	.section	.text._ZN7rocprim17ROCPRIM_400000_NS6detail17trampoline_kernelINS0_14default_configENS1_25partition_config_selectorILNS1_17partition_subalgoE9EffbEEZZNS1_14partition_implILS5_9ELb0ES3_jN6thrust23THRUST_200600_302600_NS6detail15normal_iteratorINS9_10device_ptrIfEEEESE_PNS0_10empty_typeENS0_5tupleIJSE_SF_EEENSH_IJSE_SG_EEENS0_18inequality_wrapperI22is_equal_div_10_uniqueIfEEEPmJSF_EEE10hipError_tPvRmT3_T4_T5_T6_T7_T9_mT8_P12ihipStream_tbDpT10_ENKUlT_T0_E_clISt17integral_constantIbLb1EES18_EEDaS13_S14_EUlS13_E_NS1_11comp_targetILNS1_3genE9ELNS1_11target_archE1100ELNS1_3gpuE3ELNS1_3repE0EEENS1_30default_config_static_selectorELNS0_4arch9wavefront6targetE0EEEvT1_,"axG",@progbits,_ZN7rocprim17ROCPRIM_400000_NS6detail17trampoline_kernelINS0_14default_configENS1_25partition_config_selectorILNS1_17partition_subalgoE9EffbEEZZNS1_14partition_implILS5_9ELb0ES3_jN6thrust23THRUST_200600_302600_NS6detail15normal_iteratorINS9_10device_ptrIfEEEESE_PNS0_10empty_typeENS0_5tupleIJSE_SF_EEENSH_IJSE_SG_EEENS0_18inequality_wrapperI22is_equal_div_10_uniqueIfEEEPmJSF_EEE10hipError_tPvRmT3_T4_T5_T6_T7_T9_mT8_P12ihipStream_tbDpT10_ENKUlT_T0_E_clISt17integral_constantIbLb1EES18_EEDaS13_S14_EUlS13_E_NS1_11comp_targetILNS1_3genE9ELNS1_11target_archE1100ELNS1_3gpuE3ELNS1_3repE0EEENS1_30default_config_static_selectorELNS0_4arch9wavefront6targetE0EEEvT1_,comdat
	.protected	_ZN7rocprim17ROCPRIM_400000_NS6detail17trampoline_kernelINS0_14default_configENS1_25partition_config_selectorILNS1_17partition_subalgoE9EffbEEZZNS1_14partition_implILS5_9ELb0ES3_jN6thrust23THRUST_200600_302600_NS6detail15normal_iteratorINS9_10device_ptrIfEEEESE_PNS0_10empty_typeENS0_5tupleIJSE_SF_EEENSH_IJSE_SG_EEENS0_18inequality_wrapperI22is_equal_div_10_uniqueIfEEEPmJSF_EEE10hipError_tPvRmT3_T4_T5_T6_T7_T9_mT8_P12ihipStream_tbDpT10_ENKUlT_T0_E_clISt17integral_constantIbLb1EES18_EEDaS13_S14_EUlS13_E_NS1_11comp_targetILNS1_3genE9ELNS1_11target_archE1100ELNS1_3gpuE3ELNS1_3repE0EEENS1_30default_config_static_selectorELNS0_4arch9wavefront6targetE0EEEvT1_ ; -- Begin function _ZN7rocprim17ROCPRIM_400000_NS6detail17trampoline_kernelINS0_14default_configENS1_25partition_config_selectorILNS1_17partition_subalgoE9EffbEEZZNS1_14partition_implILS5_9ELb0ES3_jN6thrust23THRUST_200600_302600_NS6detail15normal_iteratorINS9_10device_ptrIfEEEESE_PNS0_10empty_typeENS0_5tupleIJSE_SF_EEENSH_IJSE_SG_EEENS0_18inequality_wrapperI22is_equal_div_10_uniqueIfEEEPmJSF_EEE10hipError_tPvRmT3_T4_T5_T6_T7_T9_mT8_P12ihipStream_tbDpT10_ENKUlT_T0_E_clISt17integral_constantIbLb1EES18_EEDaS13_S14_EUlS13_E_NS1_11comp_targetILNS1_3genE9ELNS1_11target_archE1100ELNS1_3gpuE3ELNS1_3repE0EEENS1_30default_config_static_selectorELNS0_4arch9wavefront6targetE0EEEvT1_
	.globl	_ZN7rocprim17ROCPRIM_400000_NS6detail17trampoline_kernelINS0_14default_configENS1_25partition_config_selectorILNS1_17partition_subalgoE9EffbEEZZNS1_14partition_implILS5_9ELb0ES3_jN6thrust23THRUST_200600_302600_NS6detail15normal_iteratorINS9_10device_ptrIfEEEESE_PNS0_10empty_typeENS0_5tupleIJSE_SF_EEENSH_IJSE_SG_EEENS0_18inequality_wrapperI22is_equal_div_10_uniqueIfEEEPmJSF_EEE10hipError_tPvRmT3_T4_T5_T6_T7_T9_mT8_P12ihipStream_tbDpT10_ENKUlT_T0_E_clISt17integral_constantIbLb1EES18_EEDaS13_S14_EUlS13_E_NS1_11comp_targetILNS1_3genE9ELNS1_11target_archE1100ELNS1_3gpuE3ELNS1_3repE0EEENS1_30default_config_static_selectorELNS0_4arch9wavefront6targetE0EEEvT1_
	.p2align	8
	.type	_ZN7rocprim17ROCPRIM_400000_NS6detail17trampoline_kernelINS0_14default_configENS1_25partition_config_selectorILNS1_17partition_subalgoE9EffbEEZZNS1_14partition_implILS5_9ELb0ES3_jN6thrust23THRUST_200600_302600_NS6detail15normal_iteratorINS9_10device_ptrIfEEEESE_PNS0_10empty_typeENS0_5tupleIJSE_SF_EEENSH_IJSE_SG_EEENS0_18inequality_wrapperI22is_equal_div_10_uniqueIfEEEPmJSF_EEE10hipError_tPvRmT3_T4_T5_T6_T7_T9_mT8_P12ihipStream_tbDpT10_ENKUlT_T0_E_clISt17integral_constantIbLb1EES18_EEDaS13_S14_EUlS13_E_NS1_11comp_targetILNS1_3genE9ELNS1_11target_archE1100ELNS1_3gpuE3ELNS1_3repE0EEENS1_30default_config_static_selectorELNS0_4arch9wavefront6targetE0EEEvT1_,@function
_ZN7rocprim17ROCPRIM_400000_NS6detail17trampoline_kernelINS0_14default_configENS1_25partition_config_selectorILNS1_17partition_subalgoE9EffbEEZZNS1_14partition_implILS5_9ELb0ES3_jN6thrust23THRUST_200600_302600_NS6detail15normal_iteratorINS9_10device_ptrIfEEEESE_PNS0_10empty_typeENS0_5tupleIJSE_SF_EEENSH_IJSE_SG_EEENS0_18inequality_wrapperI22is_equal_div_10_uniqueIfEEEPmJSF_EEE10hipError_tPvRmT3_T4_T5_T6_T7_T9_mT8_P12ihipStream_tbDpT10_ENKUlT_T0_E_clISt17integral_constantIbLb1EES18_EEDaS13_S14_EUlS13_E_NS1_11comp_targetILNS1_3genE9ELNS1_11target_archE1100ELNS1_3gpuE3ELNS1_3repE0EEENS1_30default_config_static_selectorELNS0_4arch9wavefront6targetE0EEEvT1_: ; @_ZN7rocprim17ROCPRIM_400000_NS6detail17trampoline_kernelINS0_14default_configENS1_25partition_config_selectorILNS1_17partition_subalgoE9EffbEEZZNS1_14partition_implILS5_9ELb0ES3_jN6thrust23THRUST_200600_302600_NS6detail15normal_iteratorINS9_10device_ptrIfEEEESE_PNS0_10empty_typeENS0_5tupleIJSE_SF_EEENSH_IJSE_SG_EEENS0_18inequality_wrapperI22is_equal_div_10_uniqueIfEEEPmJSF_EEE10hipError_tPvRmT3_T4_T5_T6_T7_T9_mT8_P12ihipStream_tbDpT10_ENKUlT_T0_E_clISt17integral_constantIbLb1EES18_EEDaS13_S14_EUlS13_E_NS1_11comp_targetILNS1_3genE9ELNS1_11target_archE1100ELNS1_3gpuE3ELNS1_3repE0EEENS1_30default_config_static_selectorELNS0_4arch9wavefront6targetE0EEEvT1_
; %bb.0:
	s_clause 0x4
	s_load_b128 s[4:7], s[0:1], 0x8
	s_load_b64 s[18:19], s[0:1], 0x18
	s_load_b128 s[8:11], s[0:1], 0x40
	s_load_b64 s[22:23], s[0:1], 0x50
	s_load_b64 s[16:17], s[0:1], 0x60
	v_cmp_ne_u32_e64 s3, 0, v0
	v_cmp_eq_u32_e64 s2, 0, v0
	s_delay_alu instid0(VALU_DEP_1)
	s_and_saveexec_b32 s12, s2
	s_cbranch_execz .LBB126_4
; %bb.1:
	s_mov_b32 s14, exec_lo
	s_mov_b32 s13, exec_lo
	v_mbcnt_lo_u32_b32 v1, s14, 0
                                        ; implicit-def: $vgpr2
	s_delay_alu instid0(VALU_DEP_1)
	v_cmpx_eq_u32_e32 0, v1
	s_cbranch_execz .LBB126_3
; %bb.2:
	s_load_b64 s[20:21], s[0:1], 0x70
	s_bcnt1_i32_b32 s14, s14
	s_delay_alu instid0(SALU_CYCLE_1)
	v_dual_mov_b32 v2, 0 :: v_dual_mov_b32 v3, s14
	s_waitcnt lgkmcnt(0)
	global_atomic_add_u32 v2, v2, v3, s[20:21] glc
.LBB126_3:
	s_or_b32 exec_lo, exec_lo, s13
	s_waitcnt vmcnt(0)
	v_readfirstlane_b32 s13, v2
	s_delay_alu instid0(VALU_DEP_1)
	v_dual_mov_b32 v2, 0 :: v_dual_add_nc_u32 v1, s13, v1
	ds_store_b32 v2, v1
.LBB126_4:
	s_or_b32 exec_lo, exec_lo, s12
	v_dual_mov_b32 v1, 0 :: v_dual_add_nc_u32 v22, 0x300, v0
	s_clause 0x1
	s_load_b128 s[12:15], s[0:1], 0x28
	s_load_b32 s0, s[0:1], 0x68
	s_waitcnt lgkmcnt(0)
	s_barrier
	buffer_gl0_inv
	ds_load_b32 v3, v1
	s_waitcnt lgkmcnt(0)
	s_barrier
	buffer_gl0_inv
	global_load_b64 v[1:2], v1, s[10:11]
	s_lshl_b64 s[20:21], s[6:7], 2
	s_mov_b32 s11, 0
	s_add_u32 s26, s4, s20
	s_addc_u32 s28, s5, s21
	v_lshrrev_b32_e32 v20, 3, v0
	v_add_nc_u32_e32 v25, 0x180, v0
	v_add_nc_u32_e32 v21, 0x480, v0
	v_or_b32_e32 v23, 0x600, v0
	v_add_nc_u32_e32 v18, 0x780, v0
	v_add_nc_u32_e32 v17, 0x900, v0
	;; [unrolled: 1-line block ×3, first 2 shown]
	s_mul_i32 s1, s0, 0xc00
	s_delay_alu instid0(SALU_CYCLE_1) | instskip(NEXT) | instid1(SALU_CYCLE_1)
	s_add_i32 s4, s1, s6
	s_sub_i32 s25, s22, s4
	s_add_i32 s4, s0, -1
	s_addk_i32 s25, 0xc00
	s_add_u32 s0, s6, s1
	v_readfirstlane_b32 s24, v3
	s_addc_u32 s1, s7, 0
	s_delay_alu instid0(SALU_CYCLE_1) | instskip(NEXT) | instid1(VALU_DEP_2)
	v_cmp_ge_u64_e64 s0, s[0:1], s[22:23]
	s_cmp_eq_u32 s24, s4
	s_mul_i32 s10, s24, 0xc00
	s_cselect_b32 s22, -1, 0
	s_lshl_b64 s[4:5], s[10:11], 2
	s_delay_alu instid0(VALU_DEP_1) | instskip(NEXT) | instid1(SALU_CYCLE_1)
	s_and_b32 s1, s0, s22
	s_xor_b32 s23, s1, -1
	s_add_u32 s27, s26, s4
	s_addc_u32 s26, s28, s5
	s_and_b32 vcc_lo, exec_lo, s23
	s_mov_b32 s28, -1
	s_waitcnt vmcnt(0)
	v_readfirstlane_b32 s10, v1
	v_readfirstlane_b32 s11, v2
	s_cbranch_vccz .LBB126_6
; %bb.5:
	v_lshlrev_b32_e32 v7, 2, v0
	v_lshrrev_b32_e32 v11, 3, v25
	v_lshrrev_b32_e32 v12, 3, v22
	;; [unrolled: 1-line block ×4, first 2 shown]
	v_add_co_u32 v1, s0, s27, v7
	s_delay_alu instid0(VALU_DEP_1) | instskip(SKIP_1) | instid1(VALU_DEP_3)
	v_add_co_ci_u32_e64 v2, null, s26, 0, s0
	v_lshrrev_b32_e32 v15, 3, v18
	v_add_co_u32 v3, vcc_lo, 0x1000, v1
	s_delay_alu instid0(VALU_DEP_3)
	v_add_co_ci_u32_e32 v4, vcc_lo, 0, v2, vcc_lo
	v_add_co_u32 v5, vcc_lo, 0x2000, v1
	v_add_co_ci_u32_e32 v6, vcc_lo, 0, v2, vcc_lo
	s_clause 0x7
	flat_load_b32 v8, v[1:2]
	flat_load_b32 v9, v[1:2] offset:1536
	flat_load_b32 v1, v[1:2] offset:3072
	flat_load_b32 v2, v[3:4] offset:512
	flat_load_b32 v10, v[3:4] offset:2048
	flat_load_b32 v3, v[3:4] offset:3584
	flat_load_b32 v4, v[5:6] offset:1024
	flat_load_b32 v5, v[5:6] offset:2560
	v_and_b32_e32 v6, 60, v20
	v_lshrrev_b32_e32 v16, 3, v17
	v_lshrrev_b32_e32 v19, 3, v24
	v_and_b32_e32 v11, 0x7c, v11
	v_and_b32_e32 v12, 0xfc, v12
	v_and_b32_e32 v13, 0xfc, v13
	v_and_b32_e32 v14, 0xfc, v14
	v_add_nc_u32_e32 v6, v6, v7
	v_and_b32_e32 v15, 0x1fc, v15
	v_and_b32_e32 v16, 0x17c, v16
	;; [unrolled: 1-line block ×3, first 2 shown]
	v_add_nc_u32_e32 v11, v11, v7
	v_add_nc_u32_e32 v12, v12, v7
	;; [unrolled: 1-line block ×4, first 2 shown]
	s_mov_b32 s28, 0
	v_add_nc_u32_e32 v15, v15, v7
	v_add_nc_u32_e32 v16, v16, v7
	;; [unrolled: 1-line block ×3, first 2 shown]
	s_waitcnt vmcnt(7) lgkmcnt(7)
	ds_store_b32 v6, v8
	s_waitcnt vmcnt(6) lgkmcnt(7)
	ds_store_b32 v11, v9 offset:1536
	s_waitcnt vmcnt(5) lgkmcnt(7)
	ds_store_b32 v12, v1 offset:3072
	;; [unrolled: 2-line block ×7, first 2 shown]
	s_waitcnt lgkmcnt(0)
	s_barrier
.LBB126_6:
	v_cmp_gt_u32_e64 s0, s25, v0
	s_and_not1_b32 vcc_lo, exec_lo, s28
	s_cbranch_vccnz .LBB126_24
; %bb.7:
                                        ; implicit-def: $vgpr1_vgpr2_vgpr3_vgpr4_vgpr5_vgpr6_vgpr7_vgpr8
	s_delay_alu instid0(VALU_DEP_1)
	s_and_saveexec_b32 s28, s0
	s_cbranch_execz .LBB126_15
; %bb.8:
	v_lshlrev_b32_e32 v1, 2, v0
	s_delay_alu instid0(VALU_DEP_1) | instskip(NEXT) | instid1(VALU_DEP_1)
	v_add_co_u32 v1, s0, s27, v1
	v_add_co_ci_u32_e64 v2, null, s26, 0, s0
	flat_load_b32 v1, v[1:2]
	s_or_b32 exec_lo, exec_lo, s28
	s_delay_alu instid0(SALU_CYCLE_1)
	s_mov_b32 s0, exec_lo
	v_cmpx_gt_u32_e64 s25, v25
	s_cbranch_execnz .LBB126_16
.LBB126_9:
	s_or_b32 exec_lo, exec_lo, s0
	s_delay_alu instid0(SALU_CYCLE_1)
	s_mov_b32 s0, exec_lo
	v_cmpx_gt_u32_e64 s25, v22
	s_cbranch_execz .LBB126_17
.LBB126_10:
	v_lshlrev_b32_e32 v3, 2, v0
	s_delay_alu instid0(VALU_DEP_1) | instskip(NEXT) | instid1(VALU_DEP_1)
	v_add_co_u32 v9, s28, s27, v3
	v_add_co_ci_u32_e64 v10, null, s26, 0, s28
	flat_load_b32 v3, v[9:10] offset:3072
	s_or_b32 exec_lo, exec_lo, s0
	s_delay_alu instid0(SALU_CYCLE_1)
	s_mov_b32 s0, exec_lo
	v_cmpx_gt_u32_e64 s25, v21
	s_cbranch_execnz .LBB126_18
.LBB126_11:
	s_or_b32 exec_lo, exec_lo, s0
	s_delay_alu instid0(SALU_CYCLE_1)
	s_mov_b32 s0, exec_lo
	v_cmpx_gt_u32_e64 s25, v23
	s_cbranch_execz .LBB126_19
.LBB126_12:
	v_lshlrev_b32_e32 v5, 2, v23
	s_delay_alu instid0(VALU_DEP_1) | instskip(NEXT) | instid1(VALU_DEP_1)
	v_add_co_u32 v9, s28, s27, v5
	v_add_co_ci_u32_e64 v10, null, s26, 0, s28
	flat_load_b32 v5, v[9:10]
	s_or_b32 exec_lo, exec_lo, s0
	s_delay_alu instid0(SALU_CYCLE_1)
	s_mov_b32 s0, exec_lo
	v_cmpx_gt_u32_e64 s25, v18
	s_cbranch_execnz .LBB126_20
.LBB126_13:
	s_or_b32 exec_lo, exec_lo, s0
	s_delay_alu instid0(SALU_CYCLE_1)
	s_mov_b32 s0, exec_lo
	v_cmpx_gt_u32_e64 s25, v17
	s_cbranch_execz .LBB126_21
.LBB126_14:
	v_lshlrev_b32_e32 v7, 2, v17
	s_delay_alu instid0(VALU_DEP_1) | instskip(NEXT) | instid1(VALU_DEP_1)
	v_add_co_u32 v9, s28, s27, v7
	v_add_co_ci_u32_e64 v10, null, s26, 0, s28
	flat_load_b32 v7, v[9:10]
	s_or_b32 exec_lo, exec_lo, s0
	s_delay_alu instid0(SALU_CYCLE_1)
	s_mov_b32 s0, exec_lo
	v_cmpx_gt_u32_e64 s25, v24
	s_cbranch_execnz .LBB126_22
	s_branch .LBB126_23
.LBB126_15:
	s_or_b32 exec_lo, exec_lo, s28
	s_delay_alu instid0(SALU_CYCLE_1)
	s_mov_b32 s0, exec_lo
	v_cmpx_gt_u32_e64 s25, v25
	s_cbranch_execz .LBB126_9
.LBB126_16:
	v_lshlrev_b32_e32 v2, 2, v0
	s_delay_alu instid0(VALU_DEP_1) | instskip(NEXT) | instid1(VALU_DEP_1)
	v_add_co_u32 v9, s28, s27, v2
	v_add_co_ci_u32_e64 v10, null, s26, 0, s28
	flat_load_b32 v2, v[9:10] offset:1536
	s_or_b32 exec_lo, exec_lo, s0
	s_delay_alu instid0(SALU_CYCLE_1)
	s_mov_b32 s0, exec_lo
	v_cmpx_gt_u32_e64 s25, v22
	s_cbranch_execnz .LBB126_10
.LBB126_17:
	s_or_b32 exec_lo, exec_lo, s0
	s_delay_alu instid0(SALU_CYCLE_1)
	s_mov_b32 s0, exec_lo
	v_cmpx_gt_u32_e64 s25, v21
	s_cbranch_execz .LBB126_11
.LBB126_18:
	v_lshlrev_b32_e32 v4, 2, v21
	s_delay_alu instid0(VALU_DEP_1) | instskip(NEXT) | instid1(VALU_DEP_1)
	v_add_co_u32 v9, s28, s27, v4
	v_add_co_ci_u32_e64 v10, null, s26, 0, s28
	flat_load_b32 v4, v[9:10]
	s_or_b32 exec_lo, exec_lo, s0
	s_delay_alu instid0(SALU_CYCLE_1)
	s_mov_b32 s0, exec_lo
	v_cmpx_gt_u32_e64 s25, v23
	s_cbranch_execnz .LBB126_12
.LBB126_19:
	s_or_b32 exec_lo, exec_lo, s0
	s_delay_alu instid0(SALU_CYCLE_1)
	s_mov_b32 s0, exec_lo
	v_cmpx_gt_u32_e64 s25, v18
	s_cbranch_execz .LBB126_13
.LBB126_20:
	v_lshlrev_b32_e32 v6, 2, v18
	s_delay_alu instid0(VALU_DEP_1) | instskip(NEXT) | instid1(VALU_DEP_1)
	v_add_co_u32 v9, s28, s27, v6
	v_add_co_ci_u32_e64 v10, null, s26, 0, s28
	flat_load_b32 v6, v[9:10]
	s_or_b32 exec_lo, exec_lo, s0
	s_delay_alu instid0(SALU_CYCLE_1)
	s_mov_b32 s0, exec_lo
	v_cmpx_gt_u32_e64 s25, v17
	s_cbranch_execnz .LBB126_14
.LBB126_21:
	s_or_b32 exec_lo, exec_lo, s0
	s_delay_alu instid0(SALU_CYCLE_1)
	s_mov_b32 s0, exec_lo
	v_cmpx_gt_u32_e64 s25, v24
	s_cbranch_execz .LBB126_23
.LBB126_22:
	v_lshlrev_b32_e32 v8, 2, v24
	s_delay_alu instid0(VALU_DEP_1) | instskip(NEXT) | instid1(VALU_DEP_1)
	v_add_co_u32 v8, s28, s27, v8
	v_add_co_ci_u32_e64 v9, null, s26, 0, s28
	flat_load_b32 v8, v[8:9]
.LBB126_23:
	s_or_b32 exec_lo, exec_lo, s0
	v_lshrrev_b32_e32 v9, 3, v25
	v_lshrrev_b32_e32 v10, 3, v22
	;; [unrolled: 1-line block ×4, first 2 shown]
	v_and_b32_e32 v11, 60, v20
	v_lshlrev_b32_e32 v12, 2, v0
	v_lshrrev_b32_e32 v15, 3, v18
	v_lshrrev_b32_e32 v16, 3, v17
	;; [unrolled: 1-line block ×3, first 2 shown]
	v_and_b32_e32 v9, 0x7c, v9
	v_and_b32_e32 v10, 0xfc, v10
	;; [unrolled: 1-line block ×4, first 2 shown]
	v_add_nc_u32_e32 v11, v11, v12
	v_and_b32_e32 v15, 0x1fc, v15
	v_and_b32_e32 v16, 0x1fc, v16
	;; [unrolled: 1-line block ×3, first 2 shown]
	v_add_nc_u32_e32 v9, v9, v12
	v_add_nc_u32_e32 v10, v10, v12
	;; [unrolled: 1-line block ×7, first 2 shown]
	s_waitcnt vmcnt(0) lgkmcnt(0)
	ds_store_b32 v11, v1
	ds_store_b32 v9, v2 offset:1536
	ds_store_b32 v10, v3 offset:3072
	;; [unrolled: 1-line block ×7, first 2 shown]
	s_waitcnt lgkmcnt(0)
	s_barrier
.LBB126_24:
	v_lshlrev_b32_e32 v19, 3, v0
	v_lshrrev_b32_e32 v1, 2, v0
	buffer_gl0_inv
	s_add_u32 s0, s18, s20
	s_addc_u32 s18, s19, s21
	s_add_u32 s0, s0, s4
	v_add_lshl_u32 v1, v1, v19, 2
	s_addc_u32 s4, s18, s5
	s_and_b32 vcc_lo, exec_lo, s23
	s_mov_b32 s5, -1
	ds_load_2addr_b32 v[15:16], v1 offset1:1
	ds_load_2addr_b32 v[13:14], v1 offset0:2 offset1:3
	ds_load_2addr_b32 v[11:12], v1 offset0:4 offset1:5
	;; [unrolled: 1-line block ×3, first 2 shown]
	s_waitcnt lgkmcnt(0)
	s_barrier
	buffer_gl0_inv
	s_cbranch_vccz .LBB126_26
; %bb.25:
	v_lshlrev_b32_e32 v8, 2, v0
	v_lshrrev_b32_e32 v29, 3, v25
	v_lshrrev_b32_e32 v30, 3, v22
	;; [unrolled: 1-line block ×4, first 2 shown]
	v_add_co_u32 v2, s5, s0, v8
	s_delay_alu instid0(VALU_DEP_1) | instskip(SKIP_1) | instid1(VALU_DEP_3)
	v_add_co_ci_u32_e64 v3, null, s4, 0, s5
	v_lshrrev_b32_e32 v33, 3, v18
	v_add_co_u32 v4, vcc_lo, 0x1000, v2
	s_delay_alu instid0(VALU_DEP_3)
	v_add_co_ci_u32_e32 v5, vcc_lo, 0, v3, vcc_lo
	v_add_co_u32 v6, vcc_lo, 0x2000, v2
	v_add_co_ci_u32_e32 v7, vcc_lo, 0, v3, vcc_lo
	s_clause 0x7
	flat_load_b32 v26, v[2:3]
	flat_load_b32 v27, v[2:3] offset:1536
	flat_load_b32 v2, v[2:3] offset:3072
	;; [unrolled: 1-line block ×7, first 2 shown]
	v_and_b32_e32 v7, 60, v20
	v_lshrrev_b32_e32 v34, 3, v17
	v_lshrrev_b32_e32 v35, 3, v24
	v_and_b32_e32 v29, 0x7c, v29
	v_and_b32_e32 v30, 0xfc, v30
	;; [unrolled: 1-line block ×4, first 2 shown]
	v_add_nc_u32_e32 v7, v7, v8
	v_and_b32_e32 v33, 0x1fc, v33
	v_and_b32_e32 v34, 0x17c, v34
	;; [unrolled: 1-line block ×3, first 2 shown]
	v_add_nc_u32_e32 v29, v29, v8
	v_add_nc_u32_e32 v30, v30, v8
	;; [unrolled: 1-line block ×4, first 2 shown]
	s_mov_b32 s5, 0
	v_add_nc_u32_e32 v33, v33, v8
	v_add_nc_u32_e32 v34, v34, v8
	;; [unrolled: 1-line block ×3, first 2 shown]
	s_waitcnt vmcnt(7) lgkmcnt(7)
	ds_store_b32 v7, v26
	s_waitcnt vmcnt(6) lgkmcnt(7)
	ds_store_b32 v29, v27 offset:1536
	s_waitcnt vmcnt(5) lgkmcnt(7)
	ds_store_b32 v30, v2 offset:3072
	s_waitcnt vmcnt(4) lgkmcnt(7)
	ds_store_b32 v31, v3 offset:4608
	s_waitcnt vmcnt(3) lgkmcnt(7)
	ds_store_b32 v32, v28 offset:6144
	s_waitcnt vmcnt(2) lgkmcnt(7)
	ds_store_b32 v33, v4 offset:7680
	s_waitcnt vmcnt(1) lgkmcnt(7)
	ds_store_b32 v34, v5 offset:9216
	s_waitcnt vmcnt(0) lgkmcnt(7)
	ds_store_b32 v8, v6 offset:10752
	s_waitcnt lgkmcnt(0)
	s_barrier
.LBB126_26:
	s_and_not1_b32 vcc_lo, exec_lo, s5
	s_cbranch_vccnz .LBB126_44
; %bb.27:
	s_mov_b32 s5, exec_lo
                                        ; implicit-def: $vgpr2
	v_cmpx_gt_u32_e64 s25, v0
	s_cbranch_execz .LBB126_29
; %bb.28:
	v_lshlrev_b32_e32 v2, 2, v0
	s_delay_alu instid0(VALU_DEP_1) | instskip(NEXT) | instid1(VALU_DEP_1)
	v_add_co_u32 v2, s18, s0, v2
	v_add_co_ci_u32_e64 v3, null, s4, 0, s18
	flat_load_b32 v2, v[2:3]
.LBB126_29:
	s_or_b32 exec_lo, exec_lo, s5
	s_delay_alu instid0(SALU_CYCLE_1)
	s_mov_b32 s5, exec_lo
                                        ; implicit-def: $vgpr3
	v_cmpx_gt_u32_e64 s25, v25
	s_cbranch_execz .LBB126_31
; %bb.30:
	v_lshlrev_b32_e32 v3, 2, v0
	s_delay_alu instid0(VALU_DEP_1) | instskip(NEXT) | instid1(VALU_DEP_1)
	v_add_co_u32 v3, s18, s0, v3
	v_add_co_ci_u32_e64 v4, null, s4, 0, s18
	flat_load_b32 v3, v[3:4] offset:1536
.LBB126_31:
	s_or_b32 exec_lo, exec_lo, s5
	s_delay_alu instid0(SALU_CYCLE_1)
	s_mov_b32 s5, exec_lo
                                        ; implicit-def: $vgpr4
	v_cmpx_gt_u32_e64 s25, v22
	s_cbranch_execz .LBB126_33
; %bb.32:
	v_lshlrev_b32_e32 v4, 2, v0
	s_delay_alu instid0(VALU_DEP_1) | instskip(NEXT) | instid1(VALU_DEP_1)
	v_add_co_u32 v4, s18, s0, v4
	v_add_co_ci_u32_e64 v5, null, s4, 0, s18
	flat_load_b32 v4, v[4:5] offset:3072
.LBB126_33:
	s_or_b32 exec_lo, exec_lo, s5
	s_delay_alu instid0(SALU_CYCLE_1)
	s_mov_b32 s5, exec_lo
                                        ; implicit-def: $vgpr5
	v_cmpx_gt_u32_e64 s25, v21
	s_cbranch_execz .LBB126_35
; %bb.34:
	v_lshlrev_b32_e32 v5, 2, v21
	s_delay_alu instid0(VALU_DEP_1) | instskip(NEXT) | instid1(VALU_DEP_1)
	v_add_co_u32 v5, s18, s0, v5
	v_add_co_ci_u32_e64 v6, null, s4, 0, s18
	flat_load_b32 v5, v[5:6]
.LBB126_35:
	s_or_b32 exec_lo, exec_lo, s5
	s_delay_alu instid0(SALU_CYCLE_1)
	s_mov_b32 s5, exec_lo
                                        ; implicit-def: $vgpr6
	v_cmpx_gt_u32_e64 s25, v23
	s_cbranch_execz .LBB126_37
; %bb.36:
	v_lshlrev_b32_e32 v6, 2, v23
	s_delay_alu instid0(VALU_DEP_1) | instskip(NEXT) | instid1(VALU_DEP_1)
	v_add_co_u32 v6, s18, s0, v6
	v_add_co_ci_u32_e64 v7, null, s4, 0, s18
	flat_load_b32 v6, v[6:7]
.LBB126_37:
	s_or_b32 exec_lo, exec_lo, s5
	s_delay_alu instid0(SALU_CYCLE_1)
	s_mov_b32 s5, exec_lo
                                        ; implicit-def: $vgpr7
	v_cmpx_gt_u32_e64 s25, v18
	s_cbranch_execz .LBB126_39
; %bb.38:
	v_lshlrev_b32_e32 v7, 2, v18
	s_delay_alu instid0(VALU_DEP_1) | instskip(NEXT) | instid1(VALU_DEP_1)
	v_add_co_u32 v7, s18, s0, v7
	v_add_co_ci_u32_e64 v8, null, s4, 0, s18
	flat_load_b32 v7, v[7:8]
.LBB126_39:
	s_or_b32 exec_lo, exec_lo, s5
	s_delay_alu instid0(SALU_CYCLE_1)
	s_mov_b32 s5, exec_lo
                                        ; implicit-def: $vgpr8
	v_cmpx_gt_u32_e64 s25, v17
	s_cbranch_execz .LBB126_41
; %bb.40:
	v_lshlrev_b32_e32 v8, 2, v17
	s_delay_alu instid0(VALU_DEP_1) | instskip(NEXT) | instid1(VALU_DEP_1)
	v_add_co_u32 v26, s18, s0, v8
	v_add_co_ci_u32_e64 v27, null, s4, 0, s18
	flat_load_b32 v8, v[26:27]
.LBB126_41:
	s_or_b32 exec_lo, exec_lo, s5
	s_delay_alu instid0(SALU_CYCLE_1)
	s_mov_b32 s5, exec_lo
                                        ; implicit-def: $vgpr26
	v_cmpx_gt_u32_e64 s25, v24
	s_cbranch_execz .LBB126_43
; %bb.42:
	v_lshlrev_b32_e32 v26, 2, v24
	s_delay_alu instid0(VALU_DEP_1) | instskip(NEXT) | instid1(VALU_DEP_1)
	v_add_co_u32 v26, s0, s0, v26
	v_add_co_ci_u32_e64 v27, null, s4, 0, s0
	flat_load_b32 v26, v[26:27]
.LBB126_43:
	s_or_b32 exec_lo, exec_lo, s5
	v_lshrrev_b32_e32 v25, 3, v25
	v_lshrrev_b32_e32 v22, 3, v22
	;; [unrolled: 1-line block ×4, first 2 shown]
	v_and_b32_e32 v20, 60, v20
	v_lshlrev_b32_e32 v27, 2, v0
	v_lshrrev_b32_e32 v18, 3, v18
	v_lshrrev_b32_e32 v17, 3, v17
	;; [unrolled: 1-line block ×3, first 2 shown]
	v_and_b32_e32 v25, 0x7c, v25
	v_and_b32_e32 v22, 0xfc, v22
	;; [unrolled: 1-line block ×4, first 2 shown]
	v_add_nc_u32_e32 v20, v20, v27
	v_and_b32_e32 v18, 0x1fc, v18
	v_and_b32_e32 v17, 0x1fc, v17
	;; [unrolled: 1-line block ×3, first 2 shown]
	v_add_nc_u32_e32 v25, v25, v27
	v_add_nc_u32_e32 v22, v22, v27
	;; [unrolled: 1-line block ×7, first 2 shown]
	s_waitcnt vmcnt(0) lgkmcnt(0)
	ds_store_b32 v20, v2
	ds_store_b32 v25, v3 offset:1536
	ds_store_b32 v22, v4 offset:3072
	;; [unrolled: 1-line block ×7, first 2 shown]
	s_waitcnt lgkmcnt(0)
	s_barrier
.LBB126_44:
	buffer_gl0_inv
	ds_load_2addr_b32 v[7:8], v1 offset1:1
	ds_load_2addr_b32 v[5:6], v1 offset0:2 offset1:3
	ds_load_2addr_b32 v[3:4], v1 offset0:4 offset1:5
	;; [unrolled: 1-line block ×3, first 2 shown]
	s_cmp_lg_u32 s24, 0
	s_waitcnt lgkmcnt(0)
	s_cselect_b32 s18, -1, 0
	s_cmp_lg_u64 s[6:7], 0
	s_barrier
	s_cselect_b32 s0, -1, 0
	buffer_gl0_inv
	s_or_b32 s0, s0, s18
	s_delay_alu instid0(SALU_CYCLE_1)
	s_and_b32 vcc_lo, exec_lo, s0
	s_mov_b32 s0, 0
	s_cbranch_vccz .LBB126_49
; %bb.45:
	v_add_co_u32 v17, s0, -4, s27
	s_delay_alu instid0(VALU_DEP_1)
	v_add_co_ci_u32_e64 v18, null, -1, s26, s0
	v_lshlrev_b32_e32 v21, 2, v0
	s_mov_b32 s0, -1
	s_and_b32 vcc_lo, exec_lo, s23
	flat_load_b32 v20, v[17:18]
	ds_store_b32 v21, v10
	s_cbranch_vccz .LBB126_50
; %bb.46:
	s_waitcnt vmcnt(0) lgkmcnt(1)
	v_mov_b32_e32 v17, v20
	s_waitcnt lgkmcnt(0)
	s_barrier
	buffer_gl0_inv
	s_and_saveexec_b32 s0, s3
	s_cbranch_execz .LBB126_48
; %bb.47:
	v_add_nc_u32_e32 v17, -4, v21
	ds_load_b32 v17, v17
.LBB126_48:
	s_or_b32 exec_lo, exec_lo, s0
	v_cvt_i32_f32_e32 v18, v9
	v_cvt_i32_f32_e32 v22, v10
	;; [unrolled: 1-line block ×5, first 2 shown]
	v_mul_hi_i32 v18, 0x66666667, v18
	v_mul_hi_i32 v22, 0x66666667, v22
	;; [unrolled: 1-line block ×4, first 2 shown]
	v_cvt_i32_f32_e32 v28, v13
	v_mul_hi_i32 v25, 0x66666667, v25
	s_waitcnt lgkmcnt(0)
	v_cvt_i32_f32_e32 v17, v17
	v_lshrrev_b32_e32 v26, 31, v18
	v_ashrrev_i32_e32 v18, 2, v18
	v_lshrrev_b32_e32 v27, 31, v22
	v_ashrrev_i32_e32 v22, 2, v22
	;; [unrolled: 2-line block ×3, first 2 shown]
	v_add_nc_u32_e32 v18, v18, v26
	v_lshrrev_b32_e32 v26, 31, v24
	v_add_nc_u32_e32 v22, v22, v27
	v_ashrrev_i32_e32 v24, 2, v24
	v_add_nc_u32_e32 v23, v23, v29
	v_mul_hi_i32 v27, 0x66666667, v28
	v_cvt_i32_f32_e32 v28, v16
	v_cmp_ne_u32_e32 vcc_lo, v18, v22
	v_add_nc_u32_e32 v24, v24, v26
	v_lshrrev_b32_e32 v26, 31, v25
	v_ashrrev_i32_e32 v25, 2, v25
	v_cvt_i32_f32_e32 v29, v15
	v_cndmask_b32_e64 v22, 0, 1, vcc_lo
	v_cmp_ne_u32_e32 vcc_lo, v23, v18
	v_mul_hi_i32 v28, 0x66666667, v28
	v_lshrrev_b32_e32 v30, 31, v27
	v_ashrrev_i32_e32 v27, 2, v27
	v_add_nc_u32_e32 v25, v25, v26
	v_cndmask_b32_e64 v18, 0, 1, vcc_lo
	v_cmp_ne_u32_e32 vcc_lo, v24, v23
	v_mul_hi_i32 v29, 0x66666667, v29
	v_add_nc_u32_e32 v26, v27, v30
	v_lshrrev_b32_e32 v27, 31, v28
	v_ashrrev_i32_e32 v28, 2, v28
	v_cndmask_b32_e64 v23, 0, 1, vcc_lo
	v_cmp_ne_u32_e32 vcc_lo, v25, v24
	v_mul_hi_i32 v17, 0x66666667, v17
	v_lshlrev_b16 v22, 8, v22
	v_lshrrev_b32_e32 v30, 31, v29
	v_ashrrev_i32_e32 v29, 2, v29
	v_cndmask_b32_e64 v24, 0, 1, vcc_lo
	v_add_nc_u32_e32 v27, v28, v27
	v_cmp_ne_u32_e32 vcc_lo, v26, v25
	v_lshlrev_b16 v23, 8, v23
	v_add_nc_u32_e32 v28, v29, v30
	v_lshrrev_b32_e32 v29, 31, v17
	v_ashrrev_i32_e32 v17, 2, v17
	v_cndmask_b32_e64 v25, 0, 1, vcc_lo
	v_cmp_ne_u32_e32 vcc_lo, v27, v26
	v_or_b32_e32 v23, v24, v23
	v_or_b32_e32 v18, v18, v22
	v_add_nc_u32_e32 v17, v17, v29
	v_lshlrev_b16 v25, 8, v25
	v_cndmask_b32_e64 v26, 0, 1, vcc_lo
	v_cmp_ne_u32_e32 vcc_lo, v28, v27
	v_and_b32_e32 v23, 0xffff, v23
	v_lshlrev_b32_e32 v18, 16, v18
	v_cmp_ne_u32_e64 s4, v17, v28
	v_or_b32_e32 v25, v26, v25
	v_cndmask_b32_e64 v27, 0, 1, vcc_lo
	s_delay_alu instid0(VALU_DEP_4) | instskip(NEXT) | instid1(VALU_DEP_3)
	v_or_b32_e32 v18, v23, v18
	v_lshlrev_b32_e32 v22, 16, v25
	s_delay_alu instid0(VALU_DEP_3) | instskip(NEXT) | instid1(VALU_DEP_1)
	v_lshlrev_b16 v26, 8, v27
	v_and_b32_e32 v24, 0xffff, v26
	s_delay_alu instid0(VALU_DEP_1)
	v_or_b32_e32 v17, v24, v22
	s_branch .LBB126_70
.LBB126_49:
                                        ; implicit-def: $sgpr4
                                        ; implicit-def: $vgpr18
	s_branch .LBB126_71
.LBB126_50:
                                        ; implicit-def: $sgpr4
                                        ; implicit-def: $vgpr18
	s_and_b32 vcc_lo, exec_lo, s0
	s_cbranch_vccz .LBB126_70
; %bb.51:
	v_or_b32_e32 v17, 7, v19
	s_mov_b32 s0, 0
	s_mov_b32 s4, 0
	s_mov_b32 s5, exec_lo
	s_delay_alu instid0(VALU_DEP_1)
	v_cmpx_gt_u32_e64 s25, v17
	s_cbranch_execz .LBB126_53
; %bb.52:
	v_cvt_i32_f32_e32 v17, v9
	v_cvt_i32_f32_e32 v18, v10
	s_delay_alu instid0(VALU_DEP_2) | instskip(NEXT) | instid1(VALU_DEP_2)
	v_mul_hi_i32 v17, 0x66666667, v17
	v_mul_hi_i32 v18, 0x66666667, v18
	s_delay_alu instid0(VALU_DEP_2) | instskip(SKIP_1) | instid1(VALU_DEP_3)
	v_lshrrev_b32_e32 v22, 31, v17
	v_ashrrev_i32_e32 v17, 2, v17
	v_lshrrev_b32_e32 v23, 31, v18
	v_ashrrev_i32_e32 v18, 2, v18
	s_delay_alu instid0(VALU_DEP_3) | instskip(NEXT) | instid1(VALU_DEP_2)
	v_add_nc_u32_e32 v17, v17, v22
	v_add_nc_u32_e32 v18, v18, v23
	s_delay_alu instid0(VALU_DEP_1)
	v_cmp_ne_u32_e32 vcc_lo, v17, v18
	s_and_b32 s4, vcc_lo, exec_lo
.LBB126_53:
	s_or_b32 exec_lo, exec_lo, s5
	v_or_b32_e32 v17, 6, v19
	s_mov_b32 s5, exec_lo
	s_delay_alu instid0(VALU_DEP_1)
	v_cmpx_gt_u32_e64 s25, v17
	s_cbranch_execz .LBB126_55
; %bb.54:
	v_cvt_i32_f32_e32 v17, v12
	v_cvt_i32_f32_e32 v18, v9
	s_delay_alu instid0(VALU_DEP_2) | instskip(NEXT) | instid1(VALU_DEP_2)
	v_mul_hi_i32 v17, 0x66666667, v17
	v_mul_hi_i32 v18, 0x66666667, v18
	s_delay_alu instid0(VALU_DEP_2) | instskip(SKIP_1) | instid1(VALU_DEP_3)
	v_lshrrev_b32_e32 v22, 31, v17
	v_ashrrev_i32_e32 v17, 2, v17
	v_lshrrev_b32_e32 v23, 31, v18
	v_ashrrev_i32_e32 v18, 2, v18
	s_delay_alu instid0(VALU_DEP_3) | instskip(NEXT) | instid1(VALU_DEP_2)
	v_add_nc_u32_e32 v17, v17, v22
	v_add_nc_u32_e32 v18, v18, v23
	s_delay_alu instid0(VALU_DEP_1)
	v_cmp_ne_u32_e32 vcc_lo, v17, v18
	s_and_b32 s0, vcc_lo, exec_lo
.LBB126_55:
	s_or_b32 exec_lo, exec_lo, s5
	v_or_b32_e32 v17, 5, v19
	s_mov_b32 s6, 0
	s_mov_b32 s5, 0
	s_mov_b32 s7, exec_lo
	s_delay_alu instid0(VALU_DEP_1)
	v_cmpx_gt_u32_e64 s25, v17
	s_cbranch_execz .LBB126_57
; %bb.56:
	v_cvt_i32_f32_e32 v17, v11
	v_cvt_i32_f32_e32 v18, v12
	s_delay_alu instid0(VALU_DEP_2) | instskip(NEXT) | instid1(VALU_DEP_2)
	v_mul_hi_i32 v17, 0x66666667, v17
	v_mul_hi_i32 v18, 0x66666667, v18
	s_delay_alu instid0(VALU_DEP_2) | instskip(SKIP_1) | instid1(VALU_DEP_3)
	v_lshrrev_b32_e32 v22, 31, v17
	v_ashrrev_i32_e32 v17, 2, v17
	v_lshrrev_b32_e32 v23, 31, v18
	v_ashrrev_i32_e32 v18, 2, v18
	s_delay_alu instid0(VALU_DEP_3) | instskip(NEXT) | instid1(VALU_DEP_2)
	v_add_nc_u32_e32 v17, v17, v22
	v_add_nc_u32_e32 v18, v18, v23
	s_delay_alu instid0(VALU_DEP_1)
	v_cmp_ne_u32_e32 vcc_lo, v17, v18
	s_and_b32 s5, vcc_lo, exec_lo
.LBB126_57:
	s_or_b32 exec_lo, exec_lo, s7
	v_or_b32_e32 v17, 4, v19
	s_mov_b32 s7, exec_lo
	s_delay_alu instid0(VALU_DEP_1)
	v_cmpx_gt_u32_e64 s25, v17
	s_cbranch_execz .LBB126_59
; %bb.58:
	v_cvt_i32_f32_e32 v17, v14
	v_cvt_i32_f32_e32 v18, v11
	s_delay_alu instid0(VALU_DEP_2) | instskip(NEXT) | instid1(VALU_DEP_2)
	v_mul_hi_i32 v17, 0x66666667, v17
	v_mul_hi_i32 v18, 0x66666667, v18
	s_delay_alu instid0(VALU_DEP_2) | instskip(SKIP_1) | instid1(VALU_DEP_3)
	v_lshrrev_b32_e32 v22, 31, v17
	v_ashrrev_i32_e32 v17, 2, v17
	v_lshrrev_b32_e32 v23, 31, v18
	v_ashrrev_i32_e32 v18, 2, v18
	s_delay_alu instid0(VALU_DEP_3) | instskip(NEXT) | instid1(VALU_DEP_2)
	v_add_nc_u32_e32 v17, v17, v22
	v_add_nc_u32_e32 v18, v18, v23
	s_delay_alu instid0(VALU_DEP_1)
	v_cmp_ne_u32_e32 vcc_lo, v17, v18
	s_and_b32 s6, vcc_lo, exec_lo
.LBB126_59:
	s_or_b32 exec_lo, exec_lo, s7
	;; [unrolled: 50-line block ×3, first 2 shown]
	v_or_b32_e32 v17, 1, v19
	s_mov_b32 s20, 0
	s_mov_b32 s21, exec_lo
	s_delay_alu instid0(VALU_DEP_1)
	v_cmpx_gt_u32_e64 s25, v17
	s_cbranch_execz .LBB126_65
; %bb.64:
	v_cvt_i32_f32_e32 v17, v15
	v_cvt_i32_f32_e32 v18, v16
	s_delay_alu instid0(VALU_DEP_2) | instskip(NEXT) | instid1(VALU_DEP_2)
	v_mul_hi_i32 v17, 0x66666667, v17
	v_mul_hi_i32 v18, 0x66666667, v18
	s_delay_alu instid0(VALU_DEP_2) | instskip(SKIP_1) | instid1(VALU_DEP_3)
	v_lshrrev_b32_e32 v22, 31, v17
	v_ashrrev_i32_e32 v17, 2, v17
	v_lshrrev_b32_e32 v23, 31, v18
	v_ashrrev_i32_e32 v18, 2, v18
	s_delay_alu instid0(VALU_DEP_3) | instskip(NEXT) | instid1(VALU_DEP_2)
	v_add_nc_u32_e32 v17, v17, v22
	v_add_nc_u32_e32 v18, v18, v23
	s_delay_alu instid0(VALU_DEP_1)
	v_cmp_ne_u32_e32 vcc_lo, v17, v18
	s_and_b32 s20, vcc_lo, exec_lo
.LBB126_65:
	s_or_b32 exec_lo, exec_lo, s21
	s_waitcnt vmcnt(0) lgkmcnt(0)
	s_barrier
	buffer_gl0_inv
	s_and_saveexec_b32 s21, s3
	s_cbranch_execz .LBB126_67
; %bb.66:
	v_add_nc_u32_e32 v17, -4, v21
	ds_load_b32 v20, v17
.LBB126_67:
	s_or_b32 exec_lo, exec_lo, s21
	v_cndmask_b32_e64 v18, 0, 1, s7
	v_cndmask_b32_e64 v22, 0, 1, s5
	;; [unrolled: 1-line block ×7, first 2 shown]
	v_lshlrev_b16 v18, 8, v18
	v_lshlrev_b16 v22, 8, v22
	;; [unrolled: 1-line block ×3, first 2 shown]
	s_mov_b32 s4, 0
	v_lshlrev_b16 v25, 8, v25
	v_or_b32_e32 v18, v17, v18
	v_or_b32_e32 v21, v21, v22
	v_or_b32_e32 v22, v24, v23
	s_mov_b32 s0, exec_lo
	v_and_b32_e32 v17, 0xffff, v25
	v_lshlrev_b32_e32 v18, 16, v18
	v_and_b32_e32 v21, 0xffff, v21
	v_lshlrev_b32_e32 v22, 16, v22
	v_cmpx_gt_u32_e64 s25, v19
	s_cbranch_execz .LBB126_69
; %bb.68:
	s_waitcnt lgkmcnt(0)
	v_cvt_i32_f32_e32 v20, v20
	v_cvt_i32_f32_e32 v23, v15
	s_delay_alu instid0(VALU_DEP_2) | instskip(NEXT) | instid1(VALU_DEP_2)
	v_mul_hi_i32 v20, 0x66666667, v20
	v_mul_hi_i32 v23, 0x66666667, v23
	s_delay_alu instid0(VALU_DEP_2) | instskip(SKIP_1) | instid1(VALU_DEP_3)
	v_lshrrev_b32_e32 v24, 31, v20
	v_ashrrev_i32_e32 v20, 2, v20
	v_lshrrev_b32_e32 v25, 31, v23
	v_ashrrev_i32_e32 v23, 2, v23
	s_delay_alu instid0(VALU_DEP_3) | instskip(NEXT) | instid1(VALU_DEP_2)
	v_add_nc_u32_e32 v20, v20, v24
	v_add_nc_u32_e32 v23, v23, v25
	s_delay_alu instid0(VALU_DEP_1)
	v_cmp_ne_u32_e32 vcc_lo, v20, v23
	s_and_b32 s4, vcc_lo, exec_lo
.LBB126_69:
	s_or_b32 exec_lo, exec_lo, s0
	v_or_b32_e32 v17, v17, v18
	v_or_b32_e32 v18, v21, v22
.LBB126_70:
	s_mov_b32 s0, -1
	s_cbranch_execnz .LBB126_95
.LBB126_71:
	v_cvt_i32_f32_e32 v17, v9
	v_cvt_i32_f32_e32 v18, v12
	;; [unrolled: 1-line block ×6, first 2 shown]
	v_mul_hi_i32 v26, 0x66666667, v17
	v_mul_hi_i32 v25, 0x66666667, v18
	;; [unrolled: 1-line block ×6, first 2 shown]
	s_waitcnt vmcnt(0) lgkmcnt(0)
	v_lshlrev_b32_e32 v20, 2, v0
	s_and_b32 vcc_lo, exec_lo, s23
	ds_store_b32 v20, v10
	s_cbranch_vccz .LBB126_75
; %bb.72:
	v_cvt_i32_f32_e32 v17, v10
	v_lshrrev_b32_e32 v18, 31, v26
	v_ashrrev_i32_e32 v27, 2, v26
	v_lshrrev_b32_e32 v28, 31, v25
	v_ashrrev_i32_e32 v29, 2, v25
	v_mul_hi_i32 v17, 0x66666667, v17
	v_lshrrev_b32_e32 v30, 31, v24
	v_add_nc_u32_e32 v18, v27, v18
	v_ashrrev_i32_e32 v31, 2, v24
	v_add_nc_u32_e32 v27, v29, v28
	v_cvt_i32_f32_e32 v36, v15
	v_lshrrev_b32_e32 v32, 31, v23
	v_ashrrev_i32_e32 v33, 2, v23
	v_lshrrev_b32_e32 v35, 31, v17
	v_ashrrev_i32_e32 v17, 2, v17
	v_cmp_ne_u32_e32 vcc_lo, v27, v18
	v_add_nc_u32_e32 v28, v31, v30
	v_mul_hi_i32 v30, 0x66666667, v36
	v_lshrrev_b32_e32 v34, 31, v22
	v_add_nc_u32_e32 v17, v17, v35
	v_cndmask_b32_e64 v31, 0, 1, vcc_lo
	v_add_nc_u32_e32 v29, v33, v32
	v_lshrrev_b32_e32 v32, 31, v21
	v_ashrrev_i32_e32 v33, 2, v21
	v_cmp_ne_u32_e32 vcc_lo, v18, v17
	v_ashrrev_i32_e32 v18, 2, v22
	v_lshrrev_b32_e32 v35, 31, v30
	v_ashrrev_i32_e32 v30, 2, v30
	v_add_nc_u32_e32 v32, v33, v32
	v_cndmask_b32_e64 v17, 0, 1, vcc_lo
	v_cmp_ne_u32_e32 vcc_lo, v28, v27
	v_add_nc_u32_e32 v18, v18, v34
	v_add_nc_u32_e32 v27, v30, v35
	s_waitcnt lgkmcnt(0)
	v_lshlrev_b16 v17, 8, v17
	v_cndmask_b32_e64 v36, 0, 1, vcc_lo
	v_cmp_ne_u32_e32 vcc_lo, v29, v28
	s_barrier
	buffer_gl0_inv
	v_or_b32_e32 v17, v31, v17
                                        ; implicit-def: $sgpr4
	v_cndmask_b32_e64 v28, 0, 1, vcc_lo
	v_cmp_ne_u32_e32 vcc_lo, v18, v29
	s_delay_alu instid0(VALU_DEP_3) | instskip(SKIP_2) | instid1(VALU_DEP_2)
	v_lshlrev_b32_e32 v17, 16, v17
	v_cndmask_b32_e64 v29, 0, 1, vcc_lo
	v_cmp_ne_u32_e32 vcc_lo, v27, v32
	v_lshlrev_b16 v29, 8, v29
	v_cndmask_b32_e64 v30, 0, 1, vcc_lo
	v_cmp_ne_u32_e32 vcc_lo, v32, v18
	v_lshlrev_b16 v32, 8, v36
	s_delay_alu instid0(VALU_DEP_3) | instskip(SKIP_1) | instid1(VALU_DEP_3)
	v_lshlrev_b16 v30, 8, v30
	v_cndmask_b32_e64 v18, 0, 1, vcc_lo
	v_or_b32_e32 v28, v28, v32
	s_delay_alu instid0(VALU_DEP_2) | instskip(NEXT) | instid1(VALU_DEP_4)
	v_or_b32_e32 v18, v18, v29
	v_or_b32_e32 v29, 1, v30
	s_delay_alu instid0(VALU_DEP_3) | instskip(NEXT) | instid1(VALU_DEP_3)
	v_and_b32_e32 v28, 0xffff, v28
	v_lshlrev_b32_e32 v30, 16, v18
	s_delay_alu instid0(VALU_DEP_3) | instskip(NEXT) | instid1(VALU_DEP_3)
	v_and_b32_e32 v29, 0xffff, v29
	v_or_b32_e32 v18, v28, v17
	s_delay_alu instid0(VALU_DEP_2) | instskip(SKIP_1) | instid1(SALU_CYCLE_1)
	v_or_b32_e32 v17, v29, v30
	s_and_saveexec_b32 s5, s3
	s_xor_b32 s5, exec_lo, s5
	s_cbranch_execz .LBB126_74
; %bb.73:
	v_add_nc_u32_e32 v28, -4, v20
	s_or_b32 s0, s0, exec_lo
	ds_load_b32 v28, v28
	s_waitcnt lgkmcnt(0)
	v_cvt_i32_f32_e32 v28, v28
	s_delay_alu instid0(VALU_DEP_1) | instskip(NEXT) | instid1(VALU_DEP_1)
	v_mul_hi_i32 v28, 0x66666667, v28
	v_lshrrev_b32_e32 v29, 31, v28
	v_ashrrev_i32_e32 v28, 2, v28
	s_delay_alu instid0(VALU_DEP_1) | instskip(NEXT) | instid1(VALU_DEP_1)
	v_add_nc_u32_e32 v28, v28, v29
	v_cmp_ne_u32_e32 vcc_lo, v28, v27
	s_and_b32 s4, vcc_lo, exec_lo
.LBB126_74:
	s_or_b32 exec_lo, exec_lo, s5
	s_branch .LBB126_95
.LBB126_75:
                                        ; implicit-def: $sgpr4
                                        ; implicit-def: $vgpr18
	s_cbranch_execz .LBB126_95
; %bb.76:
	v_or_b32_e32 v17, 7, v19
	s_mov_b32 s4, 0
	s_mov_b32 s5, 0
	s_mov_b32 s6, exec_lo
	s_delay_alu instid0(VALU_DEP_1)
	v_cmpx_gt_u32_e64 s25, v17
; %bb.77:
	v_cvt_i32_f32_e32 v17, v10
	v_lshrrev_b32_e32 v18, 31, v26
	v_ashrrev_i32_e32 v27, 2, v26
	s_delay_alu instid0(VALU_DEP_3) | instskip(NEXT) | instid1(VALU_DEP_2)
	v_mul_hi_i32 v17, 0x66666667, v17
	v_add_nc_u32_e32 v18, v27, v18
	s_delay_alu instid0(VALU_DEP_2) | instskip(SKIP_1) | instid1(VALU_DEP_1)
	v_lshrrev_b32_e32 v28, 31, v17
	v_ashrrev_i32_e32 v17, 2, v17
	v_add_nc_u32_e32 v17, v17, v28
	s_delay_alu instid0(VALU_DEP_1)
	v_cmp_ne_u32_e32 vcc_lo, v18, v17
	s_and_b32 s5, vcc_lo, exec_lo
; %bb.78:
	s_or_b32 exec_lo, exec_lo, s6
	v_or_b32_e32 v17, 6, v19
	s_mov_b32 s6, exec_lo
	s_delay_alu instid0(VALU_DEP_1)
	v_cmpx_gt_u32_e64 s25, v17
; %bb.79:
	v_lshrrev_b32_e32 v17, 31, v25
	v_ashrrev_i32_e32 v18, 2, v25
	v_lshrrev_b32_e32 v27, 31, v26
	v_ashrrev_i32_e32 v26, 2, v26
	s_delay_alu instid0(VALU_DEP_3) | instskip(NEXT) | instid1(VALU_DEP_2)
	v_add_nc_u32_e32 v17, v18, v17
	v_add_nc_u32_e32 v18, v26, v27
	s_delay_alu instid0(VALU_DEP_1)
	v_cmp_ne_u32_e32 vcc_lo, v17, v18
	s_and_b32 s4, vcc_lo, exec_lo
; %bb.80:
	s_or_b32 exec_lo, exec_lo, s6
	v_or_b32_e32 v17, 5, v19
	s_mov_b32 s6, 0
	s_mov_b32 s7, 0
	s_mov_b32 s19, exec_lo
	s_delay_alu instid0(VALU_DEP_1)
	v_cmpx_gt_u32_e64 s25, v17
; %bb.81:
	v_lshrrev_b32_e32 v17, 31, v24
	v_ashrrev_i32_e32 v18, 2, v24
	v_lshrrev_b32_e32 v26, 31, v25
	v_ashrrev_i32_e32 v25, 2, v25
	s_delay_alu instid0(VALU_DEP_3) | instskip(NEXT) | instid1(VALU_DEP_2)
	v_add_nc_u32_e32 v17, v18, v17
	v_add_nc_u32_e32 v18, v25, v26
	s_delay_alu instid0(VALU_DEP_1)
	v_cmp_ne_u32_e32 vcc_lo, v17, v18
	s_and_b32 s7, vcc_lo, exec_lo
; %bb.82:
	s_or_b32 exec_lo, exec_lo, s19
	v_or_b32_e32 v17, 4, v19
	s_mov_b32 s19, exec_lo
	s_delay_alu instid0(VALU_DEP_1)
	v_cmpx_gt_u32_e64 s25, v17
; %bb.83:
	v_lshrrev_b32_e32 v17, 31, v23
	v_ashrrev_i32_e32 v18, 2, v23
	v_lshrrev_b32_e32 v25, 31, v24
	v_ashrrev_i32_e32 v24, 2, v24
	s_delay_alu instid0(VALU_DEP_3) | instskip(NEXT) | instid1(VALU_DEP_2)
	v_add_nc_u32_e32 v17, v18, v17
	v_add_nc_u32_e32 v18, v24, v25
	s_delay_alu instid0(VALU_DEP_1)
	v_cmp_ne_u32_e32 vcc_lo, v17, v18
	s_and_b32 s6, vcc_lo, exec_lo
; %bb.84:
	s_or_b32 exec_lo, exec_lo, s19
	v_or_b32_e32 v17, 3, v19
	s_mov_b32 s20, 0
	s_mov_b32 s19, 0
	s_mov_b32 s21, exec_lo
	s_delay_alu instid0(VALU_DEP_1)
	v_cmpx_gt_u32_e64 s25, v17
; %bb.85:
	v_lshrrev_b32_e32 v17, 31, v22
	v_ashrrev_i32_e32 v18, 2, v22
	v_lshrrev_b32_e32 v24, 31, v23
	v_ashrrev_i32_e32 v23, 2, v23
	s_delay_alu instid0(VALU_DEP_3) | instskip(NEXT) | instid1(VALU_DEP_2)
	v_add_nc_u32_e32 v17, v18, v17
	v_add_nc_u32_e32 v18, v23, v24
	s_delay_alu instid0(VALU_DEP_1)
	v_cmp_ne_u32_e32 vcc_lo, v17, v18
	s_and_b32 s19, vcc_lo, exec_lo
; %bb.86:
	s_or_b32 exec_lo, exec_lo, s21
	v_or_b32_e32 v17, 2, v19
	s_mov_b32 s21, exec_lo
	s_delay_alu instid0(VALU_DEP_1)
	v_cmpx_gt_u32_e64 s25, v17
; %bb.87:
	v_lshrrev_b32_e32 v17, 31, v21
	v_ashrrev_i32_e32 v18, 2, v21
	v_lshrrev_b32_e32 v23, 31, v22
	v_ashrrev_i32_e32 v22, 2, v22
	s_delay_alu instid0(VALU_DEP_3) | instskip(NEXT) | instid1(VALU_DEP_2)
	v_add_nc_u32_e32 v17, v18, v17
	v_add_nc_u32_e32 v18, v22, v23
	s_delay_alu instid0(VALU_DEP_1)
	v_cmp_ne_u32_e32 vcc_lo, v17, v18
	s_and_b32 s20, vcc_lo, exec_lo
; %bb.88:
	s_or_b32 exec_lo, exec_lo, s21
	v_or_b32_e32 v17, 1, v19
	s_mov_b32 s26, 0
	s_mov_b32 s21, exec_lo
	s_delay_alu instid0(VALU_DEP_1)
	v_cmpx_gt_u32_e64 s25, v17
; %bb.89:
	v_cvt_i32_f32_e32 v17, v15
	v_lshrrev_b32_e32 v18, 31, v21
	v_ashrrev_i32_e32 v21, 2, v21
	s_delay_alu instid0(VALU_DEP_3) | instskip(NEXT) | instid1(VALU_DEP_2)
	v_mul_hi_i32 v17, 0x66666667, v17
	v_add_nc_u32_e32 v18, v21, v18
	s_delay_alu instid0(VALU_DEP_2) | instskip(SKIP_1) | instid1(VALU_DEP_1)
	v_lshrrev_b32_e32 v22, 31, v17
	v_ashrrev_i32_e32 v17, 2, v17
	v_add_nc_u32_e32 v17, v17, v22
	s_delay_alu instid0(VALU_DEP_1)
	v_cmp_ne_u32_e32 vcc_lo, v17, v18
	s_and_b32 s26, vcc_lo, exec_lo
; %bb.90:
	s_or_b32 exec_lo, exec_lo, s21
	v_cndmask_b32_e64 v18, 0, 1, s19
	v_cndmask_b32_e64 v21, 0, 1, s7
	;; [unrolled: 1-line block ×7, first 2 shown]
	v_lshlrev_b16 v21, 8, v21
	v_lshlrev_b16 v22, 8, v22
	;; [unrolled: 1-line block ×4, first 2 shown]
	s_waitcnt lgkmcnt(0)
	v_or_b32_e32 v21, v24, v21
	v_or_b32_e32 v22, v25, v22
	;; [unrolled: 1-line block ×4, first 2 shown]
	s_barrier
	v_and_b32_e32 v18, 0xffff, v21
	v_lshlrev_b32_e32 v21, 16, v22
	v_and_b32_e32 v22, 0xffff, v23
	v_lshlrev_b32_e32 v17, 16, v17
	buffer_gl0_inv
                                        ; implicit-def: $sgpr4
	v_or_b32_e32 v18, v18, v21
	v_or_b32_e32 v17, v22, v17
	s_and_saveexec_b32 s5, s3
	s_cbranch_execz .LBB126_94
; %bb.91:
	s_mov_b32 s4, 0
	s_mov_b32 s3, exec_lo
	v_cmpx_gt_u32_e64 s25, v19
	s_cbranch_execz .LBB126_93
; %bb.92:
	v_add_nc_u32_e32 v20, -4, v20
	v_cvt_i32_f32_e32 v21, v15
	ds_load_b32 v20, v20
	v_mul_hi_i32 v21, 0x66666667, v21
	s_delay_alu instid0(VALU_DEP_1) | instskip(SKIP_1) | instid1(VALU_DEP_1)
	v_lshrrev_b32_e32 v22, 31, v21
	v_ashrrev_i32_e32 v21, 2, v21
	v_add_nc_u32_e32 v21, v21, v22
	s_waitcnt lgkmcnt(0)
	v_cvt_i32_f32_e32 v20, v20
	s_delay_alu instid0(VALU_DEP_1) | instskip(NEXT) | instid1(VALU_DEP_1)
	v_mul_hi_i32 v20, 0x66666667, v20
	v_lshrrev_b32_e32 v23, 31, v20
	v_ashrrev_i32_e32 v20, 2, v20
	s_delay_alu instid0(VALU_DEP_1) | instskip(NEXT) | instid1(VALU_DEP_1)
	v_add_nc_u32_e32 v20, v20, v23
	v_cmp_ne_u32_e32 vcc_lo, v20, v21
	s_and_b32 s4, vcc_lo, exec_lo
.LBB126_93:
	s_or_b32 exec_lo, exec_lo, s3
	s_delay_alu instid0(SALU_CYCLE_1)
	s_and_b32 s4, s4, exec_lo
	s_or_b32 s0, s0, exec_lo
.LBB126_94:
	s_or_b32 exec_lo, exec_lo, s5
.LBB126_95:
	s_and_saveexec_b32 s3, s0
	s_cbranch_execz .LBB126_97
; %bb.96:
	s_waitcnt vmcnt(0) lgkmcnt(0)
	v_and_b32_e32 v20, 0xffffff00, v17
	v_cndmask_b32_e64 v21, 0, 1, s4
	s_delay_alu instid0(VALU_DEP_1) | instskip(NEXT) | instid1(VALU_DEP_1)
	v_or_b32_e32 v20, v21, v20
	v_and_b32_e32 v20, 0xffff, v20
	s_delay_alu instid0(VALU_DEP_1)
	v_and_or_b32 v17, 0xffff0000, v17, v20
.LBB126_97:
	s_or_b32 exec_lo, exec_lo, s3
	s_delay_alu instid0(SALU_CYCLE_1)
	s_and_not1_b32 vcc_lo, exec_lo, s1
	s_cbranch_vccnz .LBB126_99
; %bb.98:
	v_cmp_gt_u32_e32 vcc_lo, s25, v19
	v_or_b32_e32 v21, 1, v19
	v_and_b32_e32 v22, 0xffffff00, v18
	v_or_b32_e32 v23, 2, v19
	s_waitcnt vmcnt(0) lgkmcnt(0)
	v_cndmask_b32_e32 v20, 0, v17, vcc_lo
	v_cmp_gt_u32_e32 vcc_lo, s25, v21
	v_or_b32_e32 v21, 4, v19
	v_cmp_gt_u32_e64 s0, s25, v23
	v_or_b32_e32 v23, 3, v19
	v_and_b32_e32 v20, 0xff, v20
	s_delay_alu instid0(VALU_DEP_2) | instskip(NEXT) | instid1(VALU_DEP_2)
	v_cmp_gt_u32_e64 s1, s25, v23
	v_cndmask_b32_e32 v20, v20, v17, vcc_lo
	v_cmp_gt_u32_e32 vcc_lo, s25, v21
	s_delay_alu instid0(VALU_DEP_2) | instskip(SKIP_1) | instid1(VALU_DEP_2)
	v_dual_cndmask_b32 v21, v22, v18 :: v_dual_and_b32 v20, 0xffff, v20
	v_or_b32_e32 v22, 5, v19
	v_cndmask_b32_e64 v20, v20, v17, s0
	s_delay_alu instid0(VALU_DEP_3) | instskip(NEXT) | instid1(VALU_DEP_3)
	v_and_b32_e32 v21, 0xffff00ff, v21
	v_cmp_gt_u32_e64 s0, s25, v22
	v_or_b32_e32 v22, 6, v19
	v_or_b32_e32 v19, 7, v19
	v_and_b32_e32 v20, 0xffffff, v20
	s_delay_alu instid0(VALU_DEP_4) | instskip(NEXT) | instid1(VALU_DEP_2)
	v_cndmask_b32_e64 v21, v21, v18, s0
	v_cndmask_b32_e64 v20, v20, v17, s1
	s_delay_alu instid0(VALU_DEP_2) | instskip(NEXT) | instid1(VALU_DEP_2)
	v_and_b32_e32 v21, 0xff00ffff, v21
	v_cndmask_b32_e32 v20, v20, v17, vcc_lo
	v_cmp_gt_u32_e32 vcc_lo, s25, v22
	s_delay_alu instid0(VALU_DEP_2) | instskip(NEXT) | instid1(VALU_DEP_1)
	v_cndmask_b32_e64 v20, v20, v17, s0
	v_dual_cndmask_b32 v21, v21, v18 :: v_dual_cndmask_b32 v20, v20, v17
	s_delay_alu instid0(VALU_DEP_1) | instskip(SKIP_1) | instid1(VALU_DEP_2)
	v_and_b32_e32 v21, 0xffffff, v21
	v_cmp_gt_u32_e32 vcc_lo, s25, v19
	v_dual_cndmask_b32 v18, v21, v18 :: v_dual_cndmask_b32 v17, v20, v17
.LBB126_99:
	s_delay_alu instid0(VALU_DEP_1) | instskip(NEXT) | instid1(VALU_DEP_2)
	v_and_b32_e32 v28, 0xff, v17
	v_alignbit_b32 v19, v18, v17, 24
	v_bfe_u32 v30, v17, 8, 8
	v_bfe_u32 v32, v17, 16, 8
	v_and_b32_e32 v36, 0xff, v18
	v_bfe_u32 v38, v18, 8, 8
	v_and_b32_e32 v34, 0xff, v19
	v_add_nc_u32_e32 v19, v30, v28
	s_waitcnt vmcnt(0) lgkmcnt(0)
	v_and_b32_e32 v20, 0x1e0, v0
	v_mbcnt_lo_u32_b32 v41, -1, 0
	v_bfe_u32 v40, v18, 16, 8
	v_lshrrev_b32_e32 v39, 24, v18
	v_add3_u32 v19, v19, v32, v34
	v_min_u32_e32 v20, 0x160, v20
	v_and_b32_e32 v21, 15, v41
	v_lshrrev_b32_e32 v42, 5, v0
	s_and_b32 vcc_lo, exec_lo, s18
	v_add3_u32 v19, v19, v36, v38
	v_or_b32_e32 v20, 31, v20
	v_cmp_eq_u32_e64 s3, 0, v21
	v_cmp_lt_u32_e64 s4, 1, v21
	v_cmp_lt_u32_e64 s1, 3, v21
	v_add3_u32 v43, v19, v40, v39
	v_and_b32_e32 v19, 16, v41
	v_cmp_lt_u32_e64 s0, 7, v21
	v_cmp_eq_u32_e64 s5, v20, v0
	s_mov_b32 s7, -1
	s_delay_alu instid0(VALU_DEP_3)
	v_cmp_eq_u32_e64 s6, 0, v19
	s_barrier
	buffer_gl0_inv
	s_cbranch_vccz .LBB126_130
; %bb.100:
	v_mov_b32_dpp v19, v43 row_shr:1 row_mask:0xf bank_mask:0xf
	s_delay_alu instid0(VALU_DEP_1) | instskip(NEXT) | instid1(VALU_DEP_1)
	v_cndmask_b32_e64 v19, v19, 0, s3
	v_add_nc_u32_e32 v19, v19, v43
	s_delay_alu instid0(VALU_DEP_1) | instskip(NEXT) | instid1(VALU_DEP_1)
	v_mov_b32_dpp v20, v19 row_shr:2 row_mask:0xf bank_mask:0xf
	v_cndmask_b32_e64 v20, 0, v20, s4
	s_delay_alu instid0(VALU_DEP_1) | instskip(NEXT) | instid1(VALU_DEP_1)
	v_add_nc_u32_e32 v19, v19, v20
	v_mov_b32_dpp v20, v19 row_shr:4 row_mask:0xf bank_mask:0xf
	s_delay_alu instid0(VALU_DEP_1) | instskip(NEXT) | instid1(VALU_DEP_1)
	v_cndmask_b32_e64 v20, 0, v20, s1
	v_add_nc_u32_e32 v19, v19, v20
	s_delay_alu instid0(VALU_DEP_1) | instskip(NEXT) | instid1(VALU_DEP_1)
	v_mov_b32_dpp v20, v19 row_shr:8 row_mask:0xf bank_mask:0xf
	v_cndmask_b32_e64 v20, 0, v20, s0
	s_delay_alu instid0(VALU_DEP_1) | instskip(SKIP_3) | instid1(VALU_DEP_1)
	v_add_nc_u32_e32 v19, v19, v20
	ds_swizzle_b32 v20, v19 offset:swizzle(BROADCAST,32,15)
	s_waitcnt lgkmcnt(0)
	v_cndmask_b32_e64 v20, v20, 0, s6
	v_add_nc_u32_e32 v19, v19, v20
	s_and_saveexec_b32 s7, s5
	s_cbranch_execz .LBB126_102
; %bb.101:
	v_lshlrev_b32_e32 v20, 2, v42
	ds_store_b32 v20, v19
.LBB126_102:
	s_or_b32 exec_lo, exec_lo, s7
	s_delay_alu instid0(SALU_CYCLE_1)
	s_mov_b32 s7, exec_lo
	s_waitcnt lgkmcnt(0)
	s_barrier
	buffer_gl0_inv
	v_cmpx_gt_u32_e32 12, v0
	s_cbranch_execz .LBB126_104
; %bb.103:
	v_lshlrev_b32_e32 v20, 2, v0
	ds_load_b32 v21, v20
	s_waitcnt lgkmcnt(0)
	v_mov_b32_dpp v22, v21 row_shr:1 row_mask:0xf bank_mask:0xf
	s_delay_alu instid0(VALU_DEP_1) | instskip(NEXT) | instid1(VALU_DEP_1)
	v_cndmask_b32_e64 v22, v22, 0, s3
	v_add_nc_u32_e32 v21, v22, v21
	s_delay_alu instid0(VALU_DEP_1) | instskip(NEXT) | instid1(VALU_DEP_1)
	v_mov_b32_dpp v22, v21 row_shr:2 row_mask:0xf bank_mask:0xf
	v_cndmask_b32_e64 v22, 0, v22, s4
	s_delay_alu instid0(VALU_DEP_1) | instskip(NEXT) | instid1(VALU_DEP_1)
	v_add_nc_u32_e32 v21, v21, v22
	v_mov_b32_dpp v22, v21 row_shr:4 row_mask:0xf bank_mask:0xf
	s_delay_alu instid0(VALU_DEP_1) | instskip(NEXT) | instid1(VALU_DEP_1)
	v_cndmask_b32_e64 v22, 0, v22, s1
	v_add_nc_u32_e32 v21, v21, v22
	s_delay_alu instid0(VALU_DEP_1) | instskip(NEXT) | instid1(VALU_DEP_1)
	v_mov_b32_dpp v22, v21 row_shr:8 row_mask:0xf bank_mask:0xf
	v_cndmask_b32_e64 v22, 0, v22, s0
	s_delay_alu instid0(VALU_DEP_1)
	v_add_nc_u32_e32 v21, v21, v22
	ds_store_b32 v20, v21
.LBB126_104:
	s_or_b32 exec_lo, exec_lo, s7
	v_cmp_gt_u32_e32 vcc_lo, 32, v0
	s_mov_b32 s18, exec_lo
	s_waitcnt lgkmcnt(0)
	s_barrier
	buffer_gl0_inv
                                        ; implicit-def: $vgpr27
	v_cmpx_lt_u32_e32 31, v0
	s_cbranch_execz .LBB126_106
; %bb.105:
	v_lshl_add_u32 v20, v42, 2, -4
	ds_load_b32 v27, v20
	s_waitcnt lgkmcnt(0)
	v_add_nc_u32_e32 v19, v27, v19
.LBB126_106:
	s_or_b32 exec_lo, exec_lo, s18
	v_add_nc_u32_e32 v20, -1, v41
	s_delay_alu instid0(VALU_DEP_1) | instskip(NEXT) | instid1(VALU_DEP_1)
	v_cmp_gt_i32_e64 s7, 0, v20
	v_cndmask_b32_e64 v20, v20, v41, s7
	v_cmp_eq_u32_e64 s7, 0, v41
	s_delay_alu instid0(VALU_DEP_2)
	v_lshlrev_b32_e32 v20, 2, v20
	ds_bpermute_b32 v29, v20, v19
	s_and_saveexec_b32 s18, vcc_lo
	s_cbranch_execz .LBB126_129
; %bb.107:
	v_mov_b32_e32 v23, 0
	ds_load_b32 v19, v23 offset:44
	s_and_saveexec_b32 s19, s7
	s_cbranch_execz .LBB126_109
; %bb.108:
	s_add_i32 s20, s24, 32
	s_mov_b32 s21, 0
	v_mov_b32_e32 v20, 1
	s_lshl_b64 s[20:21], s[20:21], 3
	s_delay_alu instid0(SALU_CYCLE_1)
	s_add_u32 s20, s16, s20
	s_addc_u32 s21, s17, s21
	s_waitcnt lgkmcnt(0)
	global_store_b64 v23, v[19:20], s[20:21]
.LBB126_109:
	s_or_b32 exec_lo, exec_lo, s19
	v_xad_u32 v21, v41, -1, s24
	s_mov_b32 s20, 0
	s_mov_b32 s19, exec_lo
	s_delay_alu instid0(VALU_DEP_1) | instskip(NEXT) | instid1(VALU_DEP_1)
	v_add_nc_u32_e32 v22, 32, v21
	v_lshlrev_b64 v[22:23], 3, v[22:23]
	s_delay_alu instid0(VALU_DEP_1) | instskip(NEXT) | instid1(VALU_DEP_2)
	v_add_co_u32 v25, vcc_lo, s16, v22
	v_add_co_ci_u32_e32 v26, vcc_lo, s17, v23, vcc_lo
	global_load_b64 v[23:24], v[25:26], off glc
	s_waitcnt vmcnt(0)
	v_and_b32_e32 v20, 0xff, v24
	s_delay_alu instid0(VALU_DEP_1)
	v_cmpx_eq_u16_e32 0, v20
	s_cbranch_execz .LBB126_115
; %bb.110:
	s_mov_b32 s21, 1
	.p2align	6
.LBB126_111:                            ; =>This Loop Header: Depth=1
                                        ;     Child Loop BB126_112 Depth 2
	s_delay_alu instid0(SALU_CYCLE_1)
	s_max_u32 s25, s21, 1
.LBB126_112:                            ;   Parent Loop BB126_111 Depth=1
                                        ; =>  This Inner Loop Header: Depth=2
	s_delay_alu instid0(SALU_CYCLE_1)
	s_add_i32 s25, s25, -1
	s_sleep 1
	s_cmp_eq_u32 s25, 0
	s_cbranch_scc0 .LBB126_112
; %bb.113:                              ;   in Loop: Header=BB126_111 Depth=1
	global_load_b64 v[23:24], v[25:26], off glc
	s_cmp_lt_u32 s21, 32
	s_cselect_b32 s25, -1, 0
	s_delay_alu instid0(SALU_CYCLE_1) | instskip(SKIP_3) | instid1(VALU_DEP_1)
	s_cmp_lg_u32 s25, 0
	s_addc_u32 s21, s21, 0
	s_waitcnt vmcnt(0)
	v_and_b32_e32 v20, 0xff, v24
	v_cmp_ne_u16_e32 vcc_lo, 0, v20
	s_or_b32 s20, vcc_lo, s20
	s_delay_alu instid0(SALU_CYCLE_1)
	s_and_not1_b32 exec_lo, exec_lo, s20
	s_cbranch_execnz .LBB126_111
; %bb.114:
	s_or_b32 exec_lo, exec_lo, s20
.LBB126_115:
	s_delay_alu instid0(SALU_CYCLE_1)
	s_or_b32 exec_lo, exec_lo, s19
	v_cmp_ne_u32_e32 vcc_lo, 31, v41
	v_lshlrev_b32_e64 v33, v41, -1
	v_add_nc_u32_e32 v37, 2, v41
	v_add_nc_u32_e32 v45, 4, v41
	v_add_nc_u32_e32 v47, 8, v41
	v_add_co_ci_u32_e32 v20, vcc_lo, 0, v41, vcc_lo
	v_add_nc_u32_e32 v49, 16, v41
	s_delay_alu instid0(VALU_DEP_2)
	v_lshlrev_b32_e32 v31, 2, v20
	v_and_b32_e32 v20, 0xff, v24
	ds_bpermute_b32 v22, v31, v23
	v_cmp_eq_u16_e32 vcc_lo, 2, v20
	v_and_or_b32 v20, vcc_lo, v33, 0x80000000
	v_cmp_gt_u32_e32 vcc_lo, 30, v41
	s_delay_alu instid0(VALU_DEP_2) | instskip(SKIP_1) | instid1(VALU_DEP_2)
	v_ctz_i32_b32_e32 v20, v20
	v_cndmask_b32_e64 v25, 0, 1, vcc_lo
	v_cmp_lt_u32_e32 vcc_lo, v41, v20
	s_waitcnt lgkmcnt(0)
	s_delay_alu instid0(VALU_DEP_2) | instskip(NEXT) | instid1(VALU_DEP_1)
	v_dual_cndmask_b32 v22, 0, v22 :: v_dual_lshlrev_b32 v25, 1, v25
	v_add_lshl_u32 v35, v25, v41, 2
	v_cmp_gt_u32_e32 vcc_lo, 28, v41
	s_delay_alu instid0(VALU_DEP_3) | instskip(SKIP_4) | instid1(VALU_DEP_1)
	v_add_nc_u32_e32 v22, v22, v23
	v_cndmask_b32_e64 v25, 0, 1, vcc_lo
	v_cmp_le_u32_e32 vcc_lo, v37, v20
	ds_bpermute_b32 v23, v35, v22
	v_lshlrev_b32_e32 v25, 2, v25
	v_add_lshl_u32 v44, v25, v41, 2
	s_waitcnt lgkmcnt(0)
	v_cndmask_b32_e32 v23, 0, v23, vcc_lo
	v_cmp_gt_u32_e32 vcc_lo, 24, v41
	s_delay_alu instid0(VALU_DEP_2) | instskip(SKIP_4) | instid1(VALU_DEP_1)
	v_add_nc_u32_e32 v22, v22, v23
	v_cndmask_b32_e64 v25, 0, 1, vcc_lo
	v_cmp_le_u32_e32 vcc_lo, v45, v20
	ds_bpermute_b32 v23, v44, v22
	v_lshlrev_b32_e32 v25, 3, v25
	v_add_lshl_u32 v46, v25, v41, 2
	s_waitcnt lgkmcnt(0)
	v_cndmask_b32_e32 v23, 0, v23, vcc_lo
	v_cmp_gt_u32_e32 vcc_lo, 16, v41
	s_delay_alu instid0(VALU_DEP_2) | instskip(SKIP_4) | instid1(VALU_DEP_1)
	v_add_nc_u32_e32 v22, v22, v23
	v_cndmask_b32_e64 v25, 0, 1, vcc_lo
	v_cmp_le_u32_e32 vcc_lo, v47, v20
	ds_bpermute_b32 v23, v46, v22
	v_lshlrev_b32_e32 v25, 4, v25
	v_add_lshl_u32 v48, v25, v41, 2
	s_waitcnt lgkmcnt(0)
	v_cndmask_b32_e32 v23, 0, v23, vcc_lo
	v_cmp_le_u32_e32 vcc_lo, v49, v20
	s_delay_alu instid0(VALU_DEP_2) | instskip(SKIP_3) | instid1(VALU_DEP_1)
	v_add_nc_u32_e32 v22, v22, v23
	ds_bpermute_b32 v23, v48, v22
	s_waitcnt lgkmcnt(0)
	v_cndmask_b32_e32 v20, 0, v23, vcc_lo
	v_dual_mov_b32 v22, 0 :: v_dual_add_nc_u32 v23, v22, v20
	s_branch .LBB126_117
.LBB126_116:                            ;   in Loop: Header=BB126_117 Depth=1
	s_or_b32 exec_lo, exec_lo, s19
	ds_bpermute_b32 v26, v31, v23
	v_and_b32_e32 v25, 0xff, v24
	v_subrev_nc_u32_e32 v21, 32, v21
	s_delay_alu instid0(VALU_DEP_2) | instskip(SKIP_1) | instid1(VALU_DEP_1)
	v_cmp_eq_u16_e32 vcc_lo, 2, v25
	v_and_or_b32 v25, vcc_lo, v33, 0x80000000
	v_ctz_i32_b32_e32 v25, v25
	s_delay_alu instid0(VALU_DEP_1) | instskip(SKIP_3) | instid1(VALU_DEP_2)
	v_cmp_lt_u32_e32 vcc_lo, v41, v25
	s_waitcnt lgkmcnt(0)
	v_cndmask_b32_e32 v26, 0, v26, vcc_lo
	v_cmp_le_u32_e32 vcc_lo, v37, v25
	v_add_nc_u32_e32 v23, v26, v23
	ds_bpermute_b32 v26, v35, v23
	s_waitcnt lgkmcnt(0)
	v_cndmask_b32_e32 v26, 0, v26, vcc_lo
	v_cmp_le_u32_e32 vcc_lo, v45, v25
	s_delay_alu instid0(VALU_DEP_2) | instskip(SKIP_4) | instid1(VALU_DEP_2)
	v_add_nc_u32_e32 v23, v23, v26
	ds_bpermute_b32 v26, v44, v23
	s_waitcnt lgkmcnt(0)
	v_cndmask_b32_e32 v26, 0, v26, vcc_lo
	v_cmp_le_u32_e32 vcc_lo, v47, v25
	v_add_nc_u32_e32 v23, v23, v26
	ds_bpermute_b32 v26, v46, v23
	s_waitcnt lgkmcnt(0)
	v_cndmask_b32_e32 v26, 0, v26, vcc_lo
	v_cmp_le_u32_e32 vcc_lo, v49, v25
	s_delay_alu instid0(VALU_DEP_2) | instskip(SKIP_3) | instid1(VALU_DEP_1)
	v_add_nc_u32_e32 v23, v23, v26
	ds_bpermute_b32 v26, v48, v23
	s_waitcnt lgkmcnt(0)
	v_cndmask_b32_e32 v25, 0, v26, vcc_lo
	v_add3_u32 v23, v25, v20, v23
.LBB126_117:                            ; =>This Loop Header: Depth=1
                                        ;     Child Loop BB126_120 Depth 2
                                        ;       Child Loop BB126_121 Depth 3
	v_and_b32_e32 v20, 0xff, v24
	s_delay_alu instid0(VALU_DEP_1) | instskip(SKIP_2) | instid1(VALU_DEP_1)
	v_cmp_ne_u16_e32 vcc_lo, 2, v20
	v_cndmask_b32_e64 v20, 0, 1, vcc_lo
	;;#ASMSTART
	;;#ASMEND
	v_cmp_ne_u32_e32 vcc_lo, 0, v20
	v_mov_b32_e32 v20, v23
	s_cmp_lg_u32 vcc_lo, exec_lo
	s_cbranch_scc1 .LBB126_124
; %bb.118:                              ;   in Loop: Header=BB126_117 Depth=1
	v_lshlrev_b64 v[23:24], 3, v[21:22]
	s_mov_b32 s19, exec_lo
	s_delay_alu instid0(VALU_DEP_1) | instskip(NEXT) | instid1(VALU_DEP_2)
	v_add_co_u32 v25, vcc_lo, s16, v23
	v_add_co_ci_u32_e32 v26, vcc_lo, s17, v24, vcc_lo
	global_load_b64 v[23:24], v[25:26], off glc
	s_waitcnt vmcnt(0)
	v_and_b32_e32 v50, 0xff, v24
	s_delay_alu instid0(VALU_DEP_1)
	v_cmpx_eq_u16_e32 0, v50
	s_cbranch_execz .LBB126_116
; %bb.119:                              ;   in Loop: Header=BB126_117 Depth=1
	s_mov_b32 s21, 1
	s_mov_b32 s20, 0
	.p2align	6
.LBB126_120:                            ;   Parent Loop BB126_117 Depth=1
                                        ; =>  This Loop Header: Depth=2
                                        ;       Child Loop BB126_121 Depth 3
	s_max_u32 s25, s21, 1
.LBB126_121:                            ;   Parent Loop BB126_117 Depth=1
                                        ;     Parent Loop BB126_120 Depth=2
                                        ; =>    This Inner Loop Header: Depth=3
	s_delay_alu instid0(SALU_CYCLE_1)
	s_add_i32 s25, s25, -1
	s_sleep 1
	s_cmp_eq_u32 s25, 0
	s_cbranch_scc0 .LBB126_121
; %bb.122:                              ;   in Loop: Header=BB126_120 Depth=2
	global_load_b64 v[23:24], v[25:26], off glc
	s_cmp_lt_u32 s21, 32
	s_cselect_b32 s25, -1, 0
	s_delay_alu instid0(SALU_CYCLE_1) | instskip(SKIP_3) | instid1(VALU_DEP_1)
	s_cmp_lg_u32 s25, 0
	s_addc_u32 s21, s21, 0
	s_waitcnt vmcnt(0)
	v_and_b32_e32 v50, 0xff, v24
	v_cmp_ne_u16_e32 vcc_lo, 0, v50
	s_or_b32 s20, vcc_lo, s20
	s_delay_alu instid0(SALU_CYCLE_1)
	s_and_not1_b32 exec_lo, exec_lo, s20
	s_cbranch_execnz .LBB126_120
; %bb.123:                              ;   in Loop: Header=BB126_117 Depth=1
	s_or_b32 exec_lo, exec_lo, s20
	s_branch .LBB126_116
.LBB126_124:                            ;   in Loop: Header=BB126_117 Depth=1
                                        ; implicit-def: $vgpr23
                                        ; implicit-def: $vgpr24
	s_cbranch_execz .LBB126_117
; %bb.125:
	s_and_saveexec_b32 s19, s7
	s_cbranch_execz .LBB126_127
; %bb.126:
	s_add_i32 s20, s24, 32
	s_mov_b32 s21, 0
	v_dual_mov_b32 v22, 2 :: v_dual_add_nc_u32 v21, v20, v19
	s_lshl_b64 s[20:21], s[20:21], 3
	v_mov_b32_e32 v23, 0
	s_add_u32 s20, s16, s20
	s_addc_u32 s21, s17, s21
	global_store_b64 v23, v[21:22], s[20:21]
	ds_store_b64 v23, v[19:20] offset:12672
.LBB126_127:
	s_or_b32 exec_lo, exec_lo, s19
	s_delay_alu instid0(SALU_CYCLE_1)
	s_and_b32 exec_lo, exec_lo, s2
	s_cbranch_execz .LBB126_129
; %bb.128:
	v_mov_b32_e32 v19, 0
	ds_store_b32 v19, v20 offset:44
.LBB126_129:
	s_or_b32 exec_lo, exec_lo, s18
	v_mov_b32_e32 v19, 0
	s_waitcnt lgkmcnt(0)
	s_waitcnt_vscnt null, 0x0
	s_barrier
	buffer_gl0_inv
	v_cndmask_b32_e64 v21, v29, v27, s7
	ds_load_b32 v20, v19 offset:44
	s_waitcnt lgkmcnt(0)
	s_barrier
	buffer_gl0_inv
	v_cndmask_b32_e64 v21, v21, 0, s2
	s_delay_alu instid0(VALU_DEP_1) | instskip(SKIP_2) | instid1(VALU_DEP_1)
	v_add_nc_u32_e32 v37, v20, v21
	ds_load_b64 v[19:20], v19 offset:12672
	v_add_nc_u32_e32 v35, v37, v28
	v_add_nc_u32_e32 v33, v35, v30
	s_delay_alu instid0(VALU_DEP_1) | instskip(NEXT) | instid1(VALU_DEP_1)
	v_add_nc_u32_e32 v31, v33, v32
	v_add_nc_u32_e32 v29, v31, v34
	s_delay_alu instid0(VALU_DEP_1) | instskip(NEXT) | instid1(VALU_DEP_1)
	v_add_nc_u32_e32 v27, v29, v36
	v_add_nc_u32_e32 v25, v27, v38
	s_delay_alu instid0(VALU_DEP_1)
	v_add_nc_u32_e32 v23, v25, v40
	v_lshrrev_b64 v[21:22], 24, v[17:18]
	s_branch .LBB126_140
.LBB126_130:
                                        ; implicit-def: $vgpr23
                                        ; implicit-def: $vgpr25
                                        ; implicit-def: $vgpr27
                                        ; implicit-def: $vgpr29
                                        ; implicit-def: $vgpr31
                                        ; implicit-def: $vgpr33
                                        ; implicit-def: $vgpr35
                                        ; implicit-def: $vgpr37
                                        ; implicit-def: $vgpr20
	v_lshrrev_b64 v[21:22], 24, v[17:18]
	s_and_b32 vcc_lo, exec_lo, s7
	s_cbranch_vccz .LBB126_140
; %bb.131:
	s_waitcnt lgkmcnt(0)
	v_mov_b32_dpp v19, v43 row_shr:1 row_mask:0xf bank_mask:0xf
	s_delay_alu instid0(VALU_DEP_1) | instskip(NEXT) | instid1(VALU_DEP_1)
	v_cndmask_b32_e64 v19, v19, 0, s3
	v_add_nc_u32_e32 v19, v19, v43
	s_delay_alu instid0(VALU_DEP_1) | instskip(NEXT) | instid1(VALU_DEP_1)
	v_mov_b32_dpp v20, v19 row_shr:2 row_mask:0xf bank_mask:0xf
	v_cndmask_b32_e64 v20, 0, v20, s4
	s_delay_alu instid0(VALU_DEP_1) | instskip(NEXT) | instid1(VALU_DEP_1)
	v_add_nc_u32_e32 v19, v19, v20
	v_mov_b32_dpp v20, v19 row_shr:4 row_mask:0xf bank_mask:0xf
	s_delay_alu instid0(VALU_DEP_1) | instskip(NEXT) | instid1(VALU_DEP_1)
	v_cndmask_b32_e64 v20, 0, v20, s1
	v_add_nc_u32_e32 v19, v19, v20
	s_delay_alu instid0(VALU_DEP_1) | instskip(NEXT) | instid1(VALU_DEP_1)
	v_mov_b32_dpp v20, v19 row_shr:8 row_mask:0xf bank_mask:0xf
	v_cndmask_b32_e64 v20, 0, v20, s0
	s_delay_alu instid0(VALU_DEP_1) | instskip(SKIP_3) | instid1(VALU_DEP_1)
	v_add_nc_u32_e32 v19, v19, v20
	ds_swizzle_b32 v20, v19 offset:swizzle(BROADCAST,32,15)
	s_waitcnt lgkmcnt(0)
	v_cndmask_b32_e64 v20, v20, 0, s6
	v_add_nc_u32_e32 v19, v19, v20
	s_and_saveexec_b32 s6, s5
	s_cbranch_execz .LBB126_133
; %bb.132:
	v_lshlrev_b32_e32 v20, 2, v42
	ds_store_b32 v20, v19
.LBB126_133:
	s_or_b32 exec_lo, exec_lo, s6
	s_delay_alu instid0(SALU_CYCLE_1)
	s_mov_b32 s5, exec_lo
	s_waitcnt lgkmcnt(0)
	s_barrier
	buffer_gl0_inv
	v_cmpx_gt_u32_e32 12, v0
	s_cbranch_execz .LBB126_135
; %bb.134:
	v_lshlrev_b32_e32 v20, 2, v0
	ds_load_b32 v22, v20
	s_waitcnt lgkmcnt(0)
	v_mov_b32_dpp v23, v22 row_shr:1 row_mask:0xf bank_mask:0xf
	s_delay_alu instid0(VALU_DEP_1) | instskip(NEXT) | instid1(VALU_DEP_1)
	v_cndmask_b32_e64 v23, v23, 0, s3
	v_add_nc_u32_e32 v22, v23, v22
	s_delay_alu instid0(VALU_DEP_1) | instskip(NEXT) | instid1(VALU_DEP_1)
	v_mov_b32_dpp v23, v22 row_shr:2 row_mask:0xf bank_mask:0xf
	v_cndmask_b32_e64 v23, 0, v23, s4
	s_delay_alu instid0(VALU_DEP_1) | instskip(NEXT) | instid1(VALU_DEP_1)
	v_add_nc_u32_e32 v22, v22, v23
	v_mov_b32_dpp v23, v22 row_shr:4 row_mask:0xf bank_mask:0xf
	s_delay_alu instid0(VALU_DEP_1) | instskip(NEXT) | instid1(VALU_DEP_1)
	v_cndmask_b32_e64 v23, 0, v23, s1
	v_add_nc_u32_e32 v22, v22, v23
	s_delay_alu instid0(VALU_DEP_1) | instskip(NEXT) | instid1(VALU_DEP_1)
	v_mov_b32_dpp v23, v22 row_shr:8 row_mask:0xf bank_mask:0xf
	v_cndmask_b32_e64 v23, 0, v23, s0
	s_delay_alu instid0(VALU_DEP_1)
	v_add_nc_u32_e32 v22, v22, v23
	ds_store_b32 v20, v22
.LBB126_135:
	s_or_b32 exec_lo, exec_lo, s5
	v_mov_b32_e32 v20, 0
	v_mov_b32_e32 v22, 0
	s_mov_b32 s0, exec_lo
	s_waitcnt lgkmcnt(0)
	s_barrier
	buffer_gl0_inv
	v_cmpx_lt_u32_e32 31, v0
	s_cbranch_execz .LBB126_137
; %bb.136:
	v_lshl_add_u32 v22, v42, 2, -4
	ds_load_b32 v22, v22
.LBB126_137:
	s_or_b32 exec_lo, exec_lo, s0
	v_add_nc_u32_e32 v23, -1, v41
	s_waitcnt lgkmcnt(0)
	v_add_nc_u32_e32 v19, v22, v19
	s_delay_alu instid0(VALU_DEP_2) | instskip(SKIP_1) | instid1(VALU_DEP_1)
	v_cmp_gt_i32_e32 vcc_lo, 0, v23
	v_cndmask_b32_e32 v23, v23, v41, vcc_lo
	v_lshlrev_b32_e32 v23, 2, v23
	ds_bpermute_b32 v23, v23, v19
	ds_load_b32 v19, v20 offset:44
	s_and_saveexec_b32 s0, s2
	s_cbranch_execz .LBB126_139
; %bb.138:
	v_mov_b32_e32 v24, 0
	v_mov_b32_e32 v20, 2
	s_waitcnt lgkmcnt(0)
	global_store_b64 v24, v[19:20], s[16:17] offset:256
.LBB126_139:
	s_or_b32 exec_lo, exec_lo, s0
	v_cmp_eq_u32_e32 vcc_lo, 0, v41
	s_waitcnt lgkmcnt(0)
	s_waitcnt_vscnt null, 0x0
	s_barrier
	buffer_gl0_inv
	v_cndmask_b32_e32 v20, v23, v22, vcc_lo
	s_delay_alu instid0(VALU_DEP_1) | instskip(NEXT) | instid1(VALU_DEP_1)
	v_cndmask_b32_e64 v37, v20, 0, s2
	v_dual_mov_b32 v20, 0 :: v_dual_add_nc_u32 v35, v37, v28
	s_delay_alu instid0(VALU_DEP_1) | instskip(NEXT) | instid1(VALU_DEP_1)
	v_add_nc_u32_e32 v33, v35, v30
	v_add_nc_u32_e32 v31, v33, v32
	s_delay_alu instid0(VALU_DEP_1) | instskip(NEXT) | instid1(VALU_DEP_1)
	v_add_nc_u32_e32 v29, v31, v34
	v_add_nc_u32_e32 v27, v29, v36
	s_delay_alu instid0(VALU_DEP_1) | instskip(NEXT) | instid1(VALU_DEP_1)
	v_add_nc_u32_e32 v25, v27, v38
	v_add_nc_u32_e32 v23, v25, v40
.LBB126_140:
	s_waitcnt lgkmcnt(0)
	v_add_nc_u32_e32 v43, v20, v19
	v_cmp_gt_u32_e64 s0, 0x181, v19
	v_lshrrev_b32_e32 v42, 8, v17
	v_lshrrev_b32_e32 v41, 16, v17
	;; [unrolled: 1-line block ×4, first 2 shown]
	v_cmp_lt_u32_e64 s1, v37, v43
	s_and_b32 vcc_lo, exec_lo, s0
	s_mov_b32 s3, -1
	s_cbranch_vccz .LBB126_166
; %bb.141:
	s_lshl_b64 s[4:5], s[10:11], 2
	s_delay_alu instid0(SALU_CYCLE_1) | instskip(SKIP_2) | instid1(SALU_CYCLE_1)
	s_add_u32 s3, s12, s4
	s_addc_u32 s4, s13, s5
	s_or_b32 s5, s23, s1
	s_and_saveexec_b32 s1, s5
	s_cbranch_execz .LBB126_144
; %bb.142:
	v_and_b32_e32 v24, 1, v17
	s_delay_alu instid0(VALU_DEP_1)
	v_cmp_eq_u32_e32 vcc_lo, 1, v24
	s_and_b32 exec_lo, exec_lo, vcc_lo
	s_cbranch_execz .LBB126_144
; %bb.143:
	v_mov_b32_e32 v38, 0
	s_delay_alu instid0(VALU_DEP_1) | instskip(NEXT) | instid1(VALU_DEP_1)
	v_lshlrev_b64 v[44:45], 2, v[37:38]
	v_add_co_u32 v44, vcc_lo, s3, v44
	s_delay_alu instid0(VALU_DEP_2)
	v_add_co_ci_u32_e32 v45, vcc_lo, s4, v45, vcc_lo
	global_store_b32 v[44:45], v15, off
.LBB126_144:
	s_or_b32 exec_lo, exec_lo, s1
	v_cmp_lt_u32_e32 vcc_lo, v35, v43
	s_or_b32 s5, s23, vcc_lo
	s_delay_alu instid0(SALU_CYCLE_1)
	s_and_saveexec_b32 s1, s5
	s_cbranch_execz .LBB126_147
; %bb.145:
	v_and_b32_e32 v24, 1, v42
	s_delay_alu instid0(VALU_DEP_1)
	v_cmp_eq_u32_e32 vcc_lo, 1, v24
	s_and_b32 exec_lo, exec_lo, vcc_lo
	s_cbranch_execz .LBB126_147
; %bb.146:
	v_mov_b32_e32 v36, 0
	s_delay_alu instid0(VALU_DEP_1) | instskip(NEXT) | instid1(VALU_DEP_1)
	v_lshlrev_b64 v[44:45], 2, v[35:36]
	v_add_co_u32 v44, vcc_lo, s3, v44
	s_delay_alu instid0(VALU_DEP_2)
	v_add_co_ci_u32_e32 v45, vcc_lo, s4, v45, vcc_lo
	global_store_b32 v[44:45], v16, off
.LBB126_147:
	s_or_b32 exec_lo, exec_lo, s1
	v_cmp_lt_u32_e32 vcc_lo, v33, v43
	s_or_b32 s5, s23, vcc_lo
	s_delay_alu instid0(SALU_CYCLE_1)
	;; [unrolled: 21-line block ×7, first 2 shown]
	s_and_saveexec_b32 s1, s5
	s_cbranch_execz .LBB126_165
; %bb.163:
	v_and_b32_e32 v24, 1, v39
	s_delay_alu instid0(VALU_DEP_1)
	v_cmp_eq_u32_e32 vcc_lo, 1, v24
	s_and_b32 exec_lo, exec_lo, vcc_lo
	s_cbranch_execz .LBB126_165
; %bb.164:
	v_mov_b32_e32 v24, 0
	s_delay_alu instid0(VALU_DEP_1) | instskip(NEXT) | instid1(VALU_DEP_1)
	v_lshlrev_b64 v[44:45], 2, v[23:24]
	v_add_co_u32 v44, vcc_lo, s3, v44
	s_delay_alu instid0(VALU_DEP_2)
	v_add_co_ci_u32_e32 v45, vcc_lo, s4, v45, vcc_lo
	global_store_b32 v[44:45], v10, off
.LBB126_165:
	s_or_b32 exec_lo, exec_lo, s1
	s_mov_b32 s3, 0
.LBB126_166:
	v_and_b32_e32 v17, 1, v17
	s_and_b32 vcc_lo, exec_lo, s3
	s_delay_alu instid0(VALU_DEP_1)
	v_cmp_eq_u32_e64 s1, 1, v17
	s_cbranch_vccz .LBB126_187
; %bb.167:
	s_delay_alu instid0(VALU_DEP_1)
	s_and_saveexec_b32 s3, s1
	s_cbranch_execz .LBB126_169
; %bb.168:
	v_sub_nc_u32_e32 v24, v37, v20
	s_delay_alu instid0(VALU_DEP_1)
	v_lshlrev_b32_e32 v24, 2, v24
	ds_store_b32 v24, v15
.LBB126_169:
	s_or_b32 exec_lo, exec_lo, s3
	v_and_b32_e32 v15, 1, v42
	s_mov_b32 s1, exec_lo
	s_delay_alu instid0(VALU_DEP_1)
	v_cmpx_eq_u32_e32 1, v15
	s_cbranch_execz .LBB126_171
; %bb.170:
	v_sub_nc_u32_e32 v15, v35, v20
	s_delay_alu instid0(VALU_DEP_1)
	v_lshlrev_b32_e32 v15, 2, v15
	ds_store_b32 v15, v16
.LBB126_171:
	s_or_b32 exec_lo, exec_lo, s1
	v_and_b32_e32 v15, 1, v41
	s_mov_b32 s1, exec_lo
	s_delay_alu instid0(VALU_DEP_1)
	v_cmpx_eq_u32_e32 1, v15
	;; [unrolled: 12-line block ×7, first 2 shown]
	s_cbranch_execz .LBB126_183
; %bb.182:
	v_sub_nc_u32_e32 v9, v23, v20
	s_delay_alu instid0(VALU_DEP_1)
	v_lshlrev_b32_e32 v9, 2, v9
	ds_store_b32 v9, v10
.LBB126_183:
	s_or_b32 exec_lo, exec_lo, s1
	s_delay_alu instid0(SALU_CYCLE_1)
	s_mov_b32 s3, exec_lo
	s_waitcnt lgkmcnt(0)
	s_waitcnt_vscnt null, 0x0
	s_barrier
	buffer_gl0_inv
	v_cmpx_lt_u32_e64 v0, v19
	s_cbranch_execz .LBB126_186
; %bb.184:
	v_dual_mov_b32 v10, 0 :: v_dual_mov_b32 v9, v20
	s_lshl_b64 s[4:5], s[10:11], 2
	v_lshlrev_b32_e32 v11, 2, v0
	s_add_u32 s1, s12, s4
	s_addc_u32 s4, s13, s5
	v_lshlrev_b64 v[12:13], 2, v[9:10]
	v_mov_b32_e32 v9, v0
	s_delay_alu instid0(VALU_DEP_2) | instskip(NEXT) | instid1(VALU_DEP_3)
	v_add_co_u32 v12, vcc_lo, s1, v12
	v_add_co_ci_u32_e32 v13, vcc_lo, s4, v13, vcc_lo
	s_mov_b32 s4, 0
	.p2align	6
.LBB126_185:                            ; =>This Inner Loop Header: Depth=1
	ds_load_b32 v16, v11
	v_lshlrev_b64 v[14:15], 2, v[9:10]
	v_add_nc_u32_e32 v9, 0x180, v9
	v_add_nc_u32_e32 v11, 0x600, v11
	s_delay_alu instid0(VALU_DEP_2) | instskip(NEXT) | instid1(VALU_DEP_4)
	v_cmp_ge_u32_e32 vcc_lo, v9, v19
	v_add_co_u32 v14, s1, v12, v14
	s_delay_alu instid0(VALU_DEP_1)
	v_add_co_ci_u32_e64 v15, s1, v13, v15, s1
	s_or_b32 s4, vcc_lo, s4
	s_waitcnt lgkmcnt(0)
	global_store_b32 v[14:15], v16, off
	s_and_not1_b32 exec_lo, exec_lo, s4
	s_cbranch_execnz .LBB126_185
.LBB126_186:
	s_or_b32 exec_lo, exec_lo, s3
.LBB126_187:
	s_delay_alu instid0(SALU_CYCLE_1)
	s_and_b32 vcc_lo, exec_lo, s0
	s_mov_b32 s0, -1
	s_waitcnt_vscnt null, 0x0
	s_barrier
	buffer_gl0_inv
	s_cbranch_vccz .LBB126_215
; %bb.188:
	v_cmp_lt_u32_e32 vcc_lo, v37, v43
	s_lshl_b64 s[0:1], s[10:11], 2
	s_delay_alu instid0(SALU_CYCLE_1) | instskip(SKIP_2) | instid1(SALU_CYCLE_1)
	s_add_u32 s0, s14, s0
	s_addc_u32 s1, s15, s1
	s_or_b32 s4, s23, vcc_lo
	s_and_saveexec_b32 s3, s4
	s_cbranch_execz .LBB126_191
; %bb.189:
	v_cmp_eq_u32_e32 vcc_lo, 1, v17
	s_and_b32 exec_lo, exec_lo, vcc_lo
	s_cbranch_execz .LBB126_191
; %bb.190:
	v_mov_b32_e32 v38, 0
	s_delay_alu instid0(VALU_DEP_1) | instskip(NEXT) | instid1(VALU_DEP_1)
	v_lshlrev_b64 v[9:10], 2, v[37:38]
	v_add_co_u32 v9, vcc_lo, s0, v9
	s_delay_alu instid0(VALU_DEP_2)
	v_add_co_ci_u32_e32 v10, vcc_lo, s1, v10, vcc_lo
	global_store_b32 v[9:10], v7, off
.LBB126_191:
	s_or_b32 exec_lo, exec_lo, s3
	v_cmp_lt_u32_e32 vcc_lo, v35, v43
	s_or_b32 s4, s23, vcc_lo
	s_delay_alu instid0(SALU_CYCLE_1)
	s_and_saveexec_b32 s3, s4
	s_cbranch_execz .LBB126_194
; %bb.192:
	v_and_b32_e32 v9, 1, v42
	s_delay_alu instid0(VALU_DEP_1)
	v_cmp_eq_u32_e32 vcc_lo, 1, v9
	s_and_b32 exec_lo, exec_lo, vcc_lo
	s_cbranch_execz .LBB126_194
; %bb.193:
	v_mov_b32_e32 v36, 0
	s_delay_alu instid0(VALU_DEP_1) | instskip(NEXT) | instid1(VALU_DEP_1)
	v_lshlrev_b64 v[9:10], 2, v[35:36]
	v_add_co_u32 v9, vcc_lo, s0, v9
	s_delay_alu instid0(VALU_DEP_2)
	v_add_co_ci_u32_e32 v10, vcc_lo, s1, v10, vcc_lo
	global_store_b32 v[9:10], v8, off
.LBB126_194:
	s_or_b32 exec_lo, exec_lo, s3
	v_cmp_lt_u32_e32 vcc_lo, v33, v43
	s_or_b32 s4, s23, vcc_lo
	s_delay_alu instid0(SALU_CYCLE_1)
	s_and_saveexec_b32 s3, s4
	s_cbranch_execz .LBB126_197
; %bb.195:
	v_and_b32_e32 v9, 1, v41
	s_delay_alu instid0(VALU_DEP_1)
	v_cmp_eq_u32_e32 vcc_lo, 1, v9
	s_and_b32 exec_lo, exec_lo, vcc_lo
	s_cbranch_execz .LBB126_197
; %bb.196:
	v_mov_b32_e32 v34, 0
	s_delay_alu instid0(VALU_DEP_1) | instskip(NEXT) | instid1(VALU_DEP_1)
	v_lshlrev_b64 v[9:10], 2, v[33:34]
	v_add_co_u32 v9, vcc_lo, s0, v9
	s_delay_alu instid0(VALU_DEP_2)
	v_add_co_ci_u32_e32 v10, vcc_lo, s1, v10, vcc_lo
	global_store_b32 v[9:10], v5, off
.LBB126_197:
	;; [unrolled: 21-line block ×7, first 2 shown]
	s_or_b32 exec_lo, exec_lo, s3
.LBB126_213:
	s_and_b32 s0, s2, s22
	s_delay_alu instid0(SALU_CYCLE_1)
	s_and_saveexec_b32 s1, s0
	s_cbranch_execz .LBB126_236
.LBB126_214:
	v_add_co_u32 v0, s0, s10, v19
	s_delay_alu instid0(VALU_DEP_1) | instskip(SKIP_1) | instid1(VALU_DEP_3)
	v_add_co_ci_u32_e64 v1, null, s11, 0, s0
	v_mov_b32_e32 v2, 0
	v_add_co_u32 v0, vcc_lo, v0, v20
	s_delay_alu instid0(VALU_DEP_3)
	v_add_co_ci_u32_e32 v1, vcc_lo, 0, v1, vcc_lo
	global_store_b64 v2, v[0:1], s[8:9]
	s_nop 0
	s_sendmsg sendmsg(MSG_DEALLOC_VGPRS)
	s_endpgm
.LBB126_215:
	s_and_b32 vcc_lo, exec_lo, s0
	s_cbranch_vccz .LBB126_213
; %bb.216:
	s_mov_b32 s0, exec_lo
	v_cmpx_eq_u32_e32 1, v17
	s_cbranch_execz .LBB126_218
; %bb.217:
	v_sub_nc_u32_e32 v9, v37, v20
	s_delay_alu instid0(VALU_DEP_1)
	v_lshlrev_b32_e32 v9, 2, v9
	ds_store_b32 v9, v7
.LBB126_218:
	s_or_b32 exec_lo, exec_lo, s0
	v_and_b32_e32 v7, 1, v42
	s_mov_b32 s0, exec_lo
	s_delay_alu instid0(VALU_DEP_1)
	v_cmpx_eq_u32_e32 1, v7
	s_cbranch_execz .LBB126_220
; %bb.219:
	v_sub_nc_u32_e32 v7, v35, v20
	s_delay_alu instid0(VALU_DEP_1)
	v_lshlrev_b32_e32 v7, 2, v7
	ds_store_b32 v7, v8
.LBB126_220:
	s_or_b32 exec_lo, exec_lo, s0
	v_and_b32_e32 v7, 1, v41
	s_mov_b32 s0, exec_lo
	s_delay_alu instid0(VALU_DEP_1)
	v_cmpx_eq_u32_e32 1, v7
	s_cbranch_execz .LBB126_222
; %bb.221:
	v_sub_nc_u32_e32 v7, v33, v20
	s_delay_alu instid0(VALU_DEP_1)
	v_lshlrev_b32_e32 v7, 2, v7
	ds_store_b32 v7, v5
.LBB126_222:
	s_or_b32 exec_lo, exec_lo, s0
	v_and_b32_e32 v5, 1, v21
	s_mov_b32 s0, exec_lo
	s_delay_alu instid0(VALU_DEP_1)
	v_cmpx_eq_u32_e32 1, v5
	s_cbranch_execz .LBB126_224
; %bb.223:
	v_sub_nc_u32_e32 v5, v31, v20
	s_delay_alu instid0(VALU_DEP_1)
	v_lshlrev_b32_e32 v5, 2, v5
	ds_store_b32 v5, v6
.LBB126_224:
	s_or_b32 exec_lo, exec_lo, s0
	v_and_b32_e32 v5, 1, v18
	s_mov_b32 s0, exec_lo
	s_delay_alu instid0(VALU_DEP_1)
	v_cmpx_eq_u32_e32 1, v5
	s_cbranch_execz .LBB126_226
; %bb.225:
	v_sub_nc_u32_e32 v5, v29, v20
	s_delay_alu instid0(VALU_DEP_1)
	v_lshlrev_b32_e32 v5, 2, v5
	ds_store_b32 v5, v3
.LBB126_226:
	s_or_b32 exec_lo, exec_lo, s0
	v_and_b32_e32 v3, 1, v40
	s_mov_b32 s0, exec_lo
	s_delay_alu instid0(VALU_DEP_1)
	v_cmpx_eq_u32_e32 1, v3
	s_cbranch_execz .LBB126_228
; %bb.227:
	v_sub_nc_u32_e32 v3, v27, v20
	s_delay_alu instid0(VALU_DEP_1)
	v_lshlrev_b32_e32 v3, 2, v3
	ds_store_b32 v3, v4
.LBB126_228:
	s_or_b32 exec_lo, exec_lo, s0
	v_and_b32_e32 v3, 1, v22
	s_mov_b32 s0, exec_lo
	s_delay_alu instid0(VALU_DEP_1)
	v_cmpx_eq_u32_e32 1, v3
	s_cbranch_execz .LBB126_230
; %bb.229:
	v_sub_nc_u32_e32 v3, v25, v20
	s_delay_alu instid0(VALU_DEP_1)
	v_lshlrev_b32_e32 v3, 2, v3
	ds_store_b32 v3, v1
.LBB126_230:
	s_or_b32 exec_lo, exec_lo, s0
	v_and_b32_e32 v1, 1, v39
	s_mov_b32 s0, exec_lo
	s_delay_alu instid0(VALU_DEP_1)
	v_cmpx_eq_u32_e32 1, v1
	s_cbranch_execz .LBB126_232
; %bb.231:
	v_sub_nc_u32_e32 v1, v23, v20
	s_delay_alu instid0(VALU_DEP_1)
	v_lshlrev_b32_e32 v1, 2, v1
	ds_store_b32 v1, v2
.LBB126_232:
	s_or_b32 exec_lo, exec_lo, s0
	s_delay_alu instid0(SALU_CYCLE_1)
	s_mov_b32 s1, exec_lo
	s_waitcnt lgkmcnt(0)
	s_waitcnt_vscnt null, 0x0
	s_barrier
	buffer_gl0_inv
	v_cmpx_lt_u32_e64 v0, v19
	s_cbranch_execz .LBB126_235
; %bb.233:
	v_dual_mov_b32 v1, 0 :: v_dual_mov_b32 v2, v20
	s_lshl_b64 s[4:5], s[10:11], 2
	v_lshlrev_b32_e32 v4, 2, v0
	s_add_u32 s0, s14, s4
	s_delay_alu instid0(VALU_DEP_2) | instskip(SKIP_1) | instid1(VALU_DEP_1)
	v_mov_b32_e32 v3, v1
	s_addc_u32 s3, s15, s5
	v_lshlrev_b64 v[2:3], 2, v[2:3]
	s_delay_alu instid0(VALU_DEP_1) | instskip(NEXT) | instid1(VALU_DEP_2)
	v_add_co_u32 v2, vcc_lo, s0, v2
	v_add_co_ci_u32_e32 v3, vcc_lo, s3, v3, vcc_lo
	s_mov_b32 s3, 0
	.p2align	6
.LBB126_234:                            ; =>This Inner Loop Header: Depth=1
	ds_load_b32 v7, v4
	v_lshlrev_b64 v[5:6], 2, v[0:1]
	v_add_nc_u32_e32 v0, 0x180, v0
	v_add_nc_u32_e32 v4, 0x600, v4
	s_delay_alu instid0(VALU_DEP_2) | instskip(NEXT) | instid1(VALU_DEP_4)
	v_cmp_ge_u32_e32 vcc_lo, v0, v19
	v_add_co_u32 v5, s0, v2, v5
	s_delay_alu instid0(VALU_DEP_1)
	v_add_co_ci_u32_e64 v6, s0, v3, v6, s0
	s_or_b32 s3, vcc_lo, s3
	s_waitcnt lgkmcnt(0)
	global_store_b32 v[5:6], v7, off
	s_and_not1_b32 exec_lo, exec_lo, s3
	s_cbranch_execnz .LBB126_234
.LBB126_235:
	s_or_b32 exec_lo, exec_lo, s1
	s_and_b32 s0, s2, s22
	s_delay_alu instid0(SALU_CYCLE_1)
	s_and_saveexec_b32 s1, s0
	s_cbranch_execnz .LBB126_214
.LBB126_236:
	s_nop 0
	s_sendmsg sendmsg(MSG_DEALLOC_VGPRS)
	s_endpgm
	.section	.rodata,"a",@progbits
	.p2align	6, 0x0
	.amdhsa_kernel _ZN7rocprim17ROCPRIM_400000_NS6detail17trampoline_kernelINS0_14default_configENS1_25partition_config_selectorILNS1_17partition_subalgoE9EffbEEZZNS1_14partition_implILS5_9ELb0ES3_jN6thrust23THRUST_200600_302600_NS6detail15normal_iteratorINS9_10device_ptrIfEEEESE_PNS0_10empty_typeENS0_5tupleIJSE_SF_EEENSH_IJSE_SG_EEENS0_18inequality_wrapperI22is_equal_div_10_uniqueIfEEEPmJSF_EEE10hipError_tPvRmT3_T4_T5_T6_T7_T9_mT8_P12ihipStream_tbDpT10_ENKUlT_T0_E_clISt17integral_constantIbLb1EES18_EEDaS13_S14_EUlS13_E_NS1_11comp_targetILNS1_3genE9ELNS1_11target_archE1100ELNS1_3gpuE3ELNS1_3repE0EEENS1_30default_config_static_selectorELNS0_4arch9wavefront6targetE0EEEvT1_
		.amdhsa_group_segment_fixed_size 12680
		.amdhsa_private_segment_fixed_size 0
		.amdhsa_kernarg_size 128
		.amdhsa_user_sgpr_count 15
		.amdhsa_user_sgpr_dispatch_ptr 0
		.amdhsa_user_sgpr_queue_ptr 0
		.amdhsa_user_sgpr_kernarg_segment_ptr 1
		.amdhsa_user_sgpr_dispatch_id 0
		.amdhsa_user_sgpr_private_segment_size 0
		.amdhsa_wavefront_size32 1
		.amdhsa_uses_dynamic_stack 0
		.amdhsa_enable_private_segment 0
		.amdhsa_system_sgpr_workgroup_id_x 1
		.amdhsa_system_sgpr_workgroup_id_y 0
		.amdhsa_system_sgpr_workgroup_id_z 0
		.amdhsa_system_sgpr_workgroup_info 0
		.amdhsa_system_vgpr_workitem_id 0
		.amdhsa_next_free_vgpr 51
		.amdhsa_next_free_sgpr 29
		.amdhsa_reserve_vcc 1
		.amdhsa_float_round_mode_32 0
		.amdhsa_float_round_mode_16_64 0
		.amdhsa_float_denorm_mode_32 3
		.amdhsa_float_denorm_mode_16_64 3
		.amdhsa_dx10_clamp 1
		.amdhsa_ieee_mode 1
		.amdhsa_fp16_overflow 0
		.amdhsa_workgroup_processor_mode 1
		.amdhsa_memory_ordered 1
		.amdhsa_forward_progress 0
		.amdhsa_shared_vgpr_count 0
		.amdhsa_exception_fp_ieee_invalid_op 0
		.amdhsa_exception_fp_denorm_src 0
		.amdhsa_exception_fp_ieee_div_zero 0
		.amdhsa_exception_fp_ieee_overflow 0
		.amdhsa_exception_fp_ieee_underflow 0
		.amdhsa_exception_fp_ieee_inexact 0
		.amdhsa_exception_int_div_zero 0
	.end_amdhsa_kernel
	.section	.text._ZN7rocprim17ROCPRIM_400000_NS6detail17trampoline_kernelINS0_14default_configENS1_25partition_config_selectorILNS1_17partition_subalgoE9EffbEEZZNS1_14partition_implILS5_9ELb0ES3_jN6thrust23THRUST_200600_302600_NS6detail15normal_iteratorINS9_10device_ptrIfEEEESE_PNS0_10empty_typeENS0_5tupleIJSE_SF_EEENSH_IJSE_SG_EEENS0_18inequality_wrapperI22is_equal_div_10_uniqueIfEEEPmJSF_EEE10hipError_tPvRmT3_T4_T5_T6_T7_T9_mT8_P12ihipStream_tbDpT10_ENKUlT_T0_E_clISt17integral_constantIbLb1EES18_EEDaS13_S14_EUlS13_E_NS1_11comp_targetILNS1_3genE9ELNS1_11target_archE1100ELNS1_3gpuE3ELNS1_3repE0EEENS1_30default_config_static_selectorELNS0_4arch9wavefront6targetE0EEEvT1_,"axG",@progbits,_ZN7rocprim17ROCPRIM_400000_NS6detail17trampoline_kernelINS0_14default_configENS1_25partition_config_selectorILNS1_17partition_subalgoE9EffbEEZZNS1_14partition_implILS5_9ELb0ES3_jN6thrust23THRUST_200600_302600_NS6detail15normal_iteratorINS9_10device_ptrIfEEEESE_PNS0_10empty_typeENS0_5tupleIJSE_SF_EEENSH_IJSE_SG_EEENS0_18inequality_wrapperI22is_equal_div_10_uniqueIfEEEPmJSF_EEE10hipError_tPvRmT3_T4_T5_T6_T7_T9_mT8_P12ihipStream_tbDpT10_ENKUlT_T0_E_clISt17integral_constantIbLb1EES18_EEDaS13_S14_EUlS13_E_NS1_11comp_targetILNS1_3genE9ELNS1_11target_archE1100ELNS1_3gpuE3ELNS1_3repE0EEENS1_30default_config_static_selectorELNS0_4arch9wavefront6targetE0EEEvT1_,comdat
.Lfunc_end126:
	.size	_ZN7rocprim17ROCPRIM_400000_NS6detail17trampoline_kernelINS0_14default_configENS1_25partition_config_selectorILNS1_17partition_subalgoE9EffbEEZZNS1_14partition_implILS5_9ELb0ES3_jN6thrust23THRUST_200600_302600_NS6detail15normal_iteratorINS9_10device_ptrIfEEEESE_PNS0_10empty_typeENS0_5tupleIJSE_SF_EEENSH_IJSE_SG_EEENS0_18inequality_wrapperI22is_equal_div_10_uniqueIfEEEPmJSF_EEE10hipError_tPvRmT3_T4_T5_T6_T7_T9_mT8_P12ihipStream_tbDpT10_ENKUlT_T0_E_clISt17integral_constantIbLb1EES18_EEDaS13_S14_EUlS13_E_NS1_11comp_targetILNS1_3genE9ELNS1_11target_archE1100ELNS1_3gpuE3ELNS1_3repE0EEENS1_30default_config_static_selectorELNS0_4arch9wavefront6targetE0EEEvT1_, .Lfunc_end126-_ZN7rocprim17ROCPRIM_400000_NS6detail17trampoline_kernelINS0_14default_configENS1_25partition_config_selectorILNS1_17partition_subalgoE9EffbEEZZNS1_14partition_implILS5_9ELb0ES3_jN6thrust23THRUST_200600_302600_NS6detail15normal_iteratorINS9_10device_ptrIfEEEESE_PNS0_10empty_typeENS0_5tupleIJSE_SF_EEENSH_IJSE_SG_EEENS0_18inequality_wrapperI22is_equal_div_10_uniqueIfEEEPmJSF_EEE10hipError_tPvRmT3_T4_T5_T6_T7_T9_mT8_P12ihipStream_tbDpT10_ENKUlT_T0_E_clISt17integral_constantIbLb1EES18_EEDaS13_S14_EUlS13_E_NS1_11comp_targetILNS1_3genE9ELNS1_11target_archE1100ELNS1_3gpuE3ELNS1_3repE0EEENS1_30default_config_static_selectorELNS0_4arch9wavefront6targetE0EEEvT1_
                                        ; -- End function
	.section	.AMDGPU.csdata,"",@progbits
; Kernel info:
; codeLenInByte = 11104
; NumSgprs: 31
; NumVgprs: 51
; ScratchSize: 0
; MemoryBound: 0
; FloatMode: 240
; IeeeMode: 1
; LDSByteSize: 12680 bytes/workgroup (compile time only)
; SGPRBlocks: 3
; VGPRBlocks: 6
; NumSGPRsForWavesPerEU: 31
; NumVGPRsForWavesPerEU: 51
; Occupancy: 15
; WaveLimiterHint : 1
; COMPUTE_PGM_RSRC2:SCRATCH_EN: 0
; COMPUTE_PGM_RSRC2:USER_SGPR: 15
; COMPUTE_PGM_RSRC2:TRAP_HANDLER: 0
; COMPUTE_PGM_RSRC2:TGID_X_EN: 1
; COMPUTE_PGM_RSRC2:TGID_Y_EN: 0
; COMPUTE_PGM_RSRC2:TGID_Z_EN: 0
; COMPUTE_PGM_RSRC2:TIDIG_COMP_CNT: 0
	.section	.text._ZN7rocprim17ROCPRIM_400000_NS6detail17trampoline_kernelINS0_14default_configENS1_25partition_config_selectorILNS1_17partition_subalgoE9EffbEEZZNS1_14partition_implILS5_9ELb0ES3_jN6thrust23THRUST_200600_302600_NS6detail15normal_iteratorINS9_10device_ptrIfEEEESE_PNS0_10empty_typeENS0_5tupleIJSE_SF_EEENSH_IJSE_SG_EEENS0_18inequality_wrapperI22is_equal_div_10_uniqueIfEEEPmJSF_EEE10hipError_tPvRmT3_T4_T5_T6_T7_T9_mT8_P12ihipStream_tbDpT10_ENKUlT_T0_E_clISt17integral_constantIbLb1EES18_EEDaS13_S14_EUlS13_E_NS1_11comp_targetILNS1_3genE8ELNS1_11target_archE1030ELNS1_3gpuE2ELNS1_3repE0EEENS1_30default_config_static_selectorELNS0_4arch9wavefront6targetE0EEEvT1_,"axG",@progbits,_ZN7rocprim17ROCPRIM_400000_NS6detail17trampoline_kernelINS0_14default_configENS1_25partition_config_selectorILNS1_17partition_subalgoE9EffbEEZZNS1_14partition_implILS5_9ELb0ES3_jN6thrust23THRUST_200600_302600_NS6detail15normal_iteratorINS9_10device_ptrIfEEEESE_PNS0_10empty_typeENS0_5tupleIJSE_SF_EEENSH_IJSE_SG_EEENS0_18inequality_wrapperI22is_equal_div_10_uniqueIfEEEPmJSF_EEE10hipError_tPvRmT3_T4_T5_T6_T7_T9_mT8_P12ihipStream_tbDpT10_ENKUlT_T0_E_clISt17integral_constantIbLb1EES18_EEDaS13_S14_EUlS13_E_NS1_11comp_targetILNS1_3genE8ELNS1_11target_archE1030ELNS1_3gpuE2ELNS1_3repE0EEENS1_30default_config_static_selectorELNS0_4arch9wavefront6targetE0EEEvT1_,comdat
	.protected	_ZN7rocprim17ROCPRIM_400000_NS6detail17trampoline_kernelINS0_14default_configENS1_25partition_config_selectorILNS1_17partition_subalgoE9EffbEEZZNS1_14partition_implILS5_9ELb0ES3_jN6thrust23THRUST_200600_302600_NS6detail15normal_iteratorINS9_10device_ptrIfEEEESE_PNS0_10empty_typeENS0_5tupleIJSE_SF_EEENSH_IJSE_SG_EEENS0_18inequality_wrapperI22is_equal_div_10_uniqueIfEEEPmJSF_EEE10hipError_tPvRmT3_T4_T5_T6_T7_T9_mT8_P12ihipStream_tbDpT10_ENKUlT_T0_E_clISt17integral_constantIbLb1EES18_EEDaS13_S14_EUlS13_E_NS1_11comp_targetILNS1_3genE8ELNS1_11target_archE1030ELNS1_3gpuE2ELNS1_3repE0EEENS1_30default_config_static_selectorELNS0_4arch9wavefront6targetE0EEEvT1_ ; -- Begin function _ZN7rocprim17ROCPRIM_400000_NS6detail17trampoline_kernelINS0_14default_configENS1_25partition_config_selectorILNS1_17partition_subalgoE9EffbEEZZNS1_14partition_implILS5_9ELb0ES3_jN6thrust23THRUST_200600_302600_NS6detail15normal_iteratorINS9_10device_ptrIfEEEESE_PNS0_10empty_typeENS0_5tupleIJSE_SF_EEENSH_IJSE_SG_EEENS0_18inequality_wrapperI22is_equal_div_10_uniqueIfEEEPmJSF_EEE10hipError_tPvRmT3_T4_T5_T6_T7_T9_mT8_P12ihipStream_tbDpT10_ENKUlT_T0_E_clISt17integral_constantIbLb1EES18_EEDaS13_S14_EUlS13_E_NS1_11comp_targetILNS1_3genE8ELNS1_11target_archE1030ELNS1_3gpuE2ELNS1_3repE0EEENS1_30default_config_static_selectorELNS0_4arch9wavefront6targetE0EEEvT1_
	.globl	_ZN7rocprim17ROCPRIM_400000_NS6detail17trampoline_kernelINS0_14default_configENS1_25partition_config_selectorILNS1_17partition_subalgoE9EffbEEZZNS1_14partition_implILS5_9ELb0ES3_jN6thrust23THRUST_200600_302600_NS6detail15normal_iteratorINS9_10device_ptrIfEEEESE_PNS0_10empty_typeENS0_5tupleIJSE_SF_EEENSH_IJSE_SG_EEENS0_18inequality_wrapperI22is_equal_div_10_uniqueIfEEEPmJSF_EEE10hipError_tPvRmT3_T4_T5_T6_T7_T9_mT8_P12ihipStream_tbDpT10_ENKUlT_T0_E_clISt17integral_constantIbLb1EES18_EEDaS13_S14_EUlS13_E_NS1_11comp_targetILNS1_3genE8ELNS1_11target_archE1030ELNS1_3gpuE2ELNS1_3repE0EEENS1_30default_config_static_selectorELNS0_4arch9wavefront6targetE0EEEvT1_
	.p2align	8
	.type	_ZN7rocprim17ROCPRIM_400000_NS6detail17trampoline_kernelINS0_14default_configENS1_25partition_config_selectorILNS1_17partition_subalgoE9EffbEEZZNS1_14partition_implILS5_9ELb0ES3_jN6thrust23THRUST_200600_302600_NS6detail15normal_iteratorINS9_10device_ptrIfEEEESE_PNS0_10empty_typeENS0_5tupleIJSE_SF_EEENSH_IJSE_SG_EEENS0_18inequality_wrapperI22is_equal_div_10_uniqueIfEEEPmJSF_EEE10hipError_tPvRmT3_T4_T5_T6_T7_T9_mT8_P12ihipStream_tbDpT10_ENKUlT_T0_E_clISt17integral_constantIbLb1EES18_EEDaS13_S14_EUlS13_E_NS1_11comp_targetILNS1_3genE8ELNS1_11target_archE1030ELNS1_3gpuE2ELNS1_3repE0EEENS1_30default_config_static_selectorELNS0_4arch9wavefront6targetE0EEEvT1_,@function
_ZN7rocprim17ROCPRIM_400000_NS6detail17trampoline_kernelINS0_14default_configENS1_25partition_config_selectorILNS1_17partition_subalgoE9EffbEEZZNS1_14partition_implILS5_9ELb0ES3_jN6thrust23THRUST_200600_302600_NS6detail15normal_iteratorINS9_10device_ptrIfEEEESE_PNS0_10empty_typeENS0_5tupleIJSE_SF_EEENSH_IJSE_SG_EEENS0_18inequality_wrapperI22is_equal_div_10_uniqueIfEEEPmJSF_EEE10hipError_tPvRmT3_T4_T5_T6_T7_T9_mT8_P12ihipStream_tbDpT10_ENKUlT_T0_E_clISt17integral_constantIbLb1EES18_EEDaS13_S14_EUlS13_E_NS1_11comp_targetILNS1_3genE8ELNS1_11target_archE1030ELNS1_3gpuE2ELNS1_3repE0EEENS1_30default_config_static_selectorELNS0_4arch9wavefront6targetE0EEEvT1_: ; @_ZN7rocprim17ROCPRIM_400000_NS6detail17trampoline_kernelINS0_14default_configENS1_25partition_config_selectorILNS1_17partition_subalgoE9EffbEEZZNS1_14partition_implILS5_9ELb0ES3_jN6thrust23THRUST_200600_302600_NS6detail15normal_iteratorINS9_10device_ptrIfEEEESE_PNS0_10empty_typeENS0_5tupleIJSE_SF_EEENSH_IJSE_SG_EEENS0_18inequality_wrapperI22is_equal_div_10_uniqueIfEEEPmJSF_EEE10hipError_tPvRmT3_T4_T5_T6_T7_T9_mT8_P12ihipStream_tbDpT10_ENKUlT_T0_E_clISt17integral_constantIbLb1EES18_EEDaS13_S14_EUlS13_E_NS1_11comp_targetILNS1_3genE8ELNS1_11target_archE1030ELNS1_3gpuE2ELNS1_3repE0EEENS1_30default_config_static_selectorELNS0_4arch9wavefront6targetE0EEEvT1_
; %bb.0:
	.section	.rodata,"a",@progbits
	.p2align	6, 0x0
	.amdhsa_kernel _ZN7rocprim17ROCPRIM_400000_NS6detail17trampoline_kernelINS0_14default_configENS1_25partition_config_selectorILNS1_17partition_subalgoE9EffbEEZZNS1_14partition_implILS5_9ELb0ES3_jN6thrust23THRUST_200600_302600_NS6detail15normal_iteratorINS9_10device_ptrIfEEEESE_PNS0_10empty_typeENS0_5tupleIJSE_SF_EEENSH_IJSE_SG_EEENS0_18inequality_wrapperI22is_equal_div_10_uniqueIfEEEPmJSF_EEE10hipError_tPvRmT3_T4_T5_T6_T7_T9_mT8_P12ihipStream_tbDpT10_ENKUlT_T0_E_clISt17integral_constantIbLb1EES18_EEDaS13_S14_EUlS13_E_NS1_11comp_targetILNS1_3genE8ELNS1_11target_archE1030ELNS1_3gpuE2ELNS1_3repE0EEENS1_30default_config_static_selectorELNS0_4arch9wavefront6targetE0EEEvT1_
		.amdhsa_group_segment_fixed_size 0
		.amdhsa_private_segment_fixed_size 0
		.amdhsa_kernarg_size 128
		.amdhsa_user_sgpr_count 15
		.amdhsa_user_sgpr_dispatch_ptr 0
		.amdhsa_user_sgpr_queue_ptr 0
		.amdhsa_user_sgpr_kernarg_segment_ptr 1
		.amdhsa_user_sgpr_dispatch_id 0
		.amdhsa_user_sgpr_private_segment_size 0
		.amdhsa_wavefront_size32 1
		.amdhsa_uses_dynamic_stack 0
		.amdhsa_enable_private_segment 0
		.amdhsa_system_sgpr_workgroup_id_x 1
		.amdhsa_system_sgpr_workgroup_id_y 0
		.amdhsa_system_sgpr_workgroup_id_z 0
		.amdhsa_system_sgpr_workgroup_info 0
		.amdhsa_system_vgpr_workitem_id 0
		.amdhsa_next_free_vgpr 1
		.amdhsa_next_free_sgpr 1
		.amdhsa_reserve_vcc 0
		.amdhsa_float_round_mode_32 0
		.amdhsa_float_round_mode_16_64 0
		.amdhsa_float_denorm_mode_32 3
		.amdhsa_float_denorm_mode_16_64 3
		.amdhsa_dx10_clamp 1
		.amdhsa_ieee_mode 1
		.amdhsa_fp16_overflow 0
		.amdhsa_workgroup_processor_mode 1
		.amdhsa_memory_ordered 1
		.amdhsa_forward_progress 0
		.amdhsa_shared_vgpr_count 0
		.amdhsa_exception_fp_ieee_invalid_op 0
		.amdhsa_exception_fp_denorm_src 0
		.amdhsa_exception_fp_ieee_div_zero 0
		.amdhsa_exception_fp_ieee_overflow 0
		.amdhsa_exception_fp_ieee_underflow 0
		.amdhsa_exception_fp_ieee_inexact 0
		.amdhsa_exception_int_div_zero 0
	.end_amdhsa_kernel
	.section	.text._ZN7rocprim17ROCPRIM_400000_NS6detail17trampoline_kernelINS0_14default_configENS1_25partition_config_selectorILNS1_17partition_subalgoE9EffbEEZZNS1_14partition_implILS5_9ELb0ES3_jN6thrust23THRUST_200600_302600_NS6detail15normal_iteratorINS9_10device_ptrIfEEEESE_PNS0_10empty_typeENS0_5tupleIJSE_SF_EEENSH_IJSE_SG_EEENS0_18inequality_wrapperI22is_equal_div_10_uniqueIfEEEPmJSF_EEE10hipError_tPvRmT3_T4_T5_T6_T7_T9_mT8_P12ihipStream_tbDpT10_ENKUlT_T0_E_clISt17integral_constantIbLb1EES18_EEDaS13_S14_EUlS13_E_NS1_11comp_targetILNS1_3genE8ELNS1_11target_archE1030ELNS1_3gpuE2ELNS1_3repE0EEENS1_30default_config_static_selectorELNS0_4arch9wavefront6targetE0EEEvT1_,"axG",@progbits,_ZN7rocprim17ROCPRIM_400000_NS6detail17trampoline_kernelINS0_14default_configENS1_25partition_config_selectorILNS1_17partition_subalgoE9EffbEEZZNS1_14partition_implILS5_9ELb0ES3_jN6thrust23THRUST_200600_302600_NS6detail15normal_iteratorINS9_10device_ptrIfEEEESE_PNS0_10empty_typeENS0_5tupleIJSE_SF_EEENSH_IJSE_SG_EEENS0_18inequality_wrapperI22is_equal_div_10_uniqueIfEEEPmJSF_EEE10hipError_tPvRmT3_T4_T5_T6_T7_T9_mT8_P12ihipStream_tbDpT10_ENKUlT_T0_E_clISt17integral_constantIbLb1EES18_EEDaS13_S14_EUlS13_E_NS1_11comp_targetILNS1_3genE8ELNS1_11target_archE1030ELNS1_3gpuE2ELNS1_3repE0EEENS1_30default_config_static_selectorELNS0_4arch9wavefront6targetE0EEEvT1_,comdat
.Lfunc_end127:
	.size	_ZN7rocprim17ROCPRIM_400000_NS6detail17trampoline_kernelINS0_14default_configENS1_25partition_config_selectorILNS1_17partition_subalgoE9EffbEEZZNS1_14partition_implILS5_9ELb0ES3_jN6thrust23THRUST_200600_302600_NS6detail15normal_iteratorINS9_10device_ptrIfEEEESE_PNS0_10empty_typeENS0_5tupleIJSE_SF_EEENSH_IJSE_SG_EEENS0_18inequality_wrapperI22is_equal_div_10_uniqueIfEEEPmJSF_EEE10hipError_tPvRmT3_T4_T5_T6_T7_T9_mT8_P12ihipStream_tbDpT10_ENKUlT_T0_E_clISt17integral_constantIbLb1EES18_EEDaS13_S14_EUlS13_E_NS1_11comp_targetILNS1_3genE8ELNS1_11target_archE1030ELNS1_3gpuE2ELNS1_3repE0EEENS1_30default_config_static_selectorELNS0_4arch9wavefront6targetE0EEEvT1_, .Lfunc_end127-_ZN7rocprim17ROCPRIM_400000_NS6detail17trampoline_kernelINS0_14default_configENS1_25partition_config_selectorILNS1_17partition_subalgoE9EffbEEZZNS1_14partition_implILS5_9ELb0ES3_jN6thrust23THRUST_200600_302600_NS6detail15normal_iteratorINS9_10device_ptrIfEEEESE_PNS0_10empty_typeENS0_5tupleIJSE_SF_EEENSH_IJSE_SG_EEENS0_18inequality_wrapperI22is_equal_div_10_uniqueIfEEEPmJSF_EEE10hipError_tPvRmT3_T4_T5_T6_T7_T9_mT8_P12ihipStream_tbDpT10_ENKUlT_T0_E_clISt17integral_constantIbLb1EES18_EEDaS13_S14_EUlS13_E_NS1_11comp_targetILNS1_3genE8ELNS1_11target_archE1030ELNS1_3gpuE2ELNS1_3repE0EEENS1_30default_config_static_selectorELNS0_4arch9wavefront6targetE0EEEvT1_
                                        ; -- End function
	.section	.AMDGPU.csdata,"",@progbits
; Kernel info:
; codeLenInByte = 0
; NumSgprs: 0
; NumVgprs: 0
; ScratchSize: 0
; MemoryBound: 0
; FloatMode: 240
; IeeeMode: 1
; LDSByteSize: 0 bytes/workgroup (compile time only)
; SGPRBlocks: 0
; VGPRBlocks: 0
; NumSGPRsForWavesPerEU: 1
; NumVGPRsForWavesPerEU: 1
; Occupancy: 16
; WaveLimiterHint : 0
; COMPUTE_PGM_RSRC2:SCRATCH_EN: 0
; COMPUTE_PGM_RSRC2:USER_SGPR: 15
; COMPUTE_PGM_RSRC2:TRAP_HANDLER: 0
; COMPUTE_PGM_RSRC2:TGID_X_EN: 1
; COMPUTE_PGM_RSRC2:TGID_Y_EN: 0
; COMPUTE_PGM_RSRC2:TGID_Z_EN: 0
; COMPUTE_PGM_RSRC2:TIDIG_COMP_CNT: 0
	.section	.text._ZN7rocprim17ROCPRIM_400000_NS6detail17trampoline_kernelINS0_14default_configENS1_25partition_config_selectorILNS1_17partition_subalgoE9EffbEEZZNS1_14partition_implILS5_9ELb0ES3_jN6thrust23THRUST_200600_302600_NS6detail15normal_iteratorINS9_10device_ptrIfEEEESE_PNS0_10empty_typeENS0_5tupleIJSE_SF_EEENSH_IJSE_SG_EEENS0_18inequality_wrapperI22is_equal_div_10_uniqueIfEEEPmJSF_EEE10hipError_tPvRmT3_T4_T5_T6_T7_T9_mT8_P12ihipStream_tbDpT10_ENKUlT_T0_E_clISt17integral_constantIbLb1EES17_IbLb0EEEEDaS13_S14_EUlS13_E_NS1_11comp_targetILNS1_3genE0ELNS1_11target_archE4294967295ELNS1_3gpuE0ELNS1_3repE0EEENS1_30default_config_static_selectorELNS0_4arch9wavefront6targetE0EEEvT1_,"axG",@progbits,_ZN7rocprim17ROCPRIM_400000_NS6detail17trampoline_kernelINS0_14default_configENS1_25partition_config_selectorILNS1_17partition_subalgoE9EffbEEZZNS1_14partition_implILS5_9ELb0ES3_jN6thrust23THRUST_200600_302600_NS6detail15normal_iteratorINS9_10device_ptrIfEEEESE_PNS0_10empty_typeENS0_5tupleIJSE_SF_EEENSH_IJSE_SG_EEENS0_18inequality_wrapperI22is_equal_div_10_uniqueIfEEEPmJSF_EEE10hipError_tPvRmT3_T4_T5_T6_T7_T9_mT8_P12ihipStream_tbDpT10_ENKUlT_T0_E_clISt17integral_constantIbLb1EES17_IbLb0EEEEDaS13_S14_EUlS13_E_NS1_11comp_targetILNS1_3genE0ELNS1_11target_archE4294967295ELNS1_3gpuE0ELNS1_3repE0EEENS1_30default_config_static_selectorELNS0_4arch9wavefront6targetE0EEEvT1_,comdat
	.protected	_ZN7rocprim17ROCPRIM_400000_NS6detail17trampoline_kernelINS0_14default_configENS1_25partition_config_selectorILNS1_17partition_subalgoE9EffbEEZZNS1_14partition_implILS5_9ELb0ES3_jN6thrust23THRUST_200600_302600_NS6detail15normal_iteratorINS9_10device_ptrIfEEEESE_PNS0_10empty_typeENS0_5tupleIJSE_SF_EEENSH_IJSE_SG_EEENS0_18inequality_wrapperI22is_equal_div_10_uniqueIfEEEPmJSF_EEE10hipError_tPvRmT3_T4_T5_T6_T7_T9_mT8_P12ihipStream_tbDpT10_ENKUlT_T0_E_clISt17integral_constantIbLb1EES17_IbLb0EEEEDaS13_S14_EUlS13_E_NS1_11comp_targetILNS1_3genE0ELNS1_11target_archE4294967295ELNS1_3gpuE0ELNS1_3repE0EEENS1_30default_config_static_selectorELNS0_4arch9wavefront6targetE0EEEvT1_ ; -- Begin function _ZN7rocprim17ROCPRIM_400000_NS6detail17trampoline_kernelINS0_14default_configENS1_25partition_config_selectorILNS1_17partition_subalgoE9EffbEEZZNS1_14partition_implILS5_9ELb0ES3_jN6thrust23THRUST_200600_302600_NS6detail15normal_iteratorINS9_10device_ptrIfEEEESE_PNS0_10empty_typeENS0_5tupleIJSE_SF_EEENSH_IJSE_SG_EEENS0_18inequality_wrapperI22is_equal_div_10_uniqueIfEEEPmJSF_EEE10hipError_tPvRmT3_T4_T5_T6_T7_T9_mT8_P12ihipStream_tbDpT10_ENKUlT_T0_E_clISt17integral_constantIbLb1EES17_IbLb0EEEEDaS13_S14_EUlS13_E_NS1_11comp_targetILNS1_3genE0ELNS1_11target_archE4294967295ELNS1_3gpuE0ELNS1_3repE0EEENS1_30default_config_static_selectorELNS0_4arch9wavefront6targetE0EEEvT1_
	.globl	_ZN7rocprim17ROCPRIM_400000_NS6detail17trampoline_kernelINS0_14default_configENS1_25partition_config_selectorILNS1_17partition_subalgoE9EffbEEZZNS1_14partition_implILS5_9ELb0ES3_jN6thrust23THRUST_200600_302600_NS6detail15normal_iteratorINS9_10device_ptrIfEEEESE_PNS0_10empty_typeENS0_5tupleIJSE_SF_EEENSH_IJSE_SG_EEENS0_18inequality_wrapperI22is_equal_div_10_uniqueIfEEEPmJSF_EEE10hipError_tPvRmT3_T4_T5_T6_T7_T9_mT8_P12ihipStream_tbDpT10_ENKUlT_T0_E_clISt17integral_constantIbLb1EES17_IbLb0EEEEDaS13_S14_EUlS13_E_NS1_11comp_targetILNS1_3genE0ELNS1_11target_archE4294967295ELNS1_3gpuE0ELNS1_3repE0EEENS1_30default_config_static_selectorELNS0_4arch9wavefront6targetE0EEEvT1_
	.p2align	8
	.type	_ZN7rocprim17ROCPRIM_400000_NS6detail17trampoline_kernelINS0_14default_configENS1_25partition_config_selectorILNS1_17partition_subalgoE9EffbEEZZNS1_14partition_implILS5_9ELb0ES3_jN6thrust23THRUST_200600_302600_NS6detail15normal_iteratorINS9_10device_ptrIfEEEESE_PNS0_10empty_typeENS0_5tupleIJSE_SF_EEENSH_IJSE_SG_EEENS0_18inequality_wrapperI22is_equal_div_10_uniqueIfEEEPmJSF_EEE10hipError_tPvRmT3_T4_T5_T6_T7_T9_mT8_P12ihipStream_tbDpT10_ENKUlT_T0_E_clISt17integral_constantIbLb1EES17_IbLb0EEEEDaS13_S14_EUlS13_E_NS1_11comp_targetILNS1_3genE0ELNS1_11target_archE4294967295ELNS1_3gpuE0ELNS1_3repE0EEENS1_30default_config_static_selectorELNS0_4arch9wavefront6targetE0EEEvT1_,@function
_ZN7rocprim17ROCPRIM_400000_NS6detail17trampoline_kernelINS0_14default_configENS1_25partition_config_selectorILNS1_17partition_subalgoE9EffbEEZZNS1_14partition_implILS5_9ELb0ES3_jN6thrust23THRUST_200600_302600_NS6detail15normal_iteratorINS9_10device_ptrIfEEEESE_PNS0_10empty_typeENS0_5tupleIJSE_SF_EEENSH_IJSE_SG_EEENS0_18inequality_wrapperI22is_equal_div_10_uniqueIfEEEPmJSF_EEE10hipError_tPvRmT3_T4_T5_T6_T7_T9_mT8_P12ihipStream_tbDpT10_ENKUlT_T0_E_clISt17integral_constantIbLb1EES17_IbLb0EEEEDaS13_S14_EUlS13_E_NS1_11comp_targetILNS1_3genE0ELNS1_11target_archE4294967295ELNS1_3gpuE0ELNS1_3repE0EEENS1_30default_config_static_selectorELNS0_4arch9wavefront6targetE0EEEvT1_: ; @_ZN7rocprim17ROCPRIM_400000_NS6detail17trampoline_kernelINS0_14default_configENS1_25partition_config_selectorILNS1_17partition_subalgoE9EffbEEZZNS1_14partition_implILS5_9ELb0ES3_jN6thrust23THRUST_200600_302600_NS6detail15normal_iteratorINS9_10device_ptrIfEEEESE_PNS0_10empty_typeENS0_5tupleIJSE_SF_EEENSH_IJSE_SG_EEENS0_18inequality_wrapperI22is_equal_div_10_uniqueIfEEEPmJSF_EEE10hipError_tPvRmT3_T4_T5_T6_T7_T9_mT8_P12ihipStream_tbDpT10_ENKUlT_T0_E_clISt17integral_constantIbLb1EES17_IbLb0EEEEDaS13_S14_EUlS13_E_NS1_11comp_targetILNS1_3genE0ELNS1_11target_archE4294967295ELNS1_3gpuE0ELNS1_3repE0EEENS1_30default_config_static_selectorELNS0_4arch9wavefront6targetE0EEEvT1_
; %bb.0:
	.section	.rodata,"a",@progbits
	.p2align	6, 0x0
	.amdhsa_kernel _ZN7rocprim17ROCPRIM_400000_NS6detail17trampoline_kernelINS0_14default_configENS1_25partition_config_selectorILNS1_17partition_subalgoE9EffbEEZZNS1_14partition_implILS5_9ELb0ES3_jN6thrust23THRUST_200600_302600_NS6detail15normal_iteratorINS9_10device_ptrIfEEEESE_PNS0_10empty_typeENS0_5tupleIJSE_SF_EEENSH_IJSE_SG_EEENS0_18inequality_wrapperI22is_equal_div_10_uniqueIfEEEPmJSF_EEE10hipError_tPvRmT3_T4_T5_T6_T7_T9_mT8_P12ihipStream_tbDpT10_ENKUlT_T0_E_clISt17integral_constantIbLb1EES17_IbLb0EEEEDaS13_S14_EUlS13_E_NS1_11comp_targetILNS1_3genE0ELNS1_11target_archE4294967295ELNS1_3gpuE0ELNS1_3repE0EEENS1_30default_config_static_selectorELNS0_4arch9wavefront6targetE0EEEvT1_
		.amdhsa_group_segment_fixed_size 0
		.amdhsa_private_segment_fixed_size 0
		.amdhsa_kernarg_size 112
		.amdhsa_user_sgpr_count 15
		.amdhsa_user_sgpr_dispatch_ptr 0
		.amdhsa_user_sgpr_queue_ptr 0
		.amdhsa_user_sgpr_kernarg_segment_ptr 1
		.amdhsa_user_sgpr_dispatch_id 0
		.amdhsa_user_sgpr_private_segment_size 0
		.amdhsa_wavefront_size32 1
		.amdhsa_uses_dynamic_stack 0
		.amdhsa_enable_private_segment 0
		.amdhsa_system_sgpr_workgroup_id_x 1
		.amdhsa_system_sgpr_workgroup_id_y 0
		.amdhsa_system_sgpr_workgroup_id_z 0
		.amdhsa_system_sgpr_workgroup_info 0
		.amdhsa_system_vgpr_workitem_id 0
		.amdhsa_next_free_vgpr 1
		.amdhsa_next_free_sgpr 1
		.amdhsa_reserve_vcc 0
		.amdhsa_float_round_mode_32 0
		.amdhsa_float_round_mode_16_64 0
		.amdhsa_float_denorm_mode_32 3
		.amdhsa_float_denorm_mode_16_64 3
		.amdhsa_dx10_clamp 1
		.amdhsa_ieee_mode 1
		.amdhsa_fp16_overflow 0
		.amdhsa_workgroup_processor_mode 1
		.amdhsa_memory_ordered 1
		.amdhsa_forward_progress 0
		.amdhsa_shared_vgpr_count 0
		.amdhsa_exception_fp_ieee_invalid_op 0
		.amdhsa_exception_fp_denorm_src 0
		.amdhsa_exception_fp_ieee_div_zero 0
		.amdhsa_exception_fp_ieee_overflow 0
		.amdhsa_exception_fp_ieee_underflow 0
		.amdhsa_exception_fp_ieee_inexact 0
		.amdhsa_exception_int_div_zero 0
	.end_amdhsa_kernel
	.section	.text._ZN7rocprim17ROCPRIM_400000_NS6detail17trampoline_kernelINS0_14default_configENS1_25partition_config_selectorILNS1_17partition_subalgoE9EffbEEZZNS1_14partition_implILS5_9ELb0ES3_jN6thrust23THRUST_200600_302600_NS6detail15normal_iteratorINS9_10device_ptrIfEEEESE_PNS0_10empty_typeENS0_5tupleIJSE_SF_EEENSH_IJSE_SG_EEENS0_18inequality_wrapperI22is_equal_div_10_uniqueIfEEEPmJSF_EEE10hipError_tPvRmT3_T4_T5_T6_T7_T9_mT8_P12ihipStream_tbDpT10_ENKUlT_T0_E_clISt17integral_constantIbLb1EES17_IbLb0EEEEDaS13_S14_EUlS13_E_NS1_11comp_targetILNS1_3genE0ELNS1_11target_archE4294967295ELNS1_3gpuE0ELNS1_3repE0EEENS1_30default_config_static_selectorELNS0_4arch9wavefront6targetE0EEEvT1_,"axG",@progbits,_ZN7rocprim17ROCPRIM_400000_NS6detail17trampoline_kernelINS0_14default_configENS1_25partition_config_selectorILNS1_17partition_subalgoE9EffbEEZZNS1_14partition_implILS5_9ELb0ES3_jN6thrust23THRUST_200600_302600_NS6detail15normal_iteratorINS9_10device_ptrIfEEEESE_PNS0_10empty_typeENS0_5tupleIJSE_SF_EEENSH_IJSE_SG_EEENS0_18inequality_wrapperI22is_equal_div_10_uniqueIfEEEPmJSF_EEE10hipError_tPvRmT3_T4_T5_T6_T7_T9_mT8_P12ihipStream_tbDpT10_ENKUlT_T0_E_clISt17integral_constantIbLb1EES17_IbLb0EEEEDaS13_S14_EUlS13_E_NS1_11comp_targetILNS1_3genE0ELNS1_11target_archE4294967295ELNS1_3gpuE0ELNS1_3repE0EEENS1_30default_config_static_selectorELNS0_4arch9wavefront6targetE0EEEvT1_,comdat
.Lfunc_end128:
	.size	_ZN7rocprim17ROCPRIM_400000_NS6detail17trampoline_kernelINS0_14default_configENS1_25partition_config_selectorILNS1_17partition_subalgoE9EffbEEZZNS1_14partition_implILS5_9ELb0ES3_jN6thrust23THRUST_200600_302600_NS6detail15normal_iteratorINS9_10device_ptrIfEEEESE_PNS0_10empty_typeENS0_5tupleIJSE_SF_EEENSH_IJSE_SG_EEENS0_18inequality_wrapperI22is_equal_div_10_uniqueIfEEEPmJSF_EEE10hipError_tPvRmT3_T4_T5_T6_T7_T9_mT8_P12ihipStream_tbDpT10_ENKUlT_T0_E_clISt17integral_constantIbLb1EES17_IbLb0EEEEDaS13_S14_EUlS13_E_NS1_11comp_targetILNS1_3genE0ELNS1_11target_archE4294967295ELNS1_3gpuE0ELNS1_3repE0EEENS1_30default_config_static_selectorELNS0_4arch9wavefront6targetE0EEEvT1_, .Lfunc_end128-_ZN7rocprim17ROCPRIM_400000_NS6detail17trampoline_kernelINS0_14default_configENS1_25partition_config_selectorILNS1_17partition_subalgoE9EffbEEZZNS1_14partition_implILS5_9ELb0ES3_jN6thrust23THRUST_200600_302600_NS6detail15normal_iteratorINS9_10device_ptrIfEEEESE_PNS0_10empty_typeENS0_5tupleIJSE_SF_EEENSH_IJSE_SG_EEENS0_18inequality_wrapperI22is_equal_div_10_uniqueIfEEEPmJSF_EEE10hipError_tPvRmT3_T4_T5_T6_T7_T9_mT8_P12ihipStream_tbDpT10_ENKUlT_T0_E_clISt17integral_constantIbLb1EES17_IbLb0EEEEDaS13_S14_EUlS13_E_NS1_11comp_targetILNS1_3genE0ELNS1_11target_archE4294967295ELNS1_3gpuE0ELNS1_3repE0EEENS1_30default_config_static_selectorELNS0_4arch9wavefront6targetE0EEEvT1_
                                        ; -- End function
	.section	.AMDGPU.csdata,"",@progbits
; Kernel info:
; codeLenInByte = 0
; NumSgprs: 0
; NumVgprs: 0
; ScratchSize: 0
; MemoryBound: 0
; FloatMode: 240
; IeeeMode: 1
; LDSByteSize: 0 bytes/workgroup (compile time only)
; SGPRBlocks: 0
; VGPRBlocks: 0
; NumSGPRsForWavesPerEU: 1
; NumVGPRsForWavesPerEU: 1
; Occupancy: 16
; WaveLimiterHint : 0
; COMPUTE_PGM_RSRC2:SCRATCH_EN: 0
; COMPUTE_PGM_RSRC2:USER_SGPR: 15
; COMPUTE_PGM_RSRC2:TRAP_HANDLER: 0
; COMPUTE_PGM_RSRC2:TGID_X_EN: 1
; COMPUTE_PGM_RSRC2:TGID_Y_EN: 0
; COMPUTE_PGM_RSRC2:TGID_Z_EN: 0
; COMPUTE_PGM_RSRC2:TIDIG_COMP_CNT: 0
	.section	.text._ZN7rocprim17ROCPRIM_400000_NS6detail17trampoline_kernelINS0_14default_configENS1_25partition_config_selectorILNS1_17partition_subalgoE9EffbEEZZNS1_14partition_implILS5_9ELb0ES3_jN6thrust23THRUST_200600_302600_NS6detail15normal_iteratorINS9_10device_ptrIfEEEESE_PNS0_10empty_typeENS0_5tupleIJSE_SF_EEENSH_IJSE_SG_EEENS0_18inequality_wrapperI22is_equal_div_10_uniqueIfEEEPmJSF_EEE10hipError_tPvRmT3_T4_T5_T6_T7_T9_mT8_P12ihipStream_tbDpT10_ENKUlT_T0_E_clISt17integral_constantIbLb1EES17_IbLb0EEEEDaS13_S14_EUlS13_E_NS1_11comp_targetILNS1_3genE5ELNS1_11target_archE942ELNS1_3gpuE9ELNS1_3repE0EEENS1_30default_config_static_selectorELNS0_4arch9wavefront6targetE0EEEvT1_,"axG",@progbits,_ZN7rocprim17ROCPRIM_400000_NS6detail17trampoline_kernelINS0_14default_configENS1_25partition_config_selectorILNS1_17partition_subalgoE9EffbEEZZNS1_14partition_implILS5_9ELb0ES3_jN6thrust23THRUST_200600_302600_NS6detail15normal_iteratorINS9_10device_ptrIfEEEESE_PNS0_10empty_typeENS0_5tupleIJSE_SF_EEENSH_IJSE_SG_EEENS0_18inequality_wrapperI22is_equal_div_10_uniqueIfEEEPmJSF_EEE10hipError_tPvRmT3_T4_T5_T6_T7_T9_mT8_P12ihipStream_tbDpT10_ENKUlT_T0_E_clISt17integral_constantIbLb1EES17_IbLb0EEEEDaS13_S14_EUlS13_E_NS1_11comp_targetILNS1_3genE5ELNS1_11target_archE942ELNS1_3gpuE9ELNS1_3repE0EEENS1_30default_config_static_selectorELNS0_4arch9wavefront6targetE0EEEvT1_,comdat
	.protected	_ZN7rocprim17ROCPRIM_400000_NS6detail17trampoline_kernelINS0_14default_configENS1_25partition_config_selectorILNS1_17partition_subalgoE9EffbEEZZNS1_14partition_implILS5_9ELb0ES3_jN6thrust23THRUST_200600_302600_NS6detail15normal_iteratorINS9_10device_ptrIfEEEESE_PNS0_10empty_typeENS0_5tupleIJSE_SF_EEENSH_IJSE_SG_EEENS0_18inequality_wrapperI22is_equal_div_10_uniqueIfEEEPmJSF_EEE10hipError_tPvRmT3_T4_T5_T6_T7_T9_mT8_P12ihipStream_tbDpT10_ENKUlT_T0_E_clISt17integral_constantIbLb1EES17_IbLb0EEEEDaS13_S14_EUlS13_E_NS1_11comp_targetILNS1_3genE5ELNS1_11target_archE942ELNS1_3gpuE9ELNS1_3repE0EEENS1_30default_config_static_selectorELNS0_4arch9wavefront6targetE0EEEvT1_ ; -- Begin function _ZN7rocprim17ROCPRIM_400000_NS6detail17trampoline_kernelINS0_14default_configENS1_25partition_config_selectorILNS1_17partition_subalgoE9EffbEEZZNS1_14partition_implILS5_9ELb0ES3_jN6thrust23THRUST_200600_302600_NS6detail15normal_iteratorINS9_10device_ptrIfEEEESE_PNS0_10empty_typeENS0_5tupleIJSE_SF_EEENSH_IJSE_SG_EEENS0_18inequality_wrapperI22is_equal_div_10_uniqueIfEEEPmJSF_EEE10hipError_tPvRmT3_T4_T5_T6_T7_T9_mT8_P12ihipStream_tbDpT10_ENKUlT_T0_E_clISt17integral_constantIbLb1EES17_IbLb0EEEEDaS13_S14_EUlS13_E_NS1_11comp_targetILNS1_3genE5ELNS1_11target_archE942ELNS1_3gpuE9ELNS1_3repE0EEENS1_30default_config_static_selectorELNS0_4arch9wavefront6targetE0EEEvT1_
	.globl	_ZN7rocprim17ROCPRIM_400000_NS6detail17trampoline_kernelINS0_14default_configENS1_25partition_config_selectorILNS1_17partition_subalgoE9EffbEEZZNS1_14partition_implILS5_9ELb0ES3_jN6thrust23THRUST_200600_302600_NS6detail15normal_iteratorINS9_10device_ptrIfEEEESE_PNS0_10empty_typeENS0_5tupleIJSE_SF_EEENSH_IJSE_SG_EEENS0_18inequality_wrapperI22is_equal_div_10_uniqueIfEEEPmJSF_EEE10hipError_tPvRmT3_T4_T5_T6_T7_T9_mT8_P12ihipStream_tbDpT10_ENKUlT_T0_E_clISt17integral_constantIbLb1EES17_IbLb0EEEEDaS13_S14_EUlS13_E_NS1_11comp_targetILNS1_3genE5ELNS1_11target_archE942ELNS1_3gpuE9ELNS1_3repE0EEENS1_30default_config_static_selectorELNS0_4arch9wavefront6targetE0EEEvT1_
	.p2align	8
	.type	_ZN7rocprim17ROCPRIM_400000_NS6detail17trampoline_kernelINS0_14default_configENS1_25partition_config_selectorILNS1_17partition_subalgoE9EffbEEZZNS1_14partition_implILS5_9ELb0ES3_jN6thrust23THRUST_200600_302600_NS6detail15normal_iteratorINS9_10device_ptrIfEEEESE_PNS0_10empty_typeENS0_5tupleIJSE_SF_EEENSH_IJSE_SG_EEENS0_18inequality_wrapperI22is_equal_div_10_uniqueIfEEEPmJSF_EEE10hipError_tPvRmT3_T4_T5_T6_T7_T9_mT8_P12ihipStream_tbDpT10_ENKUlT_T0_E_clISt17integral_constantIbLb1EES17_IbLb0EEEEDaS13_S14_EUlS13_E_NS1_11comp_targetILNS1_3genE5ELNS1_11target_archE942ELNS1_3gpuE9ELNS1_3repE0EEENS1_30default_config_static_selectorELNS0_4arch9wavefront6targetE0EEEvT1_,@function
_ZN7rocprim17ROCPRIM_400000_NS6detail17trampoline_kernelINS0_14default_configENS1_25partition_config_selectorILNS1_17partition_subalgoE9EffbEEZZNS1_14partition_implILS5_9ELb0ES3_jN6thrust23THRUST_200600_302600_NS6detail15normal_iteratorINS9_10device_ptrIfEEEESE_PNS0_10empty_typeENS0_5tupleIJSE_SF_EEENSH_IJSE_SG_EEENS0_18inequality_wrapperI22is_equal_div_10_uniqueIfEEEPmJSF_EEE10hipError_tPvRmT3_T4_T5_T6_T7_T9_mT8_P12ihipStream_tbDpT10_ENKUlT_T0_E_clISt17integral_constantIbLb1EES17_IbLb0EEEEDaS13_S14_EUlS13_E_NS1_11comp_targetILNS1_3genE5ELNS1_11target_archE942ELNS1_3gpuE9ELNS1_3repE0EEENS1_30default_config_static_selectorELNS0_4arch9wavefront6targetE0EEEvT1_: ; @_ZN7rocprim17ROCPRIM_400000_NS6detail17trampoline_kernelINS0_14default_configENS1_25partition_config_selectorILNS1_17partition_subalgoE9EffbEEZZNS1_14partition_implILS5_9ELb0ES3_jN6thrust23THRUST_200600_302600_NS6detail15normal_iteratorINS9_10device_ptrIfEEEESE_PNS0_10empty_typeENS0_5tupleIJSE_SF_EEENSH_IJSE_SG_EEENS0_18inequality_wrapperI22is_equal_div_10_uniqueIfEEEPmJSF_EEE10hipError_tPvRmT3_T4_T5_T6_T7_T9_mT8_P12ihipStream_tbDpT10_ENKUlT_T0_E_clISt17integral_constantIbLb1EES17_IbLb0EEEEDaS13_S14_EUlS13_E_NS1_11comp_targetILNS1_3genE5ELNS1_11target_archE942ELNS1_3gpuE9ELNS1_3repE0EEENS1_30default_config_static_selectorELNS0_4arch9wavefront6targetE0EEEvT1_
; %bb.0:
	.section	.rodata,"a",@progbits
	.p2align	6, 0x0
	.amdhsa_kernel _ZN7rocprim17ROCPRIM_400000_NS6detail17trampoline_kernelINS0_14default_configENS1_25partition_config_selectorILNS1_17partition_subalgoE9EffbEEZZNS1_14partition_implILS5_9ELb0ES3_jN6thrust23THRUST_200600_302600_NS6detail15normal_iteratorINS9_10device_ptrIfEEEESE_PNS0_10empty_typeENS0_5tupleIJSE_SF_EEENSH_IJSE_SG_EEENS0_18inequality_wrapperI22is_equal_div_10_uniqueIfEEEPmJSF_EEE10hipError_tPvRmT3_T4_T5_T6_T7_T9_mT8_P12ihipStream_tbDpT10_ENKUlT_T0_E_clISt17integral_constantIbLb1EES17_IbLb0EEEEDaS13_S14_EUlS13_E_NS1_11comp_targetILNS1_3genE5ELNS1_11target_archE942ELNS1_3gpuE9ELNS1_3repE0EEENS1_30default_config_static_selectorELNS0_4arch9wavefront6targetE0EEEvT1_
		.amdhsa_group_segment_fixed_size 0
		.amdhsa_private_segment_fixed_size 0
		.amdhsa_kernarg_size 112
		.amdhsa_user_sgpr_count 15
		.amdhsa_user_sgpr_dispatch_ptr 0
		.amdhsa_user_sgpr_queue_ptr 0
		.amdhsa_user_sgpr_kernarg_segment_ptr 1
		.amdhsa_user_sgpr_dispatch_id 0
		.amdhsa_user_sgpr_private_segment_size 0
		.amdhsa_wavefront_size32 1
		.amdhsa_uses_dynamic_stack 0
		.amdhsa_enable_private_segment 0
		.amdhsa_system_sgpr_workgroup_id_x 1
		.amdhsa_system_sgpr_workgroup_id_y 0
		.amdhsa_system_sgpr_workgroup_id_z 0
		.amdhsa_system_sgpr_workgroup_info 0
		.amdhsa_system_vgpr_workitem_id 0
		.amdhsa_next_free_vgpr 1
		.amdhsa_next_free_sgpr 1
		.amdhsa_reserve_vcc 0
		.amdhsa_float_round_mode_32 0
		.amdhsa_float_round_mode_16_64 0
		.amdhsa_float_denorm_mode_32 3
		.amdhsa_float_denorm_mode_16_64 3
		.amdhsa_dx10_clamp 1
		.amdhsa_ieee_mode 1
		.amdhsa_fp16_overflow 0
		.amdhsa_workgroup_processor_mode 1
		.amdhsa_memory_ordered 1
		.amdhsa_forward_progress 0
		.amdhsa_shared_vgpr_count 0
		.amdhsa_exception_fp_ieee_invalid_op 0
		.amdhsa_exception_fp_denorm_src 0
		.amdhsa_exception_fp_ieee_div_zero 0
		.amdhsa_exception_fp_ieee_overflow 0
		.amdhsa_exception_fp_ieee_underflow 0
		.amdhsa_exception_fp_ieee_inexact 0
		.amdhsa_exception_int_div_zero 0
	.end_amdhsa_kernel
	.section	.text._ZN7rocprim17ROCPRIM_400000_NS6detail17trampoline_kernelINS0_14default_configENS1_25partition_config_selectorILNS1_17partition_subalgoE9EffbEEZZNS1_14partition_implILS5_9ELb0ES3_jN6thrust23THRUST_200600_302600_NS6detail15normal_iteratorINS9_10device_ptrIfEEEESE_PNS0_10empty_typeENS0_5tupleIJSE_SF_EEENSH_IJSE_SG_EEENS0_18inequality_wrapperI22is_equal_div_10_uniqueIfEEEPmJSF_EEE10hipError_tPvRmT3_T4_T5_T6_T7_T9_mT8_P12ihipStream_tbDpT10_ENKUlT_T0_E_clISt17integral_constantIbLb1EES17_IbLb0EEEEDaS13_S14_EUlS13_E_NS1_11comp_targetILNS1_3genE5ELNS1_11target_archE942ELNS1_3gpuE9ELNS1_3repE0EEENS1_30default_config_static_selectorELNS0_4arch9wavefront6targetE0EEEvT1_,"axG",@progbits,_ZN7rocprim17ROCPRIM_400000_NS6detail17trampoline_kernelINS0_14default_configENS1_25partition_config_selectorILNS1_17partition_subalgoE9EffbEEZZNS1_14partition_implILS5_9ELb0ES3_jN6thrust23THRUST_200600_302600_NS6detail15normal_iteratorINS9_10device_ptrIfEEEESE_PNS0_10empty_typeENS0_5tupleIJSE_SF_EEENSH_IJSE_SG_EEENS0_18inequality_wrapperI22is_equal_div_10_uniqueIfEEEPmJSF_EEE10hipError_tPvRmT3_T4_T5_T6_T7_T9_mT8_P12ihipStream_tbDpT10_ENKUlT_T0_E_clISt17integral_constantIbLb1EES17_IbLb0EEEEDaS13_S14_EUlS13_E_NS1_11comp_targetILNS1_3genE5ELNS1_11target_archE942ELNS1_3gpuE9ELNS1_3repE0EEENS1_30default_config_static_selectorELNS0_4arch9wavefront6targetE0EEEvT1_,comdat
.Lfunc_end129:
	.size	_ZN7rocprim17ROCPRIM_400000_NS6detail17trampoline_kernelINS0_14default_configENS1_25partition_config_selectorILNS1_17partition_subalgoE9EffbEEZZNS1_14partition_implILS5_9ELb0ES3_jN6thrust23THRUST_200600_302600_NS6detail15normal_iteratorINS9_10device_ptrIfEEEESE_PNS0_10empty_typeENS0_5tupleIJSE_SF_EEENSH_IJSE_SG_EEENS0_18inequality_wrapperI22is_equal_div_10_uniqueIfEEEPmJSF_EEE10hipError_tPvRmT3_T4_T5_T6_T7_T9_mT8_P12ihipStream_tbDpT10_ENKUlT_T0_E_clISt17integral_constantIbLb1EES17_IbLb0EEEEDaS13_S14_EUlS13_E_NS1_11comp_targetILNS1_3genE5ELNS1_11target_archE942ELNS1_3gpuE9ELNS1_3repE0EEENS1_30default_config_static_selectorELNS0_4arch9wavefront6targetE0EEEvT1_, .Lfunc_end129-_ZN7rocprim17ROCPRIM_400000_NS6detail17trampoline_kernelINS0_14default_configENS1_25partition_config_selectorILNS1_17partition_subalgoE9EffbEEZZNS1_14partition_implILS5_9ELb0ES3_jN6thrust23THRUST_200600_302600_NS6detail15normal_iteratorINS9_10device_ptrIfEEEESE_PNS0_10empty_typeENS0_5tupleIJSE_SF_EEENSH_IJSE_SG_EEENS0_18inequality_wrapperI22is_equal_div_10_uniqueIfEEEPmJSF_EEE10hipError_tPvRmT3_T4_T5_T6_T7_T9_mT8_P12ihipStream_tbDpT10_ENKUlT_T0_E_clISt17integral_constantIbLb1EES17_IbLb0EEEEDaS13_S14_EUlS13_E_NS1_11comp_targetILNS1_3genE5ELNS1_11target_archE942ELNS1_3gpuE9ELNS1_3repE0EEENS1_30default_config_static_selectorELNS0_4arch9wavefront6targetE0EEEvT1_
                                        ; -- End function
	.section	.AMDGPU.csdata,"",@progbits
; Kernel info:
; codeLenInByte = 0
; NumSgprs: 0
; NumVgprs: 0
; ScratchSize: 0
; MemoryBound: 0
; FloatMode: 240
; IeeeMode: 1
; LDSByteSize: 0 bytes/workgroup (compile time only)
; SGPRBlocks: 0
; VGPRBlocks: 0
; NumSGPRsForWavesPerEU: 1
; NumVGPRsForWavesPerEU: 1
; Occupancy: 16
; WaveLimiterHint : 0
; COMPUTE_PGM_RSRC2:SCRATCH_EN: 0
; COMPUTE_PGM_RSRC2:USER_SGPR: 15
; COMPUTE_PGM_RSRC2:TRAP_HANDLER: 0
; COMPUTE_PGM_RSRC2:TGID_X_EN: 1
; COMPUTE_PGM_RSRC2:TGID_Y_EN: 0
; COMPUTE_PGM_RSRC2:TGID_Z_EN: 0
; COMPUTE_PGM_RSRC2:TIDIG_COMP_CNT: 0
	.section	.text._ZN7rocprim17ROCPRIM_400000_NS6detail17trampoline_kernelINS0_14default_configENS1_25partition_config_selectorILNS1_17partition_subalgoE9EffbEEZZNS1_14partition_implILS5_9ELb0ES3_jN6thrust23THRUST_200600_302600_NS6detail15normal_iteratorINS9_10device_ptrIfEEEESE_PNS0_10empty_typeENS0_5tupleIJSE_SF_EEENSH_IJSE_SG_EEENS0_18inequality_wrapperI22is_equal_div_10_uniqueIfEEEPmJSF_EEE10hipError_tPvRmT3_T4_T5_T6_T7_T9_mT8_P12ihipStream_tbDpT10_ENKUlT_T0_E_clISt17integral_constantIbLb1EES17_IbLb0EEEEDaS13_S14_EUlS13_E_NS1_11comp_targetILNS1_3genE4ELNS1_11target_archE910ELNS1_3gpuE8ELNS1_3repE0EEENS1_30default_config_static_selectorELNS0_4arch9wavefront6targetE0EEEvT1_,"axG",@progbits,_ZN7rocprim17ROCPRIM_400000_NS6detail17trampoline_kernelINS0_14default_configENS1_25partition_config_selectorILNS1_17partition_subalgoE9EffbEEZZNS1_14partition_implILS5_9ELb0ES3_jN6thrust23THRUST_200600_302600_NS6detail15normal_iteratorINS9_10device_ptrIfEEEESE_PNS0_10empty_typeENS0_5tupleIJSE_SF_EEENSH_IJSE_SG_EEENS0_18inequality_wrapperI22is_equal_div_10_uniqueIfEEEPmJSF_EEE10hipError_tPvRmT3_T4_T5_T6_T7_T9_mT8_P12ihipStream_tbDpT10_ENKUlT_T0_E_clISt17integral_constantIbLb1EES17_IbLb0EEEEDaS13_S14_EUlS13_E_NS1_11comp_targetILNS1_3genE4ELNS1_11target_archE910ELNS1_3gpuE8ELNS1_3repE0EEENS1_30default_config_static_selectorELNS0_4arch9wavefront6targetE0EEEvT1_,comdat
	.protected	_ZN7rocprim17ROCPRIM_400000_NS6detail17trampoline_kernelINS0_14default_configENS1_25partition_config_selectorILNS1_17partition_subalgoE9EffbEEZZNS1_14partition_implILS5_9ELb0ES3_jN6thrust23THRUST_200600_302600_NS6detail15normal_iteratorINS9_10device_ptrIfEEEESE_PNS0_10empty_typeENS0_5tupleIJSE_SF_EEENSH_IJSE_SG_EEENS0_18inequality_wrapperI22is_equal_div_10_uniqueIfEEEPmJSF_EEE10hipError_tPvRmT3_T4_T5_T6_T7_T9_mT8_P12ihipStream_tbDpT10_ENKUlT_T0_E_clISt17integral_constantIbLb1EES17_IbLb0EEEEDaS13_S14_EUlS13_E_NS1_11comp_targetILNS1_3genE4ELNS1_11target_archE910ELNS1_3gpuE8ELNS1_3repE0EEENS1_30default_config_static_selectorELNS0_4arch9wavefront6targetE0EEEvT1_ ; -- Begin function _ZN7rocprim17ROCPRIM_400000_NS6detail17trampoline_kernelINS0_14default_configENS1_25partition_config_selectorILNS1_17partition_subalgoE9EffbEEZZNS1_14partition_implILS5_9ELb0ES3_jN6thrust23THRUST_200600_302600_NS6detail15normal_iteratorINS9_10device_ptrIfEEEESE_PNS0_10empty_typeENS0_5tupleIJSE_SF_EEENSH_IJSE_SG_EEENS0_18inequality_wrapperI22is_equal_div_10_uniqueIfEEEPmJSF_EEE10hipError_tPvRmT3_T4_T5_T6_T7_T9_mT8_P12ihipStream_tbDpT10_ENKUlT_T0_E_clISt17integral_constantIbLb1EES17_IbLb0EEEEDaS13_S14_EUlS13_E_NS1_11comp_targetILNS1_3genE4ELNS1_11target_archE910ELNS1_3gpuE8ELNS1_3repE0EEENS1_30default_config_static_selectorELNS0_4arch9wavefront6targetE0EEEvT1_
	.globl	_ZN7rocprim17ROCPRIM_400000_NS6detail17trampoline_kernelINS0_14default_configENS1_25partition_config_selectorILNS1_17partition_subalgoE9EffbEEZZNS1_14partition_implILS5_9ELb0ES3_jN6thrust23THRUST_200600_302600_NS6detail15normal_iteratorINS9_10device_ptrIfEEEESE_PNS0_10empty_typeENS0_5tupleIJSE_SF_EEENSH_IJSE_SG_EEENS0_18inequality_wrapperI22is_equal_div_10_uniqueIfEEEPmJSF_EEE10hipError_tPvRmT3_T4_T5_T6_T7_T9_mT8_P12ihipStream_tbDpT10_ENKUlT_T0_E_clISt17integral_constantIbLb1EES17_IbLb0EEEEDaS13_S14_EUlS13_E_NS1_11comp_targetILNS1_3genE4ELNS1_11target_archE910ELNS1_3gpuE8ELNS1_3repE0EEENS1_30default_config_static_selectorELNS0_4arch9wavefront6targetE0EEEvT1_
	.p2align	8
	.type	_ZN7rocprim17ROCPRIM_400000_NS6detail17trampoline_kernelINS0_14default_configENS1_25partition_config_selectorILNS1_17partition_subalgoE9EffbEEZZNS1_14partition_implILS5_9ELb0ES3_jN6thrust23THRUST_200600_302600_NS6detail15normal_iteratorINS9_10device_ptrIfEEEESE_PNS0_10empty_typeENS0_5tupleIJSE_SF_EEENSH_IJSE_SG_EEENS0_18inequality_wrapperI22is_equal_div_10_uniqueIfEEEPmJSF_EEE10hipError_tPvRmT3_T4_T5_T6_T7_T9_mT8_P12ihipStream_tbDpT10_ENKUlT_T0_E_clISt17integral_constantIbLb1EES17_IbLb0EEEEDaS13_S14_EUlS13_E_NS1_11comp_targetILNS1_3genE4ELNS1_11target_archE910ELNS1_3gpuE8ELNS1_3repE0EEENS1_30default_config_static_selectorELNS0_4arch9wavefront6targetE0EEEvT1_,@function
_ZN7rocprim17ROCPRIM_400000_NS6detail17trampoline_kernelINS0_14default_configENS1_25partition_config_selectorILNS1_17partition_subalgoE9EffbEEZZNS1_14partition_implILS5_9ELb0ES3_jN6thrust23THRUST_200600_302600_NS6detail15normal_iteratorINS9_10device_ptrIfEEEESE_PNS0_10empty_typeENS0_5tupleIJSE_SF_EEENSH_IJSE_SG_EEENS0_18inequality_wrapperI22is_equal_div_10_uniqueIfEEEPmJSF_EEE10hipError_tPvRmT3_T4_T5_T6_T7_T9_mT8_P12ihipStream_tbDpT10_ENKUlT_T0_E_clISt17integral_constantIbLb1EES17_IbLb0EEEEDaS13_S14_EUlS13_E_NS1_11comp_targetILNS1_3genE4ELNS1_11target_archE910ELNS1_3gpuE8ELNS1_3repE0EEENS1_30default_config_static_selectorELNS0_4arch9wavefront6targetE0EEEvT1_: ; @_ZN7rocprim17ROCPRIM_400000_NS6detail17trampoline_kernelINS0_14default_configENS1_25partition_config_selectorILNS1_17partition_subalgoE9EffbEEZZNS1_14partition_implILS5_9ELb0ES3_jN6thrust23THRUST_200600_302600_NS6detail15normal_iteratorINS9_10device_ptrIfEEEESE_PNS0_10empty_typeENS0_5tupleIJSE_SF_EEENSH_IJSE_SG_EEENS0_18inequality_wrapperI22is_equal_div_10_uniqueIfEEEPmJSF_EEE10hipError_tPvRmT3_T4_T5_T6_T7_T9_mT8_P12ihipStream_tbDpT10_ENKUlT_T0_E_clISt17integral_constantIbLb1EES17_IbLb0EEEEDaS13_S14_EUlS13_E_NS1_11comp_targetILNS1_3genE4ELNS1_11target_archE910ELNS1_3gpuE8ELNS1_3repE0EEENS1_30default_config_static_selectorELNS0_4arch9wavefront6targetE0EEEvT1_
; %bb.0:
	.section	.rodata,"a",@progbits
	.p2align	6, 0x0
	.amdhsa_kernel _ZN7rocprim17ROCPRIM_400000_NS6detail17trampoline_kernelINS0_14default_configENS1_25partition_config_selectorILNS1_17partition_subalgoE9EffbEEZZNS1_14partition_implILS5_9ELb0ES3_jN6thrust23THRUST_200600_302600_NS6detail15normal_iteratorINS9_10device_ptrIfEEEESE_PNS0_10empty_typeENS0_5tupleIJSE_SF_EEENSH_IJSE_SG_EEENS0_18inequality_wrapperI22is_equal_div_10_uniqueIfEEEPmJSF_EEE10hipError_tPvRmT3_T4_T5_T6_T7_T9_mT8_P12ihipStream_tbDpT10_ENKUlT_T0_E_clISt17integral_constantIbLb1EES17_IbLb0EEEEDaS13_S14_EUlS13_E_NS1_11comp_targetILNS1_3genE4ELNS1_11target_archE910ELNS1_3gpuE8ELNS1_3repE0EEENS1_30default_config_static_selectorELNS0_4arch9wavefront6targetE0EEEvT1_
		.amdhsa_group_segment_fixed_size 0
		.amdhsa_private_segment_fixed_size 0
		.amdhsa_kernarg_size 112
		.amdhsa_user_sgpr_count 15
		.amdhsa_user_sgpr_dispatch_ptr 0
		.amdhsa_user_sgpr_queue_ptr 0
		.amdhsa_user_sgpr_kernarg_segment_ptr 1
		.amdhsa_user_sgpr_dispatch_id 0
		.amdhsa_user_sgpr_private_segment_size 0
		.amdhsa_wavefront_size32 1
		.amdhsa_uses_dynamic_stack 0
		.amdhsa_enable_private_segment 0
		.amdhsa_system_sgpr_workgroup_id_x 1
		.amdhsa_system_sgpr_workgroup_id_y 0
		.amdhsa_system_sgpr_workgroup_id_z 0
		.amdhsa_system_sgpr_workgroup_info 0
		.amdhsa_system_vgpr_workitem_id 0
		.amdhsa_next_free_vgpr 1
		.amdhsa_next_free_sgpr 1
		.amdhsa_reserve_vcc 0
		.amdhsa_float_round_mode_32 0
		.amdhsa_float_round_mode_16_64 0
		.amdhsa_float_denorm_mode_32 3
		.amdhsa_float_denorm_mode_16_64 3
		.amdhsa_dx10_clamp 1
		.amdhsa_ieee_mode 1
		.amdhsa_fp16_overflow 0
		.amdhsa_workgroup_processor_mode 1
		.amdhsa_memory_ordered 1
		.amdhsa_forward_progress 0
		.amdhsa_shared_vgpr_count 0
		.amdhsa_exception_fp_ieee_invalid_op 0
		.amdhsa_exception_fp_denorm_src 0
		.amdhsa_exception_fp_ieee_div_zero 0
		.amdhsa_exception_fp_ieee_overflow 0
		.amdhsa_exception_fp_ieee_underflow 0
		.amdhsa_exception_fp_ieee_inexact 0
		.amdhsa_exception_int_div_zero 0
	.end_amdhsa_kernel
	.section	.text._ZN7rocprim17ROCPRIM_400000_NS6detail17trampoline_kernelINS0_14default_configENS1_25partition_config_selectorILNS1_17partition_subalgoE9EffbEEZZNS1_14partition_implILS5_9ELb0ES3_jN6thrust23THRUST_200600_302600_NS6detail15normal_iteratorINS9_10device_ptrIfEEEESE_PNS0_10empty_typeENS0_5tupleIJSE_SF_EEENSH_IJSE_SG_EEENS0_18inequality_wrapperI22is_equal_div_10_uniqueIfEEEPmJSF_EEE10hipError_tPvRmT3_T4_T5_T6_T7_T9_mT8_P12ihipStream_tbDpT10_ENKUlT_T0_E_clISt17integral_constantIbLb1EES17_IbLb0EEEEDaS13_S14_EUlS13_E_NS1_11comp_targetILNS1_3genE4ELNS1_11target_archE910ELNS1_3gpuE8ELNS1_3repE0EEENS1_30default_config_static_selectorELNS0_4arch9wavefront6targetE0EEEvT1_,"axG",@progbits,_ZN7rocprim17ROCPRIM_400000_NS6detail17trampoline_kernelINS0_14default_configENS1_25partition_config_selectorILNS1_17partition_subalgoE9EffbEEZZNS1_14partition_implILS5_9ELb0ES3_jN6thrust23THRUST_200600_302600_NS6detail15normal_iteratorINS9_10device_ptrIfEEEESE_PNS0_10empty_typeENS0_5tupleIJSE_SF_EEENSH_IJSE_SG_EEENS0_18inequality_wrapperI22is_equal_div_10_uniqueIfEEEPmJSF_EEE10hipError_tPvRmT3_T4_T5_T6_T7_T9_mT8_P12ihipStream_tbDpT10_ENKUlT_T0_E_clISt17integral_constantIbLb1EES17_IbLb0EEEEDaS13_S14_EUlS13_E_NS1_11comp_targetILNS1_3genE4ELNS1_11target_archE910ELNS1_3gpuE8ELNS1_3repE0EEENS1_30default_config_static_selectorELNS0_4arch9wavefront6targetE0EEEvT1_,comdat
.Lfunc_end130:
	.size	_ZN7rocprim17ROCPRIM_400000_NS6detail17trampoline_kernelINS0_14default_configENS1_25partition_config_selectorILNS1_17partition_subalgoE9EffbEEZZNS1_14partition_implILS5_9ELb0ES3_jN6thrust23THRUST_200600_302600_NS6detail15normal_iteratorINS9_10device_ptrIfEEEESE_PNS0_10empty_typeENS0_5tupleIJSE_SF_EEENSH_IJSE_SG_EEENS0_18inequality_wrapperI22is_equal_div_10_uniqueIfEEEPmJSF_EEE10hipError_tPvRmT3_T4_T5_T6_T7_T9_mT8_P12ihipStream_tbDpT10_ENKUlT_T0_E_clISt17integral_constantIbLb1EES17_IbLb0EEEEDaS13_S14_EUlS13_E_NS1_11comp_targetILNS1_3genE4ELNS1_11target_archE910ELNS1_3gpuE8ELNS1_3repE0EEENS1_30default_config_static_selectorELNS0_4arch9wavefront6targetE0EEEvT1_, .Lfunc_end130-_ZN7rocprim17ROCPRIM_400000_NS6detail17trampoline_kernelINS0_14default_configENS1_25partition_config_selectorILNS1_17partition_subalgoE9EffbEEZZNS1_14partition_implILS5_9ELb0ES3_jN6thrust23THRUST_200600_302600_NS6detail15normal_iteratorINS9_10device_ptrIfEEEESE_PNS0_10empty_typeENS0_5tupleIJSE_SF_EEENSH_IJSE_SG_EEENS0_18inequality_wrapperI22is_equal_div_10_uniqueIfEEEPmJSF_EEE10hipError_tPvRmT3_T4_T5_T6_T7_T9_mT8_P12ihipStream_tbDpT10_ENKUlT_T0_E_clISt17integral_constantIbLb1EES17_IbLb0EEEEDaS13_S14_EUlS13_E_NS1_11comp_targetILNS1_3genE4ELNS1_11target_archE910ELNS1_3gpuE8ELNS1_3repE0EEENS1_30default_config_static_selectorELNS0_4arch9wavefront6targetE0EEEvT1_
                                        ; -- End function
	.section	.AMDGPU.csdata,"",@progbits
; Kernel info:
; codeLenInByte = 0
; NumSgprs: 0
; NumVgprs: 0
; ScratchSize: 0
; MemoryBound: 0
; FloatMode: 240
; IeeeMode: 1
; LDSByteSize: 0 bytes/workgroup (compile time only)
; SGPRBlocks: 0
; VGPRBlocks: 0
; NumSGPRsForWavesPerEU: 1
; NumVGPRsForWavesPerEU: 1
; Occupancy: 15
; WaveLimiterHint : 0
; COMPUTE_PGM_RSRC2:SCRATCH_EN: 0
; COMPUTE_PGM_RSRC2:USER_SGPR: 15
; COMPUTE_PGM_RSRC2:TRAP_HANDLER: 0
; COMPUTE_PGM_RSRC2:TGID_X_EN: 1
; COMPUTE_PGM_RSRC2:TGID_Y_EN: 0
; COMPUTE_PGM_RSRC2:TGID_Z_EN: 0
; COMPUTE_PGM_RSRC2:TIDIG_COMP_CNT: 0
	.section	.text._ZN7rocprim17ROCPRIM_400000_NS6detail17trampoline_kernelINS0_14default_configENS1_25partition_config_selectorILNS1_17partition_subalgoE9EffbEEZZNS1_14partition_implILS5_9ELb0ES3_jN6thrust23THRUST_200600_302600_NS6detail15normal_iteratorINS9_10device_ptrIfEEEESE_PNS0_10empty_typeENS0_5tupleIJSE_SF_EEENSH_IJSE_SG_EEENS0_18inequality_wrapperI22is_equal_div_10_uniqueIfEEEPmJSF_EEE10hipError_tPvRmT3_T4_T5_T6_T7_T9_mT8_P12ihipStream_tbDpT10_ENKUlT_T0_E_clISt17integral_constantIbLb1EES17_IbLb0EEEEDaS13_S14_EUlS13_E_NS1_11comp_targetILNS1_3genE3ELNS1_11target_archE908ELNS1_3gpuE7ELNS1_3repE0EEENS1_30default_config_static_selectorELNS0_4arch9wavefront6targetE0EEEvT1_,"axG",@progbits,_ZN7rocprim17ROCPRIM_400000_NS6detail17trampoline_kernelINS0_14default_configENS1_25partition_config_selectorILNS1_17partition_subalgoE9EffbEEZZNS1_14partition_implILS5_9ELb0ES3_jN6thrust23THRUST_200600_302600_NS6detail15normal_iteratorINS9_10device_ptrIfEEEESE_PNS0_10empty_typeENS0_5tupleIJSE_SF_EEENSH_IJSE_SG_EEENS0_18inequality_wrapperI22is_equal_div_10_uniqueIfEEEPmJSF_EEE10hipError_tPvRmT3_T4_T5_T6_T7_T9_mT8_P12ihipStream_tbDpT10_ENKUlT_T0_E_clISt17integral_constantIbLb1EES17_IbLb0EEEEDaS13_S14_EUlS13_E_NS1_11comp_targetILNS1_3genE3ELNS1_11target_archE908ELNS1_3gpuE7ELNS1_3repE0EEENS1_30default_config_static_selectorELNS0_4arch9wavefront6targetE0EEEvT1_,comdat
	.protected	_ZN7rocprim17ROCPRIM_400000_NS6detail17trampoline_kernelINS0_14default_configENS1_25partition_config_selectorILNS1_17partition_subalgoE9EffbEEZZNS1_14partition_implILS5_9ELb0ES3_jN6thrust23THRUST_200600_302600_NS6detail15normal_iteratorINS9_10device_ptrIfEEEESE_PNS0_10empty_typeENS0_5tupleIJSE_SF_EEENSH_IJSE_SG_EEENS0_18inequality_wrapperI22is_equal_div_10_uniqueIfEEEPmJSF_EEE10hipError_tPvRmT3_T4_T5_T6_T7_T9_mT8_P12ihipStream_tbDpT10_ENKUlT_T0_E_clISt17integral_constantIbLb1EES17_IbLb0EEEEDaS13_S14_EUlS13_E_NS1_11comp_targetILNS1_3genE3ELNS1_11target_archE908ELNS1_3gpuE7ELNS1_3repE0EEENS1_30default_config_static_selectorELNS0_4arch9wavefront6targetE0EEEvT1_ ; -- Begin function _ZN7rocprim17ROCPRIM_400000_NS6detail17trampoline_kernelINS0_14default_configENS1_25partition_config_selectorILNS1_17partition_subalgoE9EffbEEZZNS1_14partition_implILS5_9ELb0ES3_jN6thrust23THRUST_200600_302600_NS6detail15normal_iteratorINS9_10device_ptrIfEEEESE_PNS0_10empty_typeENS0_5tupleIJSE_SF_EEENSH_IJSE_SG_EEENS0_18inequality_wrapperI22is_equal_div_10_uniqueIfEEEPmJSF_EEE10hipError_tPvRmT3_T4_T5_T6_T7_T9_mT8_P12ihipStream_tbDpT10_ENKUlT_T0_E_clISt17integral_constantIbLb1EES17_IbLb0EEEEDaS13_S14_EUlS13_E_NS1_11comp_targetILNS1_3genE3ELNS1_11target_archE908ELNS1_3gpuE7ELNS1_3repE0EEENS1_30default_config_static_selectorELNS0_4arch9wavefront6targetE0EEEvT1_
	.globl	_ZN7rocprim17ROCPRIM_400000_NS6detail17trampoline_kernelINS0_14default_configENS1_25partition_config_selectorILNS1_17partition_subalgoE9EffbEEZZNS1_14partition_implILS5_9ELb0ES3_jN6thrust23THRUST_200600_302600_NS6detail15normal_iteratorINS9_10device_ptrIfEEEESE_PNS0_10empty_typeENS0_5tupleIJSE_SF_EEENSH_IJSE_SG_EEENS0_18inequality_wrapperI22is_equal_div_10_uniqueIfEEEPmJSF_EEE10hipError_tPvRmT3_T4_T5_T6_T7_T9_mT8_P12ihipStream_tbDpT10_ENKUlT_T0_E_clISt17integral_constantIbLb1EES17_IbLb0EEEEDaS13_S14_EUlS13_E_NS1_11comp_targetILNS1_3genE3ELNS1_11target_archE908ELNS1_3gpuE7ELNS1_3repE0EEENS1_30default_config_static_selectorELNS0_4arch9wavefront6targetE0EEEvT1_
	.p2align	8
	.type	_ZN7rocprim17ROCPRIM_400000_NS6detail17trampoline_kernelINS0_14default_configENS1_25partition_config_selectorILNS1_17partition_subalgoE9EffbEEZZNS1_14partition_implILS5_9ELb0ES3_jN6thrust23THRUST_200600_302600_NS6detail15normal_iteratorINS9_10device_ptrIfEEEESE_PNS0_10empty_typeENS0_5tupleIJSE_SF_EEENSH_IJSE_SG_EEENS0_18inequality_wrapperI22is_equal_div_10_uniqueIfEEEPmJSF_EEE10hipError_tPvRmT3_T4_T5_T6_T7_T9_mT8_P12ihipStream_tbDpT10_ENKUlT_T0_E_clISt17integral_constantIbLb1EES17_IbLb0EEEEDaS13_S14_EUlS13_E_NS1_11comp_targetILNS1_3genE3ELNS1_11target_archE908ELNS1_3gpuE7ELNS1_3repE0EEENS1_30default_config_static_selectorELNS0_4arch9wavefront6targetE0EEEvT1_,@function
_ZN7rocprim17ROCPRIM_400000_NS6detail17trampoline_kernelINS0_14default_configENS1_25partition_config_selectorILNS1_17partition_subalgoE9EffbEEZZNS1_14partition_implILS5_9ELb0ES3_jN6thrust23THRUST_200600_302600_NS6detail15normal_iteratorINS9_10device_ptrIfEEEESE_PNS0_10empty_typeENS0_5tupleIJSE_SF_EEENSH_IJSE_SG_EEENS0_18inequality_wrapperI22is_equal_div_10_uniqueIfEEEPmJSF_EEE10hipError_tPvRmT3_T4_T5_T6_T7_T9_mT8_P12ihipStream_tbDpT10_ENKUlT_T0_E_clISt17integral_constantIbLb1EES17_IbLb0EEEEDaS13_S14_EUlS13_E_NS1_11comp_targetILNS1_3genE3ELNS1_11target_archE908ELNS1_3gpuE7ELNS1_3repE0EEENS1_30default_config_static_selectorELNS0_4arch9wavefront6targetE0EEEvT1_: ; @_ZN7rocprim17ROCPRIM_400000_NS6detail17trampoline_kernelINS0_14default_configENS1_25partition_config_selectorILNS1_17partition_subalgoE9EffbEEZZNS1_14partition_implILS5_9ELb0ES3_jN6thrust23THRUST_200600_302600_NS6detail15normal_iteratorINS9_10device_ptrIfEEEESE_PNS0_10empty_typeENS0_5tupleIJSE_SF_EEENSH_IJSE_SG_EEENS0_18inequality_wrapperI22is_equal_div_10_uniqueIfEEEPmJSF_EEE10hipError_tPvRmT3_T4_T5_T6_T7_T9_mT8_P12ihipStream_tbDpT10_ENKUlT_T0_E_clISt17integral_constantIbLb1EES17_IbLb0EEEEDaS13_S14_EUlS13_E_NS1_11comp_targetILNS1_3genE3ELNS1_11target_archE908ELNS1_3gpuE7ELNS1_3repE0EEENS1_30default_config_static_selectorELNS0_4arch9wavefront6targetE0EEEvT1_
; %bb.0:
	.section	.rodata,"a",@progbits
	.p2align	6, 0x0
	.amdhsa_kernel _ZN7rocprim17ROCPRIM_400000_NS6detail17trampoline_kernelINS0_14default_configENS1_25partition_config_selectorILNS1_17partition_subalgoE9EffbEEZZNS1_14partition_implILS5_9ELb0ES3_jN6thrust23THRUST_200600_302600_NS6detail15normal_iteratorINS9_10device_ptrIfEEEESE_PNS0_10empty_typeENS0_5tupleIJSE_SF_EEENSH_IJSE_SG_EEENS0_18inequality_wrapperI22is_equal_div_10_uniqueIfEEEPmJSF_EEE10hipError_tPvRmT3_T4_T5_T6_T7_T9_mT8_P12ihipStream_tbDpT10_ENKUlT_T0_E_clISt17integral_constantIbLb1EES17_IbLb0EEEEDaS13_S14_EUlS13_E_NS1_11comp_targetILNS1_3genE3ELNS1_11target_archE908ELNS1_3gpuE7ELNS1_3repE0EEENS1_30default_config_static_selectorELNS0_4arch9wavefront6targetE0EEEvT1_
		.amdhsa_group_segment_fixed_size 0
		.amdhsa_private_segment_fixed_size 0
		.amdhsa_kernarg_size 112
		.amdhsa_user_sgpr_count 15
		.amdhsa_user_sgpr_dispatch_ptr 0
		.amdhsa_user_sgpr_queue_ptr 0
		.amdhsa_user_sgpr_kernarg_segment_ptr 1
		.amdhsa_user_sgpr_dispatch_id 0
		.amdhsa_user_sgpr_private_segment_size 0
		.amdhsa_wavefront_size32 1
		.amdhsa_uses_dynamic_stack 0
		.amdhsa_enable_private_segment 0
		.amdhsa_system_sgpr_workgroup_id_x 1
		.amdhsa_system_sgpr_workgroup_id_y 0
		.amdhsa_system_sgpr_workgroup_id_z 0
		.amdhsa_system_sgpr_workgroup_info 0
		.amdhsa_system_vgpr_workitem_id 0
		.amdhsa_next_free_vgpr 1
		.amdhsa_next_free_sgpr 1
		.amdhsa_reserve_vcc 0
		.amdhsa_float_round_mode_32 0
		.amdhsa_float_round_mode_16_64 0
		.amdhsa_float_denorm_mode_32 3
		.amdhsa_float_denorm_mode_16_64 3
		.amdhsa_dx10_clamp 1
		.amdhsa_ieee_mode 1
		.amdhsa_fp16_overflow 0
		.amdhsa_workgroup_processor_mode 1
		.amdhsa_memory_ordered 1
		.amdhsa_forward_progress 0
		.amdhsa_shared_vgpr_count 0
		.amdhsa_exception_fp_ieee_invalid_op 0
		.amdhsa_exception_fp_denorm_src 0
		.amdhsa_exception_fp_ieee_div_zero 0
		.amdhsa_exception_fp_ieee_overflow 0
		.amdhsa_exception_fp_ieee_underflow 0
		.amdhsa_exception_fp_ieee_inexact 0
		.amdhsa_exception_int_div_zero 0
	.end_amdhsa_kernel
	.section	.text._ZN7rocprim17ROCPRIM_400000_NS6detail17trampoline_kernelINS0_14default_configENS1_25partition_config_selectorILNS1_17partition_subalgoE9EffbEEZZNS1_14partition_implILS5_9ELb0ES3_jN6thrust23THRUST_200600_302600_NS6detail15normal_iteratorINS9_10device_ptrIfEEEESE_PNS0_10empty_typeENS0_5tupleIJSE_SF_EEENSH_IJSE_SG_EEENS0_18inequality_wrapperI22is_equal_div_10_uniqueIfEEEPmJSF_EEE10hipError_tPvRmT3_T4_T5_T6_T7_T9_mT8_P12ihipStream_tbDpT10_ENKUlT_T0_E_clISt17integral_constantIbLb1EES17_IbLb0EEEEDaS13_S14_EUlS13_E_NS1_11comp_targetILNS1_3genE3ELNS1_11target_archE908ELNS1_3gpuE7ELNS1_3repE0EEENS1_30default_config_static_selectorELNS0_4arch9wavefront6targetE0EEEvT1_,"axG",@progbits,_ZN7rocprim17ROCPRIM_400000_NS6detail17trampoline_kernelINS0_14default_configENS1_25partition_config_selectorILNS1_17partition_subalgoE9EffbEEZZNS1_14partition_implILS5_9ELb0ES3_jN6thrust23THRUST_200600_302600_NS6detail15normal_iteratorINS9_10device_ptrIfEEEESE_PNS0_10empty_typeENS0_5tupleIJSE_SF_EEENSH_IJSE_SG_EEENS0_18inequality_wrapperI22is_equal_div_10_uniqueIfEEEPmJSF_EEE10hipError_tPvRmT3_T4_T5_T6_T7_T9_mT8_P12ihipStream_tbDpT10_ENKUlT_T0_E_clISt17integral_constantIbLb1EES17_IbLb0EEEEDaS13_S14_EUlS13_E_NS1_11comp_targetILNS1_3genE3ELNS1_11target_archE908ELNS1_3gpuE7ELNS1_3repE0EEENS1_30default_config_static_selectorELNS0_4arch9wavefront6targetE0EEEvT1_,comdat
.Lfunc_end131:
	.size	_ZN7rocprim17ROCPRIM_400000_NS6detail17trampoline_kernelINS0_14default_configENS1_25partition_config_selectorILNS1_17partition_subalgoE9EffbEEZZNS1_14partition_implILS5_9ELb0ES3_jN6thrust23THRUST_200600_302600_NS6detail15normal_iteratorINS9_10device_ptrIfEEEESE_PNS0_10empty_typeENS0_5tupleIJSE_SF_EEENSH_IJSE_SG_EEENS0_18inequality_wrapperI22is_equal_div_10_uniqueIfEEEPmJSF_EEE10hipError_tPvRmT3_T4_T5_T6_T7_T9_mT8_P12ihipStream_tbDpT10_ENKUlT_T0_E_clISt17integral_constantIbLb1EES17_IbLb0EEEEDaS13_S14_EUlS13_E_NS1_11comp_targetILNS1_3genE3ELNS1_11target_archE908ELNS1_3gpuE7ELNS1_3repE0EEENS1_30default_config_static_selectorELNS0_4arch9wavefront6targetE0EEEvT1_, .Lfunc_end131-_ZN7rocprim17ROCPRIM_400000_NS6detail17trampoline_kernelINS0_14default_configENS1_25partition_config_selectorILNS1_17partition_subalgoE9EffbEEZZNS1_14partition_implILS5_9ELb0ES3_jN6thrust23THRUST_200600_302600_NS6detail15normal_iteratorINS9_10device_ptrIfEEEESE_PNS0_10empty_typeENS0_5tupleIJSE_SF_EEENSH_IJSE_SG_EEENS0_18inequality_wrapperI22is_equal_div_10_uniqueIfEEEPmJSF_EEE10hipError_tPvRmT3_T4_T5_T6_T7_T9_mT8_P12ihipStream_tbDpT10_ENKUlT_T0_E_clISt17integral_constantIbLb1EES17_IbLb0EEEEDaS13_S14_EUlS13_E_NS1_11comp_targetILNS1_3genE3ELNS1_11target_archE908ELNS1_3gpuE7ELNS1_3repE0EEENS1_30default_config_static_selectorELNS0_4arch9wavefront6targetE0EEEvT1_
                                        ; -- End function
	.section	.AMDGPU.csdata,"",@progbits
; Kernel info:
; codeLenInByte = 0
; NumSgprs: 0
; NumVgprs: 0
; ScratchSize: 0
; MemoryBound: 0
; FloatMode: 240
; IeeeMode: 1
; LDSByteSize: 0 bytes/workgroup (compile time only)
; SGPRBlocks: 0
; VGPRBlocks: 0
; NumSGPRsForWavesPerEU: 1
; NumVGPRsForWavesPerEU: 1
; Occupancy: 16
; WaveLimiterHint : 0
; COMPUTE_PGM_RSRC2:SCRATCH_EN: 0
; COMPUTE_PGM_RSRC2:USER_SGPR: 15
; COMPUTE_PGM_RSRC2:TRAP_HANDLER: 0
; COMPUTE_PGM_RSRC2:TGID_X_EN: 1
; COMPUTE_PGM_RSRC2:TGID_Y_EN: 0
; COMPUTE_PGM_RSRC2:TGID_Z_EN: 0
; COMPUTE_PGM_RSRC2:TIDIG_COMP_CNT: 0
	.section	.text._ZN7rocprim17ROCPRIM_400000_NS6detail17trampoline_kernelINS0_14default_configENS1_25partition_config_selectorILNS1_17partition_subalgoE9EffbEEZZNS1_14partition_implILS5_9ELb0ES3_jN6thrust23THRUST_200600_302600_NS6detail15normal_iteratorINS9_10device_ptrIfEEEESE_PNS0_10empty_typeENS0_5tupleIJSE_SF_EEENSH_IJSE_SG_EEENS0_18inequality_wrapperI22is_equal_div_10_uniqueIfEEEPmJSF_EEE10hipError_tPvRmT3_T4_T5_T6_T7_T9_mT8_P12ihipStream_tbDpT10_ENKUlT_T0_E_clISt17integral_constantIbLb1EES17_IbLb0EEEEDaS13_S14_EUlS13_E_NS1_11comp_targetILNS1_3genE2ELNS1_11target_archE906ELNS1_3gpuE6ELNS1_3repE0EEENS1_30default_config_static_selectorELNS0_4arch9wavefront6targetE0EEEvT1_,"axG",@progbits,_ZN7rocprim17ROCPRIM_400000_NS6detail17trampoline_kernelINS0_14default_configENS1_25partition_config_selectorILNS1_17partition_subalgoE9EffbEEZZNS1_14partition_implILS5_9ELb0ES3_jN6thrust23THRUST_200600_302600_NS6detail15normal_iteratorINS9_10device_ptrIfEEEESE_PNS0_10empty_typeENS0_5tupleIJSE_SF_EEENSH_IJSE_SG_EEENS0_18inequality_wrapperI22is_equal_div_10_uniqueIfEEEPmJSF_EEE10hipError_tPvRmT3_T4_T5_T6_T7_T9_mT8_P12ihipStream_tbDpT10_ENKUlT_T0_E_clISt17integral_constantIbLb1EES17_IbLb0EEEEDaS13_S14_EUlS13_E_NS1_11comp_targetILNS1_3genE2ELNS1_11target_archE906ELNS1_3gpuE6ELNS1_3repE0EEENS1_30default_config_static_selectorELNS0_4arch9wavefront6targetE0EEEvT1_,comdat
	.protected	_ZN7rocprim17ROCPRIM_400000_NS6detail17trampoline_kernelINS0_14default_configENS1_25partition_config_selectorILNS1_17partition_subalgoE9EffbEEZZNS1_14partition_implILS5_9ELb0ES3_jN6thrust23THRUST_200600_302600_NS6detail15normal_iteratorINS9_10device_ptrIfEEEESE_PNS0_10empty_typeENS0_5tupleIJSE_SF_EEENSH_IJSE_SG_EEENS0_18inequality_wrapperI22is_equal_div_10_uniqueIfEEEPmJSF_EEE10hipError_tPvRmT3_T4_T5_T6_T7_T9_mT8_P12ihipStream_tbDpT10_ENKUlT_T0_E_clISt17integral_constantIbLb1EES17_IbLb0EEEEDaS13_S14_EUlS13_E_NS1_11comp_targetILNS1_3genE2ELNS1_11target_archE906ELNS1_3gpuE6ELNS1_3repE0EEENS1_30default_config_static_selectorELNS0_4arch9wavefront6targetE0EEEvT1_ ; -- Begin function _ZN7rocprim17ROCPRIM_400000_NS6detail17trampoline_kernelINS0_14default_configENS1_25partition_config_selectorILNS1_17partition_subalgoE9EffbEEZZNS1_14partition_implILS5_9ELb0ES3_jN6thrust23THRUST_200600_302600_NS6detail15normal_iteratorINS9_10device_ptrIfEEEESE_PNS0_10empty_typeENS0_5tupleIJSE_SF_EEENSH_IJSE_SG_EEENS0_18inequality_wrapperI22is_equal_div_10_uniqueIfEEEPmJSF_EEE10hipError_tPvRmT3_T4_T5_T6_T7_T9_mT8_P12ihipStream_tbDpT10_ENKUlT_T0_E_clISt17integral_constantIbLb1EES17_IbLb0EEEEDaS13_S14_EUlS13_E_NS1_11comp_targetILNS1_3genE2ELNS1_11target_archE906ELNS1_3gpuE6ELNS1_3repE0EEENS1_30default_config_static_selectorELNS0_4arch9wavefront6targetE0EEEvT1_
	.globl	_ZN7rocprim17ROCPRIM_400000_NS6detail17trampoline_kernelINS0_14default_configENS1_25partition_config_selectorILNS1_17partition_subalgoE9EffbEEZZNS1_14partition_implILS5_9ELb0ES3_jN6thrust23THRUST_200600_302600_NS6detail15normal_iteratorINS9_10device_ptrIfEEEESE_PNS0_10empty_typeENS0_5tupleIJSE_SF_EEENSH_IJSE_SG_EEENS0_18inequality_wrapperI22is_equal_div_10_uniqueIfEEEPmJSF_EEE10hipError_tPvRmT3_T4_T5_T6_T7_T9_mT8_P12ihipStream_tbDpT10_ENKUlT_T0_E_clISt17integral_constantIbLb1EES17_IbLb0EEEEDaS13_S14_EUlS13_E_NS1_11comp_targetILNS1_3genE2ELNS1_11target_archE906ELNS1_3gpuE6ELNS1_3repE0EEENS1_30default_config_static_selectorELNS0_4arch9wavefront6targetE0EEEvT1_
	.p2align	8
	.type	_ZN7rocprim17ROCPRIM_400000_NS6detail17trampoline_kernelINS0_14default_configENS1_25partition_config_selectorILNS1_17partition_subalgoE9EffbEEZZNS1_14partition_implILS5_9ELb0ES3_jN6thrust23THRUST_200600_302600_NS6detail15normal_iteratorINS9_10device_ptrIfEEEESE_PNS0_10empty_typeENS0_5tupleIJSE_SF_EEENSH_IJSE_SG_EEENS0_18inequality_wrapperI22is_equal_div_10_uniqueIfEEEPmJSF_EEE10hipError_tPvRmT3_T4_T5_T6_T7_T9_mT8_P12ihipStream_tbDpT10_ENKUlT_T0_E_clISt17integral_constantIbLb1EES17_IbLb0EEEEDaS13_S14_EUlS13_E_NS1_11comp_targetILNS1_3genE2ELNS1_11target_archE906ELNS1_3gpuE6ELNS1_3repE0EEENS1_30default_config_static_selectorELNS0_4arch9wavefront6targetE0EEEvT1_,@function
_ZN7rocprim17ROCPRIM_400000_NS6detail17trampoline_kernelINS0_14default_configENS1_25partition_config_selectorILNS1_17partition_subalgoE9EffbEEZZNS1_14partition_implILS5_9ELb0ES3_jN6thrust23THRUST_200600_302600_NS6detail15normal_iteratorINS9_10device_ptrIfEEEESE_PNS0_10empty_typeENS0_5tupleIJSE_SF_EEENSH_IJSE_SG_EEENS0_18inequality_wrapperI22is_equal_div_10_uniqueIfEEEPmJSF_EEE10hipError_tPvRmT3_T4_T5_T6_T7_T9_mT8_P12ihipStream_tbDpT10_ENKUlT_T0_E_clISt17integral_constantIbLb1EES17_IbLb0EEEEDaS13_S14_EUlS13_E_NS1_11comp_targetILNS1_3genE2ELNS1_11target_archE906ELNS1_3gpuE6ELNS1_3repE0EEENS1_30default_config_static_selectorELNS0_4arch9wavefront6targetE0EEEvT1_: ; @_ZN7rocprim17ROCPRIM_400000_NS6detail17trampoline_kernelINS0_14default_configENS1_25partition_config_selectorILNS1_17partition_subalgoE9EffbEEZZNS1_14partition_implILS5_9ELb0ES3_jN6thrust23THRUST_200600_302600_NS6detail15normal_iteratorINS9_10device_ptrIfEEEESE_PNS0_10empty_typeENS0_5tupleIJSE_SF_EEENSH_IJSE_SG_EEENS0_18inequality_wrapperI22is_equal_div_10_uniqueIfEEEPmJSF_EEE10hipError_tPvRmT3_T4_T5_T6_T7_T9_mT8_P12ihipStream_tbDpT10_ENKUlT_T0_E_clISt17integral_constantIbLb1EES17_IbLb0EEEEDaS13_S14_EUlS13_E_NS1_11comp_targetILNS1_3genE2ELNS1_11target_archE906ELNS1_3gpuE6ELNS1_3repE0EEENS1_30default_config_static_selectorELNS0_4arch9wavefront6targetE0EEEvT1_
; %bb.0:
	.section	.rodata,"a",@progbits
	.p2align	6, 0x0
	.amdhsa_kernel _ZN7rocprim17ROCPRIM_400000_NS6detail17trampoline_kernelINS0_14default_configENS1_25partition_config_selectorILNS1_17partition_subalgoE9EffbEEZZNS1_14partition_implILS5_9ELb0ES3_jN6thrust23THRUST_200600_302600_NS6detail15normal_iteratorINS9_10device_ptrIfEEEESE_PNS0_10empty_typeENS0_5tupleIJSE_SF_EEENSH_IJSE_SG_EEENS0_18inequality_wrapperI22is_equal_div_10_uniqueIfEEEPmJSF_EEE10hipError_tPvRmT3_T4_T5_T6_T7_T9_mT8_P12ihipStream_tbDpT10_ENKUlT_T0_E_clISt17integral_constantIbLb1EES17_IbLb0EEEEDaS13_S14_EUlS13_E_NS1_11comp_targetILNS1_3genE2ELNS1_11target_archE906ELNS1_3gpuE6ELNS1_3repE0EEENS1_30default_config_static_selectorELNS0_4arch9wavefront6targetE0EEEvT1_
		.amdhsa_group_segment_fixed_size 0
		.amdhsa_private_segment_fixed_size 0
		.amdhsa_kernarg_size 112
		.amdhsa_user_sgpr_count 15
		.amdhsa_user_sgpr_dispatch_ptr 0
		.amdhsa_user_sgpr_queue_ptr 0
		.amdhsa_user_sgpr_kernarg_segment_ptr 1
		.amdhsa_user_sgpr_dispatch_id 0
		.amdhsa_user_sgpr_private_segment_size 0
		.amdhsa_wavefront_size32 1
		.amdhsa_uses_dynamic_stack 0
		.amdhsa_enable_private_segment 0
		.amdhsa_system_sgpr_workgroup_id_x 1
		.amdhsa_system_sgpr_workgroup_id_y 0
		.amdhsa_system_sgpr_workgroup_id_z 0
		.amdhsa_system_sgpr_workgroup_info 0
		.amdhsa_system_vgpr_workitem_id 0
		.amdhsa_next_free_vgpr 1
		.amdhsa_next_free_sgpr 1
		.amdhsa_reserve_vcc 0
		.amdhsa_float_round_mode_32 0
		.amdhsa_float_round_mode_16_64 0
		.amdhsa_float_denorm_mode_32 3
		.amdhsa_float_denorm_mode_16_64 3
		.amdhsa_dx10_clamp 1
		.amdhsa_ieee_mode 1
		.amdhsa_fp16_overflow 0
		.amdhsa_workgroup_processor_mode 1
		.amdhsa_memory_ordered 1
		.amdhsa_forward_progress 0
		.amdhsa_shared_vgpr_count 0
		.amdhsa_exception_fp_ieee_invalid_op 0
		.amdhsa_exception_fp_denorm_src 0
		.amdhsa_exception_fp_ieee_div_zero 0
		.amdhsa_exception_fp_ieee_overflow 0
		.amdhsa_exception_fp_ieee_underflow 0
		.amdhsa_exception_fp_ieee_inexact 0
		.amdhsa_exception_int_div_zero 0
	.end_amdhsa_kernel
	.section	.text._ZN7rocprim17ROCPRIM_400000_NS6detail17trampoline_kernelINS0_14default_configENS1_25partition_config_selectorILNS1_17partition_subalgoE9EffbEEZZNS1_14partition_implILS5_9ELb0ES3_jN6thrust23THRUST_200600_302600_NS6detail15normal_iteratorINS9_10device_ptrIfEEEESE_PNS0_10empty_typeENS0_5tupleIJSE_SF_EEENSH_IJSE_SG_EEENS0_18inequality_wrapperI22is_equal_div_10_uniqueIfEEEPmJSF_EEE10hipError_tPvRmT3_T4_T5_T6_T7_T9_mT8_P12ihipStream_tbDpT10_ENKUlT_T0_E_clISt17integral_constantIbLb1EES17_IbLb0EEEEDaS13_S14_EUlS13_E_NS1_11comp_targetILNS1_3genE2ELNS1_11target_archE906ELNS1_3gpuE6ELNS1_3repE0EEENS1_30default_config_static_selectorELNS0_4arch9wavefront6targetE0EEEvT1_,"axG",@progbits,_ZN7rocprim17ROCPRIM_400000_NS6detail17trampoline_kernelINS0_14default_configENS1_25partition_config_selectorILNS1_17partition_subalgoE9EffbEEZZNS1_14partition_implILS5_9ELb0ES3_jN6thrust23THRUST_200600_302600_NS6detail15normal_iteratorINS9_10device_ptrIfEEEESE_PNS0_10empty_typeENS0_5tupleIJSE_SF_EEENSH_IJSE_SG_EEENS0_18inequality_wrapperI22is_equal_div_10_uniqueIfEEEPmJSF_EEE10hipError_tPvRmT3_T4_T5_T6_T7_T9_mT8_P12ihipStream_tbDpT10_ENKUlT_T0_E_clISt17integral_constantIbLb1EES17_IbLb0EEEEDaS13_S14_EUlS13_E_NS1_11comp_targetILNS1_3genE2ELNS1_11target_archE906ELNS1_3gpuE6ELNS1_3repE0EEENS1_30default_config_static_selectorELNS0_4arch9wavefront6targetE0EEEvT1_,comdat
.Lfunc_end132:
	.size	_ZN7rocprim17ROCPRIM_400000_NS6detail17trampoline_kernelINS0_14default_configENS1_25partition_config_selectorILNS1_17partition_subalgoE9EffbEEZZNS1_14partition_implILS5_9ELb0ES3_jN6thrust23THRUST_200600_302600_NS6detail15normal_iteratorINS9_10device_ptrIfEEEESE_PNS0_10empty_typeENS0_5tupleIJSE_SF_EEENSH_IJSE_SG_EEENS0_18inequality_wrapperI22is_equal_div_10_uniqueIfEEEPmJSF_EEE10hipError_tPvRmT3_T4_T5_T6_T7_T9_mT8_P12ihipStream_tbDpT10_ENKUlT_T0_E_clISt17integral_constantIbLb1EES17_IbLb0EEEEDaS13_S14_EUlS13_E_NS1_11comp_targetILNS1_3genE2ELNS1_11target_archE906ELNS1_3gpuE6ELNS1_3repE0EEENS1_30default_config_static_selectorELNS0_4arch9wavefront6targetE0EEEvT1_, .Lfunc_end132-_ZN7rocprim17ROCPRIM_400000_NS6detail17trampoline_kernelINS0_14default_configENS1_25partition_config_selectorILNS1_17partition_subalgoE9EffbEEZZNS1_14partition_implILS5_9ELb0ES3_jN6thrust23THRUST_200600_302600_NS6detail15normal_iteratorINS9_10device_ptrIfEEEESE_PNS0_10empty_typeENS0_5tupleIJSE_SF_EEENSH_IJSE_SG_EEENS0_18inequality_wrapperI22is_equal_div_10_uniqueIfEEEPmJSF_EEE10hipError_tPvRmT3_T4_T5_T6_T7_T9_mT8_P12ihipStream_tbDpT10_ENKUlT_T0_E_clISt17integral_constantIbLb1EES17_IbLb0EEEEDaS13_S14_EUlS13_E_NS1_11comp_targetILNS1_3genE2ELNS1_11target_archE906ELNS1_3gpuE6ELNS1_3repE0EEENS1_30default_config_static_selectorELNS0_4arch9wavefront6targetE0EEEvT1_
                                        ; -- End function
	.section	.AMDGPU.csdata,"",@progbits
; Kernel info:
; codeLenInByte = 0
; NumSgprs: 0
; NumVgprs: 0
; ScratchSize: 0
; MemoryBound: 0
; FloatMode: 240
; IeeeMode: 1
; LDSByteSize: 0 bytes/workgroup (compile time only)
; SGPRBlocks: 0
; VGPRBlocks: 0
; NumSGPRsForWavesPerEU: 1
; NumVGPRsForWavesPerEU: 1
; Occupancy: 16
; WaveLimiterHint : 0
; COMPUTE_PGM_RSRC2:SCRATCH_EN: 0
; COMPUTE_PGM_RSRC2:USER_SGPR: 15
; COMPUTE_PGM_RSRC2:TRAP_HANDLER: 0
; COMPUTE_PGM_RSRC2:TGID_X_EN: 1
; COMPUTE_PGM_RSRC2:TGID_Y_EN: 0
; COMPUTE_PGM_RSRC2:TGID_Z_EN: 0
; COMPUTE_PGM_RSRC2:TIDIG_COMP_CNT: 0
	.section	.text._ZN7rocprim17ROCPRIM_400000_NS6detail17trampoline_kernelINS0_14default_configENS1_25partition_config_selectorILNS1_17partition_subalgoE9EffbEEZZNS1_14partition_implILS5_9ELb0ES3_jN6thrust23THRUST_200600_302600_NS6detail15normal_iteratorINS9_10device_ptrIfEEEESE_PNS0_10empty_typeENS0_5tupleIJSE_SF_EEENSH_IJSE_SG_EEENS0_18inequality_wrapperI22is_equal_div_10_uniqueIfEEEPmJSF_EEE10hipError_tPvRmT3_T4_T5_T6_T7_T9_mT8_P12ihipStream_tbDpT10_ENKUlT_T0_E_clISt17integral_constantIbLb1EES17_IbLb0EEEEDaS13_S14_EUlS13_E_NS1_11comp_targetILNS1_3genE10ELNS1_11target_archE1200ELNS1_3gpuE4ELNS1_3repE0EEENS1_30default_config_static_selectorELNS0_4arch9wavefront6targetE0EEEvT1_,"axG",@progbits,_ZN7rocprim17ROCPRIM_400000_NS6detail17trampoline_kernelINS0_14default_configENS1_25partition_config_selectorILNS1_17partition_subalgoE9EffbEEZZNS1_14partition_implILS5_9ELb0ES3_jN6thrust23THRUST_200600_302600_NS6detail15normal_iteratorINS9_10device_ptrIfEEEESE_PNS0_10empty_typeENS0_5tupleIJSE_SF_EEENSH_IJSE_SG_EEENS0_18inequality_wrapperI22is_equal_div_10_uniqueIfEEEPmJSF_EEE10hipError_tPvRmT3_T4_T5_T6_T7_T9_mT8_P12ihipStream_tbDpT10_ENKUlT_T0_E_clISt17integral_constantIbLb1EES17_IbLb0EEEEDaS13_S14_EUlS13_E_NS1_11comp_targetILNS1_3genE10ELNS1_11target_archE1200ELNS1_3gpuE4ELNS1_3repE0EEENS1_30default_config_static_selectorELNS0_4arch9wavefront6targetE0EEEvT1_,comdat
	.protected	_ZN7rocprim17ROCPRIM_400000_NS6detail17trampoline_kernelINS0_14default_configENS1_25partition_config_selectorILNS1_17partition_subalgoE9EffbEEZZNS1_14partition_implILS5_9ELb0ES3_jN6thrust23THRUST_200600_302600_NS6detail15normal_iteratorINS9_10device_ptrIfEEEESE_PNS0_10empty_typeENS0_5tupleIJSE_SF_EEENSH_IJSE_SG_EEENS0_18inequality_wrapperI22is_equal_div_10_uniqueIfEEEPmJSF_EEE10hipError_tPvRmT3_T4_T5_T6_T7_T9_mT8_P12ihipStream_tbDpT10_ENKUlT_T0_E_clISt17integral_constantIbLb1EES17_IbLb0EEEEDaS13_S14_EUlS13_E_NS1_11comp_targetILNS1_3genE10ELNS1_11target_archE1200ELNS1_3gpuE4ELNS1_3repE0EEENS1_30default_config_static_selectorELNS0_4arch9wavefront6targetE0EEEvT1_ ; -- Begin function _ZN7rocprim17ROCPRIM_400000_NS6detail17trampoline_kernelINS0_14default_configENS1_25partition_config_selectorILNS1_17partition_subalgoE9EffbEEZZNS1_14partition_implILS5_9ELb0ES3_jN6thrust23THRUST_200600_302600_NS6detail15normal_iteratorINS9_10device_ptrIfEEEESE_PNS0_10empty_typeENS0_5tupleIJSE_SF_EEENSH_IJSE_SG_EEENS0_18inequality_wrapperI22is_equal_div_10_uniqueIfEEEPmJSF_EEE10hipError_tPvRmT3_T4_T5_T6_T7_T9_mT8_P12ihipStream_tbDpT10_ENKUlT_T0_E_clISt17integral_constantIbLb1EES17_IbLb0EEEEDaS13_S14_EUlS13_E_NS1_11comp_targetILNS1_3genE10ELNS1_11target_archE1200ELNS1_3gpuE4ELNS1_3repE0EEENS1_30default_config_static_selectorELNS0_4arch9wavefront6targetE0EEEvT1_
	.globl	_ZN7rocprim17ROCPRIM_400000_NS6detail17trampoline_kernelINS0_14default_configENS1_25partition_config_selectorILNS1_17partition_subalgoE9EffbEEZZNS1_14partition_implILS5_9ELb0ES3_jN6thrust23THRUST_200600_302600_NS6detail15normal_iteratorINS9_10device_ptrIfEEEESE_PNS0_10empty_typeENS0_5tupleIJSE_SF_EEENSH_IJSE_SG_EEENS0_18inequality_wrapperI22is_equal_div_10_uniqueIfEEEPmJSF_EEE10hipError_tPvRmT3_T4_T5_T6_T7_T9_mT8_P12ihipStream_tbDpT10_ENKUlT_T0_E_clISt17integral_constantIbLb1EES17_IbLb0EEEEDaS13_S14_EUlS13_E_NS1_11comp_targetILNS1_3genE10ELNS1_11target_archE1200ELNS1_3gpuE4ELNS1_3repE0EEENS1_30default_config_static_selectorELNS0_4arch9wavefront6targetE0EEEvT1_
	.p2align	8
	.type	_ZN7rocprim17ROCPRIM_400000_NS6detail17trampoline_kernelINS0_14default_configENS1_25partition_config_selectorILNS1_17partition_subalgoE9EffbEEZZNS1_14partition_implILS5_9ELb0ES3_jN6thrust23THRUST_200600_302600_NS6detail15normal_iteratorINS9_10device_ptrIfEEEESE_PNS0_10empty_typeENS0_5tupleIJSE_SF_EEENSH_IJSE_SG_EEENS0_18inequality_wrapperI22is_equal_div_10_uniqueIfEEEPmJSF_EEE10hipError_tPvRmT3_T4_T5_T6_T7_T9_mT8_P12ihipStream_tbDpT10_ENKUlT_T0_E_clISt17integral_constantIbLb1EES17_IbLb0EEEEDaS13_S14_EUlS13_E_NS1_11comp_targetILNS1_3genE10ELNS1_11target_archE1200ELNS1_3gpuE4ELNS1_3repE0EEENS1_30default_config_static_selectorELNS0_4arch9wavefront6targetE0EEEvT1_,@function
_ZN7rocprim17ROCPRIM_400000_NS6detail17trampoline_kernelINS0_14default_configENS1_25partition_config_selectorILNS1_17partition_subalgoE9EffbEEZZNS1_14partition_implILS5_9ELb0ES3_jN6thrust23THRUST_200600_302600_NS6detail15normal_iteratorINS9_10device_ptrIfEEEESE_PNS0_10empty_typeENS0_5tupleIJSE_SF_EEENSH_IJSE_SG_EEENS0_18inequality_wrapperI22is_equal_div_10_uniqueIfEEEPmJSF_EEE10hipError_tPvRmT3_T4_T5_T6_T7_T9_mT8_P12ihipStream_tbDpT10_ENKUlT_T0_E_clISt17integral_constantIbLb1EES17_IbLb0EEEEDaS13_S14_EUlS13_E_NS1_11comp_targetILNS1_3genE10ELNS1_11target_archE1200ELNS1_3gpuE4ELNS1_3repE0EEENS1_30default_config_static_selectorELNS0_4arch9wavefront6targetE0EEEvT1_: ; @_ZN7rocprim17ROCPRIM_400000_NS6detail17trampoline_kernelINS0_14default_configENS1_25partition_config_selectorILNS1_17partition_subalgoE9EffbEEZZNS1_14partition_implILS5_9ELb0ES3_jN6thrust23THRUST_200600_302600_NS6detail15normal_iteratorINS9_10device_ptrIfEEEESE_PNS0_10empty_typeENS0_5tupleIJSE_SF_EEENSH_IJSE_SG_EEENS0_18inequality_wrapperI22is_equal_div_10_uniqueIfEEEPmJSF_EEE10hipError_tPvRmT3_T4_T5_T6_T7_T9_mT8_P12ihipStream_tbDpT10_ENKUlT_T0_E_clISt17integral_constantIbLb1EES17_IbLb0EEEEDaS13_S14_EUlS13_E_NS1_11comp_targetILNS1_3genE10ELNS1_11target_archE1200ELNS1_3gpuE4ELNS1_3repE0EEENS1_30default_config_static_selectorELNS0_4arch9wavefront6targetE0EEEvT1_
; %bb.0:
	.section	.rodata,"a",@progbits
	.p2align	6, 0x0
	.amdhsa_kernel _ZN7rocprim17ROCPRIM_400000_NS6detail17trampoline_kernelINS0_14default_configENS1_25partition_config_selectorILNS1_17partition_subalgoE9EffbEEZZNS1_14partition_implILS5_9ELb0ES3_jN6thrust23THRUST_200600_302600_NS6detail15normal_iteratorINS9_10device_ptrIfEEEESE_PNS0_10empty_typeENS0_5tupleIJSE_SF_EEENSH_IJSE_SG_EEENS0_18inequality_wrapperI22is_equal_div_10_uniqueIfEEEPmJSF_EEE10hipError_tPvRmT3_T4_T5_T6_T7_T9_mT8_P12ihipStream_tbDpT10_ENKUlT_T0_E_clISt17integral_constantIbLb1EES17_IbLb0EEEEDaS13_S14_EUlS13_E_NS1_11comp_targetILNS1_3genE10ELNS1_11target_archE1200ELNS1_3gpuE4ELNS1_3repE0EEENS1_30default_config_static_selectorELNS0_4arch9wavefront6targetE0EEEvT1_
		.amdhsa_group_segment_fixed_size 0
		.amdhsa_private_segment_fixed_size 0
		.amdhsa_kernarg_size 112
		.amdhsa_user_sgpr_count 15
		.amdhsa_user_sgpr_dispatch_ptr 0
		.amdhsa_user_sgpr_queue_ptr 0
		.amdhsa_user_sgpr_kernarg_segment_ptr 1
		.amdhsa_user_sgpr_dispatch_id 0
		.amdhsa_user_sgpr_private_segment_size 0
		.amdhsa_wavefront_size32 1
		.amdhsa_uses_dynamic_stack 0
		.amdhsa_enable_private_segment 0
		.amdhsa_system_sgpr_workgroup_id_x 1
		.amdhsa_system_sgpr_workgroup_id_y 0
		.amdhsa_system_sgpr_workgroup_id_z 0
		.amdhsa_system_sgpr_workgroup_info 0
		.amdhsa_system_vgpr_workitem_id 0
		.amdhsa_next_free_vgpr 1
		.amdhsa_next_free_sgpr 1
		.amdhsa_reserve_vcc 0
		.amdhsa_float_round_mode_32 0
		.amdhsa_float_round_mode_16_64 0
		.amdhsa_float_denorm_mode_32 3
		.amdhsa_float_denorm_mode_16_64 3
		.amdhsa_dx10_clamp 1
		.amdhsa_ieee_mode 1
		.amdhsa_fp16_overflow 0
		.amdhsa_workgroup_processor_mode 1
		.amdhsa_memory_ordered 1
		.amdhsa_forward_progress 0
		.amdhsa_shared_vgpr_count 0
		.amdhsa_exception_fp_ieee_invalid_op 0
		.amdhsa_exception_fp_denorm_src 0
		.amdhsa_exception_fp_ieee_div_zero 0
		.amdhsa_exception_fp_ieee_overflow 0
		.amdhsa_exception_fp_ieee_underflow 0
		.amdhsa_exception_fp_ieee_inexact 0
		.amdhsa_exception_int_div_zero 0
	.end_amdhsa_kernel
	.section	.text._ZN7rocprim17ROCPRIM_400000_NS6detail17trampoline_kernelINS0_14default_configENS1_25partition_config_selectorILNS1_17partition_subalgoE9EffbEEZZNS1_14partition_implILS5_9ELb0ES3_jN6thrust23THRUST_200600_302600_NS6detail15normal_iteratorINS9_10device_ptrIfEEEESE_PNS0_10empty_typeENS0_5tupleIJSE_SF_EEENSH_IJSE_SG_EEENS0_18inequality_wrapperI22is_equal_div_10_uniqueIfEEEPmJSF_EEE10hipError_tPvRmT3_T4_T5_T6_T7_T9_mT8_P12ihipStream_tbDpT10_ENKUlT_T0_E_clISt17integral_constantIbLb1EES17_IbLb0EEEEDaS13_S14_EUlS13_E_NS1_11comp_targetILNS1_3genE10ELNS1_11target_archE1200ELNS1_3gpuE4ELNS1_3repE0EEENS1_30default_config_static_selectorELNS0_4arch9wavefront6targetE0EEEvT1_,"axG",@progbits,_ZN7rocprim17ROCPRIM_400000_NS6detail17trampoline_kernelINS0_14default_configENS1_25partition_config_selectorILNS1_17partition_subalgoE9EffbEEZZNS1_14partition_implILS5_9ELb0ES3_jN6thrust23THRUST_200600_302600_NS6detail15normal_iteratorINS9_10device_ptrIfEEEESE_PNS0_10empty_typeENS0_5tupleIJSE_SF_EEENSH_IJSE_SG_EEENS0_18inequality_wrapperI22is_equal_div_10_uniqueIfEEEPmJSF_EEE10hipError_tPvRmT3_T4_T5_T6_T7_T9_mT8_P12ihipStream_tbDpT10_ENKUlT_T0_E_clISt17integral_constantIbLb1EES17_IbLb0EEEEDaS13_S14_EUlS13_E_NS1_11comp_targetILNS1_3genE10ELNS1_11target_archE1200ELNS1_3gpuE4ELNS1_3repE0EEENS1_30default_config_static_selectorELNS0_4arch9wavefront6targetE0EEEvT1_,comdat
.Lfunc_end133:
	.size	_ZN7rocprim17ROCPRIM_400000_NS6detail17trampoline_kernelINS0_14default_configENS1_25partition_config_selectorILNS1_17partition_subalgoE9EffbEEZZNS1_14partition_implILS5_9ELb0ES3_jN6thrust23THRUST_200600_302600_NS6detail15normal_iteratorINS9_10device_ptrIfEEEESE_PNS0_10empty_typeENS0_5tupleIJSE_SF_EEENSH_IJSE_SG_EEENS0_18inequality_wrapperI22is_equal_div_10_uniqueIfEEEPmJSF_EEE10hipError_tPvRmT3_T4_T5_T6_T7_T9_mT8_P12ihipStream_tbDpT10_ENKUlT_T0_E_clISt17integral_constantIbLb1EES17_IbLb0EEEEDaS13_S14_EUlS13_E_NS1_11comp_targetILNS1_3genE10ELNS1_11target_archE1200ELNS1_3gpuE4ELNS1_3repE0EEENS1_30default_config_static_selectorELNS0_4arch9wavefront6targetE0EEEvT1_, .Lfunc_end133-_ZN7rocprim17ROCPRIM_400000_NS6detail17trampoline_kernelINS0_14default_configENS1_25partition_config_selectorILNS1_17partition_subalgoE9EffbEEZZNS1_14partition_implILS5_9ELb0ES3_jN6thrust23THRUST_200600_302600_NS6detail15normal_iteratorINS9_10device_ptrIfEEEESE_PNS0_10empty_typeENS0_5tupleIJSE_SF_EEENSH_IJSE_SG_EEENS0_18inequality_wrapperI22is_equal_div_10_uniqueIfEEEPmJSF_EEE10hipError_tPvRmT3_T4_T5_T6_T7_T9_mT8_P12ihipStream_tbDpT10_ENKUlT_T0_E_clISt17integral_constantIbLb1EES17_IbLb0EEEEDaS13_S14_EUlS13_E_NS1_11comp_targetILNS1_3genE10ELNS1_11target_archE1200ELNS1_3gpuE4ELNS1_3repE0EEENS1_30default_config_static_selectorELNS0_4arch9wavefront6targetE0EEEvT1_
                                        ; -- End function
	.section	.AMDGPU.csdata,"",@progbits
; Kernel info:
; codeLenInByte = 0
; NumSgprs: 0
; NumVgprs: 0
; ScratchSize: 0
; MemoryBound: 0
; FloatMode: 240
; IeeeMode: 1
; LDSByteSize: 0 bytes/workgroup (compile time only)
; SGPRBlocks: 0
; VGPRBlocks: 0
; NumSGPRsForWavesPerEU: 1
; NumVGPRsForWavesPerEU: 1
; Occupancy: 15
; WaveLimiterHint : 0
; COMPUTE_PGM_RSRC2:SCRATCH_EN: 0
; COMPUTE_PGM_RSRC2:USER_SGPR: 15
; COMPUTE_PGM_RSRC2:TRAP_HANDLER: 0
; COMPUTE_PGM_RSRC2:TGID_X_EN: 1
; COMPUTE_PGM_RSRC2:TGID_Y_EN: 0
; COMPUTE_PGM_RSRC2:TGID_Z_EN: 0
; COMPUTE_PGM_RSRC2:TIDIG_COMP_CNT: 0
	.section	.text._ZN7rocprim17ROCPRIM_400000_NS6detail17trampoline_kernelINS0_14default_configENS1_25partition_config_selectorILNS1_17partition_subalgoE9EffbEEZZNS1_14partition_implILS5_9ELb0ES3_jN6thrust23THRUST_200600_302600_NS6detail15normal_iteratorINS9_10device_ptrIfEEEESE_PNS0_10empty_typeENS0_5tupleIJSE_SF_EEENSH_IJSE_SG_EEENS0_18inequality_wrapperI22is_equal_div_10_uniqueIfEEEPmJSF_EEE10hipError_tPvRmT3_T4_T5_T6_T7_T9_mT8_P12ihipStream_tbDpT10_ENKUlT_T0_E_clISt17integral_constantIbLb1EES17_IbLb0EEEEDaS13_S14_EUlS13_E_NS1_11comp_targetILNS1_3genE9ELNS1_11target_archE1100ELNS1_3gpuE3ELNS1_3repE0EEENS1_30default_config_static_selectorELNS0_4arch9wavefront6targetE0EEEvT1_,"axG",@progbits,_ZN7rocprim17ROCPRIM_400000_NS6detail17trampoline_kernelINS0_14default_configENS1_25partition_config_selectorILNS1_17partition_subalgoE9EffbEEZZNS1_14partition_implILS5_9ELb0ES3_jN6thrust23THRUST_200600_302600_NS6detail15normal_iteratorINS9_10device_ptrIfEEEESE_PNS0_10empty_typeENS0_5tupleIJSE_SF_EEENSH_IJSE_SG_EEENS0_18inequality_wrapperI22is_equal_div_10_uniqueIfEEEPmJSF_EEE10hipError_tPvRmT3_T4_T5_T6_T7_T9_mT8_P12ihipStream_tbDpT10_ENKUlT_T0_E_clISt17integral_constantIbLb1EES17_IbLb0EEEEDaS13_S14_EUlS13_E_NS1_11comp_targetILNS1_3genE9ELNS1_11target_archE1100ELNS1_3gpuE3ELNS1_3repE0EEENS1_30default_config_static_selectorELNS0_4arch9wavefront6targetE0EEEvT1_,comdat
	.protected	_ZN7rocprim17ROCPRIM_400000_NS6detail17trampoline_kernelINS0_14default_configENS1_25partition_config_selectorILNS1_17partition_subalgoE9EffbEEZZNS1_14partition_implILS5_9ELb0ES3_jN6thrust23THRUST_200600_302600_NS6detail15normal_iteratorINS9_10device_ptrIfEEEESE_PNS0_10empty_typeENS0_5tupleIJSE_SF_EEENSH_IJSE_SG_EEENS0_18inequality_wrapperI22is_equal_div_10_uniqueIfEEEPmJSF_EEE10hipError_tPvRmT3_T4_T5_T6_T7_T9_mT8_P12ihipStream_tbDpT10_ENKUlT_T0_E_clISt17integral_constantIbLb1EES17_IbLb0EEEEDaS13_S14_EUlS13_E_NS1_11comp_targetILNS1_3genE9ELNS1_11target_archE1100ELNS1_3gpuE3ELNS1_3repE0EEENS1_30default_config_static_selectorELNS0_4arch9wavefront6targetE0EEEvT1_ ; -- Begin function _ZN7rocprim17ROCPRIM_400000_NS6detail17trampoline_kernelINS0_14default_configENS1_25partition_config_selectorILNS1_17partition_subalgoE9EffbEEZZNS1_14partition_implILS5_9ELb0ES3_jN6thrust23THRUST_200600_302600_NS6detail15normal_iteratorINS9_10device_ptrIfEEEESE_PNS0_10empty_typeENS0_5tupleIJSE_SF_EEENSH_IJSE_SG_EEENS0_18inequality_wrapperI22is_equal_div_10_uniqueIfEEEPmJSF_EEE10hipError_tPvRmT3_T4_T5_T6_T7_T9_mT8_P12ihipStream_tbDpT10_ENKUlT_T0_E_clISt17integral_constantIbLb1EES17_IbLb0EEEEDaS13_S14_EUlS13_E_NS1_11comp_targetILNS1_3genE9ELNS1_11target_archE1100ELNS1_3gpuE3ELNS1_3repE0EEENS1_30default_config_static_selectorELNS0_4arch9wavefront6targetE0EEEvT1_
	.globl	_ZN7rocprim17ROCPRIM_400000_NS6detail17trampoline_kernelINS0_14default_configENS1_25partition_config_selectorILNS1_17partition_subalgoE9EffbEEZZNS1_14partition_implILS5_9ELb0ES3_jN6thrust23THRUST_200600_302600_NS6detail15normal_iteratorINS9_10device_ptrIfEEEESE_PNS0_10empty_typeENS0_5tupleIJSE_SF_EEENSH_IJSE_SG_EEENS0_18inequality_wrapperI22is_equal_div_10_uniqueIfEEEPmJSF_EEE10hipError_tPvRmT3_T4_T5_T6_T7_T9_mT8_P12ihipStream_tbDpT10_ENKUlT_T0_E_clISt17integral_constantIbLb1EES17_IbLb0EEEEDaS13_S14_EUlS13_E_NS1_11comp_targetILNS1_3genE9ELNS1_11target_archE1100ELNS1_3gpuE3ELNS1_3repE0EEENS1_30default_config_static_selectorELNS0_4arch9wavefront6targetE0EEEvT1_
	.p2align	8
	.type	_ZN7rocprim17ROCPRIM_400000_NS6detail17trampoline_kernelINS0_14default_configENS1_25partition_config_selectorILNS1_17partition_subalgoE9EffbEEZZNS1_14partition_implILS5_9ELb0ES3_jN6thrust23THRUST_200600_302600_NS6detail15normal_iteratorINS9_10device_ptrIfEEEESE_PNS0_10empty_typeENS0_5tupleIJSE_SF_EEENSH_IJSE_SG_EEENS0_18inequality_wrapperI22is_equal_div_10_uniqueIfEEEPmJSF_EEE10hipError_tPvRmT3_T4_T5_T6_T7_T9_mT8_P12ihipStream_tbDpT10_ENKUlT_T0_E_clISt17integral_constantIbLb1EES17_IbLb0EEEEDaS13_S14_EUlS13_E_NS1_11comp_targetILNS1_3genE9ELNS1_11target_archE1100ELNS1_3gpuE3ELNS1_3repE0EEENS1_30default_config_static_selectorELNS0_4arch9wavefront6targetE0EEEvT1_,@function
_ZN7rocprim17ROCPRIM_400000_NS6detail17trampoline_kernelINS0_14default_configENS1_25partition_config_selectorILNS1_17partition_subalgoE9EffbEEZZNS1_14partition_implILS5_9ELb0ES3_jN6thrust23THRUST_200600_302600_NS6detail15normal_iteratorINS9_10device_ptrIfEEEESE_PNS0_10empty_typeENS0_5tupleIJSE_SF_EEENSH_IJSE_SG_EEENS0_18inequality_wrapperI22is_equal_div_10_uniqueIfEEEPmJSF_EEE10hipError_tPvRmT3_T4_T5_T6_T7_T9_mT8_P12ihipStream_tbDpT10_ENKUlT_T0_E_clISt17integral_constantIbLb1EES17_IbLb0EEEEDaS13_S14_EUlS13_E_NS1_11comp_targetILNS1_3genE9ELNS1_11target_archE1100ELNS1_3gpuE3ELNS1_3repE0EEENS1_30default_config_static_selectorELNS0_4arch9wavefront6targetE0EEEvT1_: ; @_ZN7rocprim17ROCPRIM_400000_NS6detail17trampoline_kernelINS0_14default_configENS1_25partition_config_selectorILNS1_17partition_subalgoE9EffbEEZZNS1_14partition_implILS5_9ELb0ES3_jN6thrust23THRUST_200600_302600_NS6detail15normal_iteratorINS9_10device_ptrIfEEEESE_PNS0_10empty_typeENS0_5tupleIJSE_SF_EEENSH_IJSE_SG_EEENS0_18inequality_wrapperI22is_equal_div_10_uniqueIfEEEPmJSF_EEE10hipError_tPvRmT3_T4_T5_T6_T7_T9_mT8_P12ihipStream_tbDpT10_ENKUlT_T0_E_clISt17integral_constantIbLb1EES17_IbLb0EEEEDaS13_S14_EUlS13_E_NS1_11comp_targetILNS1_3genE9ELNS1_11target_archE1100ELNS1_3gpuE3ELNS1_3repE0EEENS1_30default_config_static_selectorELNS0_4arch9wavefront6targetE0EEEvT1_
; %bb.0:
	s_clause 0x4
	s_load_b128 s[4:7], s[0:1], 0x8
	s_load_b32 s14, s[0:1], 0x68
	s_load_b128 s[16:19], s[0:1], 0x40
	s_load_b64 s[2:3], s[0:1], 0x50
	s_load_b64 s[8:9], s[0:1], 0x18
	s_mov_b32 s21, 0
	s_mul_i32 s20, s15, 0xc00
	v_lshrrev_b32_e32 v18, 3, v0
	v_add_nc_u32_e32 v23, 0x180, v0
	v_add_nc_u32_e32 v22, 0x300, v0
	;; [unrolled: 1-line block ×3, first 2 shown]
	v_or_b32_e32 v24, 0x600, v0
	v_add_nc_u32_e32 v20, 0x780, v0
	v_add_nc_u32_e32 v17, 0x900, v0
	;; [unrolled: 1-line block ×3, first 2 shown]
	s_waitcnt lgkmcnt(0)
	s_lshl_b64 s[12:13], s[6:7], 2
	s_mul_i32 s22, s14, 0xc00
	s_add_u32 s23, s4, s12
	s_addc_u32 s24, s5, s13
	s_add_i32 s4, s22, s6
	s_load_b64 s[10:11], s[18:19], 0x0
	s_sub_i32 s19, s2, s4
	s_add_i32 s14, s14, -1
	s_addk_i32 s19, 0xc00
	s_add_u32 s4, s6, s22
	s_addc_u32 s5, s7, 0
	s_cmp_eq_u32 s15, s14
	v_cmp_ge_u64_e64 s2, s[4:5], s[2:3]
	s_cselect_b32 s14, -1, 0
	s_lshl_b64 s[4:5], s[20:21], 2
	s_mov_b32 s22, -1
	s_delay_alu instid0(VALU_DEP_1) | instskip(NEXT) | instid1(SALU_CYCLE_1)
	s_and_b32 s3, s14, s2
	s_xor_b32 s18, s3, -1
	s_add_u32 s21, s23, s4
	s_addc_u32 s20, s24, s5
	s_and_b32 vcc_lo, exec_lo, s18
	s_cbranch_vccz .LBB134_2
; %bb.1:
	v_lshlrev_b32_e32 v7, 2, v0
	v_lshrrev_b32_e32 v11, 3, v23
	v_lshrrev_b32_e32 v12, 3, v22
	;; [unrolled: 1-line block ×4, first 2 shown]
	v_add_co_u32 v1, s2, s21, v7
	s_delay_alu instid0(VALU_DEP_1) | instskip(SKIP_1) | instid1(VALU_DEP_3)
	v_add_co_ci_u32_e64 v2, null, s20, 0, s2
	v_lshrrev_b32_e32 v15, 3, v20
	v_add_co_u32 v3, vcc_lo, 0x1000, v1
	s_delay_alu instid0(VALU_DEP_3)
	v_add_co_ci_u32_e32 v4, vcc_lo, 0, v2, vcc_lo
	v_add_co_u32 v5, vcc_lo, 0x2000, v1
	v_add_co_ci_u32_e32 v6, vcc_lo, 0, v2, vcc_lo
	s_clause 0x7
	flat_load_b32 v8, v[1:2]
	flat_load_b32 v9, v[1:2] offset:1536
	flat_load_b32 v1, v[1:2] offset:3072
	;; [unrolled: 1-line block ×7, first 2 shown]
	v_and_b32_e32 v6, 60, v18
	v_lshrrev_b32_e32 v16, 3, v17
	v_lshrrev_b32_e32 v19, 3, v21
	v_and_b32_e32 v11, 0x7c, v11
	v_and_b32_e32 v12, 0xfc, v12
	;; [unrolled: 1-line block ×4, first 2 shown]
	v_add_nc_u32_e32 v6, v6, v7
	v_and_b32_e32 v15, 0x1fc, v15
	v_and_b32_e32 v16, 0x17c, v16
	;; [unrolled: 1-line block ×3, first 2 shown]
	v_add_nc_u32_e32 v11, v11, v7
	v_add_nc_u32_e32 v12, v12, v7
	;; [unrolled: 1-line block ×4, first 2 shown]
	s_mov_b32 s22, 0
	v_add_nc_u32_e32 v15, v15, v7
	v_add_nc_u32_e32 v16, v16, v7
	;; [unrolled: 1-line block ×3, first 2 shown]
	s_waitcnt vmcnt(7) lgkmcnt(0)
	ds_store_b32 v6, v8
	s_waitcnt vmcnt(6)
	ds_store_b32 v11, v9 offset:1536
	s_waitcnt vmcnt(5)
	ds_store_b32 v12, v1 offset:3072
	;; [unrolled: 2-line block ×7, first 2 shown]
	s_waitcnt lgkmcnt(0)
	s_barrier
.LBB134_2:
	v_cmp_gt_u32_e64 s2, s19, v0
	s_and_not1_b32 vcc_lo, exec_lo, s22
	s_cbranch_vccnz .LBB134_20
; %bb.3:
                                        ; implicit-def: $vgpr1_vgpr2_vgpr3_vgpr4_vgpr5_vgpr6_vgpr7_vgpr8
	s_delay_alu instid0(VALU_DEP_1)
	s_and_saveexec_b32 s22, s2
	s_cbranch_execz .LBB134_11
; %bb.4:
	v_lshlrev_b32_e32 v1, 2, v0
	s_delay_alu instid0(VALU_DEP_1) | instskip(NEXT) | instid1(VALU_DEP_1)
	v_add_co_u32 v1, s2, s21, v1
	v_add_co_ci_u32_e64 v2, null, s20, 0, s2
	flat_load_b32 v1, v[1:2]
	s_or_b32 exec_lo, exec_lo, s22
	s_delay_alu instid0(SALU_CYCLE_1)
	s_mov_b32 s2, exec_lo
	v_cmpx_gt_u32_e64 s19, v23
	s_cbranch_execnz .LBB134_12
.LBB134_5:
	s_or_b32 exec_lo, exec_lo, s2
	s_delay_alu instid0(SALU_CYCLE_1)
	s_mov_b32 s2, exec_lo
	v_cmpx_gt_u32_e64 s19, v22
	s_cbranch_execz .LBB134_13
.LBB134_6:
	v_lshlrev_b32_e32 v3, 2, v0
	s_delay_alu instid0(VALU_DEP_1) | instskip(NEXT) | instid1(VALU_DEP_1)
	v_add_co_u32 v9, s22, s21, v3
	v_add_co_ci_u32_e64 v10, null, s20, 0, s22
	flat_load_b32 v3, v[9:10] offset:3072
	s_or_b32 exec_lo, exec_lo, s2
	s_delay_alu instid0(SALU_CYCLE_1)
	s_mov_b32 s2, exec_lo
	v_cmpx_gt_u32_e64 s19, v25
	s_cbranch_execnz .LBB134_14
.LBB134_7:
	s_or_b32 exec_lo, exec_lo, s2
	s_delay_alu instid0(SALU_CYCLE_1)
	s_mov_b32 s2, exec_lo
	v_cmpx_gt_u32_e64 s19, v24
	s_cbranch_execz .LBB134_15
.LBB134_8:
	v_lshlrev_b32_e32 v5, 2, v24
	s_delay_alu instid0(VALU_DEP_1) | instskip(NEXT) | instid1(VALU_DEP_1)
	v_add_co_u32 v9, s22, s21, v5
	v_add_co_ci_u32_e64 v10, null, s20, 0, s22
	flat_load_b32 v5, v[9:10]
	s_or_b32 exec_lo, exec_lo, s2
	s_delay_alu instid0(SALU_CYCLE_1)
	s_mov_b32 s2, exec_lo
	v_cmpx_gt_u32_e64 s19, v20
	s_cbranch_execnz .LBB134_16
.LBB134_9:
	s_or_b32 exec_lo, exec_lo, s2
	s_delay_alu instid0(SALU_CYCLE_1)
	s_mov_b32 s2, exec_lo
	v_cmpx_gt_u32_e64 s19, v17
	s_cbranch_execz .LBB134_17
.LBB134_10:
	v_lshlrev_b32_e32 v7, 2, v17
	s_delay_alu instid0(VALU_DEP_1) | instskip(NEXT) | instid1(VALU_DEP_1)
	v_add_co_u32 v9, s22, s21, v7
	v_add_co_ci_u32_e64 v10, null, s20, 0, s22
	flat_load_b32 v7, v[9:10]
	s_or_b32 exec_lo, exec_lo, s2
	s_delay_alu instid0(SALU_CYCLE_1)
	s_mov_b32 s2, exec_lo
	v_cmpx_gt_u32_e64 s19, v21
	s_cbranch_execnz .LBB134_18
	s_branch .LBB134_19
.LBB134_11:
	s_or_b32 exec_lo, exec_lo, s22
	s_delay_alu instid0(SALU_CYCLE_1)
	s_mov_b32 s2, exec_lo
	v_cmpx_gt_u32_e64 s19, v23
	s_cbranch_execz .LBB134_5
.LBB134_12:
	v_lshlrev_b32_e32 v2, 2, v0
	s_delay_alu instid0(VALU_DEP_1) | instskip(NEXT) | instid1(VALU_DEP_1)
	v_add_co_u32 v9, s22, s21, v2
	v_add_co_ci_u32_e64 v10, null, s20, 0, s22
	flat_load_b32 v2, v[9:10] offset:1536
	s_or_b32 exec_lo, exec_lo, s2
	s_delay_alu instid0(SALU_CYCLE_1)
	s_mov_b32 s2, exec_lo
	v_cmpx_gt_u32_e64 s19, v22
	s_cbranch_execnz .LBB134_6
.LBB134_13:
	s_or_b32 exec_lo, exec_lo, s2
	s_delay_alu instid0(SALU_CYCLE_1)
	s_mov_b32 s2, exec_lo
	v_cmpx_gt_u32_e64 s19, v25
	s_cbranch_execz .LBB134_7
.LBB134_14:
	v_lshlrev_b32_e32 v4, 2, v25
	s_delay_alu instid0(VALU_DEP_1) | instskip(NEXT) | instid1(VALU_DEP_1)
	v_add_co_u32 v9, s22, s21, v4
	v_add_co_ci_u32_e64 v10, null, s20, 0, s22
	flat_load_b32 v4, v[9:10]
	s_or_b32 exec_lo, exec_lo, s2
	s_delay_alu instid0(SALU_CYCLE_1)
	s_mov_b32 s2, exec_lo
	v_cmpx_gt_u32_e64 s19, v24
	s_cbranch_execnz .LBB134_8
.LBB134_15:
	s_or_b32 exec_lo, exec_lo, s2
	s_delay_alu instid0(SALU_CYCLE_1)
	s_mov_b32 s2, exec_lo
	v_cmpx_gt_u32_e64 s19, v20
	s_cbranch_execz .LBB134_9
.LBB134_16:
	v_lshlrev_b32_e32 v6, 2, v20
	s_delay_alu instid0(VALU_DEP_1) | instskip(NEXT) | instid1(VALU_DEP_1)
	v_add_co_u32 v9, s22, s21, v6
	v_add_co_ci_u32_e64 v10, null, s20, 0, s22
	flat_load_b32 v6, v[9:10]
	s_or_b32 exec_lo, exec_lo, s2
	s_delay_alu instid0(SALU_CYCLE_1)
	s_mov_b32 s2, exec_lo
	v_cmpx_gt_u32_e64 s19, v17
	s_cbranch_execnz .LBB134_10
.LBB134_17:
	s_or_b32 exec_lo, exec_lo, s2
	s_delay_alu instid0(SALU_CYCLE_1)
	s_mov_b32 s2, exec_lo
	v_cmpx_gt_u32_e64 s19, v21
	s_cbranch_execz .LBB134_19
.LBB134_18:
	v_lshlrev_b32_e32 v8, 2, v21
	s_delay_alu instid0(VALU_DEP_1) | instskip(NEXT) | instid1(VALU_DEP_1)
	v_add_co_u32 v8, s22, s21, v8
	v_add_co_ci_u32_e64 v9, null, s20, 0, s22
	flat_load_b32 v8, v[8:9]
.LBB134_19:
	s_or_b32 exec_lo, exec_lo, s2
	v_lshrrev_b32_e32 v9, 3, v23
	v_lshrrev_b32_e32 v10, 3, v22
	;; [unrolled: 1-line block ×4, first 2 shown]
	v_and_b32_e32 v11, 60, v18
	v_lshlrev_b32_e32 v12, 2, v0
	v_lshrrev_b32_e32 v15, 3, v20
	v_lshrrev_b32_e32 v16, 3, v17
	;; [unrolled: 1-line block ×3, first 2 shown]
	v_and_b32_e32 v9, 0x7c, v9
	v_and_b32_e32 v10, 0xfc, v10
	;; [unrolled: 1-line block ×4, first 2 shown]
	v_add_nc_u32_e32 v11, v11, v12
	v_and_b32_e32 v15, 0x1fc, v15
	v_and_b32_e32 v16, 0x1fc, v16
	;; [unrolled: 1-line block ×3, first 2 shown]
	v_add_nc_u32_e32 v9, v9, v12
	v_add_nc_u32_e32 v10, v10, v12
	;; [unrolled: 1-line block ×7, first 2 shown]
	s_waitcnt vmcnt(0) lgkmcnt(0)
	ds_store_b32 v11, v1
	ds_store_b32 v9, v2 offset:1536
	ds_store_b32 v10, v3 offset:3072
	;; [unrolled: 1-line block ×7, first 2 shown]
	s_waitcnt lgkmcnt(0)
	s_barrier
.LBB134_20:
	v_lshlrev_b32_e32 v19, 3, v0
	v_lshrrev_b32_e32 v1, 2, v0
	s_waitcnt lgkmcnt(0)
	buffer_gl0_inv
	s_add_u32 s2, s8, s12
	s_addc_u32 s8, s9, s13
	s_add_u32 s2, s2, s4
	v_add_lshl_u32 v1, v1, v19, 2
	s_addc_u32 s4, s8, s5
	s_and_b32 vcc_lo, exec_lo, s18
	s_mov_b32 s5, -1
	ds_load_2addr_b32 v[15:16], v1 offset1:1
	ds_load_2addr_b32 v[13:14], v1 offset0:2 offset1:3
	ds_load_2addr_b32 v[11:12], v1 offset0:4 offset1:5
	;; [unrolled: 1-line block ×3, first 2 shown]
	s_waitcnt lgkmcnt(0)
	s_barrier
	buffer_gl0_inv
	s_cbranch_vccz .LBB134_22
; %bb.21:
	v_lshlrev_b32_e32 v8, 2, v0
	v_lshrrev_b32_e32 v29, 3, v23
	v_lshrrev_b32_e32 v30, 3, v22
	;; [unrolled: 1-line block ×4, first 2 shown]
	v_add_co_u32 v2, s5, s2, v8
	s_delay_alu instid0(VALU_DEP_1) | instskip(SKIP_1) | instid1(VALU_DEP_3)
	v_add_co_ci_u32_e64 v3, null, s4, 0, s5
	v_lshrrev_b32_e32 v33, 3, v20
	v_add_co_u32 v4, vcc_lo, 0x1000, v2
	s_delay_alu instid0(VALU_DEP_3)
	v_add_co_ci_u32_e32 v5, vcc_lo, 0, v3, vcc_lo
	v_add_co_u32 v6, vcc_lo, 0x2000, v2
	v_add_co_ci_u32_e32 v7, vcc_lo, 0, v3, vcc_lo
	s_clause 0x7
	flat_load_b32 v26, v[2:3]
	flat_load_b32 v27, v[2:3] offset:1536
	flat_load_b32 v2, v[2:3] offset:3072
	;; [unrolled: 1-line block ×7, first 2 shown]
	v_and_b32_e32 v7, 60, v18
	v_lshrrev_b32_e32 v34, 3, v17
	v_lshrrev_b32_e32 v35, 3, v21
	v_and_b32_e32 v29, 0x7c, v29
	v_and_b32_e32 v30, 0xfc, v30
	v_and_b32_e32 v31, 0xfc, v31
	v_and_b32_e32 v32, 0xfc, v32
	v_add_nc_u32_e32 v7, v7, v8
	v_and_b32_e32 v33, 0x1fc, v33
	v_and_b32_e32 v34, 0x17c, v34
	;; [unrolled: 1-line block ×3, first 2 shown]
	v_add_nc_u32_e32 v29, v29, v8
	v_add_nc_u32_e32 v30, v30, v8
	;; [unrolled: 1-line block ×4, first 2 shown]
	s_mov_b32 s5, 0
	v_add_nc_u32_e32 v33, v33, v8
	v_add_nc_u32_e32 v34, v34, v8
	;; [unrolled: 1-line block ×3, first 2 shown]
	s_waitcnt vmcnt(7) lgkmcnt(7)
	ds_store_b32 v7, v26
	s_waitcnt vmcnt(6) lgkmcnt(7)
	ds_store_b32 v29, v27 offset:1536
	s_waitcnt vmcnt(5) lgkmcnt(7)
	ds_store_b32 v30, v2 offset:3072
	;; [unrolled: 2-line block ×7, first 2 shown]
	s_waitcnt lgkmcnt(0)
	s_barrier
.LBB134_22:
	s_and_not1_b32 vcc_lo, exec_lo, s5
	s_cbranch_vccnz .LBB134_40
; %bb.23:
	s_mov_b32 s5, exec_lo
                                        ; implicit-def: $vgpr2
	v_cmpx_gt_u32_e64 s19, v0
	s_cbranch_execz .LBB134_25
; %bb.24:
	v_lshlrev_b32_e32 v2, 2, v0
	s_delay_alu instid0(VALU_DEP_1) | instskip(NEXT) | instid1(VALU_DEP_1)
	v_add_co_u32 v2, s8, s2, v2
	v_add_co_ci_u32_e64 v3, null, s4, 0, s8
	flat_load_b32 v2, v[2:3]
.LBB134_25:
	s_or_b32 exec_lo, exec_lo, s5
	s_delay_alu instid0(SALU_CYCLE_1)
	s_mov_b32 s5, exec_lo
                                        ; implicit-def: $vgpr3
	v_cmpx_gt_u32_e64 s19, v23
	s_cbranch_execz .LBB134_27
; %bb.26:
	v_lshlrev_b32_e32 v3, 2, v0
	s_delay_alu instid0(VALU_DEP_1) | instskip(NEXT) | instid1(VALU_DEP_1)
	v_add_co_u32 v3, s8, s2, v3
	v_add_co_ci_u32_e64 v4, null, s4, 0, s8
	flat_load_b32 v3, v[3:4] offset:1536
.LBB134_27:
	s_or_b32 exec_lo, exec_lo, s5
	s_delay_alu instid0(SALU_CYCLE_1)
	s_mov_b32 s5, exec_lo
                                        ; implicit-def: $vgpr4
	v_cmpx_gt_u32_e64 s19, v22
	s_cbranch_execz .LBB134_29
; %bb.28:
	v_lshlrev_b32_e32 v4, 2, v0
	s_delay_alu instid0(VALU_DEP_1) | instskip(NEXT) | instid1(VALU_DEP_1)
	v_add_co_u32 v4, s8, s2, v4
	v_add_co_ci_u32_e64 v5, null, s4, 0, s8
	flat_load_b32 v4, v[4:5] offset:3072
.LBB134_29:
	s_or_b32 exec_lo, exec_lo, s5
	s_delay_alu instid0(SALU_CYCLE_1)
	s_mov_b32 s5, exec_lo
                                        ; implicit-def: $vgpr5
	v_cmpx_gt_u32_e64 s19, v25
	s_cbranch_execz .LBB134_31
; %bb.30:
	v_lshlrev_b32_e32 v5, 2, v25
	s_delay_alu instid0(VALU_DEP_1) | instskip(NEXT) | instid1(VALU_DEP_1)
	v_add_co_u32 v5, s8, s2, v5
	v_add_co_ci_u32_e64 v6, null, s4, 0, s8
	flat_load_b32 v5, v[5:6]
.LBB134_31:
	s_or_b32 exec_lo, exec_lo, s5
	s_delay_alu instid0(SALU_CYCLE_1)
	s_mov_b32 s5, exec_lo
                                        ; implicit-def: $vgpr6
	v_cmpx_gt_u32_e64 s19, v24
	s_cbranch_execz .LBB134_33
; %bb.32:
	v_lshlrev_b32_e32 v6, 2, v24
	s_delay_alu instid0(VALU_DEP_1) | instskip(NEXT) | instid1(VALU_DEP_1)
	v_add_co_u32 v6, s8, s2, v6
	v_add_co_ci_u32_e64 v7, null, s4, 0, s8
	flat_load_b32 v6, v[6:7]
.LBB134_33:
	s_or_b32 exec_lo, exec_lo, s5
	s_delay_alu instid0(SALU_CYCLE_1)
	s_mov_b32 s5, exec_lo
                                        ; implicit-def: $vgpr7
	v_cmpx_gt_u32_e64 s19, v20
	s_cbranch_execz .LBB134_35
; %bb.34:
	v_lshlrev_b32_e32 v7, 2, v20
	s_delay_alu instid0(VALU_DEP_1) | instskip(NEXT) | instid1(VALU_DEP_1)
	v_add_co_u32 v7, s8, s2, v7
	v_add_co_ci_u32_e64 v8, null, s4, 0, s8
	flat_load_b32 v7, v[7:8]
.LBB134_35:
	s_or_b32 exec_lo, exec_lo, s5
	s_delay_alu instid0(SALU_CYCLE_1)
	s_mov_b32 s5, exec_lo
                                        ; implicit-def: $vgpr8
	v_cmpx_gt_u32_e64 s19, v17
	s_cbranch_execz .LBB134_37
; %bb.36:
	v_lshlrev_b32_e32 v8, 2, v17
	s_delay_alu instid0(VALU_DEP_1) | instskip(NEXT) | instid1(VALU_DEP_1)
	v_add_co_u32 v26, s8, s2, v8
	v_add_co_ci_u32_e64 v27, null, s4, 0, s8
	flat_load_b32 v8, v[26:27]
.LBB134_37:
	s_or_b32 exec_lo, exec_lo, s5
	s_delay_alu instid0(SALU_CYCLE_1)
	s_mov_b32 s5, exec_lo
                                        ; implicit-def: $vgpr26
	v_cmpx_gt_u32_e64 s19, v21
	s_cbranch_execz .LBB134_39
; %bb.38:
	v_lshlrev_b32_e32 v26, 2, v21
	s_delay_alu instid0(VALU_DEP_1) | instskip(NEXT) | instid1(VALU_DEP_1)
	v_add_co_u32 v26, s2, s2, v26
	v_add_co_ci_u32_e64 v27, null, s4, 0, s2
	flat_load_b32 v26, v[26:27]
.LBB134_39:
	s_or_b32 exec_lo, exec_lo, s5
	v_lshrrev_b32_e32 v23, 3, v23
	v_lshrrev_b32_e32 v22, 3, v22
	;; [unrolled: 1-line block ×4, first 2 shown]
	v_and_b32_e32 v18, 60, v18
	v_lshlrev_b32_e32 v27, 2, v0
	v_lshrrev_b32_e32 v20, 3, v20
	v_lshrrev_b32_e32 v17, 3, v17
	;; [unrolled: 1-line block ×3, first 2 shown]
	v_and_b32_e32 v23, 0x7c, v23
	v_and_b32_e32 v22, 0xfc, v22
	;; [unrolled: 1-line block ×4, first 2 shown]
	v_add_nc_u32_e32 v18, v18, v27
	v_and_b32_e32 v20, 0x1fc, v20
	v_and_b32_e32 v17, 0x1fc, v17
	;; [unrolled: 1-line block ×3, first 2 shown]
	v_add_nc_u32_e32 v23, v23, v27
	v_add_nc_u32_e32 v22, v22, v27
	;; [unrolled: 1-line block ×7, first 2 shown]
	s_waitcnt vmcnt(0) lgkmcnt(0)
	ds_store_b32 v18, v2
	ds_store_b32 v23, v3 offset:1536
	ds_store_b32 v22, v4 offset:3072
	;; [unrolled: 1-line block ×7, first 2 shown]
	s_waitcnt lgkmcnt(0)
	s_barrier
.LBB134_40:
	buffer_gl0_inv
	ds_load_2addr_b32 v[7:8], v1 offset1:1
	ds_load_2addr_b32 v[5:6], v1 offset0:2 offset1:3
	ds_load_2addr_b32 v[3:4], v1 offset0:4 offset1:5
	;; [unrolled: 1-line block ×3, first 2 shown]
	s_cmp_lg_u32 s15, 0
	s_waitcnt lgkmcnt(0)
	s_cselect_b32 s8, -1, 0
	s_cmp_lg_u64 s[6:7], 0
	s_barrier
	s_cselect_b32 s2, -1, 0
	buffer_gl0_inv
	s_or_b32 s2, s8, s2
	s_delay_alu instid0(SALU_CYCLE_1)
	s_and_b32 vcc_lo, exec_lo, s2
	s_mov_b32 s2, 0
	s_cbranch_vccz .LBB134_45
; %bb.41:
	v_add_co_u32 v17, s2, -4, s21
	s_delay_alu instid0(VALU_DEP_1)
	v_add_co_ci_u32_e64 v18, null, -1, s20, s2
	v_lshlrev_b32_e32 v21, 2, v0
	s_mov_b32 s2, -1
	s_and_b32 vcc_lo, exec_lo, s18
	flat_load_b32 v20, v[17:18]
	ds_store_b32 v21, v10
	s_cbranch_vccz .LBB134_46
; %bb.42:
	s_waitcnt vmcnt(0) lgkmcnt(1)
	v_mov_b32_e32 v17, v20
	s_mov_b32 s2, 0
	s_mov_b32 s4, exec_lo
	s_waitcnt lgkmcnt(0)
	s_barrier
	buffer_gl0_inv
	v_cmpx_ne_u32_e32 0, v0
	s_cbranch_execz .LBB134_44
; %bb.43:
	v_add_nc_u32_e32 v17, -4, v21
	ds_load_b32 v17, v17
.LBB134_44:
	s_or_b32 exec_lo, exec_lo, s4
	v_cvt_i32_f32_e32 v18, v9
	v_cvt_i32_f32_e32 v22, v10
	;; [unrolled: 1-line block ×5, first 2 shown]
	v_mul_hi_i32 v18, 0x66666667, v18
	v_mul_hi_i32 v22, 0x66666667, v22
	;; [unrolled: 1-line block ×4, first 2 shown]
	v_cvt_i32_f32_e32 v28, v13
	v_mul_hi_i32 v25, 0x66666667, v25
	s_waitcnt lgkmcnt(0)
	v_cvt_i32_f32_e32 v17, v17
	v_lshrrev_b32_e32 v26, 31, v18
	v_ashrrev_i32_e32 v18, 2, v18
	v_lshrrev_b32_e32 v27, 31, v22
	v_ashrrev_i32_e32 v22, 2, v22
	;; [unrolled: 2-line block ×3, first 2 shown]
	v_add_nc_u32_e32 v18, v18, v26
	v_lshrrev_b32_e32 v26, 31, v24
	v_add_nc_u32_e32 v22, v22, v27
	v_ashrrev_i32_e32 v24, 2, v24
	v_add_nc_u32_e32 v23, v23, v29
	v_mul_hi_i32 v27, 0x66666667, v28
	v_cvt_i32_f32_e32 v28, v16
	v_cmp_ne_u32_e32 vcc_lo, v18, v22
	v_add_nc_u32_e32 v24, v24, v26
	v_lshrrev_b32_e32 v26, 31, v25
	v_ashrrev_i32_e32 v25, 2, v25
	v_cvt_i32_f32_e32 v29, v15
	v_cndmask_b32_e64 v22, 0, 1, vcc_lo
	v_cmp_ne_u32_e32 vcc_lo, v23, v18
	v_mul_hi_i32 v28, 0x66666667, v28
	v_lshrrev_b32_e32 v30, 31, v27
	v_ashrrev_i32_e32 v27, 2, v27
	v_add_nc_u32_e32 v25, v25, v26
	v_cndmask_b32_e64 v18, 0, 1, vcc_lo
	v_cmp_ne_u32_e32 vcc_lo, v24, v23
	v_mul_hi_i32 v29, 0x66666667, v29
	v_add_nc_u32_e32 v26, v27, v30
	v_lshrrev_b32_e32 v27, 31, v28
	v_ashrrev_i32_e32 v28, 2, v28
	v_cndmask_b32_e64 v23, 0, 1, vcc_lo
	v_cmp_ne_u32_e32 vcc_lo, v25, v24
	v_mul_hi_i32 v17, 0x66666667, v17
	v_lshlrev_b16 v22, 8, v22
	v_lshrrev_b32_e32 v30, 31, v29
	v_ashrrev_i32_e32 v29, 2, v29
	v_cndmask_b32_e64 v24, 0, 1, vcc_lo
	v_add_nc_u32_e32 v27, v28, v27
	v_cmp_ne_u32_e32 vcc_lo, v26, v25
	v_lshlrev_b16 v23, 8, v23
	v_add_nc_u32_e32 v28, v29, v30
	v_lshrrev_b32_e32 v29, 31, v17
	v_ashrrev_i32_e32 v17, 2, v17
	v_cndmask_b32_e64 v25, 0, 1, vcc_lo
	v_cmp_ne_u32_e32 vcc_lo, v27, v26
	v_or_b32_e32 v23, v24, v23
	v_or_b32_e32 v18, v18, v22
	v_add_nc_u32_e32 v17, v17, v29
	v_lshlrev_b16 v25, 8, v25
	v_cndmask_b32_e64 v26, 0, 1, vcc_lo
	v_cmp_ne_u32_e32 vcc_lo, v28, v27
	v_and_b32_e32 v23, 0xffff, v23
	v_lshlrev_b32_e32 v18, 16, v18
	v_cmp_ne_u32_e64 s4, v17, v28
	v_or_b32_e32 v25, v26, v25
	v_cndmask_b32_e64 v27, 0, 1, vcc_lo
	s_delay_alu instid0(VALU_DEP_4) | instskip(NEXT) | instid1(VALU_DEP_3)
	v_or_b32_e32 v18, v23, v18
	v_lshlrev_b32_e32 v22, 16, v25
	s_delay_alu instid0(VALU_DEP_3) | instskip(NEXT) | instid1(VALU_DEP_1)
	v_lshlrev_b16 v26, 8, v27
	v_and_b32_e32 v24, 0xffff, v26
	s_delay_alu instid0(VALU_DEP_1)
	v_or_b32_e32 v17, v24, v22
	s_and_b32 vcc_lo, exec_lo, s2
	s_cbranch_vccnz .LBB134_47
	s_branch .LBB134_66
.LBB134_45:
                                        ; implicit-def: $sgpr4
                                        ; implicit-def: $vgpr18
	s_branch .LBB134_67
.LBB134_46:
                                        ; implicit-def: $sgpr4
                                        ; implicit-def: $vgpr18
	s_and_b32 vcc_lo, exec_lo, s2
	s_cbranch_vccz .LBB134_66
.LBB134_47:
	v_or_b32_e32 v17, 7, v19
	s_mov_b32 s2, 0
	s_mov_b32 s4, 0
	s_mov_b32 s5, exec_lo
	s_delay_alu instid0(VALU_DEP_1)
	v_cmpx_gt_u32_e64 s19, v17
	s_cbranch_execz .LBB134_49
; %bb.48:
	v_cvt_i32_f32_e32 v17, v9
	v_cvt_i32_f32_e32 v18, v10
	s_delay_alu instid0(VALU_DEP_2) | instskip(NEXT) | instid1(VALU_DEP_2)
	v_mul_hi_i32 v17, 0x66666667, v17
	v_mul_hi_i32 v18, 0x66666667, v18
	s_delay_alu instid0(VALU_DEP_2) | instskip(SKIP_1) | instid1(VALU_DEP_3)
	v_lshrrev_b32_e32 v22, 31, v17
	v_ashrrev_i32_e32 v17, 2, v17
	v_lshrrev_b32_e32 v23, 31, v18
	v_ashrrev_i32_e32 v18, 2, v18
	s_delay_alu instid0(VALU_DEP_3) | instskip(NEXT) | instid1(VALU_DEP_2)
	v_add_nc_u32_e32 v17, v17, v22
	v_add_nc_u32_e32 v18, v18, v23
	s_delay_alu instid0(VALU_DEP_1)
	v_cmp_ne_u32_e32 vcc_lo, v17, v18
	s_and_b32 s4, vcc_lo, exec_lo
.LBB134_49:
	s_or_b32 exec_lo, exec_lo, s5
	v_or_b32_e32 v17, 6, v19
	s_mov_b32 s5, exec_lo
	s_delay_alu instid0(VALU_DEP_1)
	v_cmpx_gt_u32_e64 s19, v17
	s_cbranch_execz .LBB134_51
; %bb.50:
	v_cvt_i32_f32_e32 v17, v12
	v_cvt_i32_f32_e32 v18, v9
	s_delay_alu instid0(VALU_DEP_2) | instskip(NEXT) | instid1(VALU_DEP_2)
	v_mul_hi_i32 v17, 0x66666667, v17
	v_mul_hi_i32 v18, 0x66666667, v18
	s_delay_alu instid0(VALU_DEP_2) | instskip(SKIP_1) | instid1(VALU_DEP_3)
	v_lshrrev_b32_e32 v22, 31, v17
	v_ashrrev_i32_e32 v17, 2, v17
	v_lshrrev_b32_e32 v23, 31, v18
	v_ashrrev_i32_e32 v18, 2, v18
	s_delay_alu instid0(VALU_DEP_3) | instskip(NEXT) | instid1(VALU_DEP_2)
	v_add_nc_u32_e32 v17, v17, v22
	v_add_nc_u32_e32 v18, v18, v23
	s_delay_alu instid0(VALU_DEP_1)
	v_cmp_ne_u32_e32 vcc_lo, v17, v18
	s_and_b32 s2, vcc_lo, exec_lo
.LBB134_51:
	s_or_b32 exec_lo, exec_lo, s5
	v_or_b32_e32 v17, 5, v19
	s_mov_b32 s6, 0
	s_mov_b32 s5, 0
	s_mov_b32 s7, exec_lo
	s_delay_alu instid0(VALU_DEP_1)
	v_cmpx_gt_u32_e64 s19, v17
	s_cbranch_execz .LBB134_53
; %bb.52:
	v_cvt_i32_f32_e32 v17, v11
	v_cvt_i32_f32_e32 v18, v12
	s_delay_alu instid0(VALU_DEP_2) | instskip(NEXT) | instid1(VALU_DEP_2)
	v_mul_hi_i32 v17, 0x66666667, v17
	v_mul_hi_i32 v18, 0x66666667, v18
	s_delay_alu instid0(VALU_DEP_2) | instskip(SKIP_1) | instid1(VALU_DEP_3)
	v_lshrrev_b32_e32 v22, 31, v17
	v_ashrrev_i32_e32 v17, 2, v17
	v_lshrrev_b32_e32 v23, 31, v18
	v_ashrrev_i32_e32 v18, 2, v18
	s_delay_alu instid0(VALU_DEP_3) | instskip(NEXT) | instid1(VALU_DEP_2)
	v_add_nc_u32_e32 v17, v17, v22
	v_add_nc_u32_e32 v18, v18, v23
	s_delay_alu instid0(VALU_DEP_1)
	v_cmp_ne_u32_e32 vcc_lo, v17, v18
	s_and_b32 s5, vcc_lo, exec_lo
.LBB134_53:
	s_or_b32 exec_lo, exec_lo, s7
	v_or_b32_e32 v17, 4, v19
	s_mov_b32 s7, exec_lo
	s_delay_alu instid0(VALU_DEP_1)
	v_cmpx_gt_u32_e64 s19, v17
	s_cbranch_execz .LBB134_55
; %bb.54:
	v_cvt_i32_f32_e32 v17, v14
	v_cvt_i32_f32_e32 v18, v11
	s_delay_alu instid0(VALU_DEP_2) | instskip(NEXT) | instid1(VALU_DEP_2)
	v_mul_hi_i32 v17, 0x66666667, v17
	v_mul_hi_i32 v18, 0x66666667, v18
	s_delay_alu instid0(VALU_DEP_2) | instskip(SKIP_1) | instid1(VALU_DEP_3)
	v_lshrrev_b32_e32 v22, 31, v17
	v_ashrrev_i32_e32 v17, 2, v17
	v_lshrrev_b32_e32 v23, 31, v18
	v_ashrrev_i32_e32 v18, 2, v18
	s_delay_alu instid0(VALU_DEP_3) | instskip(NEXT) | instid1(VALU_DEP_2)
	v_add_nc_u32_e32 v17, v17, v22
	v_add_nc_u32_e32 v18, v18, v23
	s_delay_alu instid0(VALU_DEP_1)
	v_cmp_ne_u32_e32 vcc_lo, v17, v18
	s_and_b32 s6, vcc_lo, exec_lo
.LBB134_55:
	s_or_b32 exec_lo, exec_lo, s7
	;; [unrolled: 50-line block ×3, first 2 shown]
	v_or_b32_e32 v17, 1, v19
	s_mov_b32 s12, 0
	s_mov_b32 s13, exec_lo
	s_delay_alu instid0(VALU_DEP_1)
	v_cmpx_gt_u32_e64 s19, v17
	s_cbranch_execz .LBB134_61
; %bb.60:
	v_cvt_i32_f32_e32 v17, v15
	v_cvt_i32_f32_e32 v18, v16
	s_delay_alu instid0(VALU_DEP_2) | instskip(NEXT) | instid1(VALU_DEP_2)
	v_mul_hi_i32 v17, 0x66666667, v17
	v_mul_hi_i32 v18, 0x66666667, v18
	s_delay_alu instid0(VALU_DEP_2) | instskip(SKIP_1) | instid1(VALU_DEP_3)
	v_lshrrev_b32_e32 v22, 31, v17
	v_ashrrev_i32_e32 v17, 2, v17
	v_lshrrev_b32_e32 v23, 31, v18
	v_ashrrev_i32_e32 v18, 2, v18
	s_delay_alu instid0(VALU_DEP_3) | instskip(NEXT) | instid1(VALU_DEP_2)
	v_add_nc_u32_e32 v17, v17, v22
	v_add_nc_u32_e32 v18, v18, v23
	s_delay_alu instid0(VALU_DEP_1)
	v_cmp_ne_u32_e32 vcc_lo, v17, v18
	s_and_b32 s12, vcc_lo, exec_lo
.LBB134_61:
	s_or_b32 exec_lo, exec_lo, s13
	s_delay_alu instid0(SALU_CYCLE_1)
	s_mov_b32 s13, exec_lo
	s_waitcnt vmcnt(0) lgkmcnt(0)
	s_barrier
	buffer_gl0_inv
	v_cmpx_ne_u32_e32 0, v0
	s_cbranch_execz .LBB134_63
; %bb.62:
	v_add_nc_u32_e32 v17, -4, v21
	ds_load_b32 v20, v17
.LBB134_63:
	s_or_b32 exec_lo, exec_lo, s13
	v_cndmask_b32_e64 v18, 0, 1, s7
	v_cndmask_b32_e64 v22, 0, 1, s5
	;; [unrolled: 1-line block ×7, first 2 shown]
	v_lshlrev_b16 v18, 8, v18
	v_lshlrev_b16 v22, 8, v22
	;; [unrolled: 1-line block ×3, first 2 shown]
	s_mov_b32 s4, 0
	v_lshlrev_b16 v25, 8, v25
	v_or_b32_e32 v18, v17, v18
	v_or_b32_e32 v21, v21, v22
	;; [unrolled: 1-line block ×3, first 2 shown]
	s_mov_b32 s2, exec_lo
	v_and_b32_e32 v17, 0xffff, v25
	v_lshlrev_b32_e32 v18, 16, v18
	v_and_b32_e32 v21, 0xffff, v21
	v_lshlrev_b32_e32 v22, 16, v22
	v_cmpx_gt_u32_e64 s19, v19
	s_cbranch_execz .LBB134_65
; %bb.64:
	s_waitcnt lgkmcnt(0)
	v_cvt_i32_f32_e32 v20, v20
	v_cvt_i32_f32_e32 v23, v15
	s_delay_alu instid0(VALU_DEP_2) | instskip(NEXT) | instid1(VALU_DEP_2)
	v_mul_hi_i32 v20, 0x66666667, v20
	v_mul_hi_i32 v23, 0x66666667, v23
	s_delay_alu instid0(VALU_DEP_2) | instskip(SKIP_1) | instid1(VALU_DEP_3)
	v_lshrrev_b32_e32 v24, 31, v20
	v_ashrrev_i32_e32 v20, 2, v20
	v_lshrrev_b32_e32 v25, 31, v23
	v_ashrrev_i32_e32 v23, 2, v23
	s_delay_alu instid0(VALU_DEP_3) | instskip(NEXT) | instid1(VALU_DEP_2)
	v_add_nc_u32_e32 v20, v20, v24
	v_add_nc_u32_e32 v23, v23, v25
	s_delay_alu instid0(VALU_DEP_1)
	v_cmp_ne_u32_e32 vcc_lo, v20, v23
	s_and_b32 s4, vcc_lo, exec_lo
.LBB134_65:
	s_or_b32 exec_lo, exec_lo, s2
	v_or_b32_e32 v17, v17, v18
	v_or_b32_e32 v18, v21, v22
.LBB134_66:
	s_mov_b32 s2, -1
	s_cbranch_execnz .LBB134_91
.LBB134_67:
	v_cvt_i32_f32_e32 v17, v9
	v_cvt_i32_f32_e32 v18, v12
	;; [unrolled: 1-line block ×6, first 2 shown]
	v_mul_hi_i32 v26, 0x66666667, v17
	v_mul_hi_i32 v25, 0x66666667, v18
	;; [unrolled: 1-line block ×6, first 2 shown]
	s_waitcnt vmcnt(0) lgkmcnt(0)
	v_lshlrev_b32_e32 v20, 2, v0
	s_and_b32 vcc_lo, exec_lo, s18
	ds_store_b32 v20, v10
	s_cbranch_vccz .LBB134_71
; %bb.68:
	v_cvt_i32_f32_e32 v17, v10
	v_lshrrev_b32_e32 v18, 31, v26
	v_ashrrev_i32_e32 v27, 2, v26
	v_lshrrev_b32_e32 v28, 31, v25
	v_ashrrev_i32_e32 v29, 2, v25
	v_mul_hi_i32 v17, 0x66666667, v17
	v_lshrrev_b32_e32 v30, 31, v24
	v_add_nc_u32_e32 v18, v27, v18
	v_ashrrev_i32_e32 v31, 2, v24
	v_add_nc_u32_e32 v27, v29, v28
	v_cvt_i32_f32_e32 v36, v15
	v_lshrrev_b32_e32 v32, 31, v23
	v_ashrrev_i32_e32 v33, 2, v23
	v_lshrrev_b32_e32 v35, 31, v17
	v_ashrrev_i32_e32 v17, 2, v17
	v_cmp_ne_u32_e32 vcc_lo, v27, v18
	v_add_nc_u32_e32 v28, v31, v30
	v_mul_hi_i32 v30, 0x66666667, v36
	v_lshrrev_b32_e32 v34, 31, v22
	v_add_nc_u32_e32 v17, v17, v35
	v_cndmask_b32_e64 v31, 0, 1, vcc_lo
	v_add_nc_u32_e32 v29, v33, v32
	v_lshrrev_b32_e32 v32, 31, v21
	v_ashrrev_i32_e32 v33, 2, v21
	v_cmp_ne_u32_e32 vcc_lo, v18, v17
	v_ashrrev_i32_e32 v18, 2, v22
	v_lshrrev_b32_e32 v35, 31, v30
	v_ashrrev_i32_e32 v30, 2, v30
	v_add_nc_u32_e32 v32, v33, v32
	v_cndmask_b32_e64 v17, 0, 1, vcc_lo
	v_cmp_ne_u32_e32 vcc_lo, v28, v27
	v_add_nc_u32_e32 v18, v18, v34
	v_add_nc_u32_e32 v27, v30, v35
	s_mov_b32 s5, 0
	v_lshlrev_b16 v17, 8, v17
	v_cndmask_b32_e64 v36, 0, 1, vcc_lo
	v_cmp_ne_u32_e32 vcc_lo, v29, v28
	s_mov_b32 s6, exec_lo
	s_waitcnt lgkmcnt(0)
	v_or_b32_e32 v17, v31, v17
	s_barrier
	v_cndmask_b32_e64 v28, 0, 1, vcc_lo
	v_cmp_ne_u32_e32 vcc_lo, v18, v29
	buffer_gl0_inv
	v_lshlrev_b32_e32 v17, 16, v17
                                        ; implicit-def: $sgpr4
	v_cndmask_b32_e64 v29, 0, 1, vcc_lo
	v_cmp_ne_u32_e32 vcc_lo, v27, v32
	s_delay_alu instid0(VALU_DEP_2) | instskip(SKIP_3) | instid1(VALU_DEP_3)
	v_lshlrev_b16 v29, 8, v29
	v_cndmask_b32_e64 v30, 0, 1, vcc_lo
	v_cmp_ne_u32_e32 vcc_lo, v32, v18
	v_lshlrev_b16 v32, 8, v36
	v_lshlrev_b16 v30, 8, v30
	v_cndmask_b32_e64 v18, 0, 1, vcc_lo
	s_delay_alu instid0(VALU_DEP_3) | instskip(NEXT) | instid1(VALU_DEP_2)
	v_or_b32_e32 v28, v28, v32
	v_or_b32_e32 v18, v18, v29
	s_delay_alu instid0(VALU_DEP_4) | instskip(NEXT) | instid1(VALU_DEP_3)
	v_or_b32_e32 v29, 1, v30
	v_and_b32_e32 v28, 0xffff, v28
	s_delay_alu instid0(VALU_DEP_3) | instskip(NEXT) | instid1(VALU_DEP_3)
	v_lshlrev_b32_e32 v30, 16, v18
	v_and_b32_e32 v29, 0xffff, v29
	s_delay_alu instid0(VALU_DEP_3) | instskip(NEXT) | instid1(VALU_DEP_2)
	v_or_b32_e32 v18, v28, v17
	v_or_b32_e32 v17, v29, v30
	v_cmpx_ne_u32_e32 0, v0
	s_xor_b32 s6, exec_lo, s6
	s_cbranch_execz .LBB134_70
; %bb.69:
	v_add_nc_u32_e32 v28, -4, v20
	s_or_b32 s2, s2, exec_lo
	ds_load_b32 v28, v28
	s_waitcnt lgkmcnt(0)
	v_cvt_i32_f32_e32 v28, v28
	s_delay_alu instid0(VALU_DEP_1) | instskip(NEXT) | instid1(VALU_DEP_1)
	v_mul_hi_i32 v28, 0x66666667, v28
	v_lshrrev_b32_e32 v29, 31, v28
	v_ashrrev_i32_e32 v28, 2, v28
	s_delay_alu instid0(VALU_DEP_1) | instskip(NEXT) | instid1(VALU_DEP_1)
	v_add_nc_u32_e32 v28, v28, v29
	v_cmp_ne_u32_e32 vcc_lo, v28, v27
	s_and_b32 s4, vcc_lo, exec_lo
.LBB134_70:
	s_or_b32 exec_lo, exec_lo, s6
	s_delay_alu instid0(SALU_CYCLE_1)
	s_and_b32 vcc_lo, exec_lo, s5
	s_cbranch_vccnz .LBB134_72
	s_branch .LBB134_91
.LBB134_71:
                                        ; implicit-def: $sgpr4
                                        ; implicit-def: $vgpr18
	s_cbranch_execz .LBB134_91
.LBB134_72:
	v_or_b32_e32 v17, 7, v19
	s_mov_b32 s4, 0
	s_mov_b32 s5, 0
	s_mov_b32 s6, exec_lo
	s_delay_alu instid0(VALU_DEP_1)
	v_cmpx_gt_u32_e64 s19, v17
; %bb.73:
	v_cvt_i32_f32_e32 v17, v10
	v_lshrrev_b32_e32 v18, 31, v26
	v_ashrrev_i32_e32 v27, 2, v26
	s_delay_alu instid0(VALU_DEP_3) | instskip(NEXT) | instid1(VALU_DEP_2)
	v_mul_hi_i32 v17, 0x66666667, v17
	v_add_nc_u32_e32 v18, v27, v18
	s_delay_alu instid0(VALU_DEP_2) | instskip(SKIP_1) | instid1(VALU_DEP_1)
	v_lshrrev_b32_e32 v28, 31, v17
	v_ashrrev_i32_e32 v17, 2, v17
	v_add_nc_u32_e32 v17, v17, v28
	s_delay_alu instid0(VALU_DEP_1)
	v_cmp_ne_u32_e32 vcc_lo, v18, v17
	s_and_b32 s5, vcc_lo, exec_lo
; %bb.74:
	s_or_b32 exec_lo, exec_lo, s6
	v_or_b32_e32 v17, 6, v19
	s_mov_b32 s6, exec_lo
	s_delay_alu instid0(VALU_DEP_1)
	v_cmpx_gt_u32_e64 s19, v17
; %bb.75:
	v_lshrrev_b32_e32 v17, 31, v25
	v_ashrrev_i32_e32 v18, 2, v25
	v_lshrrev_b32_e32 v27, 31, v26
	v_ashrrev_i32_e32 v26, 2, v26
	s_delay_alu instid0(VALU_DEP_3) | instskip(NEXT) | instid1(VALU_DEP_2)
	v_add_nc_u32_e32 v17, v18, v17
	v_add_nc_u32_e32 v18, v26, v27
	s_delay_alu instid0(VALU_DEP_1)
	v_cmp_ne_u32_e32 vcc_lo, v17, v18
	s_and_b32 s4, vcc_lo, exec_lo
; %bb.76:
	s_or_b32 exec_lo, exec_lo, s6
	v_or_b32_e32 v17, 5, v19
	s_mov_b32 s6, 0
	s_mov_b32 s7, 0
	s_mov_b32 s9, exec_lo
	s_delay_alu instid0(VALU_DEP_1)
	v_cmpx_gt_u32_e64 s19, v17
; %bb.77:
	v_lshrrev_b32_e32 v17, 31, v24
	v_ashrrev_i32_e32 v18, 2, v24
	v_lshrrev_b32_e32 v26, 31, v25
	v_ashrrev_i32_e32 v25, 2, v25
	s_delay_alu instid0(VALU_DEP_3) | instskip(NEXT) | instid1(VALU_DEP_2)
	v_add_nc_u32_e32 v17, v18, v17
	v_add_nc_u32_e32 v18, v25, v26
	s_delay_alu instid0(VALU_DEP_1)
	v_cmp_ne_u32_e32 vcc_lo, v17, v18
	s_and_b32 s7, vcc_lo, exec_lo
; %bb.78:
	s_or_b32 exec_lo, exec_lo, s9
	v_or_b32_e32 v17, 4, v19
	s_mov_b32 s9, exec_lo
	s_delay_alu instid0(VALU_DEP_1)
	v_cmpx_gt_u32_e64 s19, v17
; %bb.79:
	v_lshrrev_b32_e32 v17, 31, v23
	v_ashrrev_i32_e32 v18, 2, v23
	v_lshrrev_b32_e32 v25, 31, v24
	v_ashrrev_i32_e32 v24, 2, v24
	s_delay_alu instid0(VALU_DEP_3) | instskip(NEXT) | instid1(VALU_DEP_2)
	v_add_nc_u32_e32 v17, v18, v17
	v_add_nc_u32_e32 v18, v24, v25
	s_delay_alu instid0(VALU_DEP_1)
	v_cmp_ne_u32_e32 vcc_lo, v17, v18
	s_and_b32 s6, vcc_lo, exec_lo
; %bb.80:
	s_or_b32 exec_lo, exec_lo, s9
	v_or_b32_e32 v17, 3, v19
	s_mov_b32 s12, 0
	s_mov_b32 s9, 0
	s_mov_b32 s13, exec_lo
	s_delay_alu instid0(VALU_DEP_1)
	v_cmpx_gt_u32_e64 s19, v17
; %bb.81:
	v_lshrrev_b32_e32 v17, 31, v22
	v_ashrrev_i32_e32 v18, 2, v22
	v_lshrrev_b32_e32 v24, 31, v23
	v_ashrrev_i32_e32 v23, 2, v23
	s_delay_alu instid0(VALU_DEP_3) | instskip(NEXT) | instid1(VALU_DEP_2)
	v_add_nc_u32_e32 v17, v18, v17
	v_add_nc_u32_e32 v18, v23, v24
	s_delay_alu instid0(VALU_DEP_1)
	v_cmp_ne_u32_e32 vcc_lo, v17, v18
	s_and_b32 s9, vcc_lo, exec_lo
; %bb.82:
	s_or_b32 exec_lo, exec_lo, s13
	v_or_b32_e32 v17, 2, v19
	s_mov_b32 s13, exec_lo
	s_delay_alu instid0(VALU_DEP_1)
	v_cmpx_gt_u32_e64 s19, v17
; %bb.83:
	v_lshrrev_b32_e32 v17, 31, v21
	v_ashrrev_i32_e32 v18, 2, v21
	v_lshrrev_b32_e32 v23, 31, v22
	v_ashrrev_i32_e32 v22, 2, v22
	s_delay_alu instid0(VALU_DEP_3) | instskip(NEXT) | instid1(VALU_DEP_2)
	v_add_nc_u32_e32 v17, v18, v17
	v_add_nc_u32_e32 v18, v22, v23
	s_delay_alu instid0(VALU_DEP_1)
	v_cmp_ne_u32_e32 vcc_lo, v17, v18
	s_and_b32 s12, vcc_lo, exec_lo
; %bb.84:
	s_or_b32 exec_lo, exec_lo, s13
	v_or_b32_e32 v17, 1, v19
	s_mov_b32 s20, 0
	s_mov_b32 s13, exec_lo
	s_delay_alu instid0(VALU_DEP_1)
	v_cmpx_gt_u32_e64 s19, v17
; %bb.85:
	v_cvt_i32_f32_e32 v17, v15
	v_lshrrev_b32_e32 v18, 31, v21
	v_ashrrev_i32_e32 v21, 2, v21
	s_delay_alu instid0(VALU_DEP_3) | instskip(NEXT) | instid1(VALU_DEP_2)
	v_mul_hi_i32 v17, 0x66666667, v17
	v_add_nc_u32_e32 v18, v21, v18
	s_delay_alu instid0(VALU_DEP_2) | instskip(SKIP_1) | instid1(VALU_DEP_1)
	v_lshrrev_b32_e32 v22, 31, v17
	v_ashrrev_i32_e32 v17, 2, v17
	v_add_nc_u32_e32 v17, v17, v22
	s_delay_alu instid0(VALU_DEP_1)
	v_cmp_ne_u32_e32 vcc_lo, v17, v18
	s_and_b32 s20, vcc_lo, exec_lo
; %bb.86:
	s_or_b32 exec_lo, exec_lo, s13
	v_cndmask_b32_e64 v18, 0, 1, s9
	v_cndmask_b32_e64 v21, 0, 1, s7
	;; [unrolled: 1-line block ×7, first 2 shown]
	v_lshlrev_b16 v21, 8, v21
	v_lshlrev_b16 v22, 8, v22
	;; [unrolled: 1-line block ×4, first 2 shown]
	s_mov_b32 s5, exec_lo
	v_or_b32_e32 v21, v24, v21
	v_or_b32_e32 v22, v25, v22
	;; [unrolled: 1-line block ×4, first 2 shown]
	s_waitcnt lgkmcnt(0)
	v_and_b32_e32 v18, 0xffff, v21
	v_lshlrev_b32_e32 v21, 16, v22
	v_and_b32_e32 v22, 0xffff, v23
	v_lshlrev_b32_e32 v17, 16, v17
	s_barrier
	buffer_gl0_inv
	v_or_b32_e32 v18, v18, v21
                                        ; implicit-def: $sgpr4
	v_or_b32_e32 v17, v22, v17
	v_cmpx_ne_u32_e32 0, v0
	s_cbranch_execz .LBB134_90
; %bb.87:
	s_mov_b32 s6, 0
	s_mov_b32 s4, exec_lo
	v_cmpx_gt_u32_e64 s19, v19
	s_cbranch_execz .LBB134_89
; %bb.88:
	v_add_nc_u32_e32 v20, -4, v20
	v_cvt_i32_f32_e32 v21, v15
	ds_load_b32 v20, v20
	v_mul_hi_i32 v21, 0x66666667, v21
	s_delay_alu instid0(VALU_DEP_1) | instskip(SKIP_1) | instid1(VALU_DEP_1)
	v_lshrrev_b32_e32 v22, 31, v21
	v_ashrrev_i32_e32 v21, 2, v21
	v_add_nc_u32_e32 v21, v21, v22
	s_waitcnt lgkmcnt(0)
	v_cvt_i32_f32_e32 v20, v20
	s_delay_alu instid0(VALU_DEP_1) | instskip(NEXT) | instid1(VALU_DEP_1)
	v_mul_hi_i32 v20, 0x66666667, v20
	v_lshrrev_b32_e32 v23, 31, v20
	v_ashrrev_i32_e32 v20, 2, v20
	s_delay_alu instid0(VALU_DEP_1) | instskip(NEXT) | instid1(VALU_DEP_1)
	v_add_nc_u32_e32 v20, v20, v23
	v_cmp_ne_u32_e32 vcc_lo, v20, v21
	s_and_b32 s6, vcc_lo, exec_lo
.LBB134_89:
	s_or_b32 exec_lo, exec_lo, s4
	s_delay_alu instid0(SALU_CYCLE_1)
	s_and_b32 s4, s6, exec_lo
	s_or_b32 s2, s2, exec_lo
.LBB134_90:
	s_or_b32 exec_lo, exec_lo, s5
.LBB134_91:
	s_and_saveexec_b32 s5, s2
	s_cbranch_execz .LBB134_93
; %bb.92:
	s_waitcnt vmcnt(0) lgkmcnt(0)
	v_and_b32_e32 v20, 0xffffff00, v17
	v_cndmask_b32_e64 v21, 0, 1, s4
	s_delay_alu instid0(VALU_DEP_1) | instskip(NEXT) | instid1(VALU_DEP_1)
	v_or_b32_e32 v20, v21, v20
	v_and_b32_e32 v20, 0xffff, v20
	s_delay_alu instid0(VALU_DEP_1)
	v_and_or_b32 v17, 0xffff0000, v17, v20
.LBB134_93:
	s_or_b32 exec_lo, exec_lo, s5
	s_load_b64 s[12:13], s[0:1], 0x60
	s_and_not1_b32 vcc_lo, exec_lo, s3
	s_cbranch_vccnz .LBB134_95
; %bb.94:
	v_cmp_gt_u32_e32 vcc_lo, s19, v19
	v_or_b32_e32 v21, 1, v19
	v_and_b32_e32 v22, 0xffffff00, v18
	v_or_b32_e32 v23, 2, v19
	s_waitcnt vmcnt(0) lgkmcnt(0)
	v_cndmask_b32_e32 v20, 0, v17, vcc_lo
	v_cmp_gt_u32_e32 vcc_lo, s19, v21
	v_or_b32_e32 v21, 4, v19
	v_cmp_gt_u32_e64 s2, s19, v23
	v_or_b32_e32 v23, 3, v19
	v_and_b32_e32 v20, 0xff, v20
	s_delay_alu instid0(VALU_DEP_2) | instskip(NEXT) | instid1(VALU_DEP_2)
	v_cmp_gt_u32_e64 s3, s19, v23
	v_cndmask_b32_e32 v20, v20, v17, vcc_lo
	v_cmp_gt_u32_e32 vcc_lo, s19, v21
	s_delay_alu instid0(VALU_DEP_2) | instskip(SKIP_1) | instid1(VALU_DEP_2)
	v_dual_cndmask_b32 v21, v22, v18 :: v_dual_and_b32 v20, 0xffff, v20
	v_or_b32_e32 v22, 5, v19
	v_cndmask_b32_e64 v20, v20, v17, s2
	s_delay_alu instid0(VALU_DEP_3) | instskip(NEXT) | instid1(VALU_DEP_3)
	v_and_b32_e32 v21, 0xffff00ff, v21
	v_cmp_gt_u32_e64 s2, s19, v22
	v_or_b32_e32 v22, 6, v19
	v_or_b32_e32 v19, 7, v19
	v_and_b32_e32 v20, 0xffffff, v20
	s_delay_alu instid0(VALU_DEP_4) | instskip(NEXT) | instid1(VALU_DEP_2)
	v_cndmask_b32_e64 v21, v21, v18, s2
	v_cndmask_b32_e64 v20, v20, v17, s3
	s_delay_alu instid0(VALU_DEP_2) | instskip(NEXT) | instid1(VALU_DEP_2)
	v_and_b32_e32 v21, 0xff00ffff, v21
	v_cndmask_b32_e32 v20, v20, v17, vcc_lo
	v_cmp_gt_u32_e32 vcc_lo, s19, v22
	s_delay_alu instid0(VALU_DEP_2) | instskip(NEXT) | instid1(VALU_DEP_1)
	v_cndmask_b32_e64 v20, v20, v17, s2
	v_dual_cndmask_b32 v21, v21, v18 :: v_dual_cndmask_b32 v20, v20, v17
	s_delay_alu instid0(VALU_DEP_1) | instskip(SKIP_1) | instid1(VALU_DEP_2)
	v_and_b32_e32 v21, 0xffffff, v21
	v_cmp_gt_u32_e32 vcc_lo, s19, v19
	v_dual_cndmask_b32 v18, v21, v18 :: v_dual_cndmask_b32 v17, v20, v17
.LBB134_95:
	s_delay_alu instid0(VALU_DEP_1) | instskip(NEXT) | instid1(VALU_DEP_2)
	v_and_b32_e32 v28, 0xff, v17
	v_alignbit_b32 v19, v18, v17, 24
	v_bfe_u32 v30, v17, 8, 8
	v_bfe_u32 v32, v17, 16, 8
	v_and_b32_e32 v36, 0xff, v18
	v_bfe_u32 v38, v18, 8, 8
	v_and_b32_e32 v34, 0xff, v19
	v_add_nc_u32_e32 v19, v30, v28
	s_waitcnt vmcnt(0) lgkmcnt(0)
	v_and_b32_e32 v20, 0x1e0, v0
	v_mbcnt_lo_u32_b32 v41, -1, 0
	v_bfe_u32 v40, v18, 16, 8
	v_lshrrev_b32_e32 v39, 24, v18
	v_add3_u32 v19, v19, v32, v34
	v_min_u32_e32 v20, 0x160, v20
	v_and_b32_e32 v21, 15, v41
	v_lshrrev_b32_e32 v42, 5, v0
	s_and_b32 vcc_lo, exec_lo, s8
	v_add3_u32 v19, v19, v36, v38
	v_or_b32_e32 v20, 31, v20
	v_cmp_eq_u32_e64 s4, 0, v21
	v_cmp_lt_u32_e64 s5, 1, v21
	v_cmp_lt_u32_e64 s3, 3, v21
	v_add3_u32 v43, v19, v40, v39
	v_and_b32_e32 v19, 16, v41
	v_cmp_lt_u32_e64 s2, 7, v21
	v_cmp_eq_u32_e64 s6, v20, v0
	s_mov_b32 s8, -1
	s_delay_alu instid0(VALU_DEP_3)
	v_cmp_eq_u32_e64 s7, 0, v19
	s_barrier
	buffer_gl0_inv
	s_cbranch_vccz .LBB134_126
; %bb.96:
	v_mov_b32_dpp v19, v43 row_shr:1 row_mask:0xf bank_mask:0xf
	s_delay_alu instid0(VALU_DEP_1) | instskip(NEXT) | instid1(VALU_DEP_1)
	v_cndmask_b32_e64 v19, v19, 0, s4
	v_add_nc_u32_e32 v19, v19, v43
	s_delay_alu instid0(VALU_DEP_1) | instskip(NEXT) | instid1(VALU_DEP_1)
	v_mov_b32_dpp v20, v19 row_shr:2 row_mask:0xf bank_mask:0xf
	v_cndmask_b32_e64 v20, 0, v20, s5
	s_delay_alu instid0(VALU_DEP_1) | instskip(NEXT) | instid1(VALU_DEP_1)
	v_add_nc_u32_e32 v19, v19, v20
	v_mov_b32_dpp v20, v19 row_shr:4 row_mask:0xf bank_mask:0xf
	s_delay_alu instid0(VALU_DEP_1) | instskip(NEXT) | instid1(VALU_DEP_1)
	v_cndmask_b32_e64 v20, 0, v20, s3
	v_add_nc_u32_e32 v19, v19, v20
	s_delay_alu instid0(VALU_DEP_1) | instskip(NEXT) | instid1(VALU_DEP_1)
	v_mov_b32_dpp v20, v19 row_shr:8 row_mask:0xf bank_mask:0xf
	v_cndmask_b32_e64 v20, 0, v20, s2
	s_delay_alu instid0(VALU_DEP_1) | instskip(SKIP_3) | instid1(VALU_DEP_1)
	v_add_nc_u32_e32 v19, v19, v20
	ds_swizzle_b32 v20, v19 offset:swizzle(BROADCAST,32,15)
	s_waitcnt lgkmcnt(0)
	v_cndmask_b32_e64 v20, v20, 0, s7
	v_add_nc_u32_e32 v19, v19, v20
	s_and_saveexec_b32 s8, s6
	s_cbranch_execz .LBB134_98
; %bb.97:
	v_lshlrev_b32_e32 v20, 2, v42
	ds_store_b32 v20, v19
.LBB134_98:
	s_or_b32 exec_lo, exec_lo, s8
	s_delay_alu instid0(SALU_CYCLE_1)
	s_mov_b32 s8, exec_lo
	s_waitcnt lgkmcnt(0)
	s_barrier
	buffer_gl0_inv
	v_cmpx_gt_u32_e32 12, v0
	s_cbranch_execz .LBB134_100
; %bb.99:
	v_lshlrev_b32_e32 v20, 2, v0
	ds_load_b32 v21, v20
	s_waitcnt lgkmcnt(0)
	v_mov_b32_dpp v22, v21 row_shr:1 row_mask:0xf bank_mask:0xf
	s_delay_alu instid0(VALU_DEP_1) | instskip(NEXT) | instid1(VALU_DEP_1)
	v_cndmask_b32_e64 v22, v22, 0, s4
	v_add_nc_u32_e32 v21, v22, v21
	s_delay_alu instid0(VALU_DEP_1) | instskip(NEXT) | instid1(VALU_DEP_1)
	v_mov_b32_dpp v22, v21 row_shr:2 row_mask:0xf bank_mask:0xf
	v_cndmask_b32_e64 v22, 0, v22, s5
	s_delay_alu instid0(VALU_DEP_1) | instskip(NEXT) | instid1(VALU_DEP_1)
	v_add_nc_u32_e32 v21, v21, v22
	v_mov_b32_dpp v22, v21 row_shr:4 row_mask:0xf bank_mask:0xf
	s_delay_alu instid0(VALU_DEP_1) | instskip(NEXT) | instid1(VALU_DEP_1)
	v_cndmask_b32_e64 v22, 0, v22, s3
	v_add_nc_u32_e32 v21, v21, v22
	s_delay_alu instid0(VALU_DEP_1) | instskip(NEXT) | instid1(VALU_DEP_1)
	v_mov_b32_dpp v22, v21 row_shr:8 row_mask:0xf bank_mask:0xf
	v_cndmask_b32_e64 v22, 0, v22, s2
	s_delay_alu instid0(VALU_DEP_1)
	v_add_nc_u32_e32 v21, v21, v22
	ds_store_b32 v20, v21
.LBB134_100:
	s_or_b32 exec_lo, exec_lo, s8
	v_cmp_gt_u32_e32 vcc_lo, 32, v0
	s_mov_b32 s9, exec_lo
	s_waitcnt lgkmcnt(0)
	s_barrier
	buffer_gl0_inv
                                        ; implicit-def: $vgpr27
	v_cmpx_lt_u32_e32 31, v0
	s_cbranch_execz .LBB134_102
; %bb.101:
	v_lshl_add_u32 v20, v42, 2, -4
	ds_load_b32 v27, v20
	s_waitcnt lgkmcnt(0)
	v_add_nc_u32_e32 v19, v27, v19
.LBB134_102:
	s_or_b32 exec_lo, exec_lo, s9
	v_add_nc_u32_e32 v20, -1, v41
	s_delay_alu instid0(VALU_DEP_1) | instskip(NEXT) | instid1(VALU_DEP_1)
	v_cmp_gt_i32_e64 s8, 0, v20
	v_cndmask_b32_e64 v20, v20, v41, s8
	v_cmp_eq_u32_e64 s8, 0, v41
	s_delay_alu instid0(VALU_DEP_2)
	v_lshlrev_b32_e32 v20, 2, v20
	ds_bpermute_b32 v29, v20, v19
	s_and_saveexec_b32 s9, vcc_lo
	s_cbranch_execz .LBB134_125
; %bb.103:
	v_mov_b32_e32 v23, 0
	ds_load_b32 v19, v23 offset:44
	s_and_saveexec_b32 s19, s8
	s_cbranch_execz .LBB134_105
; %bb.104:
	s_add_i32 s20, s15, 32
	s_mov_b32 s21, 0
	v_mov_b32_e32 v20, 1
	s_lshl_b64 s[20:21], s[20:21], 3
	s_delay_alu instid0(SALU_CYCLE_1)
	s_add_u32 s20, s12, s20
	s_addc_u32 s21, s13, s21
	s_waitcnt lgkmcnt(0)
	global_store_b64 v23, v[19:20], s[20:21]
.LBB134_105:
	s_or_b32 exec_lo, exec_lo, s19
	v_xad_u32 v21, v41, -1, s15
	s_mov_b32 s20, 0
	s_mov_b32 s19, exec_lo
	s_delay_alu instid0(VALU_DEP_1) | instskip(NEXT) | instid1(VALU_DEP_1)
	v_add_nc_u32_e32 v22, 32, v21
	v_lshlrev_b64 v[22:23], 3, v[22:23]
	s_delay_alu instid0(VALU_DEP_1) | instskip(NEXT) | instid1(VALU_DEP_2)
	v_add_co_u32 v25, vcc_lo, s12, v22
	v_add_co_ci_u32_e32 v26, vcc_lo, s13, v23, vcc_lo
	global_load_b64 v[23:24], v[25:26], off glc
	s_waitcnt vmcnt(0)
	v_and_b32_e32 v20, 0xff, v24
	s_delay_alu instid0(VALU_DEP_1)
	v_cmpx_eq_u16_e32 0, v20
	s_cbranch_execz .LBB134_111
; %bb.106:
	s_mov_b32 s21, 1
	.p2align	6
.LBB134_107:                            ; =>This Loop Header: Depth=1
                                        ;     Child Loop BB134_108 Depth 2
	s_delay_alu instid0(SALU_CYCLE_1)
	s_max_u32 s22, s21, 1
.LBB134_108:                            ;   Parent Loop BB134_107 Depth=1
                                        ; =>  This Inner Loop Header: Depth=2
	s_delay_alu instid0(SALU_CYCLE_1)
	s_add_i32 s22, s22, -1
	s_sleep 1
	s_cmp_eq_u32 s22, 0
	s_cbranch_scc0 .LBB134_108
; %bb.109:                              ;   in Loop: Header=BB134_107 Depth=1
	global_load_b64 v[23:24], v[25:26], off glc
	s_cmp_lt_u32 s21, 32
	s_cselect_b32 s22, -1, 0
	s_delay_alu instid0(SALU_CYCLE_1) | instskip(SKIP_3) | instid1(VALU_DEP_1)
	s_cmp_lg_u32 s22, 0
	s_addc_u32 s21, s21, 0
	s_waitcnt vmcnt(0)
	v_and_b32_e32 v20, 0xff, v24
	v_cmp_ne_u16_e32 vcc_lo, 0, v20
	s_or_b32 s20, vcc_lo, s20
	s_delay_alu instid0(SALU_CYCLE_1)
	s_and_not1_b32 exec_lo, exec_lo, s20
	s_cbranch_execnz .LBB134_107
; %bb.110:
	s_or_b32 exec_lo, exec_lo, s20
.LBB134_111:
	s_delay_alu instid0(SALU_CYCLE_1)
	s_or_b32 exec_lo, exec_lo, s19
	v_cmp_ne_u32_e32 vcc_lo, 31, v41
	v_lshlrev_b32_e64 v33, v41, -1
	v_add_nc_u32_e32 v37, 2, v41
	v_add_nc_u32_e32 v45, 4, v41
	;; [unrolled: 1-line block ×3, first 2 shown]
	v_add_co_ci_u32_e32 v20, vcc_lo, 0, v41, vcc_lo
	v_add_nc_u32_e32 v49, 16, v41
	s_delay_alu instid0(VALU_DEP_2)
	v_lshlrev_b32_e32 v31, 2, v20
	v_and_b32_e32 v20, 0xff, v24
	ds_bpermute_b32 v22, v31, v23
	v_cmp_eq_u16_e32 vcc_lo, 2, v20
	v_and_or_b32 v20, vcc_lo, v33, 0x80000000
	v_cmp_gt_u32_e32 vcc_lo, 30, v41
	s_delay_alu instid0(VALU_DEP_2) | instskip(SKIP_1) | instid1(VALU_DEP_2)
	v_ctz_i32_b32_e32 v20, v20
	v_cndmask_b32_e64 v25, 0, 1, vcc_lo
	v_cmp_lt_u32_e32 vcc_lo, v41, v20
	s_waitcnt lgkmcnt(0)
	s_delay_alu instid0(VALU_DEP_2) | instskip(NEXT) | instid1(VALU_DEP_1)
	v_dual_cndmask_b32 v22, 0, v22 :: v_dual_lshlrev_b32 v25, 1, v25
	v_add_lshl_u32 v35, v25, v41, 2
	v_cmp_gt_u32_e32 vcc_lo, 28, v41
	s_delay_alu instid0(VALU_DEP_3) | instskip(SKIP_4) | instid1(VALU_DEP_1)
	v_add_nc_u32_e32 v22, v22, v23
	v_cndmask_b32_e64 v25, 0, 1, vcc_lo
	v_cmp_le_u32_e32 vcc_lo, v37, v20
	ds_bpermute_b32 v23, v35, v22
	v_lshlrev_b32_e32 v25, 2, v25
	v_add_lshl_u32 v44, v25, v41, 2
	s_waitcnt lgkmcnt(0)
	v_cndmask_b32_e32 v23, 0, v23, vcc_lo
	v_cmp_gt_u32_e32 vcc_lo, 24, v41
	s_delay_alu instid0(VALU_DEP_2) | instskip(SKIP_4) | instid1(VALU_DEP_1)
	v_add_nc_u32_e32 v22, v22, v23
	v_cndmask_b32_e64 v25, 0, 1, vcc_lo
	v_cmp_le_u32_e32 vcc_lo, v45, v20
	ds_bpermute_b32 v23, v44, v22
	v_lshlrev_b32_e32 v25, 3, v25
	v_add_lshl_u32 v46, v25, v41, 2
	s_waitcnt lgkmcnt(0)
	v_cndmask_b32_e32 v23, 0, v23, vcc_lo
	v_cmp_gt_u32_e32 vcc_lo, 16, v41
	s_delay_alu instid0(VALU_DEP_2) | instskip(SKIP_4) | instid1(VALU_DEP_1)
	v_add_nc_u32_e32 v22, v22, v23
	v_cndmask_b32_e64 v25, 0, 1, vcc_lo
	v_cmp_le_u32_e32 vcc_lo, v47, v20
	ds_bpermute_b32 v23, v46, v22
	v_lshlrev_b32_e32 v25, 4, v25
	v_add_lshl_u32 v48, v25, v41, 2
	s_waitcnt lgkmcnt(0)
	v_cndmask_b32_e32 v23, 0, v23, vcc_lo
	v_cmp_le_u32_e32 vcc_lo, v49, v20
	s_delay_alu instid0(VALU_DEP_2) | instskip(SKIP_3) | instid1(VALU_DEP_1)
	v_add_nc_u32_e32 v22, v22, v23
	ds_bpermute_b32 v23, v48, v22
	s_waitcnt lgkmcnt(0)
	v_cndmask_b32_e32 v20, 0, v23, vcc_lo
	v_dual_mov_b32 v22, 0 :: v_dual_add_nc_u32 v23, v22, v20
	s_branch .LBB134_113
.LBB134_112:                            ;   in Loop: Header=BB134_113 Depth=1
	s_or_b32 exec_lo, exec_lo, s19
	ds_bpermute_b32 v26, v31, v23
	v_and_b32_e32 v25, 0xff, v24
	v_subrev_nc_u32_e32 v21, 32, v21
	s_delay_alu instid0(VALU_DEP_2) | instskip(SKIP_1) | instid1(VALU_DEP_1)
	v_cmp_eq_u16_e32 vcc_lo, 2, v25
	v_and_or_b32 v25, vcc_lo, v33, 0x80000000
	v_ctz_i32_b32_e32 v25, v25
	s_delay_alu instid0(VALU_DEP_1) | instskip(SKIP_3) | instid1(VALU_DEP_2)
	v_cmp_lt_u32_e32 vcc_lo, v41, v25
	s_waitcnt lgkmcnt(0)
	v_cndmask_b32_e32 v26, 0, v26, vcc_lo
	v_cmp_le_u32_e32 vcc_lo, v37, v25
	v_add_nc_u32_e32 v23, v26, v23
	ds_bpermute_b32 v26, v35, v23
	s_waitcnt lgkmcnt(0)
	v_cndmask_b32_e32 v26, 0, v26, vcc_lo
	v_cmp_le_u32_e32 vcc_lo, v45, v25
	s_delay_alu instid0(VALU_DEP_2) | instskip(SKIP_4) | instid1(VALU_DEP_2)
	v_add_nc_u32_e32 v23, v23, v26
	ds_bpermute_b32 v26, v44, v23
	s_waitcnt lgkmcnt(0)
	v_cndmask_b32_e32 v26, 0, v26, vcc_lo
	v_cmp_le_u32_e32 vcc_lo, v47, v25
	v_add_nc_u32_e32 v23, v23, v26
	ds_bpermute_b32 v26, v46, v23
	s_waitcnt lgkmcnt(0)
	v_cndmask_b32_e32 v26, 0, v26, vcc_lo
	v_cmp_le_u32_e32 vcc_lo, v49, v25
	s_delay_alu instid0(VALU_DEP_2) | instskip(SKIP_3) | instid1(VALU_DEP_1)
	v_add_nc_u32_e32 v23, v23, v26
	ds_bpermute_b32 v26, v48, v23
	s_waitcnt lgkmcnt(0)
	v_cndmask_b32_e32 v25, 0, v26, vcc_lo
	v_add3_u32 v23, v25, v20, v23
.LBB134_113:                            ; =>This Loop Header: Depth=1
                                        ;     Child Loop BB134_116 Depth 2
                                        ;       Child Loop BB134_117 Depth 3
	v_and_b32_e32 v20, 0xff, v24
	s_delay_alu instid0(VALU_DEP_1) | instskip(SKIP_2) | instid1(VALU_DEP_1)
	v_cmp_ne_u16_e32 vcc_lo, 2, v20
	v_cndmask_b32_e64 v20, 0, 1, vcc_lo
	;;#ASMSTART
	;;#ASMEND
	v_cmp_ne_u32_e32 vcc_lo, 0, v20
	v_mov_b32_e32 v20, v23
	s_cmp_lg_u32 vcc_lo, exec_lo
	s_cbranch_scc1 .LBB134_120
; %bb.114:                              ;   in Loop: Header=BB134_113 Depth=1
	v_lshlrev_b64 v[23:24], 3, v[21:22]
	s_mov_b32 s19, exec_lo
	s_delay_alu instid0(VALU_DEP_1) | instskip(NEXT) | instid1(VALU_DEP_2)
	v_add_co_u32 v25, vcc_lo, s12, v23
	v_add_co_ci_u32_e32 v26, vcc_lo, s13, v24, vcc_lo
	global_load_b64 v[23:24], v[25:26], off glc
	s_waitcnt vmcnt(0)
	v_and_b32_e32 v50, 0xff, v24
	s_delay_alu instid0(VALU_DEP_1)
	v_cmpx_eq_u16_e32 0, v50
	s_cbranch_execz .LBB134_112
; %bb.115:                              ;   in Loop: Header=BB134_113 Depth=1
	s_mov_b32 s21, 1
	s_mov_b32 s20, 0
	.p2align	6
.LBB134_116:                            ;   Parent Loop BB134_113 Depth=1
                                        ; =>  This Loop Header: Depth=2
                                        ;       Child Loop BB134_117 Depth 3
	s_max_u32 s22, s21, 1
.LBB134_117:                            ;   Parent Loop BB134_113 Depth=1
                                        ;     Parent Loop BB134_116 Depth=2
                                        ; =>    This Inner Loop Header: Depth=3
	s_delay_alu instid0(SALU_CYCLE_1)
	s_add_i32 s22, s22, -1
	s_sleep 1
	s_cmp_eq_u32 s22, 0
	s_cbranch_scc0 .LBB134_117
; %bb.118:                              ;   in Loop: Header=BB134_116 Depth=2
	global_load_b64 v[23:24], v[25:26], off glc
	s_cmp_lt_u32 s21, 32
	s_cselect_b32 s22, -1, 0
	s_delay_alu instid0(SALU_CYCLE_1) | instskip(SKIP_3) | instid1(VALU_DEP_1)
	s_cmp_lg_u32 s22, 0
	s_addc_u32 s21, s21, 0
	s_waitcnt vmcnt(0)
	v_and_b32_e32 v50, 0xff, v24
	v_cmp_ne_u16_e32 vcc_lo, 0, v50
	s_or_b32 s20, vcc_lo, s20
	s_delay_alu instid0(SALU_CYCLE_1)
	s_and_not1_b32 exec_lo, exec_lo, s20
	s_cbranch_execnz .LBB134_116
; %bb.119:                              ;   in Loop: Header=BB134_113 Depth=1
	s_or_b32 exec_lo, exec_lo, s20
	s_branch .LBB134_112
.LBB134_120:                            ;   in Loop: Header=BB134_113 Depth=1
                                        ; implicit-def: $vgpr23
                                        ; implicit-def: $vgpr24
	s_cbranch_execz .LBB134_113
; %bb.121:
	s_and_saveexec_b32 s19, s8
	s_cbranch_execz .LBB134_123
; %bb.122:
	s_add_i32 s20, s15, 32
	s_mov_b32 s21, 0
	v_dual_mov_b32 v22, 2 :: v_dual_add_nc_u32 v21, v20, v19
	s_lshl_b64 s[20:21], s[20:21], 3
	v_mov_b32_e32 v23, 0
	s_add_u32 s20, s12, s20
	s_addc_u32 s21, s13, s21
	global_store_b64 v23, v[21:22], s[20:21]
	ds_store_b64 v23, v[19:20] offset:12672
.LBB134_123:
	s_or_b32 exec_lo, exec_lo, s19
	v_cmp_eq_u32_e32 vcc_lo, 0, v0
	s_and_b32 exec_lo, exec_lo, vcc_lo
	s_cbranch_execz .LBB134_125
; %bb.124:
	v_mov_b32_e32 v19, 0
	ds_store_b32 v19, v20 offset:44
.LBB134_125:
	s_or_b32 exec_lo, exec_lo, s9
	v_mov_b32_e32 v19, 0
	s_waitcnt lgkmcnt(0)
	s_waitcnt_vscnt null, 0x0
	s_barrier
	buffer_gl0_inv
	v_cndmask_b32_e64 v21, v29, v27, s8
	ds_load_b32 v20, v19 offset:44
	v_cmp_ne_u32_e32 vcc_lo, 0, v0
	s_waitcnt lgkmcnt(0)
	s_barrier
	buffer_gl0_inv
	v_cndmask_b32_e32 v21, 0, v21, vcc_lo
	s_delay_alu instid0(VALU_DEP_1) | instskip(SKIP_2) | instid1(VALU_DEP_1)
	v_add_nc_u32_e32 v37, v20, v21
	ds_load_b64 v[19:20], v19 offset:12672
	v_add_nc_u32_e32 v35, v37, v28
	v_add_nc_u32_e32 v33, v35, v30
	s_delay_alu instid0(VALU_DEP_1) | instskip(NEXT) | instid1(VALU_DEP_1)
	v_add_nc_u32_e32 v31, v33, v32
	v_add_nc_u32_e32 v29, v31, v34
	s_delay_alu instid0(VALU_DEP_1) | instskip(NEXT) | instid1(VALU_DEP_1)
	v_add_nc_u32_e32 v27, v29, v36
	v_add_nc_u32_e32 v25, v27, v38
	s_delay_alu instid0(VALU_DEP_1)
	v_add_nc_u32_e32 v23, v25, v40
	v_lshrrev_b64 v[21:22], 24, v[17:18]
	s_branch .LBB134_136
.LBB134_126:
                                        ; implicit-def: $vgpr23
                                        ; implicit-def: $vgpr25
                                        ; implicit-def: $vgpr27
                                        ; implicit-def: $vgpr29
                                        ; implicit-def: $vgpr31
                                        ; implicit-def: $vgpr33
                                        ; implicit-def: $vgpr35
                                        ; implicit-def: $vgpr37
                                        ; implicit-def: $vgpr20
	v_lshrrev_b64 v[21:22], 24, v[17:18]
	s_and_b32 vcc_lo, exec_lo, s8
	s_cbranch_vccz .LBB134_136
; %bb.127:
	s_waitcnt lgkmcnt(0)
	v_mov_b32_dpp v19, v43 row_shr:1 row_mask:0xf bank_mask:0xf
	s_delay_alu instid0(VALU_DEP_1) | instskip(NEXT) | instid1(VALU_DEP_1)
	v_cndmask_b32_e64 v19, v19, 0, s4
	v_add_nc_u32_e32 v19, v19, v43
	s_delay_alu instid0(VALU_DEP_1) | instskip(NEXT) | instid1(VALU_DEP_1)
	v_mov_b32_dpp v20, v19 row_shr:2 row_mask:0xf bank_mask:0xf
	v_cndmask_b32_e64 v20, 0, v20, s5
	s_delay_alu instid0(VALU_DEP_1) | instskip(NEXT) | instid1(VALU_DEP_1)
	v_add_nc_u32_e32 v19, v19, v20
	v_mov_b32_dpp v20, v19 row_shr:4 row_mask:0xf bank_mask:0xf
	s_delay_alu instid0(VALU_DEP_1) | instskip(NEXT) | instid1(VALU_DEP_1)
	v_cndmask_b32_e64 v20, 0, v20, s3
	v_add_nc_u32_e32 v19, v19, v20
	s_delay_alu instid0(VALU_DEP_1) | instskip(NEXT) | instid1(VALU_DEP_1)
	v_mov_b32_dpp v20, v19 row_shr:8 row_mask:0xf bank_mask:0xf
	v_cndmask_b32_e64 v20, 0, v20, s2
	s_delay_alu instid0(VALU_DEP_1) | instskip(SKIP_3) | instid1(VALU_DEP_1)
	v_add_nc_u32_e32 v19, v19, v20
	ds_swizzle_b32 v20, v19 offset:swizzle(BROADCAST,32,15)
	s_waitcnt lgkmcnt(0)
	v_cndmask_b32_e64 v20, v20, 0, s7
	v_add_nc_u32_e32 v19, v19, v20
	s_and_saveexec_b32 s7, s6
	s_cbranch_execz .LBB134_129
; %bb.128:
	v_lshlrev_b32_e32 v20, 2, v42
	ds_store_b32 v20, v19
.LBB134_129:
	s_or_b32 exec_lo, exec_lo, s7
	s_delay_alu instid0(SALU_CYCLE_1)
	s_mov_b32 s6, exec_lo
	s_waitcnt lgkmcnt(0)
	s_barrier
	buffer_gl0_inv
	v_cmpx_gt_u32_e32 12, v0
	s_cbranch_execz .LBB134_131
; %bb.130:
	v_lshlrev_b32_e32 v20, 2, v0
	ds_load_b32 v22, v20
	s_waitcnt lgkmcnt(0)
	v_mov_b32_dpp v23, v22 row_shr:1 row_mask:0xf bank_mask:0xf
	s_delay_alu instid0(VALU_DEP_1) | instskip(NEXT) | instid1(VALU_DEP_1)
	v_cndmask_b32_e64 v23, v23, 0, s4
	v_add_nc_u32_e32 v22, v23, v22
	s_delay_alu instid0(VALU_DEP_1) | instskip(NEXT) | instid1(VALU_DEP_1)
	v_mov_b32_dpp v23, v22 row_shr:2 row_mask:0xf bank_mask:0xf
	v_cndmask_b32_e64 v23, 0, v23, s5
	s_delay_alu instid0(VALU_DEP_1) | instskip(NEXT) | instid1(VALU_DEP_1)
	v_add_nc_u32_e32 v22, v22, v23
	v_mov_b32_dpp v23, v22 row_shr:4 row_mask:0xf bank_mask:0xf
	s_delay_alu instid0(VALU_DEP_1) | instskip(NEXT) | instid1(VALU_DEP_1)
	v_cndmask_b32_e64 v23, 0, v23, s3
	v_add_nc_u32_e32 v22, v22, v23
	s_delay_alu instid0(VALU_DEP_1) | instskip(NEXT) | instid1(VALU_DEP_1)
	v_mov_b32_dpp v23, v22 row_shr:8 row_mask:0xf bank_mask:0xf
	v_cndmask_b32_e64 v23, 0, v23, s2
	s_delay_alu instid0(VALU_DEP_1)
	v_add_nc_u32_e32 v22, v22, v23
	ds_store_b32 v20, v22
.LBB134_131:
	s_or_b32 exec_lo, exec_lo, s6
	v_mov_b32_e32 v20, 0
	v_mov_b32_e32 v22, 0
	s_mov_b32 s2, exec_lo
	s_waitcnt lgkmcnt(0)
	s_barrier
	buffer_gl0_inv
	v_cmpx_lt_u32_e32 31, v0
	s_cbranch_execz .LBB134_133
; %bb.132:
	v_lshl_add_u32 v22, v42, 2, -4
	ds_load_b32 v22, v22
.LBB134_133:
	s_or_b32 exec_lo, exec_lo, s2
	v_add_nc_u32_e32 v23, -1, v41
	s_waitcnt lgkmcnt(0)
	v_add_nc_u32_e32 v19, v22, v19
	s_delay_alu instid0(VALU_DEP_2) | instskip(SKIP_2) | instid1(VALU_DEP_2)
	v_cmp_gt_i32_e32 vcc_lo, 0, v23
	v_cndmask_b32_e32 v23, v23, v41, vcc_lo
	v_cmp_eq_u32_e32 vcc_lo, 0, v0
	v_lshlrev_b32_e32 v23, 2, v23
	ds_bpermute_b32 v23, v23, v19
	ds_load_b32 v19, v20 offset:44
	s_and_saveexec_b32 s2, vcc_lo
	s_cbranch_execz .LBB134_135
; %bb.134:
	v_mov_b32_e32 v24, 0
	v_mov_b32_e32 v20, 2
	s_waitcnt lgkmcnt(0)
	global_store_b64 v24, v[19:20], s[12:13] offset:256
.LBB134_135:
	s_or_b32 exec_lo, exec_lo, s2
	v_cmp_eq_u32_e64 s2, 0, v41
	s_waitcnt lgkmcnt(0)
	s_waitcnt_vscnt null, 0x0
	s_barrier
	buffer_gl0_inv
	v_cndmask_b32_e64 v20, v23, v22, s2
	s_delay_alu instid0(VALU_DEP_1) | instskip(NEXT) | instid1(VALU_DEP_1)
	v_cndmask_b32_e64 v37, v20, 0, vcc_lo
	v_dual_mov_b32 v20, 0 :: v_dual_add_nc_u32 v35, v37, v28
	s_delay_alu instid0(VALU_DEP_1) | instskip(NEXT) | instid1(VALU_DEP_1)
	v_add_nc_u32_e32 v33, v35, v30
	v_add_nc_u32_e32 v31, v33, v32
	s_delay_alu instid0(VALU_DEP_1) | instskip(NEXT) | instid1(VALU_DEP_1)
	v_add_nc_u32_e32 v29, v31, v34
	v_add_nc_u32_e32 v27, v29, v36
	;; [unrolled: 3-line block ×3, first 2 shown]
.LBB134_136:
	s_load_b128 s[4:7], s[0:1], 0x28
	s_waitcnt lgkmcnt(0)
	v_add_nc_u32_e32 v43, v20, v19
	v_cmp_gt_u32_e64 s0, 0x181, v19
	v_lshrrev_b32_e32 v42, 8, v17
	v_lshrrev_b32_e32 v41, 16, v17
	;; [unrolled: 1-line block ×4, first 2 shown]
	v_cmp_lt_u32_e64 s1, v37, v43
	s_and_b32 vcc_lo, exec_lo, s0
	s_mov_b32 s2, -1
	s_cbranch_vccz .LBB134_162
; %bb.137:
	s_lshl_b64 s[2:3], s[10:11], 2
	s_delay_alu instid0(SALU_CYCLE_1) | instskip(SKIP_2) | instid1(SALU_CYCLE_1)
	s_add_u32 s2, s4, s2
	s_addc_u32 s3, s5, s3
	s_or_b32 s8, s18, s1
	s_and_saveexec_b32 s1, s8
	s_cbranch_execz .LBB134_140
; %bb.138:
	v_and_b32_e32 v24, 1, v17
	s_delay_alu instid0(VALU_DEP_1)
	v_cmp_eq_u32_e32 vcc_lo, 1, v24
	s_and_b32 exec_lo, exec_lo, vcc_lo
	s_cbranch_execz .LBB134_140
; %bb.139:
	v_mov_b32_e32 v38, 0
	s_delay_alu instid0(VALU_DEP_1) | instskip(NEXT) | instid1(VALU_DEP_1)
	v_lshlrev_b64 v[44:45], 2, v[37:38]
	v_add_co_u32 v44, vcc_lo, s2, v44
	s_delay_alu instid0(VALU_DEP_2)
	v_add_co_ci_u32_e32 v45, vcc_lo, s3, v45, vcc_lo
	global_store_b32 v[44:45], v15, off
.LBB134_140:
	s_or_b32 exec_lo, exec_lo, s1
	v_cmp_lt_u32_e32 vcc_lo, v35, v43
	s_or_b32 s8, s18, vcc_lo
	s_delay_alu instid0(SALU_CYCLE_1)
	s_and_saveexec_b32 s1, s8
	s_cbranch_execz .LBB134_143
; %bb.141:
	v_and_b32_e32 v24, 1, v42
	s_delay_alu instid0(VALU_DEP_1)
	v_cmp_eq_u32_e32 vcc_lo, 1, v24
	s_and_b32 exec_lo, exec_lo, vcc_lo
	s_cbranch_execz .LBB134_143
; %bb.142:
	v_mov_b32_e32 v36, 0
	s_delay_alu instid0(VALU_DEP_1) | instskip(NEXT) | instid1(VALU_DEP_1)
	v_lshlrev_b64 v[44:45], 2, v[35:36]
	v_add_co_u32 v44, vcc_lo, s2, v44
	s_delay_alu instid0(VALU_DEP_2)
	v_add_co_ci_u32_e32 v45, vcc_lo, s3, v45, vcc_lo
	global_store_b32 v[44:45], v16, off
.LBB134_143:
	s_or_b32 exec_lo, exec_lo, s1
	v_cmp_lt_u32_e32 vcc_lo, v33, v43
	s_or_b32 s8, s18, vcc_lo
	s_delay_alu instid0(SALU_CYCLE_1)
	;; [unrolled: 21-line block ×7, first 2 shown]
	s_and_saveexec_b32 s1, s8
	s_cbranch_execz .LBB134_161
; %bb.159:
	v_and_b32_e32 v24, 1, v39
	s_delay_alu instid0(VALU_DEP_1)
	v_cmp_eq_u32_e32 vcc_lo, 1, v24
	s_and_b32 exec_lo, exec_lo, vcc_lo
	s_cbranch_execz .LBB134_161
; %bb.160:
	v_mov_b32_e32 v24, 0
	s_delay_alu instid0(VALU_DEP_1) | instskip(NEXT) | instid1(VALU_DEP_1)
	v_lshlrev_b64 v[44:45], 2, v[23:24]
	v_add_co_u32 v44, vcc_lo, s2, v44
	s_delay_alu instid0(VALU_DEP_2)
	v_add_co_ci_u32_e32 v45, vcc_lo, s3, v45, vcc_lo
	global_store_b32 v[44:45], v10, off
.LBB134_161:
	s_or_b32 exec_lo, exec_lo, s1
	s_mov_b32 s2, 0
.LBB134_162:
	v_and_b32_e32 v17, 1, v17
	s_and_b32 vcc_lo, exec_lo, s2
	s_delay_alu instid0(VALU_DEP_1)
	v_cmp_eq_u32_e64 s1, 1, v17
	s_cbranch_vccz .LBB134_183
; %bb.163:
	s_delay_alu instid0(VALU_DEP_1)
	s_and_saveexec_b32 s2, s1
	s_cbranch_execz .LBB134_165
; %bb.164:
	v_sub_nc_u32_e32 v24, v37, v20
	s_delay_alu instid0(VALU_DEP_1)
	v_lshlrev_b32_e32 v24, 2, v24
	ds_store_b32 v24, v15
.LBB134_165:
	s_or_b32 exec_lo, exec_lo, s2
	v_and_b32_e32 v15, 1, v42
	s_mov_b32 s1, exec_lo
	s_delay_alu instid0(VALU_DEP_1)
	v_cmpx_eq_u32_e32 1, v15
	s_cbranch_execz .LBB134_167
; %bb.166:
	v_sub_nc_u32_e32 v15, v35, v20
	s_delay_alu instid0(VALU_DEP_1)
	v_lshlrev_b32_e32 v15, 2, v15
	ds_store_b32 v15, v16
.LBB134_167:
	s_or_b32 exec_lo, exec_lo, s1
	v_and_b32_e32 v15, 1, v41
	s_mov_b32 s1, exec_lo
	s_delay_alu instid0(VALU_DEP_1)
	v_cmpx_eq_u32_e32 1, v15
	;; [unrolled: 12-line block ×7, first 2 shown]
	s_cbranch_execz .LBB134_179
; %bb.178:
	v_sub_nc_u32_e32 v9, v23, v20
	s_delay_alu instid0(VALU_DEP_1)
	v_lshlrev_b32_e32 v9, 2, v9
	ds_store_b32 v9, v10
.LBB134_179:
	s_or_b32 exec_lo, exec_lo, s1
	s_delay_alu instid0(SALU_CYCLE_1)
	s_mov_b32 s2, exec_lo
	s_waitcnt lgkmcnt(0)
	s_waitcnt_vscnt null, 0x0
	s_barrier
	buffer_gl0_inv
	v_cmpx_lt_u32_e64 v0, v19
	s_cbranch_execz .LBB134_182
; %bb.180:
	v_dual_mov_b32 v10, 0 :: v_dual_mov_b32 v9, v20
	s_lshl_b64 s[8:9], s[10:11], 2
	v_lshlrev_b32_e32 v11, 2, v0
	s_add_u32 s1, s4, s8
	s_addc_u32 s3, s5, s9
	v_lshlrev_b64 v[12:13], 2, v[9:10]
	v_mov_b32_e32 v9, v0
	s_delay_alu instid0(VALU_DEP_2) | instskip(NEXT) | instid1(VALU_DEP_3)
	v_add_co_u32 v12, vcc_lo, s1, v12
	v_add_co_ci_u32_e32 v13, vcc_lo, s3, v13, vcc_lo
	s_mov_b32 s3, 0
	.p2align	6
.LBB134_181:                            ; =>This Inner Loop Header: Depth=1
	ds_load_b32 v16, v11
	v_lshlrev_b64 v[14:15], 2, v[9:10]
	v_add_nc_u32_e32 v9, 0x180, v9
	v_add_nc_u32_e32 v11, 0x600, v11
	s_delay_alu instid0(VALU_DEP_2) | instskip(NEXT) | instid1(VALU_DEP_4)
	v_cmp_ge_u32_e32 vcc_lo, v9, v19
	v_add_co_u32 v14, s1, v12, v14
	s_delay_alu instid0(VALU_DEP_1)
	v_add_co_ci_u32_e64 v15, s1, v13, v15, s1
	s_or_b32 s3, vcc_lo, s3
	s_waitcnt lgkmcnt(0)
	global_store_b32 v[14:15], v16, off
	s_and_not1_b32 exec_lo, exec_lo, s3
	s_cbranch_execnz .LBB134_181
.LBB134_182:
	s_or_b32 exec_lo, exec_lo, s2
.LBB134_183:
	s_delay_alu instid0(SALU_CYCLE_1)
	s_and_b32 vcc_lo, exec_lo, s0
	s_mov_b32 s0, -1
	s_waitcnt_vscnt null, 0x0
	s_barrier
	buffer_gl0_inv
	s_cbranch_vccz .LBB134_211
; %bb.184:
	v_cmp_lt_u32_e32 vcc_lo, v37, v43
	s_lshl_b64 s[0:1], s[10:11], 2
	s_delay_alu instid0(SALU_CYCLE_1) | instskip(SKIP_2) | instid1(SALU_CYCLE_1)
	s_add_u32 s0, s6, s0
	s_addc_u32 s1, s7, s1
	s_or_b32 s3, s18, vcc_lo
	s_and_saveexec_b32 s2, s3
	s_cbranch_execz .LBB134_187
; %bb.185:
	v_cmp_eq_u32_e32 vcc_lo, 1, v17
	s_and_b32 exec_lo, exec_lo, vcc_lo
	s_cbranch_execz .LBB134_187
; %bb.186:
	v_mov_b32_e32 v38, 0
	s_delay_alu instid0(VALU_DEP_1) | instskip(NEXT) | instid1(VALU_DEP_1)
	v_lshlrev_b64 v[9:10], 2, v[37:38]
	v_add_co_u32 v9, vcc_lo, s0, v9
	s_delay_alu instid0(VALU_DEP_2)
	v_add_co_ci_u32_e32 v10, vcc_lo, s1, v10, vcc_lo
	global_store_b32 v[9:10], v7, off
.LBB134_187:
	s_or_b32 exec_lo, exec_lo, s2
	v_cmp_lt_u32_e32 vcc_lo, v35, v43
	s_or_b32 s3, s18, vcc_lo
	s_delay_alu instid0(SALU_CYCLE_1)
	s_and_saveexec_b32 s2, s3
	s_cbranch_execz .LBB134_190
; %bb.188:
	v_and_b32_e32 v9, 1, v42
	s_delay_alu instid0(VALU_DEP_1)
	v_cmp_eq_u32_e32 vcc_lo, 1, v9
	s_and_b32 exec_lo, exec_lo, vcc_lo
	s_cbranch_execz .LBB134_190
; %bb.189:
	v_mov_b32_e32 v36, 0
	s_delay_alu instid0(VALU_DEP_1) | instskip(NEXT) | instid1(VALU_DEP_1)
	v_lshlrev_b64 v[9:10], 2, v[35:36]
	v_add_co_u32 v9, vcc_lo, s0, v9
	s_delay_alu instid0(VALU_DEP_2)
	v_add_co_ci_u32_e32 v10, vcc_lo, s1, v10, vcc_lo
	global_store_b32 v[9:10], v8, off
.LBB134_190:
	s_or_b32 exec_lo, exec_lo, s2
	v_cmp_lt_u32_e32 vcc_lo, v33, v43
	s_or_b32 s3, s18, vcc_lo
	s_delay_alu instid0(SALU_CYCLE_1)
	s_and_saveexec_b32 s2, s3
	s_cbranch_execz .LBB134_193
; %bb.191:
	v_and_b32_e32 v9, 1, v41
	s_delay_alu instid0(VALU_DEP_1)
	v_cmp_eq_u32_e32 vcc_lo, 1, v9
	s_and_b32 exec_lo, exec_lo, vcc_lo
	s_cbranch_execz .LBB134_193
; %bb.192:
	v_mov_b32_e32 v34, 0
	s_delay_alu instid0(VALU_DEP_1) | instskip(NEXT) | instid1(VALU_DEP_1)
	v_lshlrev_b64 v[9:10], 2, v[33:34]
	v_add_co_u32 v9, vcc_lo, s0, v9
	s_delay_alu instid0(VALU_DEP_2)
	v_add_co_ci_u32_e32 v10, vcc_lo, s1, v10, vcc_lo
	global_store_b32 v[9:10], v5, off
.LBB134_193:
	;; [unrolled: 21-line block ×7, first 2 shown]
	s_or_b32 exec_lo, exec_lo, s2
.LBB134_209:
	v_cmp_eq_u32_e32 vcc_lo, 0, v0
	s_and_b32 s0, vcc_lo, s14
	s_delay_alu instid0(SALU_CYCLE_1)
	s_and_saveexec_b32 s1, s0
	s_cbranch_execz .LBB134_232
.LBB134_210:
	v_add_co_u32 v0, s0, s10, v19
	s_delay_alu instid0(VALU_DEP_1) | instskip(SKIP_1) | instid1(VALU_DEP_3)
	v_add_co_ci_u32_e64 v1, null, s11, 0, s0
	v_mov_b32_e32 v2, 0
	v_add_co_u32 v0, vcc_lo, v0, v20
	s_delay_alu instid0(VALU_DEP_3)
	v_add_co_ci_u32_e32 v1, vcc_lo, 0, v1, vcc_lo
	global_store_b64 v2, v[0:1], s[16:17]
	s_nop 0
	s_sendmsg sendmsg(MSG_DEALLOC_VGPRS)
	s_endpgm
.LBB134_211:
	s_and_b32 vcc_lo, exec_lo, s0
	s_cbranch_vccz .LBB134_209
; %bb.212:
	s_mov_b32 s0, exec_lo
	v_cmpx_eq_u32_e32 1, v17
	s_cbranch_execz .LBB134_214
; %bb.213:
	v_sub_nc_u32_e32 v9, v37, v20
	s_delay_alu instid0(VALU_DEP_1)
	v_lshlrev_b32_e32 v9, 2, v9
	ds_store_b32 v9, v7
.LBB134_214:
	s_or_b32 exec_lo, exec_lo, s0
	v_and_b32_e32 v7, 1, v42
	s_mov_b32 s0, exec_lo
	s_delay_alu instid0(VALU_DEP_1)
	v_cmpx_eq_u32_e32 1, v7
	s_cbranch_execz .LBB134_216
; %bb.215:
	v_sub_nc_u32_e32 v7, v35, v20
	s_delay_alu instid0(VALU_DEP_1)
	v_lshlrev_b32_e32 v7, 2, v7
	ds_store_b32 v7, v8
.LBB134_216:
	s_or_b32 exec_lo, exec_lo, s0
	v_and_b32_e32 v7, 1, v41
	s_mov_b32 s0, exec_lo
	s_delay_alu instid0(VALU_DEP_1)
	;; [unrolled: 12-line block ×7, first 2 shown]
	v_cmpx_eq_u32_e32 1, v1
	s_cbranch_execz .LBB134_228
; %bb.227:
	v_sub_nc_u32_e32 v1, v23, v20
	s_delay_alu instid0(VALU_DEP_1)
	v_lshlrev_b32_e32 v1, 2, v1
	ds_store_b32 v1, v2
.LBB134_228:
	s_or_b32 exec_lo, exec_lo, s0
	s_delay_alu instid0(SALU_CYCLE_1)
	s_mov_b32 s1, exec_lo
	s_waitcnt lgkmcnt(0)
	s_waitcnt_vscnt null, 0x0
	s_barrier
	buffer_gl0_inv
	v_cmpx_lt_u32_e64 v0, v19
	s_cbranch_execz .LBB134_231
; %bb.229:
	v_dual_mov_b32 v2, 0 :: v_dual_mov_b32 v1, v20
	s_lshl_b64 s[2:3], s[10:11], 2
	v_lshlrev_b32_e32 v3, 2, v0
	s_add_u32 s0, s6, s2
	s_addc_u32 s2, s7, s3
	v_lshlrev_b64 v[4:5], 2, v[1:2]
	v_mov_b32_e32 v1, v0
	s_delay_alu instid0(VALU_DEP_2) | instskip(NEXT) | instid1(VALU_DEP_3)
	v_add_co_u32 v4, vcc_lo, s0, v4
	v_add_co_ci_u32_e32 v5, vcc_lo, s2, v5, vcc_lo
	s_mov_b32 s2, 0
	.p2align	6
.LBB134_230:                            ; =>This Inner Loop Header: Depth=1
	ds_load_b32 v8, v3
	v_lshlrev_b64 v[6:7], 2, v[1:2]
	v_add_nc_u32_e32 v1, 0x180, v1
	v_add_nc_u32_e32 v3, 0x600, v3
	s_delay_alu instid0(VALU_DEP_2) | instskip(NEXT) | instid1(VALU_DEP_4)
	v_cmp_ge_u32_e32 vcc_lo, v1, v19
	v_add_co_u32 v6, s0, v4, v6
	s_delay_alu instid0(VALU_DEP_1)
	v_add_co_ci_u32_e64 v7, s0, v5, v7, s0
	s_or_b32 s2, vcc_lo, s2
	s_waitcnt lgkmcnt(0)
	global_store_b32 v[6:7], v8, off
	s_and_not1_b32 exec_lo, exec_lo, s2
	s_cbranch_execnz .LBB134_230
.LBB134_231:
	s_or_b32 exec_lo, exec_lo, s1
	v_cmp_eq_u32_e32 vcc_lo, 0, v0
	s_and_b32 s0, vcc_lo, s14
	s_delay_alu instid0(SALU_CYCLE_1)
	s_and_saveexec_b32 s1, s0
	s_cbranch_execnz .LBB134_210
.LBB134_232:
	s_nop 0
	s_sendmsg sendmsg(MSG_DEALLOC_VGPRS)
	s_endpgm
	.section	.rodata,"a",@progbits
	.p2align	6, 0x0
	.amdhsa_kernel _ZN7rocprim17ROCPRIM_400000_NS6detail17trampoline_kernelINS0_14default_configENS1_25partition_config_selectorILNS1_17partition_subalgoE9EffbEEZZNS1_14partition_implILS5_9ELb0ES3_jN6thrust23THRUST_200600_302600_NS6detail15normal_iteratorINS9_10device_ptrIfEEEESE_PNS0_10empty_typeENS0_5tupleIJSE_SF_EEENSH_IJSE_SG_EEENS0_18inequality_wrapperI22is_equal_div_10_uniqueIfEEEPmJSF_EEE10hipError_tPvRmT3_T4_T5_T6_T7_T9_mT8_P12ihipStream_tbDpT10_ENKUlT_T0_E_clISt17integral_constantIbLb1EES17_IbLb0EEEEDaS13_S14_EUlS13_E_NS1_11comp_targetILNS1_3genE9ELNS1_11target_archE1100ELNS1_3gpuE3ELNS1_3repE0EEENS1_30default_config_static_selectorELNS0_4arch9wavefront6targetE0EEEvT1_
		.amdhsa_group_segment_fixed_size 12680
		.amdhsa_private_segment_fixed_size 0
		.amdhsa_kernarg_size 112
		.amdhsa_user_sgpr_count 15
		.amdhsa_user_sgpr_dispatch_ptr 0
		.amdhsa_user_sgpr_queue_ptr 0
		.amdhsa_user_sgpr_kernarg_segment_ptr 1
		.amdhsa_user_sgpr_dispatch_id 0
		.amdhsa_user_sgpr_private_segment_size 0
		.amdhsa_wavefront_size32 1
		.amdhsa_uses_dynamic_stack 0
		.amdhsa_enable_private_segment 0
		.amdhsa_system_sgpr_workgroup_id_x 1
		.amdhsa_system_sgpr_workgroup_id_y 0
		.amdhsa_system_sgpr_workgroup_id_z 0
		.amdhsa_system_sgpr_workgroup_info 0
		.amdhsa_system_vgpr_workitem_id 0
		.amdhsa_next_free_vgpr 51
		.amdhsa_next_free_sgpr 25
		.amdhsa_reserve_vcc 1
		.amdhsa_float_round_mode_32 0
		.amdhsa_float_round_mode_16_64 0
		.amdhsa_float_denorm_mode_32 3
		.amdhsa_float_denorm_mode_16_64 3
		.amdhsa_dx10_clamp 1
		.amdhsa_ieee_mode 1
		.amdhsa_fp16_overflow 0
		.amdhsa_workgroup_processor_mode 1
		.amdhsa_memory_ordered 1
		.amdhsa_forward_progress 0
		.amdhsa_shared_vgpr_count 0
		.amdhsa_exception_fp_ieee_invalid_op 0
		.amdhsa_exception_fp_denorm_src 0
		.amdhsa_exception_fp_ieee_div_zero 0
		.amdhsa_exception_fp_ieee_overflow 0
		.amdhsa_exception_fp_ieee_underflow 0
		.amdhsa_exception_fp_ieee_inexact 0
		.amdhsa_exception_int_div_zero 0
	.end_amdhsa_kernel
	.section	.text._ZN7rocprim17ROCPRIM_400000_NS6detail17trampoline_kernelINS0_14default_configENS1_25partition_config_selectorILNS1_17partition_subalgoE9EffbEEZZNS1_14partition_implILS5_9ELb0ES3_jN6thrust23THRUST_200600_302600_NS6detail15normal_iteratorINS9_10device_ptrIfEEEESE_PNS0_10empty_typeENS0_5tupleIJSE_SF_EEENSH_IJSE_SG_EEENS0_18inequality_wrapperI22is_equal_div_10_uniqueIfEEEPmJSF_EEE10hipError_tPvRmT3_T4_T5_T6_T7_T9_mT8_P12ihipStream_tbDpT10_ENKUlT_T0_E_clISt17integral_constantIbLb1EES17_IbLb0EEEEDaS13_S14_EUlS13_E_NS1_11comp_targetILNS1_3genE9ELNS1_11target_archE1100ELNS1_3gpuE3ELNS1_3repE0EEENS1_30default_config_static_selectorELNS0_4arch9wavefront6targetE0EEEvT1_,"axG",@progbits,_ZN7rocprim17ROCPRIM_400000_NS6detail17trampoline_kernelINS0_14default_configENS1_25partition_config_selectorILNS1_17partition_subalgoE9EffbEEZZNS1_14partition_implILS5_9ELb0ES3_jN6thrust23THRUST_200600_302600_NS6detail15normal_iteratorINS9_10device_ptrIfEEEESE_PNS0_10empty_typeENS0_5tupleIJSE_SF_EEENSH_IJSE_SG_EEENS0_18inequality_wrapperI22is_equal_div_10_uniqueIfEEEPmJSF_EEE10hipError_tPvRmT3_T4_T5_T6_T7_T9_mT8_P12ihipStream_tbDpT10_ENKUlT_T0_E_clISt17integral_constantIbLb1EES17_IbLb0EEEEDaS13_S14_EUlS13_E_NS1_11comp_targetILNS1_3genE9ELNS1_11target_archE1100ELNS1_3gpuE3ELNS1_3repE0EEENS1_30default_config_static_selectorELNS0_4arch9wavefront6targetE0EEEvT1_,comdat
.Lfunc_end134:
	.size	_ZN7rocprim17ROCPRIM_400000_NS6detail17trampoline_kernelINS0_14default_configENS1_25partition_config_selectorILNS1_17partition_subalgoE9EffbEEZZNS1_14partition_implILS5_9ELb0ES3_jN6thrust23THRUST_200600_302600_NS6detail15normal_iteratorINS9_10device_ptrIfEEEESE_PNS0_10empty_typeENS0_5tupleIJSE_SF_EEENSH_IJSE_SG_EEENS0_18inequality_wrapperI22is_equal_div_10_uniqueIfEEEPmJSF_EEE10hipError_tPvRmT3_T4_T5_T6_T7_T9_mT8_P12ihipStream_tbDpT10_ENKUlT_T0_E_clISt17integral_constantIbLb1EES17_IbLb0EEEEDaS13_S14_EUlS13_E_NS1_11comp_targetILNS1_3genE9ELNS1_11target_archE1100ELNS1_3gpuE3ELNS1_3repE0EEENS1_30default_config_static_selectorELNS0_4arch9wavefront6targetE0EEEvT1_, .Lfunc_end134-_ZN7rocprim17ROCPRIM_400000_NS6detail17trampoline_kernelINS0_14default_configENS1_25partition_config_selectorILNS1_17partition_subalgoE9EffbEEZZNS1_14partition_implILS5_9ELb0ES3_jN6thrust23THRUST_200600_302600_NS6detail15normal_iteratorINS9_10device_ptrIfEEEESE_PNS0_10empty_typeENS0_5tupleIJSE_SF_EEENSH_IJSE_SG_EEENS0_18inequality_wrapperI22is_equal_div_10_uniqueIfEEEPmJSF_EEE10hipError_tPvRmT3_T4_T5_T6_T7_T9_mT8_P12ihipStream_tbDpT10_ENKUlT_T0_E_clISt17integral_constantIbLb1EES17_IbLb0EEEEDaS13_S14_EUlS13_E_NS1_11comp_targetILNS1_3genE9ELNS1_11target_archE1100ELNS1_3gpuE3ELNS1_3repE0EEENS1_30default_config_static_selectorELNS0_4arch9wavefront6targetE0EEEvT1_
                                        ; -- End function
	.section	.AMDGPU.csdata,"",@progbits
; Kernel info:
; codeLenInByte = 10968
; NumSgprs: 27
; NumVgprs: 51
; ScratchSize: 0
; MemoryBound: 0
; FloatMode: 240
; IeeeMode: 1
; LDSByteSize: 12680 bytes/workgroup (compile time only)
; SGPRBlocks: 3
; VGPRBlocks: 6
; NumSGPRsForWavesPerEU: 27
; NumVGPRsForWavesPerEU: 51
; Occupancy: 15
; WaveLimiterHint : 1
; COMPUTE_PGM_RSRC2:SCRATCH_EN: 0
; COMPUTE_PGM_RSRC2:USER_SGPR: 15
; COMPUTE_PGM_RSRC2:TRAP_HANDLER: 0
; COMPUTE_PGM_RSRC2:TGID_X_EN: 1
; COMPUTE_PGM_RSRC2:TGID_Y_EN: 0
; COMPUTE_PGM_RSRC2:TGID_Z_EN: 0
; COMPUTE_PGM_RSRC2:TIDIG_COMP_CNT: 0
	.section	.text._ZN7rocprim17ROCPRIM_400000_NS6detail17trampoline_kernelINS0_14default_configENS1_25partition_config_selectorILNS1_17partition_subalgoE9EffbEEZZNS1_14partition_implILS5_9ELb0ES3_jN6thrust23THRUST_200600_302600_NS6detail15normal_iteratorINS9_10device_ptrIfEEEESE_PNS0_10empty_typeENS0_5tupleIJSE_SF_EEENSH_IJSE_SG_EEENS0_18inequality_wrapperI22is_equal_div_10_uniqueIfEEEPmJSF_EEE10hipError_tPvRmT3_T4_T5_T6_T7_T9_mT8_P12ihipStream_tbDpT10_ENKUlT_T0_E_clISt17integral_constantIbLb1EES17_IbLb0EEEEDaS13_S14_EUlS13_E_NS1_11comp_targetILNS1_3genE8ELNS1_11target_archE1030ELNS1_3gpuE2ELNS1_3repE0EEENS1_30default_config_static_selectorELNS0_4arch9wavefront6targetE0EEEvT1_,"axG",@progbits,_ZN7rocprim17ROCPRIM_400000_NS6detail17trampoline_kernelINS0_14default_configENS1_25partition_config_selectorILNS1_17partition_subalgoE9EffbEEZZNS1_14partition_implILS5_9ELb0ES3_jN6thrust23THRUST_200600_302600_NS6detail15normal_iteratorINS9_10device_ptrIfEEEESE_PNS0_10empty_typeENS0_5tupleIJSE_SF_EEENSH_IJSE_SG_EEENS0_18inequality_wrapperI22is_equal_div_10_uniqueIfEEEPmJSF_EEE10hipError_tPvRmT3_T4_T5_T6_T7_T9_mT8_P12ihipStream_tbDpT10_ENKUlT_T0_E_clISt17integral_constantIbLb1EES17_IbLb0EEEEDaS13_S14_EUlS13_E_NS1_11comp_targetILNS1_3genE8ELNS1_11target_archE1030ELNS1_3gpuE2ELNS1_3repE0EEENS1_30default_config_static_selectorELNS0_4arch9wavefront6targetE0EEEvT1_,comdat
	.protected	_ZN7rocprim17ROCPRIM_400000_NS6detail17trampoline_kernelINS0_14default_configENS1_25partition_config_selectorILNS1_17partition_subalgoE9EffbEEZZNS1_14partition_implILS5_9ELb0ES3_jN6thrust23THRUST_200600_302600_NS6detail15normal_iteratorINS9_10device_ptrIfEEEESE_PNS0_10empty_typeENS0_5tupleIJSE_SF_EEENSH_IJSE_SG_EEENS0_18inequality_wrapperI22is_equal_div_10_uniqueIfEEEPmJSF_EEE10hipError_tPvRmT3_T4_T5_T6_T7_T9_mT8_P12ihipStream_tbDpT10_ENKUlT_T0_E_clISt17integral_constantIbLb1EES17_IbLb0EEEEDaS13_S14_EUlS13_E_NS1_11comp_targetILNS1_3genE8ELNS1_11target_archE1030ELNS1_3gpuE2ELNS1_3repE0EEENS1_30default_config_static_selectorELNS0_4arch9wavefront6targetE0EEEvT1_ ; -- Begin function _ZN7rocprim17ROCPRIM_400000_NS6detail17trampoline_kernelINS0_14default_configENS1_25partition_config_selectorILNS1_17partition_subalgoE9EffbEEZZNS1_14partition_implILS5_9ELb0ES3_jN6thrust23THRUST_200600_302600_NS6detail15normal_iteratorINS9_10device_ptrIfEEEESE_PNS0_10empty_typeENS0_5tupleIJSE_SF_EEENSH_IJSE_SG_EEENS0_18inequality_wrapperI22is_equal_div_10_uniqueIfEEEPmJSF_EEE10hipError_tPvRmT3_T4_T5_T6_T7_T9_mT8_P12ihipStream_tbDpT10_ENKUlT_T0_E_clISt17integral_constantIbLb1EES17_IbLb0EEEEDaS13_S14_EUlS13_E_NS1_11comp_targetILNS1_3genE8ELNS1_11target_archE1030ELNS1_3gpuE2ELNS1_3repE0EEENS1_30default_config_static_selectorELNS0_4arch9wavefront6targetE0EEEvT1_
	.globl	_ZN7rocprim17ROCPRIM_400000_NS6detail17trampoline_kernelINS0_14default_configENS1_25partition_config_selectorILNS1_17partition_subalgoE9EffbEEZZNS1_14partition_implILS5_9ELb0ES3_jN6thrust23THRUST_200600_302600_NS6detail15normal_iteratorINS9_10device_ptrIfEEEESE_PNS0_10empty_typeENS0_5tupleIJSE_SF_EEENSH_IJSE_SG_EEENS0_18inequality_wrapperI22is_equal_div_10_uniqueIfEEEPmJSF_EEE10hipError_tPvRmT3_T4_T5_T6_T7_T9_mT8_P12ihipStream_tbDpT10_ENKUlT_T0_E_clISt17integral_constantIbLb1EES17_IbLb0EEEEDaS13_S14_EUlS13_E_NS1_11comp_targetILNS1_3genE8ELNS1_11target_archE1030ELNS1_3gpuE2ELNS1_3repE0EEENS1_30default_config_static_selectorELNS0_4arch9wavefront6targetE0EEEvT1_
	.p2align	8
	.type	_ZN7rocprim17ROCPRIM_400000_NS6detail17trampoline_kernelINS0_14default_configENS1_25partition_config_selectorILNS1_17partition_subalgoE9EffbEEZZNS1_14partition_implILS5_9ELb0ES3_jN6thrust23THRUST_200600_302600_NS6detail15normal_iteratorINS9_10device_ptrIfEEEESE_PNS0_10empty_typeENS0_5tupleIJSE_SF_EEENSH_IJSE_SG_EEENS0_18inequality_wrapperI22is_equal_div_10_uniqueIfEEEPmJSF_EEE10hipError_tPvRmT3_T4_T5_T6_T7_T9_mT8_P12ihipStream_tbDpT10_ENKUlT_T0_E_clISt17integral_constantIbLb1EES17_IbLb0EEEEDaS13_S14_EUlS13_E_NS1_11comp_targetILNS1_3genE8ELNS1_11target_archE1030ELNS1_3gpuE2ELNS1_3repE0EEENS1_30default_config_static_selectorELNS0_4arch9wavefront6targetE0EEEvT1_,@function
_ZN7rocprim17ROCPRIM_400000_NS6detail17trampoline_kernelINS0_14default_configENS1_25partition_config_selectorILNS1_17partition_subalgoE9EffbEEZZNS1_14partition_implILS5_9ELb0ES3_jN6thrust23THRUST_200600_302600_NS6detail15normal_iteratorINS9_10device_ptrIfEEEESE_PNS0_10empty_typeENS0_5tupleIJSE_SF_EEENSH_IJSE_SG_EEENS0_18inequality_wrapperI22is_equal_div_10_uniqueIfEEEPmJSF_EEE10hipError_tPvRmT3_T4_T5_T6_T7_T9_mT8_P12ihipStream_tbDpT10_ENKUlT_T0_E_clISt17integral_constantIbLb1EES17_IbLb0EEEEDaS13_S14_EUlS13_E_NS1_11comp_targetILNS1_3genE8ELNS1_11target_archE1030ELNS1_3gpuE2ELNS1_3repE0EEENS1_30default_config_static_selectorELNS0_4arch9wavefront6targetE0EEEvT1_: ; @_ZN7rocprim17ROCPRIM_400000_NS6detail17trampoline_kernelINS0_14default_configENS1_25partition_config_selectorILNS1_17partition_subalgoE9EffbEEZZNS1_14partition_implILS5_9ELb0ES3_jN6thrust23THRUST_200600_302600_NS6detail15normal_iteratorINS9_10device_ptrIfEEEESE_PNS0_10empty_typeENS0_5tupleIJSE_SF_EEENSH_IJSE_SG_EEENS0_18inequality_wrapperI22is_equal_div_10_uniqueIfEEEPmJSF_EEE10hipError_tPvRmT3_T4_T5_T6_T7_T9_mT8_P12ihipStream_tbDpT10_ENKUlT_T0_E_clISt17integral_constantIbLb1EES17_IbLb0EEEEDaS13_S14_EUlS13_E_NS1_11comp_targetILNS1_3genE8ELNS1_11target_archE1030ELNS1_3gpuE2ELNS1_3repE0EEENS1_30default_config_static_selectorELNS0_4arch9wavefront6targetE0EEEvT1_
; %bb.0:
	.section	.rodata,"a",@progbits
	.p2align	6, 0x0
	.amdhsa_kernel _ZN7rocprim17ROCPRIM_400000_NS6detail17trampoline_kernelINS0_14default_configENS1_25partition_config_selectorILNS1_17partition_subalgoE9EffbEEZZNS1_14partition_implILS5_9ELb0ES3_jN6thrust23THRUST_200600_302600_NS6detail15normal_iteratorINS9_10device_ptrIfEEEESE_PNS0_10empty_typeENS0_5tupleIJSE_SF_EEENSH_IJSE_SG_EEENS0_18inequality_wrapperI22is_equal_div_10_uniqueIfEEEPmJSF_EEE10hipError_tPvRmT3_T4_T5_T6_T7_T9_mT8_P12ihipStream_tbDpT10_ENKUlT_T0_E_clISt17integral_constantIbLb1EES17_IbLb0EEEEDaS13_S14_EUlS13_E_NS1_11comp_targetILNS1_3genE8ELNS1_11target_archE1030ELNS1_3gpuE2ELNS1_3repE0EEENS1_30default_config_static_selectorELNS0_4arch9wavefront6targetE0EEEvT1_
		.amdhsa_group_segment_fixed_size 0
		.amdhsa_private_segment_fixed_size 0
		.amdhsa_kernarg_size 112
		.amdhsa_user_sgpr_count 15
		.amdhsa_user_sgpr_dispatch_ptr 0
		.amdhsa_user_sgpr_queue_ptr 0
		.amdhsa_user_sgpr_kernarg_segment_ptr 1
		.amdhsa_user_sgpr_dispatch_id 0
		.amdhsa_user_sgpr_private_segment_size 0
		.amdhsa_wavefront_size32 1
		.amdhsa_uses_dynamic_stack 0
		.amdhsa_enable_private_segment 0
		.amdhsa_system_sgpr_workgroup_id_x 1
		.amdhsa_system_sgpr_workgroup_id_y 0
		.amdhsa_system_sgpr_workgroup_id_z 0
		.amdhsa_system_sgpr_workgroup_info 0
		.amdhsa_system_vgpr_workitem_id 0
		.amdhsa_next_free_vgpr 1
		.amdhsa_next_free_sgpr 1
		.amdhsa_reserve_vcc 0
		.amdhsa_float_round_mode_32 0
		.amdhsa_float_round_mode_16_64 0
		.amdhsa_float_denorm_mode_32 3
		.amdhsa_float_denorm_mode_16_64 3
		.amdhsa_dx10_clamp 1
		.amdhsa_ieee_mode 1
		.amdhsa_fp16_overflow 0
		.amdhsa_workgroup_processor_mode 1
		.amdhsa_memory_ordered 1
		.amdhsa_forward_progress 0
		.amdhsa_shared_vgpr_count 0
		.amdhsa_exception_fp_ieee_invalid_op 0
		.amdhsa_exception_fp_denorm_src 0
		.amdhsa_exception_fp_ieee_div_zero 0
		.amdhsa_exception_fp_ieee_overflow 0
		.amdhsa_exception_fp_ieee_underflow 0
		.amdhsa_exception_fp_ieee_inexact 0
		.amdhsa_exception_int_div_zero 0
	.end_amdhsa_kernel
	.section	.text._ZN7rocprim17ROCPRIM_400000_NS6detail17trampoline_kernelINS0_14default_configENS1_25partition_config_selectorILNS1_17partition_subalgoE9EffbEEZZNS1_14partition_implILS5_9ELb0ES3_jN6thrust23THRUST_200600_302600_NS6detail15normal_iteratorINS9_10device_ptrIfEEEESE_PNS0_10empty_typeENS0_5tupleIJSE_SF_EEENSH_IJSE_SG_EEENS0_18inequality_wrapperI22is_equal_div_10_uniqueIfEEEPmJSF_EEE10hipError_tPvRmT3_T4_T5_T6_T7_T9_mT8_P12ihipStream_tbDpT10_ENKUlT_T0_E_clISt17integral_constantIbLb1EES17_IbLb0EEEEDaS13_S14_EUlS13_E_NS1_11comp_targetILNS1_3genE8ELNS1_11target_archE1030ELNS1_3gpuE2ELNS1_3repE0EEENS1_30default_config_static_selectorELNS0_4arch9wavefront6targetE0EEEvT1_,"axG",@progbits,_ZN7rocprim17ROCPRIM_400000_NS6detail17trampoline_kernelINS0_14default_configENS1_25partition_config_selectorILNS1_17partition_subalgoE9EffbEEZZNS1_14partition_implILS5_9ELb0ES3_jN6thrust23THRUST_200600_302600_NS6detail15normal_iteratorINS9_10device_ptrIfEEEESE_PNS0_10empty_typeENS0_5tupleIJSE_SF_EEENSH_IJSE_SG_EEENS0_18inequality_wrapperI22is_equal_div_10_uniqueIfEEEPmJSF_EEE10hipError_tPvRmT3_T4_T5_T6_T7_T9_mT8_P12ihipStream_tbDpT10_ENKUlT_T0_E_clISt17integral_constantIbLb1EES17_IbLb0EEEEDaS13_S14_EUlS13_E_NS1_11comp_targetILNS1_3genE8ELNS1_11target_archE1030ELNS1_3gpuE2ELNS1_3repE0EEENS1_30default_config_static_selectorELNS0_4arch9wavefront6targetE0EEEvT1_,comdat
.Lfunc_end135:
	.size	_ZN7rocprim17ROCPRIM_400000_NS6detail17trampoline_kernelINS0_14default_configENS1_25partition_config_selectorILNS1_17partition_subalgoE9EffbEEZZNS1_14partition_implILS5_9ELb0ES3_jN6thrust23THRUST_200600_302600_NS6detail15normal_iteratorINS9_10device_ptrIfEEEESE_PNS0_10empty_typeENS0_5tupleIJSE_SF_EEENSH_IJSE_SG_EEENS0_18inequality_wrapperI22is_equal_div_10_uniqueIfEEEPmJSF_EEE10hipError_tPvRmT3_T4_T5_T6_T7_T9_mT8_P12ihipStream_tbDpT10_ENKUlT_T0_E_clISt17integral_constantIbLb1EES17_IbLb0EEEEDaS13_S14_EUlS13_E_NS1_11comp_targetILNS1_3genE8ELNS1_11target_archE1030ELNS1_3gpuE2ELNS1_3repE0EEENS1_30default_config_static_selectorELNS0_4arch9wavefront6targetE0EEEvT1_, .Lfunc_end135-_ZN7rocprim17ROCPRIM_400000_NS6detail17trampoline_kernelINS0_14default_configENS1_25partition_config_selectorILNS1_17partition_subalgoE9EffbEEZZNS1_14partition_implILS5_9ELb0ES3_jN6thrust23THRUST_200600_302600_NS6detail15normal_iteratorINS9_10device_ptrIfEEEESE_PNS0_10empty_typeENS0_5tupleIJSE_SF_EEENSH_IJSE_SG_EEENS0_18inequality_wrapperI22is_equal_div_10_uniqueIfEEEPmJSF_EEE10hipError_tPvRmT3_T4_T5_T6_T7_T9_mT8_P12ihipStream_tbDpT10_ENKUlT_T0_E_clISt17integral_constantIbLb1EES17_IbLb0EEEEDaS13_S14_EUlS13_E_NS1_11comp_targetILNS1_3genE8ELNS1_11target_archE1030ELNS1_3gpuE2ELNS1_3repE0EEENS1_30default_config_static_selectorELNS0_4arch9wavefront6targetE0EEEvT1_
                                        ; -- End function
	.section	.AMDGPU.csdata,"",@progbits
; Kernel info:
; codeLenInByte = 0
; NumSgprs: 0
; NumVgprs: 0
; ScratchSize: 0
; MemoryBound: 0
; FloatMode: 240
; IeeeMode: 1
; LDSByteSize: 0 bytes/workgroup (compile time only)
; SGPRBlocks: 0
; VGPRBlocks: 0
; NumSGPRsForWavesPerEU: 1
; NumVGPRsForWavesPerEU: 1
; Occupancy: 16
; WaveLimiterHint : 0
; COMPUTE_PGM_RSRC2:SCRATCH_EN: 0
; COMPUTE_PGM_RSRC2:USER_SGPR: 15
; COMPUTE_PGM_RSRC2:TRAP_HANDLER: 0
; COMPUTE_PGM_RSRC2:TGID_X_EN: 1
; COMPUTE_PGM_RSRC2:TGID_Y_EN: 0
; COMPUTE_PGM_RSRC2:TGID_Z_EN: 0
; COMPUTE_PGM_RSRC2:TIDIG_COMP_CNT: 0
	.section	.text._ZN7rocprim17ROCPRIM_400000_NS6detail17trampoline_kernelINS0_14default_configENS1_25partition_config_selectorILNS1_17partition_subalgoE9EffbEEZZNS1_14partition_implILS5_9ELb0ES3_jN6thrust23THRUST_200600_302600_NS6detail15normal_iteratorINS9_10device_ptrIfEEEESE_PNS0_10empty_typeENS0_5tupleIJSE_SF_EEENSH_IJSE_SG_EEENS0_18inequality_wrapperI22is_equal_div_10_uniqueIfEEEPmJSF_EEE10hipError_tPvRmT3_T4_T5_T6_T7_T9_mT8_P12ihipStream_tbDpT10_ENKUlT_T0_E_clISt17integral_constantIbLb0EES17_IbLb1EEEEDaS13_S14_EUlS13_E_NS1_11comp_targetILNS1_3genE0ELNS1_11target_archE4294967295ELNS1_3gpuE0ELNS1_3repE0EEENS1_30default_config_static_selectorELNS0_4arch9wavefront6targetE0EEEvT1_,"axG",@progbits,_ZN7rocprim17ROCPRIM_400000_NS6detail17trampoline_kernelINS0_14default_configENS1_25partition_config_selectorILNS1_17partition_subalgoE9EffbEEZZNS1_14partition_implILS5_9ELb0ES3_jN6thrust23THRUST_200600_302600_NS6detail15normal_iteratorINS9_10device_ptrIfEEEESE_PNS0_10empty_typeENS0_5tupleIJSE_SF_EEENSH_IJSE_SG_EEENS0_18inequality_wrapperI22is_equal_div_10_uniqueIfEEEPmJSF_EEE10hipError_tPvRmT3_T4_T5_T6_T7_T9_mT8_P12ihipStream_tbDpT10_ENKUlT_T0_E_clISt17integral_constantIbLb0EES17_IbLb1EEEEDaS13_S14_EUlS13_E_NS1_11comp_targetILNS1_3genE0ELNS1_11target_archE4294967295ELNS1_3gpuE0ELNS1_3repE0EEENS1_30default_config_static_selectorELNS0_4arch9wavefront6targetE0EEEvT1_,comdat
	.protected	_ZN7rocprim17ROCPRIM_400000_NS6detail17trampoline_kernelINS0_14default_configENS1_25partition_config_selectorILNS1_17partition_subalgoE9EffbEEZZNS1_14partition_implILS5_9ELb0ES3_jN6thrust23THRUST_200600_302600_NS6detail15normal_iteratorINS9_10device_ptrIfEEEESE_PNS0_10empty_typeENS0_5tupleIJSE_SF_EEENSH_IJSE_SG_EEENS0_18inequality_wrapperI22is_equal_div_10_uniqueIfEEEPmJSF_EEE10hipError_tPvRmT3_T4_T5_T6_T7_T9_mT8_P12ihipStream_tbDpT10_ENKUlT_T0_E_clISt17integral_constantIbLb0EES17_IbLb1EEEEDaS13_S14_EUlS13_E_NS1_11comp_targetILNS1_3genE0ELNS1_11target_archE4294967295ELNS1_3gpuE0ELNS1_3repE0EEENS1_30default_config_static_selectorELNS0_4arch9wavefront6targetE0EEEvT1_ ; -- Begin function _ZN7rocprim17ROCPRIM_400000_NS6detail17trampoline_kernelINS0_14default_configENS1_25partition_config_selectorILNS1_17partition_subalgoE9EffbEEZZNS1_14partition_implILS5_9ELb0ES3_jN6thrust23THRUST_200600_302600_NS6detail15normal_iteratorINS9_10device_ptrIfEEEESE_PNS0_10empty_typeENS0_5tupleIJSE_SF_EEENSH_IJSE_SG_EEENS0_18inequality_wrapperI22is_equal_div_10_uniqueIfEEEPmJSF_EEE10hipError_tPvRmT3_T4_T5_T6_T7_T9_mT8_P12ihipStream_tbDpT10_ENKUlT_T0_E_clISt17integral_constantIbLb0EES17_IbLb1EEEEDaS13_S14_EUlS13_E_NS1_11comp_targetILNS1_3genE0ELNS1_11target_archE4294967295ELNS1_3gpuE0ELNS1_3repE0EEENS1_30default_config_static_selectorELNS0_4arch9wavefront6targetE0EEEvT1_
	.globl	_ZN7rocprim17ROCPRIM_400000_NS6detail17trampoline_kernelINS0_14default_configENS1_25partition_config_selectorILNS1_17partition_subalgoE9EffbEEZZNS1_14partition_implILS5_9ELb0ES3_jN6thrust23THRUST_200600_302600_NS6detail15normal_iteratorINS9_10device_ptrIfEEEESE_PNS0_10empty_typeENS0_5tupleIJSE_SF_EEENSH_IJSE_SG_EEENS0_18inequality_wrapperI22is_equal_div_10_uniqueIfEEEPmJSF_EEE10hipError_tPvRmT3_T4_T5_T6_T7_T9_mT8_P12ihipStream_tbDpT10_ENKUlT_T0_E_clISt17integral_constantIbLb0EES17_IbLb1EEEEDaS13_S14_EUlS13_E_NS1_11comp_targetILNS1_3genE0ELNS1_11target_archE4294967295ELNS1_3gpuE0ELNS1_3repE0EEENS1_30default_config_static_selectorELNS0_4arch9wavefront6targetE0EEEvT1_
	.p2align	8
	.type	_ZN7rocprim17ROCPRIM_400000_NS6detail17trampoline_kernelINS0_14default_configENS1_25partition_config_selectorILNS1_17partition_subalgoE9EffbEEZZNS1_14partition_implILS5_9ELb0ES3_jN6thrust23THRUST_200600_302600_NS6detail15normal_iteratorINS9_10device_ptrIfEEEESE_PNS0_10empty_typeENS0_5tupleIJSE_SF_EEENSH_IJSE_SG_EEENS0_18inequality_wrapperI22is_equal_div_10_uniqueIfEEEPmJSF_EEE10hipError_tPvRmT3_T4_T5_T6_T7_T9_mT8_P12ihipStream_tbDpT10_ENKUlT_T0_E_clISt17integral_constantIbLb0EES17_IbLb1EEEEDaS13_S14_EUlS13_E_NS1_11comp_targetILNS1_3genE0ELNS1_11target_archE4294967295ELNS1_3gpuE0ELNS1_3repE0EEENS1_30default_config_static_selectorELNS0_4arch9wavefront6targetE0EEEvT1_,@function
_ZN7rocprim17ROCPRIM_400000_NS6detail17trampoline_kernelINS0_14default_configENS1_25partition_config_selectorILNS1_17partition_subalgoE9EffbEEZZNS1_14partition_implILS5_9ELb0ES3_jN6thrust23THRUST_200600_302600_NS6detail15normal_iteratorINS9_10device_ptrIfEEEESE_PNS0_10empty_typeENS0_5tupleIJSE_SF_EEENSH_IJSE_SG_EEENS0_18inequality_wrapperI22is_equal_div_10_uniqueIfEEEPmJSF_EEE10hipError_tPvRmT3_T4_T5_T6_T7_T9_mT8_P12ihipStream_tbDpT10_ENKUlT_T0_E_clISt17integral_constantIbLb0EES17_IbLb1EEEEDaS13_S14_EUlS13_E_NS1_11comp_targetILNS1_3genE0ELNS1_11target_archE4294967295ELNS1_3gpuE0ELNS1_3repE0EEENS1_30default_config_static_selectorELNS0_4arch9wavefront6targetE0EEEvT1_: ; @_ZN7rocprim17ROCPRIM_400000_NS6detail17trampoline_kernelINS0_14default_configENS1_25partition_config_selectorILNS1_17partition_subalgoE9EffbEEZZNS1_14partition_implILS5_9ELb0ES3_jN6thrust23THRUST_200600_302600_NS6detail15normal_iteratorINS9_10device_ptrIfEEEESE_PNS0_10empty_typeENS0_5tupleIJSE_SF_EEENSH_IJSE_SG_EEENS0_18inequality_wrapperI22is_equal_div_10_uniqueIfEEEPmJSF_EEE10hipError_tPvRmT3_T4_T5_T6_T7_T9_mT8_P12ihipStream_tbDpT10_ENKUlT_T0_E_clISt17integral_constantIbLb0EES17_IbLb1EEEEDaS13_S14_EUlS13_E_NS1_11comp_targetILNS1_3genE0ELNS1_11target_archE4294967295ELNS1_3gpuE0ELNS1_3repE0EEENS1_30default_config_static_selectorELNS0_4arch9wavefront6targetE0EEEvT1_
; %bb.0:
	.section	.rodata,"a",@progbits
	.p2align	6, 0x0
	.amdhsa_kernel _ZN7rocprim17ROCPRIM_400000_NS6detail17trampoline_kernelINS0_14default_configENS1_25partition_config_selectorILNS1_17partition_subalgoE9EffbEEZZNS1_14partition_implILS5_9ELb0ES3_jN6thrust23THRUST_200600_302600_NS6detail15normal_iteratorINS9_10device_ptrIfEEEESE_PNS0_10empty_typeENS0_5tupleIJSE_SF_EEENSH_IJSE_SG_EEENS0_18inequality_wrapperI22is_equal_div_10_uniqueIfEEEPmJSF_EEE10hipError_tPvRmT3_T4_T5_T6_T7_T9_mT8_P12ihipStream_tbDpT10_ENKUlT_T0_E_clISt17integral_constantIbLb0EES17_IbLb1EEEEDaS13_S14_EUlS13_E_NS1_11comp_targetILNS1_3genE0ELNS1_11target_archE4294967295ELNS1_3gpuE0ELNS1_3repE0EEENS1_30default_config_static_selectorELNS0_4arch9wavefront6targetE0EEEvT1_
		.amdhsa_group_segment_fixed_size 0
		.amdhsa_private_segment_fixed_size 0
		.amdhsa_kernarg_size 128
		.amdhsa_user_sgpr_count 15
		.amdhsa_user_sgpr_dispatch_ptr 0
		.amdhsa_user_sgpr_queue_ptr 0
		.amdhsa_user_sgpr_kernarg_segment_ptr 1
		.amdhsa_user_sgpr_dispatch_id 0
		.amdhsa_user_sgpr_private_segment_size 0
		.amdhsa_wavefront_size32 1
		.amdhsa_uses_dynamic_stack 0
		.amdhsa_enable_private_segment 0
		.amdhsa_system_sgpr_workgroup_id_x 1
		.amdhsa_system_sgpr_workgroup_id_y 0
		.amdhsa_system_sgpr_workgroup_id_z 0
		.amdhsa_system_sgpr_workgroup_info 0
		.amdhsa_system_vgpr_workitem_id 0
		.amdhsa_next_free_vgpr 1
		.amdhsa_next_free_sgpr 1
		.amdhsa_reserve_vcc 0
		.amdhsa_float_round_mode_32 0
		.amdhsa_float_round_mode_16_64 0
		.amdhsa_float_denorm_mode_32 3
		.amdhsa_float_denorm_mode_16_64 3
		.amdhsa_dx10_clamp 1
		.amdhsa_ieee_mode 1
		.amdhsa_fp16_overflow 0
		.amdhsa_workgroup_processor_mode 1
		.amdhsa_memory_ordered 1
		.amdhsa_forward_progress 0
		.amdhsa_shared_vgpr_count 0
		.amdhsa_exception_fp_ieee_invalid_op 0
		.amdhsa_exception_fp_denorm_src 0
		.amdhsa_exception_fp_ieee_div_zero 0
		.amdhsa_exception_fp_ieee_overflow 0
		.amdhsa_exception_fp_ieee_underflow 0
		.amdhsa_exception_fp_ieee_inexact 0
		.amdhsa_exception_int_div_zero 0
	.end_amdhsa_kernel
	.section	.text._ZN7rocprim17ROCPRIM_400000_NS6detail17trampoline_kernelINS0_14default_configENS1_25partition_config_selectorILNS1_17partition_subalgoE9EffbEEZZNS1_14partition_implILS5_9ELb0ES3_jN6thrust23THRUST_200600_302600_NS6detail15normal_iteratorINS9_10device_ptrIfEEEESE_PNS0_10empty_typeENS0_5tupleIJSE_SF_EEENSH_IJSE_SG_EEENS0_18inequality_wrapperI22is_equal_div_10_uniqueIfEEEPmJSF_EEE10hipError_tPvRmT3_T4_T5_T6_T7_T9_mT8_P12ihipStream_tbDpT10_ENKUlT_T0_E_clISt17integral_constantIbLb0EES17_IbLb1EEEEDaS13_S14_EUlS13_E_NS1_11comp_targetILNS1_3genE0ELNS1_11target_archE4294967295ELNS1_3gpuE0ELNS1_3repE0EEENS1_30default_config_static_selectorELNS0_4arch9wavefront6targetE0EEEvT1_,"axG",@progbits,_ZN7rocprim17ROCPRIM_400000_NS6detail17trampoline_kernelINS0_14default_configENS1_25partition_config_selectorILNS1_17partition_subalgoE9EffbEEZZNS1_14partition_implILS5_9ELb0ES3_jN6thrust23THRUST_200600_302600_NS6detail15normal_iteratorINS9_10device_ptrIfEEEESE_PNS0_10empty_typeENS0_5tupleIJSE_SF_EEENSH_IJSE_SG_EEENS0_18inequality_wrapperI22is_equal_div_10_uniqueIfEEEPmJSF_EEE10hipError_tPvRmT3_T4_T5_T6_T7_T9_mT8_P12ihipStream_tbDpT10_ENKUlT_T0_E_clISt17integral_constantIbLb0EES17_IbLb1EEEEDaS13_S14_EUlS13_E_NS1_11comp_targetILNS1_3genE0ELNS1_11target_archE4294967295ELNS1_3gpuE0ELNS1_3repE0EEENS1_30default_config_static_selectorELNS0_4arch9wavefront6targetE0EEEvT1_,comdat
.Lfunc_end136:
	.size	_ZN7rocprim17ROCPRIM_400000_NS6detail17trampoline_kernelINS0_14default_configENS1_25partition_config_selectorILNS1_17partition_subalgoE9EffbEEZZNS1_14partition_implILS5_9ELb0ES3_jN6thrust23THRUST_200600_302600_NS6detail15normal_iteratorINS9_10device_ptrIfEEEESE_PNS0_10empty_typeENS0_5tupleIJSE_SF_EEENSH_IJSE_SG_EEENS0_18inequality_wrapperI22is_equal_div_10_uniqueIfEEEPmJSF_EEE10hipError_tPvRmT3_T4_T5_T6_T7_T9_mT8_P12ihipStream_tbDpT10_ENKUlT_T0_E_clISt17integral_constantIbLb0EES17_IbLb1EEEEDaS13_S14_EUlS13_E_NS1_11comp_targetILNS1_3genE0ELNS1_11target_archE4294967295ELNS1_3gpuE0ELNS1_3repE0EEENS1_30default_config_static_selectorELNS0_4arch9wavefront6targetE0EEEvT1_, .Lfunc_end136-_ZN7rocprim17ROCPRIM_400000_NS6detail17trampoline_kernelINS0_14default_configENS1_25partition_config_selectorILNS1_17partition_subalgoE9EffbEEZZNS1_14partition_implILS5_9ELb0ES3_jN6thrust23THRUST_200600_302600_NS6detail15normal_iteratorINS9_10device_ptrIfEEEESE_PNS0_10empty_typeENS0_5tupleIJSE_SF_EEENSH_IJSE_SG_EEENS0_18inequality_wrapperI22is_equal_div_10_uniqueIfEEEPmJSF_EEE10hipError_tPvRmT3_T4_T5_T6_T7_T9_mT8_P12ihipStream_tbDpT10_ENKUlT_T0_E_clISt17integral_constantIbLb0EES17_IbLb1EEEEDaS13_S14_EUlS13_E_NS1_11comp_targetILNS1_3genE0ELNS1_11target_archE4294967295ELNS1_3gpuE0ELNS1_3repE0EEENS1_30default_config_static_selectorELNS0_4arch9wavefront6targetE0EEEvT1_
                                        ; -- End function
	.section	.AMDGPU.csdata,"",@progbits
; Kernel info:
; codeLenInByte = 0
; NumSgprs: 0
; NumVgprs: 0
; ScratchSize: 0
; MemoryBound: 0
; FloatMode: 240
; IeeeMode: 1
; LDSByteSize: 0 bytes/workgroup (compile time only)
; SGPRBlocks: 0
; VGPRBlocks: 0
; NumSGPRsForWavesPerEU: 1
; NumVGPRsForWavesPerEU: 1
; Occupancy: 16
; WaveLimiterHint : 0
; COMPUTE_PGM_RSRC2:SCRATCH_EN: 0
; COMPUTE_PGM_RSRC2:USER_SGPR: 15
; COMPUTE_PGM_RSRC2:TRAP_HANDLER: 0
; COMPUTE_PGM_RSRC2:TGID_X_EN: 1
; COMPUTE_PGM_RSRC2:TGID_Y_EN: 0
; COMPUTE_PGM_RSRC2:TGID_Z_EN: 0
; COMPUTE_PGM_RSRC2:TIDIG_COMP_CNT: 0
	.section	.text._ZN7rocprim17ROCPRIM_400000_NS6detail17trampoline_kernelINS0_14default_configENS1_25partition_config_selectorILNS1_17partition_subalgoE9EffbEEZZNS1_14partition_implILS5_9ELb0ES3_jN6thrust23THRUST_200600_302600_NS6detail15normal_iteratorINS9_10device_ptrIfEEEESE_PNS0_10empty_typeENS0_5tupleIJSE_SF_EEENSH_IJSE_SG_EEENS0_18inequality_wrapperI22is_equal_div_10_uniqueIfEEEPmJSF_EEE10hipError_tPvRmT3_T4_T5_T6_T7_T9_mT8_P12ihipStream_tbDpT10_ENKUlT_T0_E_clISt17integral_constantIbLb0EES17_IbLb1EEEEDaS13_S14_EUlS13_E_NS1_11comp_targetILNS1_3genE5ELNS1_11target_archE942ELNS1_3gpuE9ELNS1_3repE0EEENS1_30default_config_static_selectorELNS0_4arch9wavefront6targetE0EEEvT1_,"axG",@progbits,_ZN7rocprim17ROCPRIM_400000_NS6detail17trampoline_kernelINS0_14default_configENS1_25partition_config_selectorILNS1_17partition_subalgoE9EffbEEZZNS1_14partition_implILS5_9ELb0ES3_jN6thrust23THRUST_200600_302600_NS6detail15normal_iteratorINS9_10device_ptrIfEEEESE_PNS0_10empty_typeENS0_5tupleIJSE_SF_EEENSH_IJSE_SG_EEENS0_18inequality_wrapperI22is_equal_div_10_uniqueIfEEEPmJSF_EEE10hipError_tPvRmT3_T4_T5_T6_T7_T9_mT8_P12ihipStream_tbDpT10_ENKUlT_T0_E_clISt17integral_constantIbLb0EES17_IbLb1EEEEDaS13_S14_EUlS13_E_NS1_11comp_targetILNS1_3genE5ELNS1_11target_archE942ELNS1_3gpuE9ELNS1_3repE0EEENS1_30default_config_static_selectorELNS0_4arch9wavefront6targetE0EEEvT1_,comdat
	.protected	_ZN7rocprim17ROCPRIM_400000_NS6detail17trampoline_kernelINS0_14default_configENS1_25partition_config_selectorILNS1_17partition_subalgoE9EffbEEZZNS1_14partition_implILS5_9ELb0ES3_jN6thrust23THRUST_200600_302600_NS6detail15normal_iteratorINS9_10device_ptrIfEEEESE_PNS0_10empty_typeENS0_5tupleIJSE_SF_EEENSH_IJSE_SG_EEENS0_18inequality_wrapperI22is_equal_div_10_uniqueIfEEEPmJSF_EEE10hipError_tPvRmT3_T4_T5_T6_T7_T9_mT8_P12ihipStream_tbDpT10_ENKUlT_T0_E_clISt17integral_constantIbLb0EES17_IbLb1EEEEDaS13_S14_EUlS13_E_NS1_11comp_targetILNS1_3genE5ELNS1_11target_archE942ELNS1_3gpuE9ELNS1_3repE0EEENS1_30default_config_static_selectorELNS0_4arch9wavefront6targetE0EEEvT1_ ; -- Begin function _ZN7rocprim17ROCPRIM_400000_NS6detail17trampoline_kernelINS0_14default_configENS1_25partition_config_selectorILNS1_17partition_subalgoE9EffbEEZZNS1_14partition_implILS5_9ELb0ES3_jN6thrust23THRUST_200600_302600_NS6detail15normal_iteratorINS9_10device_ptrIfEEEESE_PNS0_10empty_typeENS0_5tupleIJSE_SF_EEENSH_IJSE_SG_EEENS0_18inequality_wrapperI22is_equal_div_10_uniqueIfEEEPmJSF_EEE10hipError_tPvRmT3_T4_T5_T6_T7_T9_mT8_P12ihipStream_tbDpT10_ENKUlT_T0_E_clISt17integral_constantIbLb0EES17_IbLb1EEEEDaS13_S14_EUlS13_E_NS1_11comp_targetILNS1_3genE5ELNS1_11target_archE942ELNS1_3gpuE9ELNS1_3repE0EEENS1_30default_config_static_selectorELNS0_4arch9wavefront6targetE0EEEvT1_
	.globl	_ZN7rocprim17ROCPRIM_400000_NS6detail17trampoline_kernelINS0_14default_configENS1_25partition_config_selectorILNS1_17partition_subalgoE9EffbEEZZNS1_14partition_implILS5_9ELb0ES3_jN6thrust23THRUST_200600_302600_NS6detail15normal_iteratorINS9_10device_ptrIfEEEESE_PNS0_10empty_typeENS0_5tupleIJSE_SF_EEENSH_IJSE_SG_EEENS0_18inequality_wrapperI22is_equal_div_10_uniqueIfEEEPmJSF_EEE10hipError_tPvRmT3_T4_T5_T6_T7_T9_mT8_P12ihipStream_tbDpT10_ENKUlT_T0_E_clISt17integral_constantIbLb0EES17_IbLb1EEEEDaS13_S14_EUlS13_E_NS1_11comp_targetILNS1_3genE5ELNS1_11target_archE942ELNS1_3gpuE9ELNS1_3repE0EEENS1_30default_config_static_selectorELNS0_4arch9wavefront6targetE0EEEvT1_
	.p2align	8
	.type	_ZN7rocprim17ROCPRIM_400000_NS6detail17trampoline_kernelINS0_14default_configENS1_25partition_config_selectorILNS1_17partition_subalgoE9EffbEEZZNS1_14partition_implILS5_9ELb0ES3_jN6thrust23THRUST_200600_302600_NS6detail15normal_iteratorINS9_10device_ptrIfEEEESE_PNS0_10empty_typeENS0_5tupleIJSE_SF_EEENSH_IJSE_SG_EEENS0_18inequality_wrapperI22is_equal_div_10_uniqueIfEEEPmJSF_EEE10hipError_tPvRmT3_T4_T5_T6_T7_T9_mT8_P12ihipStream_tbDpT10_ENKUlT_T0_E_clISt17integral_constantIbLb0EES17_IbLb1EEEEDaS13_S14_EUlS13_E_NS1_11comp_targetILNS1_3genE5ELNS1_11target_archE942ELNS1_3gpuE9ELNS1_3repE0EEENS1_30default_config_static_selectorELNS0_4arch9wavefront6targetE0EEEvT1_,@function
_ZN7rocprim17ROCPRIM_400000_NS6detail17trampoline_kernelINS0_14default_configENS1_25partition_config_selectorILNS1_17partition_subalgoE9EffbEEZZNS1_14partition_implILS5_9ELb0ES3_jN6thrust23THRUST_200600_302600_NS6detail15normal_iteratorINS9_10device_ptrIfEEEESE_PNS0_10empty_typeENS0_5tupleIJSE_SF_EEENSH_IJSE_SG_EEENS0_18inequality_wrapperI22is_equal_div_10_uniqueIfEEEPmJSF_EEE10hipError_tPvRmT3_T4_T5_T6_T7_T9_mT8_P12ihipStream_tbDpT10_ENKUlT_T0_E_clISt17integral_constantIbLb0EES17_IbLb1EEEEDaS13_S14_EUlS13_E_NS1_11comp_targetILNS1_3genE5ELNS1_11target_archE942ELNS1_3gpuE9ELNS1_3repE0EEENS1_30default_config_static_selectorELNS0_4arch9wavefront6targetE0EEEvT1_: ; @_ZN7rocprim17ROCPRIM_400000_NS6detail17trampoline_kernelINS0_14default_configENS1_25partition_config_selectorILNS1_17partition_subalgoE9EffbEEZZNS1_14partition_implILS5_9ELb0ES3_jN6thrust23THRUST_200600_302600_NS6detail15normal_iteratorINS9_10device_ptrIfEEEESE_PNS0_10empty_typeENS0_5tupleIJSE_SF_EEENSH_IJSE_SG_EEENS0_18inequality_wrapperI22is_equal_div_10_uniqueIfEEEPmJSF_EEE10hipError_tPvRmT3_T4_T5_T6_T7_T9_mT8_P12ihipStream_tbDpT10_ENKUlT_T0_E_clISt17integral_constantIbLb0EES17_IbLb1EEEEDaS13_S14_EUlS13_E_NS1_11comp_targetILNS1_3genE5ELNS1_11target_archE942ELNS1_3gpuE9ELNS1_3repE0EEENS1_30default_config_static_selectorELNS0_4arch9wavefront6targetE0EEEvT1_
; %bb.0:
	.section	.rodata,"a",@progbits
	.p2align	6, 0x0
	.amdhsa_kernel _ZN7rocprim17ROCPRIM_400000_NS6detail17trampoline_kernelINS0_14default_configENS1_25partition_config_selectorILNS1_17partition_subalgoE9EffbEEZZNS1_14partition_implILS5_9ELb0ES3_jN6thrust23THRUST_200600_302600_NS6detail15normal_iteratorINS9_10device_ptrIfEEEESE_PNS0_10empty_typeENS0_5tupleIJSE_SF_EEENSH_IJSE_SG_EEENS0_18inequality_wrapperI22is_equal_div_10_uniqueIfEEEPmJSF_EEE10hipError_tPvRmT3_T4_T5_T6_T7_T9_mT8_P12ihipStream_tbDpT10_ENKUlT_T0_E_clISt17integral_constantIbLb0EES17_IbLb1EEEEDaS13_S14_EUlS13_E_NS1_11comp_targetILNS1_3genE5ELNS1_11target_archE942ELNS1_3gpuE9ELNS1_3repE0EEENS1_30default_config_static_selectorELNS0_4arch9wavefront6targetE0EEEvT1_
		.amdhsa_group_segment_fixed_size 0
		.amdhsa_private_segment_fixed_size 0
		.amdhsa_kernarg_size 128
		.amdhsa_user_sgpr_count 15
		.amdhsa_user_sgpr_dispatch_ptr 0
		.amdhsa_user_sgpr_queue_ptr 0
		.amdhsa_user_sgpr_kernarg_segment_ptr 1
		.amdhsa_user_sgpr_dispatch_id 0
		.amdhsa_user_sgpr_private_segment_size 0
		.amdhsa_wavefront_size32 1
		.amdhsa_uses_dynamic_stack 0
		.amdhsa_enable_private_segment 0
		.amdhsa_system_sgpr_workgroup_id_x 1
		.amdhsa_system_sgpr_workgroup_id_y 0
		.amdhsa_system_sgpr_workgroup_id_z 0
		.amdhsa_system_sgpr_workgroup_info 0
		.amdhsa_system_vgpr_workitem_id 0
		.amdhsa_next_free_vgpr 1
		.amdhsa_next_free_sgpr 1
		.amdhsa_reserve_vcc 0
		.amdhsa_float_round_mode_32 0
		.amdhsa_float_round_mode_16_64 0
		.amdhsa_float_denorm_mode_32 3
		.amdhsa_float_denorm_mode_16_64 3
		.amdhsa_dx10_clamp 1
		.amdhsa_ieee_mode 1
		.amdhsa_fp16_overflow 0
		.amdhsa_workgroup_processor_mode 1
		.amdhsa_memory_ordered 1
		.amdhsa_forward_progress 0
		.amdhsa_shared_vgpr_count 0
		.amdhsa_exception_fp_ieee_invalid_op 0
		.amdhsa_exception_fp_denorm_src 0
		.amdhsa_exception_fp_ieee_div_zero 0
		.amdhsa_exception_fp_ieee_overflow 0
		.amdhsa_exception_fp_ieee_underflow 0
		.amdhsa_exception_fp_ieee_inexact 0
		.amdhsa_exception_int_div_zero 0
	.end_amdhsa_kernel
	.section	.text._ZN7rocprim17ROCPRIM_400000_NS6detail17trampoline_kernelINS0_14default_configENS1_25partition_config_selectorILNS1_17partition_subalgoE9EffbEEZZNS1_14partition_implILS5_9ELb0ES3_jN6thrust23THRUST_200600_302600_NS6detail15normal_iteratorINS9_10device_ptrIfEEEESE_PNS0_10empty_typeENS0_5tupleIJSE_SF_EEENSH_IJSE_SG_EEENS0_18inequality_wrapperI22is_equal_div_10_uniqueIfEEEPmJSF_EEE10hipError_tPvRmT3_T4_T5_T6_T7_T9_mT8_P12ihipStream_tbDpT10_ENKUlT_T0_E_clISt17integral_constantIbLb0EES17_IbLb1EEEEDaS13_S14_EUlS13_E_NS1_11comp_targetILNS1_3genE5ELNS1_11target_archE942ELNS1_3gpuE9ELNS1_3repE0EEENS1_30default_config_static_selectorELNS0_4arch9wavefront6targetE0EEEvT1_,"axG",@progbits,_ZN7rocprim17ROCPRIM_400000_NS6detail17trampoline_kernelINS0_14default_configENS1_25partition_config_selectorILNS1_17partition_subalgoE9EffbEEZZNS1_14partition_implILS5_9ELb0ES3_jN6thrust23THRUST_200600_302600_NS6detail15normal_iteratorINS9_10device_ptrIfEEEESE_PNS0_10empty_typeENS0_5tupleIJSE_SF_EEENSH_IJSE_SG_EEENS0_18inequality_wrapperI22is_equal_div_10_uniqueIfEEEPmJSF_EEE10hipError_tPvRmT3_T4_T5_T6_T7_T9_mT8_P12ihipStream_tbDpT10_ENKUlT_T0_E_clISt17integral_constantIbLb0EES17_IbLb1EEEEDaS13_S14_EUlS13_E_NS1_11comp_targetILNS1_3genE5ELNS1_11target_archE942ELNS1_3gpuE9ELNS1_3repE0EEENS1_30default_config_static_selectorELNS0_4arch9wavefront6targetE0EEEvT1_,comdat
.Lfunc_end137:
	.size	_ZN7rocprim17ROCPRIM_400000_NS6detail17trampoline_kernelINS0_14default_configENS1_25partition_config_selectorILNS1_17partition_subalgoE9EffbEEZZNS1_14partition_implILS5_9ELb0ES3_jN6thrust23THRUST_200600_302600_NS6detail15normal_iteratorINS9_10device_ptrIfEEEESE_PNS0_10empty_typeENS0_5tupleIJSE_SF_EEENSH_IJSE_SG_EEENS0_18inequality_wrapperI22is_equal_div_10_uniqueIfEEEPmJSF_EEE10hipError_tPvRmT3_T4_T5_T6_T7_T9_mT8_P12ihipStream_tbDpT10_ENKUlT_T0_E_clISt17integral_constantIbLb0EES17_IbLb1EEEEDaS13_S14_EUlS13_E_NS1_11comp_targetILNS1_3genE5ELNS1_11target_archE942ELNS1_3gpuE9ELNS1_3repE0EEENS1_30default_config_static_selectorELNS0_4arch9wavefront6targetE0EEEvT1_, .Lfunc_end137-_ZN7rocprim17ROCPRIM_400000_NS6detail17trampoline_kernelINS0_14default_configENS1_25partition_config_selectorILNS1_17partition_subalgoE9EffbEEZZNS1_14partition_implILS5_9ELb0ES3_jN6thrust23THRUST_200600_302600_NS6detail15normal_iteratorINS9_10device_ptrIfEEEESE_PNS0_10empty_typeENS0_5tupleIJSE_SF_EEENSH_IJSE_SG_EEENS0_18inequality_wrapperI22is_equal_div_10_uniqueIfEEEPmJSF_EEE10hipError_tPvRmT3_T4_T5_T6_T7_T9_mT8_P12ihipStream_tbDpT10_ENKUlT_T0_E_clISt17integral_constantIbLb0EES17_IbLb1EEEEDaS13_S14_EUlS13_E_NS1_11comp_targetILNS1_3genE5ELNS1_11target_archE942ELNS1_3gpuE9ELNS1_3repE0EEENS1_30default_config_static_selectorELNS0_4arch9wavefront6targetE0EEEvT1_
                                        ; -- End function
	.section	.AMDGPU.csdata,"",@progbits
; Kernel info:
; codeLenInByte = 0
; NumSgprs: 0
; NumVgprs: 0
; ScratchSize: 0
; MemoryBound: 0
; FloatMode: 240
; IeeeMode: 1
; LDSByteSize: 0 bytes/workgroup (compile time only)
; SGPRBlocks: 0
; VGPRBlocks: 0
; NumSGPRsForWavesPerEU: 1
; NumVGPRsForWavesPerEU: 1
; Occupancy: 16
; WaveLimiterHint : 0
; COMPUTE_PGM_RSRC2:SCRATCH_EN: 0
; COMPUTE_PGM_RSRC2:USER_SGPR: 15
; COMPUTE_PGM_RSRC2:TRAP_HANDLER: 0
; COMPUTE_PGM_RSRC2:TGID_X_EN: 1
; COMPUTE_PGM_RSRC2:TGID_Y_EN: 0
; COMPUTE_PGM_RSRC2:TGID_Z_EN: 0
; COMPUTE_PGM_RSRC2:TIDIG_COMP_CNT: 0
	.section	.text._ZN7rocprim17ROCPRIM_400000_NS6detail17trampoline_kernelINS0_14default_configENS1_25partition_config_selectorILNS1_17partition_subalgoE9EffbEEZZNS1_14partition_implILS5_9ELb0ES3_jN6thrust23THRUST_200600_302600_NS6detail15normal_iteratorINS9_10device_ptrIfEEEESE_PNS0_10empty_typeENS0_5tupleIJSE_SF_EEENSH_IJSE_SG_EEENS0_18inequality_wrapperI22is_equal_div_10_uniqueIfEEEPmJSF_EEE10hipError_tPvRmT3_T4_T5_T6_T7_T9_mT8_P12ihipStream_tbDpT10_ENKUlT_T0_E_clISt17integral_constantIbLb0EES17_IbLb1EEEEDaS13_S14_EUlS13_E_NS1_11comp_targetILNS1_3genE4ELNS1_11target_archE910ELNS1_3gpuE8ELNS1_3repE0EEENS1_30default_config_static_selectorELNS0_4arch9wavefront6targetE0EEEvT1_,"axG",@progbits,_ZN7rocprim17ROCPRIM_400000_NS6detail17trampoline_kernelINS0_14default_configENS1_25partition_config_selectorILNS1_17partition_subalgoE9EffbEEZZNS1_14partition_implILS5_9ELb0ES3_jN6thrust23THRUST_200600_302600_NS6detail15normal_iteratorINS9_10device_ptrIfEEEESE_PNS0_10empty_typeENS0_5tupleIJSE_SF_EEENSH_IJSE_SG_EEENS0_18inequality_wrapperI22is_equal_div_10_uniqueIfEEEPmJSF_EEE10hipError_tPvRmT3_T4_T5_T6_T7_T9_mT8_P12ihipStream_tbDpT10_ENKUlT_T0_E_clISt17integral_constantIbLb0EES17_IbLb1EEEEDaS13_S14_EUlS13_E_NS1_11comp_targetILNS1_3genE4ELNS1_11target_archE910ELNS1_3gpuE8ELNS1_3repE0EEENS1_30default_config_static_selectorELNS0_4arch9wavefront6targetE0EEEvT1_,comdat
	.protected	_ZN7rocprim17ROCPRIM_400000_NS6detail17trampoline_kernelINS0_14default_configENS1_25partition_config_selectorILNS1_17partition_subalgoE9EffbEEZZNS1_14partition_implILS5_9ELb0ES3_jN6thrust23THRUST_200600_302600_NS6detail15normal_iteratorINS9_10device_ptrIfEEEESE_PNS0_10empty_typeENS0_5tupleIJSE_SF_EEENSH_IJSE_SG_EEENS0_18inequality_wrapperI22is_equal_div_10_uniqueIfEEEPmJSF_EEE10hipError_tPvRmT3_T4_T5_T6_T7_T9_mT8_P12ihipStream_tbDpT10_ENKUlT_T0_E_clISt17integral_constantIbLb0EES17_IbLb1EEEEDaS13_S14_EUlS13_E_NS1_11comp_targetILNS1_3genE4ELNS1_11target_archE910ELNS1_3gpuE8ELNS1_3repE0EEENS1_30default_config_static_selectorELNS0_4arch9wavefront6targetE0EEEvT1_ ; -- Begin function _ZN7rocprim17ROCPRIM_400000_NS6detail17trampoline_kernelINS0_14default_configENS1_25partition_config_selectorILNS1_17partition_subalgoE9EffbEEZZNS1_14partition_implILS5_9ELb0ES3_jN6thrust23THRUST_200600_302600_NS6detail15normal_iteratorINS9_10device_ptrIfEEEESE_PNS0_10empty_typeENS0_5tupleIJSE_SF_EEENSH_IJSE_SG_EEENS0_18inequality_wrapperI22is_equal_div_10_uniqueIfEEEPmJSF_EEE10hipError_tPvRmT3_T4_T5_T6_T7_T9_mT8_P12ihipStream_tbDpT10_ENKUlT_T0_E_clISt17integral_constantIbLb0EES17_IbLb1EEEEDaS13_S14_EUlS13_E_NS1_11comp_targetILNS1_3genE4ELNS1_11target_archE910ELNS1_3gpuE8ELNS1_3repE0EEENS1_30default_config_static_selectorELNS0_4arch9wavefront6targetE0EEEvT1_
	.globl	_ZN7rocprim17ROCPRIM_400000_NS6detail17trampoline_kernelINS0_14default_configENS1_25partition_config_selectorILNS1_17partition_subalgoE9EffbEEZZNS1_14partition_implILS5_9ELb0ES3_jN6thrust23THRUST_200600_302600_NS6detail15normal_iteratorINS9_10device_ptrIfEEEESE_PNS0_10empty_typeENS0_5tupleIJSE_SF_EEENSH_IJSE_SG_EEENS0_18inequality_wrapperI22is_equal_div_10_uniqueIfEEEPmJSF_EEE10hipError_tPvRmT3_T4_T5_T6_T7_T9_mT8_P12ihipStream_tbDpT10_ENKUlT_T0_E_clISt17integral_constantIbLb0EES17_IbLb1EEEEDaS13_S14_EUlS13_E_NS1_11comp_targetILNS1_3genE4ELNS1_11target_archE910ELNS1_3gpuE8ELNS1_3repE0EEENS1_30default_config_static_selectorELNS0_4arch9wavefront6targetE0EEEvT1_
	.p2align	8
	.type	_ZN7rocprim17ROCPRIM_400000_NS6detail17trampoline_kernelINS0_14default_configENS1_25partition_config_selectorILNS1_17partition_subalgoE9EffbEEZZNS1_14partition_implILS5_9ELb0ES3_jN6thrust23THRUST_200600_302600_NS6detail15normal_iteratorINS9_10device_ptrIfEEEESE_PNS0_10empty_typeENS0_5tupleIJSE_SF_EEENSH_IJSE_SG_EEENS0_18inequality_wrapperI22is_equal_div_10_uniqueIfEEEPmJSF_EEE10hipError_tPvRmT3_T4_T5_T6_T7_T9_mT8_P12ihipStream_tbDpT10_ENKUlT_T0_E_clISt17integral_constantIbLb0EES17_IbLb1EEEEDaS13_S14_EUlS13_E_NS1_11comp_targetILNS1_3genE4ELNS1_11target_archE910ELNS1_3gpuE8ELNS1_3repE0EEENS1_30default_config_static_selectorELNS0_4arch9wavefront6targetE0EEEvT1_,@function
_ZN7rocprim17ROCPRIM_400000_NS6detail17trampoline_kernelINS0_14default_configENS1_25partition_config_selectorILNS1_17partition_subalgoE9EffbEEZZNS1_14partition_implILS5_9ELb0ES3_jN6thrust23THRUST_200600_302600_NS6detail15normal_iteratorINS9_10device_ptrIfEEEESE_PNS0_10empty_typeENS0_5tupleIJSE_SF_EEENSH_IJSE_SG_EEENS0_18inequality_wrapperI22is_equal_div_10_uniqueIfEEEPmJSF_EEE10hipError_tPvRmT3_T4_T5_T6_T7_T9_mT8_P12ihipStream_tbDpT10_ENKUlT_T0_E_clISt17integral_constantIbLb0EES17_IbLb1EEEEDaS13_S14_EUlS13_E_NS1_11comp_targetILNS1_3genE4ELNS1_11target_archE910ELNS1_3gpuE8ELNS1_3repE0EEENS1_30default_config_static_selectorELNS0_4arch9wavefront6targetE0EEEvT1_: ; @_ZN7rocprim17ROCPRIM_400000_NS6detail17trampoline_kernelINS0_14default_configENS1_25partition_config_selectorILNS1_17partition_subalgoE9EffbEEZZNS1_14partition_implILS5_9ELb0ES3_jN6thrust23THRUST_200600_302600_NS6detail15normal_iteratorINS9_10device_ptrIfEEEESE_PNS0_10empty_typeENS0_5tupleIJSE_SF_EEENSH_IJSE_SG_EEENS0_18inequality_wrapperI22is_equal_div_10_uniqueIfEEEPmJSF_EEE10hipError_tPvRmT3_T4_T5_T6_T7_T9_mT8_P12ihipStream_tbDpT10_ENKUlT_T0_E_clISt17integral_constantIbLb0EES17_IbLb1EEEEDaS13_S14_EUlS13_E_NS1_11comp_targetILNS1_3genE4ELNS1_11target_archE910ELNS1_3gpuE8ELNS1_3repE0EEENS1_30default_config_static_selectorELNS0_4arch9wavefront6targetE0EEEvT1_
; %bb.0:
	.section	.rodata,"a",@progbits
	.p2align	6, 0x0
	.amdhsa_kernel _ZN7rocprim17ROCPRIM_400000_NS6detail17trampoline_kernelINS0_14default_configENS1_25partition_config_selectorILNS1_17partition_subalgoE9EffbEEZZNS1_14partition_implILS5_9ELb0ES3_jN6thrust23THRUST_200600_302600_NS6detail15normal_iteratorINS9_10device_ptrIfEEEESE_PNS0_10empty_typeENS0_5tupleIJSE_SF_EEENSH_IJSE_SG_EEENS0_18inequality_wrapperI22is_equal_div_10_uniqueIfEEEPmJSF_EEE10hipError_tPvRmT3_T4_T5_T6_T7_T9_mT8_P12ihipStream_tbDpT10_ENKUlT_T0_E_clISt17integral_constantIbLb0EES17_IbLb1EEEEDaS13_S14_EUlS13_E_NS1_11comp_targetILNS1_3genE4ELNS1_11target_archE910ELNS1_3gpuE8ELNS1_3repE0EEENS1_30default_config_static_selectorELNS0_4arch9wavefront6targetE0EEEvT1_
		.amdhsa_group_segment_fixed_size 0
		.amdhsa_private_segment_fixed_size 0
		.amdhsa_kernarg_size 128
		.amdhsa_user_sgpr_count 15
		.amdhsa_user_sgpr_dispatch_ptr 0
		.amdhsa_user_sgpr_queue_ptr 0
		.amdhsa_user_sgpr_kernarg_segment_ptr 1
		.amdhsa_user_sgpr_dispatch_id 0
		.amdhsa_user_sgpr_private_segment_size 0
		.amdhsa_wavefront_size32 1
		.amdhsa_uses_dynamic_stack 0
		.amdhsa_enable_private_segment 0
		.amdhsa_system_sgpr_workgroup_id_x 1
		.amdhsa_system_sgpr_workgroup_id_y 0
		.amdhsa_system_sgpr_workgroup_id_z 0
		.amdhsa_system_sgpr_workgroup_info 0
		.amdhsa_system_vgpr_workitem_id 0
		.amdhsa_next_free_vgpr 1
		.amdhsa_next_free_sgpr 1
		.amdhsa_reserve_vcc 0
		.amdhsa_float_round_mode_32 0
		.amdhsa_float_round_mode_16_64 0
		.amdhsa_float_denorm_mode_32 3
		.amdhsa_float_denorm_mode_16_64 3
		.amdhsa_dx10_clamp 1
		.amdhsa_ieee_mode 1
		.amdhsa_fp16_overflow 0
		.amdhsa_workgroup_processor_mode 1
		.amdhsa_memory_ordered 1
		.amdhsa_forward_progress 0
		.amdhsa_shared_vgpr_count 0
		.amdhsa_exception_fp_ieee_invalid_op 0
		.amdhsa_exception_fp_denorm_src 0
		.amdhsa_exception_fp_ieee_div_zero 0
		.amdhsa_exception_fp_ieee_overflow 0
		.amdhsa_exception_fp_ieee_underflow 0
		.amdhsa_exception_fp_ieee_inexact 0
		.amdhsa_exception_int_div_zero 0
	.end_amdhsa_kernel
	.section	.text._ZN7rocprim17ROCPRIM_400000_NS6detail17trampoline_kernelINS0_14default_configENS1_25partition_config_selectorILNS1_17partition_subalgoE9EffbEEZZNS1_14partition_implILS5_9ELb0ES3_jN6thrust23THRUST_200600_302600_NS6detail15normal_iteratorINS9_10device_ptrIfEEEESE_PNS0_10empty_typeENS0_5tupleIJSE_SF_EEENSH_IJSE_SG_EEENS0_18inequality_wrapperI22is_equal_div_10_uniqueIfEEEPmJSF_EEE10hipError_tPvRmT3_T4_T5_T6_T7_T9_mT8_P12ihipStream_tbDpT10_ENKUlT_T0_E_clISt17integral_constantIbLb0EES17_IbLb1EEEEDaS13_S14_EUlS13_E_NS1_11comp_targetILNS1_3genE4ELNS1_11target_archE910ELNS1_3gpuE8ELNS1_3repE0EEENS1_30default_config_static_selectorELNS0_4arch9wavefront6targetE0EEEvT1_,"axG",@progbits,_ZN7rocprim17ROCPRIM_400000_NS6detail17trampoline_kernelINS0_14default_configENS1_25partition_config_selectorILNS1_17partition_subalgoE9EffbEEZZNS1_14partition_implILS5_9ELb0ES3_jN6thrust23THRUST_200600_302600_NS6detail15normal_iteratorINS9_10device_ptrIfEEEESE_PNS0_10empty_typeENS0_5tupleIJSE_SF_EEENSH_IJSE_SG_EEENS0_18inequality_wrapperI22is_equal_div_10_uniqueIfEEEPmJSF_EEE10hipError_tPvRmT3_T4_T5_T6_T7_T9_mT8_P12ihipStream_tbDpT10_ENKUlT_T0_E_clISt17integral_constantIbLb0EES17_IbLb1EEEEDaS13_S14_EUlS13_E_NS1_11comp_targetILNS1_3genE4ELNS1_11target_archE910ELNS1_3gpuE8ELNS1_3repE0EEENS1_30default_config_static_selectorELNS0_4arch9wavefront6targetE0EEEvT1_,comdat
.Lfunc_end138:
	.size	_ZN7rocprim17ROCPRIM_400000_NS6detail17trampoline_kernelINS0_14default_configENS1_25partition_config_selectorILNS1_17partition_subalgoE9EffbEEZZNS1_14partition_implILS5_9ELb0ES3_jN6thrust23THRUST_200600_302600_NS6detail15normal_iteratorINS9_10device_ptrIfEEEESE_PNS0_10empty_typeENS0_5tupleIJSE_SF_EEENSH_IJSE_SG_EEENS0_18inequality_wrapperI22is_equal_div_10_uniqueIfEEEPmJSF_EEE10hipError_tPvRmT3_T4_T5_T6_T7_T9_mT8_P12ihipStream_tbDpT10_ENKUlT_T0_E_clISt17integral_constantIbLb0EES17_IbLb1EEEEDaS13_S14_EUlS13_E_NS1_11comp_targetILNS1_3genE4ELNS1_11target_archE910ELNS1_3gpuE8ELNS1_3repE0EEENS1_30default_config_static_selectorELNS0_4arch9wavefront6targetE0EEEvT1_, .Lfunc_end138-_ZN7rocprim17ROCPRIM_400000_NS6detail17trampoline_kernelINS0_14default_configENS1_25partition_config_selectorILNS1_17partition_subalgoE9EffbEEZZNS1_14partition_implILS5_9ELb0ES3_jN6thrust23THRUST_200600_302600_NS6detail15normal_iteratorINS9_10device_ptrIfEEEESE_PNS0_10empty_typeENS0_5tupleIJSE_SF_EEENSH_IJSE_SG_EEENS0_18inequality_wrapperI22is_equal_div_10_uniqueIfEEEPmJSF_EEE10hipError_tPvRmT3_T4_T5_T6_T7_T9_mT8_P12ihipStream_tbDpT10_ENKUlT_T0_E_clISt17integral_constantIbLb0EES17_IbLb1EEEEDaS13_S14_EUlS13_E_NS1_11comp_targetILNS1_3genE4ELNS1_11target_archE910ELNS1_3gpuE8ELNS1_3repE0EEENS1_30default_config_static_selectorELNS0_4arch9wavefront6targetE0EEEvT1_
                                        ; -- End function
	.section	.AMDGPU.csdata,"",@progbits
; Kernel info:
; codeLenInByte = 0
; NumSgprs: 0
; NumVgprs: 0
; ScratchSize: 0
; MemoryBound: 0
; FloatMode: 240
; IeeeMode: 1
; LDSByteSize: 0 bytes/workgroup (compile time only)
; SGPRBlocks: 0
; VGPRBlocks: 0
; NumSGPRsForWavesPerEU: 1
; NumVGPRsForWavesPerEU: 1
; Occupancy: 15
; WaveLimiterHint : 0
; COMPUTE_PGM_RSRC2:SCRATCH_EN: 0
; COMPUTE_PGM_RSRC2:USER_SGPR: 15
; COMPUTE_PGM_RSRC2:TRAP_HANDLER: 0
; COMPUTE_PGM_RSRC2:TGID_X_EN: 1
; COMPUTE_PGM_RSRC2:TGID_Y_EN: 0
; COMPUTE_PGM_RSRC2:TGID_Z_EN: 0
; COMPUTE_PGM_RSRC2:TIDIG_COMP_CNT: 0
	.section	.text._ZN7rocprim17ROCPRIM_400000_NS6detail17trampoline_kernelINS0_14default_configENS1_25partition_config_selectorILNS1_17partition_subalgoE9EffbEEZZNS1_14partition_implILS5_9ELb0ES3_jN6thrust23THRUST_200600_302600_NS6detail15normal_iteratorINS9_10device_ptrIfEEEESE_PNS0_10empty_typeENS0_5tupleIJSE_SF_EEENSH_IJSE_SG_EEENS0_18inequality_wrapperI22is_equal_div_10_uniqueIfEEEPmJSF_EEE10hipError_tPvRmT3_T4_T5_T6_T7_T9_mT8_P12ihipStream_tbDpT10_ENKUlT_T0_E_clISt17integral_constantIbLb0EES17_IbLb1EEEEDaS13_S14_EUlS13_E_NS1_11comp_targetILNS1_3genE3ELNS1_11target_archE908ELNS1_3gpuE7ELNS1_3repE0EEENS1_30default_config_static_selectorELNS0_4arch9wavefront6targetE0EEEvT1_,"axG",@progbits,_ZN7rocprim17ROCPRIM_400000_NS6detail17trampoline_kernelINS0_14default_configENS1_25partition_config_selectorILNS1_17partition_subalgoE9EffbEEZZNS1_14partition_implILS5_9ELb0ES3_jN6thrust23THRUST_200600_302600_NS6detail15normal_iteratorINS9_10device_ptrIfEEEESE_PNS0_10empty_typeENS0_5tupleIJSE_SF_EEENSH_IJSE_SG_EEENS0_18inequality_wrapperI22is_equal_div_10_uniqueIfEEEPmJSF_EEE10hipError_tPvRmT3_T4_T5_T6_T7_T9_mT8_P12ihipStream_tbDpT10_ENKUlT_T0_E_clISt17integral_constantIbLb0EES17_IbLb1EEEEDaS13_S14_EUlS13_E_NS1_11comp_targetILNS1_3genE3ELNS1_11target_archE908ELNS1_3gpuE7ELNS1_3repE0EEENS1_30default_config_static_selectorELNS0_4arch9wavefront6targetE0EEEvT1_,comdat
	.protected	_ZN7rocprim17ROCPRIM_400000_NS6detail17trampoline_kernelINS0_14default_configENS1_25partition_config_selectorILNS1_17partition_subalgoE9EffbEEZZNS1_14partition_implILS5_9ELb0ES3_jN6thrust23THRUST_200600_302600_NS6detail15normal_iteratorINS9_10device_ptrIfEEEESE_PNS0_10empty_typeENS0_5tupleIJSE_SF_EEENSH_IJSE_SG_EEENS0_18inequality_wrapperI22is_equal_div_10_uniqueIfEEEPmJSF_EEE10hipError_tPvRmT3_T4_T5_T6_T7_T9_mT8_P12ihipStream_tbDpT10_ENKUlT_T0_E_clISt17integral_constantIbLb0EES17_IbLb1EEEEDaS13_S14_EUlS13_E_NS1_11comp_targetILNS1_3genE3ELNS1_11target_archE908ELNS1_3gpuE7ELNS1_3repE0EEENS1_30default_config_static_selectorELNS0_4arch9wavefront6targetE0EEEvT1_ ; -- Begin function _ZN7rocprim17ROCPRIM_400000_NS6detail17trampoline_kernelINS0_14default_configENS1_25partition_config_selectorILNS1_17partition_subalgoE9EffbEEZZNS1_14partition_implILS5_9ELb0ES3_jN6thrust23THRUST_200600_302600_NS6detail15normal_iteratorINS9_10device_ptrIfEEEESE_PNS0_10empty_typeENS0_5tupleIJSE_SF_EEENSH_IJSE_SG_EEENS0_18inequality_wrapperI22is_equal_div_10_uniqueIfEEEPmJSF_EEE10hipError_tPvRmT3_T4_T5_T6_T7_T9_mT8_P12ihipStream_tbDpT10_ENKUlT_T0_E_clISt17integral_constantIbLb0EES17_IbLb1EEEEDaS13_S14_EUlS13_E_NS1_11comp_targetILNS1_3genE3ELNS1_11target_archE908ELNS1_3gpuE7ELNS1_3repE0EEENS1_30default_config_static_selectorELNS0_4arch9wavefront6targetE0EEEvT1_
	.globl	_ZN7rocprim17ROCPRIM_400000_NS6detail17trampoline_kernelINS0_14default_configENS1_25partition_config_selectorILNS1_17partition_subalgoE9EffbEEZZNS1_14partition_implILS5_9ELb0ES3_jN6thrust23THRUST_200600_302600_NS6detail15normal_iteratorINS9_10device_ptrIfEEEESE_PNS0_10empty_typeENS0_5tupleIJSE_SF_EEENSH_IJSE_SG_EEENS0_18inequality_wrapperI22is_equal_div_10_uniqueIfEEEPmJSF_EEE10hipError_tPvRmT3_T4_T5_T6_T7_T9_mT8_P12ihipStream_tbDpT10_ENKUlT_T0_E_clISt17integral_constantIbLb0EES17_IbLb1EEEEDaS13_S14_EUlS13_E_NS1_11comp_targetILNS1_3genE3ELNS1_11target_archE908ELNS1_3gpuE7ELNS1_3repE0EEENS1_30default_config_static_selectorELNS0_4arch9wavefront6targetE0EEEvT1_
	.p2align	8
	.type	_ZN7rocprim17ROCPRIM_400000_NS6detail17trampoline_kernelINS0_14default_configENS1_25partition_config_selectorILNS1_17partition_subalgoE9EffbEEZZNS1_14partition_implILS5_9ELb0ES3_jN6thrust23THRUST_200600_302600_NS6detail15normal_iteratorINS9_10device_ptrIfEEEESE_PNS0_10empty_typeENS0_5tupleIJSE_SF_EEENSH_IJSE_SG_EEENS0_18inequality_wrapperI22is_equal_div_10_uniqueIfEEEPmJSF_EEE10hipError_tPvRmT3_T4_T5_T6_T7_T9_mT8_P12ihipStream_tbDpT10_ENKUlT_T0_E_clISt17integral_constantIbLb0EES17_IbLb1EEEEDaS13_S14_EUlS13_E_NS1_11comp_targetILNS1_3genE3ELNS1_11target_archE908ELNS1_3gpuE7ELNS1_3repE0EEENS1_30default_config_static_selectorELNS0_4arch9wavefront6targetE0EEEvT1_,@function
_ZN7rocprim17ROCPRIM_400000_NS6detail17trampoline_kernelINS0_14default_configENS1_25partition_config_selectorILNS1_17partition_subalgoE9EffbEEZZNS1_14partition_implILS5_9ELb0ES3_jN6thrust23THRUST_200600_302600_NS6detail15normal_iteratorINS9_10device_ptrIfEEEESE_PNS0_10empty_typeENS0_5tupleIJSE_SF_EEENSH_IJSE_SG_EEENS0_18inequality_wrapperI22is_equal_div_10_uniqueIfEEEPmJSF_EEE10hipError_tPvRmT3_T4_T5_T6_T7_T9_mT8_P12ihipStream_tbDpT10_ENKUlT_T0_E_clISt17integral_constantIbLb0EES17_IbLb1EEEEDaS13_S14_EUlS13_E_NS1_11comp_targetILNS1_3genE3ELNS1_11target_archE908ELNS1_3gpuE7ELNS1_3repE0EEENS1_30default_config_static_selectorELNS0_4arch9wavefront6targetE0EEEvT1_: ; @_ZN7rocprim17ROCPRIM_400000_NS6detail17trampoline_kernelINS0_14default_configENS1_25partition_config_selectorILNS1_17partition_subalgoE9EffbEEZZNS1_14partition_implILS5_9ELb0ES3_jN6thrust23THRUST_200600_302600_NS6detail15normal_iteratorINS9_10device_ptrIfEEEESE_PNS0_10empty_typeENS0_5tupleIJSE_SF_EEENSH_IJSE_SG_EEENS0_18inequality_wrapperI22is_equal_div_10_uniqueIfEEEPmJSF_EEE10hipError_tPvRmT3_T4_T5_T6_T7_T9_mT8_P12ihipStream_tbDpT10_ENKUlT_T0_E_clISt17integral_constantIbLb0EES17_IbLb1EEEEDaS13_S14_EUlS13_E_NS1_11comp_targetILNS1_3genE3ELNS1_11target_archE908ELNS1_3gpuE7ELNS1_3repE0EEENS1_30default_config_static_selectorELNS0_4arch9wavefront6targetE0EEEvT1_
; %bb.0:
	.section	.rodata,"a",@progbits
	.p2align	6, 0x0
	.amdhsa_kernel _ZN7rocprim17ROCPRIM_400000_NS6detail17trampoline_kernelINS0_14default_configENS1_25partition_config_selectorILNS1_17partition_subalgoE9EffbEEZZNS1_14partition_implILS5_9ELb0ES3_jN6thrust23THRUST_200600_302600_NS6detail15normal_iteratorINS9_10device_ptrIfEEEESE_PNS0_10empty_typeENS0_5tupleIJSE_SF_EEENSH_IJSE_SG_EEENS0_18inequality_wrapperI22is_equal_div_10_uniqueIfEEEPmJSF_EEE10hipError_tPvRmT3_T4_T5_T6_T7_T9_mT8_P12ihipStream_tbDpT10_ENKUlT_T0_E_clISt17integral_constantIbLb0EES17_IbLb1EEEEDaS13_S14_EUlS13_E_NS1_11comp_targetILNS1_3genE3ELNS1_11target_archE908ELNS1_3gpuE7ELNS1_3repE0EEENS1_30default_config_static_selectorELNS0_4arch9wavefront6targetE0EEEvT1_
		.amdhsa_group_segment_fixed_size 0
		.amdhsa_private_segment_fixed_size 0
		.amdhsa_kernarg_size 128
		.amdhsa_user_sgpr_count 15
		.amdhsa_user_sgpr_dispatch_ptr 0
		.amdhsa_user_sgpr_queue_ptr 0
		.amdhsa_user_sgpr_kernarg_segment_ptr 1
		.amdhsa_user_sgpr_dispatch_id 0
		.amdhsa_user_sgpr_private_segment_size 0
		.amdhsa_wavefront_size32 1
		.amdhsa_uses_dynamic_stack 0
		.amdhsa_enable_private_segment 0
		.amdhsa_system_sgpr_workgroup_id_x 1
		.amdhsa_system_sgpr_workgroup_id_y 0
		.amdhsa_system_sgpr_workgroup_id_z 0
		.amdhsa_system_sgpr_workgroup_info 0
		.amdhsa_system_vgpr_workitem_id 0
		.amdhsa_next_free_vgpr 1
		.amdhsa_next_free_sgpr 1
		.amdhsa_reserve_vcc 0
		.amdhsa_float_round_mode_32 0
		.amdhsa_float_round_mode_16_64 0
		.amdhsa_float_denorm_mode_32 3
		.amdhsa_float_denorm_mode_16_64 3
		.amdhsa_dx10_clamp 1
		.amdhsa_ieee_mode 1
		.amdhsa_fp16_overflow 0
		.amdhsa_workgroup_processor_mode 1
		.amdhsa_memory_ordered 1
		.amdhsa_forward_progress 0
		.amdhsa_shared_vgpr_count 0
		.amdhsa_exception_fp_ieee_invalid_op 0
		.amdhsa_exception_fp_denorm_src 0
		.amdhsa_exception_fp_ieee_div_zero 0
		.amdhsa_exception_fp_ieee_overflow 0
		.amdhsa_exception_fp_ieee_underflow 0
		.amdhsa_exception_fp_ieee_inexact 0
		.amdhsa_exception_int_div_zero 0
	.end_amdhsa_kernel
	.section	.text._ZN7rocprim17ROCPRIM_400000_NS6detail17trampoline_kernelINS0_14default_configENS1_25partition_config_selectorILNS1_17partition_subalgoE9EffbEEZZNS1_14partition_implILS5_9ELb0ES3_jN6thrust23THRUST_200600_302600_NS6detail15normal_iteratorINS9_10device_ptrIfEEEESE_PNS0_10empty_typeENS0_5tupleIJSE_SF_EEENSH_IJSE_SG_EEENS0_18inequality_wrapperI22is_equal_div_10_uniqueIfEEEPmJSF_EEE10hipError_tPvRmT3_T4_T5_T6_T7_T9_mT8_P12ihipStream_tbDpT10_ENKUlT_T0_E_clISt17integral_constantIbLb0EES17_IbLb1EEEEDaS13_S14_EUlS13_E_NS1_11comp_targetILNS1_3genE3ELNS1_11target_archE908ELNS1_3gpuE7ELNS1_3repE0EEENS1_30default_config_static_selectorELNS0_4arch9wavefront6targetE0EEEvT1_,"axG",@progbits,_ZN7rocprim17ROCPRIM_400000_NS6detail17trampoline_kernelINS0_14default_configENS1_25partition_config_selectorILNS1_17partition_subalgoE9EffbEEZZNS1_14partition_implILS5_9ELb0ES3_jN6thrust23THRUST_200600_302600_NS6detail15normal_iteratorINS9_10device_ptrIfEEEESE_PNS0_10empty_typeENS0_5tupleIJSE_SF_EEENSH_IJSE_SG_EEENS0_18inequality_wrapperI22is_equal_div_10_uniqueIfEEEPmJSF_EEE10hipError_tPvRmT3_T4_T5_T6_T7_T9_mT8_P12ihipStream_tbDpT10_ENKUlT_T0_E_clISt17integral_constantIbLb0EES17_IbLb1EEEEDaS13_S14_EUlS13_E_NS1_11comp_targetILNS1_3genE3ELNS1_11target_archE908ELNS1_3gpuE7ELNS1_3repE0EEENS1_30default_config_static_selectorELNS0_4arch9wavefront6targetE0EEEvT1_,comdat
.Lfunc_end139:
	.size	_ZN7rocprim17ROCPRIM_400000_NS6detail17trampoline_kernelINS0_14default_configENS1_25partition_config_selectorILNS1_17partition_subalgoE9EffbEEZZNS1_14partition_implILS5_9ELb0ES3_jN6thrust23THRUST_200600_302600_NS6detail15normal_iteratorINS9_10device_ptrIfEEEESE_PNS0_10empty_typeENS0_5tupleIJSE_SF_EEENSH_IJSE_SG_EEENS0_18inequality_wrapperI22is_equal_div_10_uniqueIfEEEPmJSF_EEE10hipError_tPvRmT3_T4_T5_T6_T7_T9_mT8_P12ihipStream_tbDpT10_ENKUlT_T0_E_clISt17integral_constantIbLb0EES17_IbLb1EEEEDaS13_S14_EUlS13_E_NS1_11comp_targetILNS1_3genE3ELNS1_11target_archE908ELNS1_3gpuE7ELNS1_3repE0EEENS1_30default_config_static_selectorELNS0_4arch9wavefront6targetE0EEEvT1_, .Lfunc_end139-_ZN7rocprim17ROCPRIM_400000_NS6detail17trampoline_kernelINS0_14default_configENS1_25partition_config_selectorILNS1_17partition_subalgoE9EffbEEZZNS1_14partition_implILS5_9ELb0ES3_jN6thrust23THRUST_200600_302600_NS6detail15normal_iteratorINS9_10device_ptrIfEEEESE_PNS0_10empty_typeENS0_5tupleIJSE_SF_EEENSH_IJSE_SG_EEENS0_18inequality_wrapperI22is_equal_div_10_uniqueIfEEEPmJSF_EEE10hipError_tPvRmT3_T4_T5_T6_T7_T9_mT8_P12ihipStream_tbDpT10_ENKUlT_T0_E_clISt17integral_constantIbLb0EES17_IbLb1EEEEDaS13_S14_EUlS13_E_NS1_11comp_targetILNS1_3genE3ELNS1_11target_archE908ELNS1_3gpuE7ELNS1_3repE0EEENS1_30default_config_static_selectorELNS0_4arch9wavefront6targetE0EEEvT1_
                                        ; -- End function
	.section	.AMDGPU.csdata,"",@progbits
; Kernel info:
; codeLenInByte = 0
; NumSgprs: 0
; NumVgprs: 0
; ScratchSize: 0
; MemoryBound: 0
; FloatMode: 240
; IeeeMode: 1
; LDSByteSize: 0 bytes/workgroup (compile time only)
; SGPRBlocks: 0
; VGPRBlocks: 0
; NumSGPRsForWavesPerEU: 1
; NumVGPRsForWavesPerEU: 1
; Occupancy: 16
; WaveLimiterHint : 0
; COMPUTE_PGM_RSRC2:SCRATCH_EN: 0
; COMPUTE_PGM_RSRC2:USER_SGPR: 15
; COMPUTE_PGM_RSRC2:TRAP_HANDLER: 0
; COMPUTE_PGM_RSRC2:TGID_X_EN: 1
; COMPUTE_PGM_RSRC2:TGID_Y_EN: 0
; COMPUTE_PGM_RSRC2:TGID_Z_EN: 0
; COMPUTE_PGM_RSRC2:TIDIG_COMP_CNT: 0
	.section	.text._ZN7rocprim17ROCPRIM_400000_NS6detail17trampoline_kernelINS0_14default_configENS1_25partition_config_selectorILNS1_17partition_subalgoE9EffbEEZZNS1_14partition_implILS5_9ELb0ES3_jN6thrust23THRUST_200600_302600_NS6detail15normal_iteratorINS9_10device_ptrIfEEEESE_PNS0_10empty_typeENS0_5tupleIJSE_SF_EEENSH_IJSE_SG_EEENS0_18inequality_wrapperI22is_equal_div_10_uniqueIfEEEPmJSF_EEE10hipError_tPvRmT3_T4_T5_T6_T7_T9_mT8_P12ihipStream_tbDpT10_ENKUlT_T0_E_clISt17integral_constantIbLb0EES17_IbLb1EEEEDaS13_S14_EUlS13_E_NS1_11comp_targetILNS1_3genE2ELNS1_11target_archE906ELNS1_3gpuE6ELNS1_3repE0EEENS1_30default_config_static_selectorELNS0_4arch9wavefront6targetE0EEEvT1_,"axG",@progbits,_ZN7rocprim17ROCPRIM_400000_NS6detail17trampoline_kernelINS0_14default_configENS1_25partition_config_selectorILNS1_17partition_subalgoE9EffbEEZZNS1_14partition_implILS5_9ELb0ES3_jN6thrust23THRUST_200600_302600_NS6detail15normal_iteratorINS9_10device_ptrIfEEEESE_PNS0_10empty_typeENS0_5tupleIJSE_SF_EEENSH_IJSE_SG_EEENS0_18inequality_wrapperI22is_equal_div_10_uniqueIfEEEPmJSF_EEE10hipError_tPvRmT3_T4_T5_T6_T7_T9_mT8_P12ihipStream_tbDpT10_ENKUlT_T0_E_clISt17integral_constantIbLb0EES17_IbLb1EEEEDaS13_S14_EUlS13_E_NS1_11comp_targetILNS1_3genE2ELNS1_11target_archE906ELNS1_3gpuE6ELNS1_3repE0EEENS1_30default_config_static_selectorELNS0_4arch9wavefront6targetE0EEEvT1_,comdat
	.protected	_ZN7rocprim17ROCPRIM_400000_NS6detail17trampoline_kernelINS0_14default_configENS1_25partition_config_selectorILNS1_17partition_subalgoE9EffbEEZZNS1_14partition_implILS5_9ELb0ES3_jN6thrust23THRUST_200600_302600_NS6detail15normal_iteratorINS9_10device_ptrIfEEEESE_PNS0_10empty_typeENS0_5tupleIJSE_SF_EEENSH_IJSE_SG_EEENS0_18inequality_wrapperI22is_equal_div_10_uniqueIfEEEPmJSF_EEE10hipError_tPvRmT3_T4_T5_T6_T7_T9_mT8_P12ihipStream_tbDpT10_ENKUlT_T0_E_clISt17integral_constantIbLb0EES17_IbLb1EEEEDaS13_S14_EUlS13_E_NS1_11comp_targetILNS1_3genE2ELNS1_11target_archE906ELNS1_3gpuE6ELNS1_3repE0EEENS1_30default_config_static_selectorELNS0_4arch9wavefront6targetE0EEEvT1_ ; -- Begin function _ZN7rocprim17ROCPRIM_400000_NS6detail17trampoline_kernelINS0_14default_configENS1_25partition_config_selectorILNS1_17partition_subalgoE9EffbEEZZNS1_14partition_implILS5_9ELb0ES3_jN6thrust23THRUST_200600_302600_NS6detail15normal_iteratorINS9_10device_ptrIfEEEESE_PNS0_10empty_typeENS0_5tupleIJSE_SF_EEENSH_IJSE_SG_EEENS0_18inequality_wrapperI22is_equal_div_10_uniqueIfEEEPmJSF_EEE10hipError_tPvRmT3_T4_T5_T6_T7_T9_mT8_P12ihipStream_tbDpT10_ENKUlT_T0_E_clISt17integral_constantIbLb0EES17_IbLb1EEEEDaS13_S14_EUlS13_E_NS1_11comp_targetILNS1_3genE2ELNS1_11target_archE906ELNS1_3gpuE6ELNS1_3repE0EEENS1_30default_config_static_selectorELNS0_4arch9wavefront6targetE0EEEvT1_
	.globl	_ZN7rocprim17ROCPRIM_400000_NS6detail17trampoline_kernelINS0_14default_configENS1_25partition_config_selectorILNS1_17partition_subalgoE9EffbEEZZNS1_14partition_implILS5_9ELb0ES3_jN6thrust23THRUST_200600_302600_NS6detail15normal_iteratorINS9_10device_ptrIfEEEESE_PNS0_10empty_typeENS0_5tupleIJSE_SF_EEENSH_IJSE_SG_EEENS0_18inequality_wrapperI22is_equal_div_10_uniqueIfEEEPmJSF_EEE10hipError_tPvRmT3_T4_T5_T6_T7_T9_mT8_P12ihipStream_tbDpT10_ENKUlT_T0_E_clISt17integral_constantIbLb0EES17_IbLb1EEEEDaS13_S14_EUlS13_E_NS1_11comp_targetILNS1_3genE2ELNS1_11target_archE906ELNS1_3gpuE6ELNS1_3repE0EEENS1_30default_config_static_selectorELNS0_4arch9wavefront6targetE0EEEvT1_
	.p2align	8
	.type	_ZN7rocprim17ROCPRIM_400000_NS6detail17trampoline_kernelINS0_14default_configENS1_25partition_config_selectorILNS1_17partition_subalgoE9EffbEEZZNS1_14partition_implILS5_9ELb0ES3_jN6thrust23THRUST_200600_302600_NS6detail15normal_iteratorINS9_10device_ptrIfEEEESE_PNS0_10empty_typeENS0_5tupleIJSE_SF_EEENSH_IJSE_SG_EEENS0_18inequality_wrapperI22is_equal_div_10_uniqueIfEEEPmJSF_EEE10hipError_tPvRmT3_T4_T5_T6_T7_T9_mT8_P12ihipStream_tbDpT10_ENKUlT_T0_E_clISt17integral_constantIbLb0EES17_IbLb1EEEEDaS13_S14_EUlS13_E_NS1_11comp_targetILNS1_3genE2ELNS1_11target_archE906ELNS1_3gpuE6ELNS1_3repE0EEENS1_30default_config_static_selectorELNS0_4arch9wavefront6targetE0EEEvT1_,@function
_ZN7rocprim17ROCPRIM_400000_NS6detail17trampoline_kernelINS0_14default_configENS1_25partition_config_selectorILNS1_17partition_subalgoE9EffbEEZZNS1_14partition_implILS5_9ELb0ES3_jN6thrust23THRUST_200600_302600_NS6detail15normal_iteratorINS9_10device_ptrIfEEEESE_PNS0_10empty_typeENS0_5tupleIJSE_SF_EEENSH_IJSE_SG_EEENS0_18inequality_wrapperI22is_equal_div_10_uniqueIfEEEPmJSF_EEE10hipError_tPvRmT3_T4_T5_T6_T7_T9_mT8_P12ihipStream_tbDpT10_ENKUlT_T0_E_clISt17integral_constantIbLb0EES17_IbLb1EEEEDaS13_S14_EUlS13_E_NS1_11comp_targetILNS1_3genE2ELNS1_11target_archE906ELNS1_3gpuE6ELNS1_3repE0EEENS1_30default_config_static_selectorELNS0_4arch9wavefront6targetE0EEEvT1_: ; @_ZN7rocprim17ROCPRIM_400000_NS6detail17trampoline_kernelINS0_14default_configENS1_25partition_config_selectorILNS1_17partition_subalgoE9EffbEEZZNS1_14partition_implILS5_9ELb0ES3_jN6thrust23THRUST_200600_302600_NS6detail15normal_iteratorINS9_10device_ptrIfEEEESE_PNS0_10empty_typeENS0_5tupleIJSE_SF_EEENSH_IJSE_SG_EEENS0_18inequality_wrapperI22is_equal_div_10_uniqueIfEEEPmJSF_EEE10hipError_tPvRmT3_T4_T5_T6_T7_T9_mT8_P12ihipStream_tbDpT10_ENKUlT_T0_E_clISt17integral_constantIbLb0EES17_IbLb1EEEEDaS13_S14_EUlS13_E_NS1_11comp_targetILNS1_3genE2ELNS1_11target_archE906ELNS1_3gpuE6ELNS1_3repE0EEENS1_30default_config_static_selectorELNS0_4arch9wavefront6targetE0EEEvT1_
; %bb.0:
	.section	.rodata,"a",@progbits
	.p2align	6, 0x0
	.amdhsa_kernel _ZN7rocprim17ROCPRIM_400000_NS6detail17trampoline_kernelINS0_14default_configENS1_25partition_config_selectorILNS1_17partition_subalgoE9EffbEEZZNS1_14partition_implILS5_9ELb0ES3_jN6thrust23THRUST_200600_302600_NS6detail15normal_iteratorINS9_10device_ptrIfEEEESE_PNS0_10empty_typeENS0_5tupleIJSE_SF_EEENSH_IJSE_SG_EEENS0_18inequality_wrapperI22is_equal_div_10_uniqueIfEEEPmJSF_EEE10hipError_tPvRmT3_T4_T5_T6_T7_T9_mT8_P12ihipStream_tbDpT10_ENKUlT_T0_E_clISt17integral_constantIbLb0EES17_IbLb1EEEEDaS13_S14_EUlS13_E_NS1_11comp_targetILNS1_3genE2ELNS1_11target_archE906ELNS1_3gpuE6ELNS1_3repE0EEENS1_30default_config_static_selectorELNS0_4arch9wavefront6targetE0EEEvT1_
		.amdhsa_group_segment_fixed_size 0
		.amdhsa_private_segment_fixed_size 0
		.amdhsa_kernarg_size 128
		.amdhsa_user_sgpr_count 15
		.amdhsa_user_sgpr_dispatch_ptr 0
		.amdhsa_user_sgpr_queue_ptr 0
		.amdhsa_user_sgpr_kernarg_segment_ptr 1
		.amdhsa_user_sgpr_dispatch_id 0
		.amdhsa_user_sgpr_private_segment_size 0
		.amdhsa_wavefront_size32 1
		.amdhsa_uses_dynamic_stack 0
		.amdhsa_enable_private_segment 0
		.amdhsa_system_sgpr_workgroup_id_x 1
		.amdhsa_system_sgpr_workgroup_id_y 0
		.amdhsa_system_sgpr_workgroup_id_z 0
		.amdhsa_system_sgpr_workgroup_info 0
		.amdhsa_system_vgpr_workitem_id 0
		.amdhsa_next_free_vgpr 1
		.amdhsa_next_free_sgpr 1
		.amdhsa_reserve_vcc 0
		.amdhsa_float_round_mode_32 0
		.amdhsa_float_round_mode_16_64 0
		.amdhsa_float_denorm_mode_32 3
		.amdhsa_float_denorm_mode_16_64 3
		.amdhsa_dx10_clamp 1
		.amdhsa_ieee_mode 1
		.amdhsa_fp16_overflow 0
		.amdhsa_workgroup_processor_mode 1
		.amdhsa_memory_ordered 1
		.amdhsa_forward_progress 0
		.amdhsa_shared_vgpr_count 0
		.amdhsa_exception_fp_ieee_invalid_op 0
		.amdhsa_exception_fp_denorm_src 0
		.amdhsa_exception_fp_ieee_div_zero 0
		.amdhsa_exception_fp_ieee_overflow 0
		.amdhsa_exception_fp_ieee_underflow 0
		.amdhsa_exception_fp_ieee_inexact 0
		.amdhsa_exception_int_div_zero 0
	.end_amdhsa_kernel
	.section	.text._ZN7rocprim17ROCPRIM_400000_NS6detail17trampoline_kernelINS0_14default_configENS1_25partition_config_selectorILNS1_17partition_subalgoE9EffbEEZZNS1_14partition_implILS5_9ELb0ES3_jN6thrust23THRUST_200600_302600_NS6detail15normal_iteratorINS9_10device_ptrIfEEEESE_PNS0_10empty_typeENS0_5tupleIJSE_SF_EEENSH_IJSE_SG_EEENS0_18inequality_wrapperI22is_equal_div_10_uniqueIfEEEPmJSF_EEE10hipError_tPvRmT3_T4_T5_T6_T7_T9_mT8_P12ihipStream_tbDpT10_ENKUlT_T0_E_clISt17integral_constantIbLb0EES17_IbLb1EEEEDaS13_S14_EUlS13_E_NS1_11comp_targetILNS1_3genE2ELNS1_11target_archE906ELNS1_3gpuE6ELNS1_3repE0EEENS1_30default_config_static_selectorELNS0_4arch9wavefront6targetE0EEEvT1_,"axG",@progbits,_ZN7rocprim17ROCPRIM_400000_NS6detail17trampoline_kernelINS0_14default_configENS1_25partition_config_selectorILNS1_17partition_subalgoE9EffbEEZZNS1_14partition_implILS5_9ELb0ES3_jN6thrust23THRUST_200600_302600_NS6detail15normal_iteratorINS9_10device_ptrIfEEEESE_PNS0_10empty_typeENS0_5tupleIJSE_SF_EEENSH_IJSE_SG_EEENS0_18inequality_wrapperI22is_equal_div_10_uniqueIfEEEPmJSF_EEE10hipError_tPvRmT3_T4_T5_T6_T7_T9_mT8_P12ihipStream_tbDpT10_ENKUlT_T0_E_clISt17integral_constantIbLb0EES17_IbLb1EEEEDaS13_S14_EUlS13_E_NS1_11comp_targetILNS1_3genE2ELNS1_11target_archE906ELNS1_3gpuE6ELNS1_3repE0EEENS1_30default_config_static_selectorELNS0_4arch9wavefront6targetE0EEEvT1_,comdat
.Lfunc_end140:
	.size	_ZN7rocprim17ROCPRIM_400000_NS6detail17trampoline_kernelINS0_14default_configENS1_25partition_config_selectorILNS1_17partition_subalgoE9EffbEEZZNS1_14partition_implILS5_9ELb0ES3_jN6thrust23THRUST_200600_302600_NS6detail15normal_iteratorINS9_10device_ptrIfEEEESE_PNS0_10empty_typeENS0_5tupleIJSE_SF_EEENSH_IJSE_SG_EEENS0_18inequality_wrapperI22is_equal_div_10_uniqueIfEEEPmJSF_EEE10hipError_tPvRmT3_T4_T5_T6_T7_T9_mT8_P12ihipStream_tbDpT10_ENKUlT_T0_E_clISt17integral_constantIbLb0EES17_IbLb1EEEEDaS13_S14_EUlS13_E_NS1_11comp_targetILNS1_3genE2ELNS1_11target_archE906ELNS1_3gpuE6ELNS1_3repE0EEENS1_30default_config_static_selectorELNS0_4arch9wavefront6targetE0EEEvT1_, .Lfunc_end140-_ZN7rocprim17ROCPRIM_400000_NS6detail17trampoline_kernelINS0_14default_configENS1_25partition_config_selectorILNS1_17partition_subalgoE9EffbEEZZNS1_14partition_implILS5_9ELb0ES3_jN6thrust23THRUST_200600_302600_NS6detail15normal_iteratorINS9_10device_ptrIfEEEESE_PNS0_10empty_typeENS0_5tupleIJSE_SF_EEENSH_IJSE_SG_EEENS0_18inequality_wrapperI22is_equal_div_10_uniqueIfEEEPmJSF_EEE10hipError_tPvRmT3_T4_T5_T6_T7_T9_mT8_P12ihipStream_tbDpT10_ENKUlT_T0_E_clISt17integral_constantIbLb0EES17_IbLb1EEEEDaS13_S14_EUlS13_E_NS1_11comp_targetILNS1_3genE2ELNS1_11target_archE906ELNS1_3gpuE6ELNS1_3repE0EEENS1_30default_config_static_selectorELNS0_4arch9wavefront6targetE0EEEvT1_
                                        ; -- End function
	.section	.AMDGPU.csdata,"",@progbits
; Kernel info:
; codeLenInByte = 0
; NumSgprs: 0
; NumVgprs: 0
; ScratchSize: 0
; MemoryBound: 0
; FloatMode: 240
; IeeeMode: 1
; LDSByteSize: 0 bytes/workgroup (compile time only)
; SGPRBlocks: 0
; VGPRBlocks: 0
; NumSGPRsForWavesPerEU: 1
; NumVGPRsForWavesPerEU: 1
; Occupancy: 16
; WaveLimiterHint : 0
; COMPUTE_PGM_RSRC2:SCRATCH_EN: 0
; COMPUTE_PGM_RSRC2:USER_SGPR: 15
; COMPUTE_PGM_RSRC2:TRAP_HANDLER: 0
; COMPUTE_PGM_RSRC2:TGID_X_EN: 1
; COMPUTE_PGM_RSRC2:TGID_Y_EN: 0
; COMPUTE_PGM_RSRC2:TGID_Z_EN: 0
; COMPUTE_PGM_RSRC2:TIDIG_COMP_CNT: 0
	.section	.text._ZN7rocprim17ROCPRIM_400000_NS6detail17trampoline_kernelINS0_14default_configENS1_25partition_config_selectorILNS1_17partition_subalgoE9EffbEEZZNS1_14partition_implILS5_9ELb0ES3_jN6thrust23THRUST_200600_302600_NS6detail15normal_iteratorINS9_10device_ptrIfEEEESE_PNS0_10empty_typeENS0_5tupleIJSE_SF_EEENSH_IJSE_SG_EEENS0_18inequality_wrapperI22is_equal_div_10_uniqueIfEEEPmJSF_EEE10hipError_tPvRmT3_T4_T5_T6_T7_T9_mT8_P12ihipStream_tbDpT10_ENKUlT_T0_E_clISt17integral_constantIbLb0EES17_IbLb1EEEEDaS13_S14_EUlS13_E_NS1_11comp_targetILNS1_3genE10ELNS1_11target_archE1200ELNS1_3gpuE4ELNS1_3repE0EEENS1_30default_config_static_selectorELNS0_4arch9wavefront6targetE0EEEvT1_,"axG",@progbits,_ZN7rocprim17ROCPRIM_400000_NS6detail17trampoline_kernelINS0_14default_configENS1_25partition_config_selectorILNS1_17partition_subalgoE9EffbEEZZNS1_14partition_implILS5_9ELb0ES3_jN6thrust23THRUST_200600_302600_NS6detail15normal_iteratorINS9_10device_ptrIfEEEESE_PNS0_10empty_typeENS0_5tupleIJSE_SF_EEENSH_IJSE_SG_EEENS0_18inequality_wrapperI22is_equal_div_10_uniqueIfEEEPmJSF_EEE10hipError_tPvRmT3_T4_T5_T6_T7_T9_mT8_P12ihipStream_tbDpT10_ENKUlT_T0_E_clISt17integral_constantIbLb0EES17_IbLb1EEEEDaS13_S14_EUlS13_E_NS1_11comp_targetILNS1_3genE10ELNS1_11target_archE1200ELNS1_3gpuE4ELNS1_3repE0EEENS1_30default_config_static_selectorELNS0_4arch9wavefront6targetE0EEEvT1_,comdat
	.protected	_ZN7rocprim17ROCPRIM_400000_NS6detail17trampoline_kernelINS0_14default_configENS1_25partition_config_selectorILNS1_17partition_subalgoE9EffbEEZZNS1_14partition_implILS5_9ELb0ES3_jN6thrust23THRUST_200600_302600_NS6detail15normal_iteratorINS9_10device_ptrIfEEEESE_PNS0_10empty_typeENS0_5tupleIJSE_SF_EEENSH_IJSE_SG_EEENS0_18inequality_wrapperI22is_equal_div_10_uniqueIfEEEPmJSF_EEE10hipError_tPvRmT3_T4_T5_T6_T7_T9_mT8_P12ihipStream_tbDpT10_ENKUlT_T0_E_clISt17integral_constantIbLb0EES17_IbLb1EEEEDaS13_S14_EUlS13_E_NS1_11comp_targetILNS1_3genE10ELNS1_11target_archE1200ELNS1_3gpuE4ELNS1_3repE0EEENS1_30default_config_static_selectorELNS0_4arch9wavefront6targetE0EEEvT1_ ; -- Begin function _ZN7rocprim17ROCPRIM_400000_NS6detail17trampoline_kernelINS0_14default_configENS1_25partition_config_selectorILNS1_17partition_subalgoE9EffbEEZZNS1_14partition_implILS5_9ELb0ES3_jN6thrust23THRUST_200600_302600_NS6detail15normal_iteratorINS9_10device_ptrIfEEEESE_PNS0_10empty_typeENS0_5tupleIJSE_SF_EEENSH_IJSE_SG_EEENS0_18inequality_wrapperI22is_equal_div_10_uniqueIfEEEPmJSF_EEE10hipError_tPvRmT3_T4_T5_T6_T7_T9_mT8_P12ihipStream_tbDpT10_ENKUlT_T0_E_clISt17integral_constantIbLb0EES17_IbLb1EEEEDaS13_S14_EUlS13_E_NS1_11comp_targetILNS1_3genE10ELNS1_11target_archE1200ELNS1_3gpuE4ELNS1_3repE0EEENS1_30default_config_static_selectorELNS0_4arch9wavefront6targetE0EEEvT1_
	.globl	_ZN7rocprim17ROCPRIM_400000_NS6detail17trampoline_kernelINS0_14default_configENS1_25partition_config_selectorILNS1_17partition_subalgoE9EffbEEZZNS1_14partition_implILS5_9ELb0ES3_jN6thrust23THRUST_200600_302600_NS6detail15normal_iteratorINS9_10device_ptrIfEEEESE_PNS0_10empty_typeENS0_5tupleIJSE_SF_EEENSH_IJSE_SG_EEENS0_18inequality_wrapperI22is_equal_div_10_uniqueIfEEEPmJSF_EEE10hipError_tPvRmT3_T4_T5_T6_T7_T9_mT8_P12ihipStream_tbDpT10_ENKUlT_T0_E_clISt17integral_constantIbLb0EES17_IbLb1EEEEDaS13_S14_EUlS13_E_NS1_11comp_targetILNS1_3genE10ELNS1_11target_archE1200ELNS1_3gpuE4ELNS1_3repE0EEENS1_30default_config_static_selectorELNS0_4arch9wavefront6targetE0EEEvT1_
	.p2align	8
	.type	_ZN7rocprim17ROCPRIM_400000_NS6detail17trampoline_kernelINS0_14default_configENS1_25partition_config_selectorILNS1_17partition_subalgoE9EffbEEZZNS1_14partition_implILS5_9ELb0ES3_jN6thrust23THRUST_200600_302600_NS6detail15normal_iteratorINS9_10device_ptrIfEEEESE_PNS0_10empty_typeENS0_5tupleIJSE_SF_EEENSH_IJSE_SG_EEENS0_18inequality_wrapperI22is_equal_div_10_uniqueIfEEEPmJSF_EEE10hipError_tPvRmT3_T4_T5_T6_T7_T9_mT8_P12ihipStream_tbDpT10_ENKUlT_T0_E_clISt17integral_constantIbLb0EES17_IbLb1EEEEDaS13_S14_EUlS13_E_NS1_11comp_targetILNS1_3genE10ELNS1_11target_archE1200ELNS1_3gpuE4ELNS1_3repE0EEENS1_30default_config_static_selectorELNS0_4arch9wavefront6targetE0EEEvT1_,@function
_ZN7rocprim17ROCPRIM_400000_NS6detail17trampoline_kernelINS0_14default_configENS1_25partition_config_selectorILNS1_17partition_subalgoE9EffbEEZZNS1_14partition_implILS5_9ELb0ES3_jN6thrust23THRUST_200600_302600_NS6detail15normal_iteratorINS9_10device_ptrIfEEEESE_PNS0_10empty_typeENS0_5tupleIJSE_SF_EEENSH_IJSE_SG_EEENS0_18inequality_wrapperI22is_equal_div_10_uniqueIfEEEPmJSF_EEE10hipError_tPvRmT3_T4_T5_T6_T7_T9_mT8_P12ihipStream_tbDpT10_ENKUlT_T0_E_clISt17integral_constantIbLb0EES17_IbLb1EEEEDaS13_S14_EUlS13_E_NS1_11comp_targetILNS1_3genE10ELNS1_11target_archE1200ELNS1_3gpuE4ELNS1_3repE0EEENS1_30default_config_static_selectorELNS0_4arch9wavefront6targetE0EEEvT1_: ; @_ZN7rocprim17ROCPRIM_400000_NS6detail17trampoline_kernelINS0_14default_configENS1_25partition_config_selectorILNS1_17partition_subalgoE9EffbEEZZNS1_14partition_implILS5_9ELb0ES3_jN6thrust23THRUST_200600_302600_NS6detail15normal_iteratorINS9_10device_ptrIfEEEESE_PNS0_10empty_typeENS0_5tupleIJSE_SF_EEENSH_IJSE_SG_EEENS0_18inequality_wrapperI22is_equal_div_10_uniqueIfEEEPmJSF_EEE10hipError_tPvRmT3_T4_T5_T6_T7_T9_mT8_P12ihipStream_tbDpT10_ENKUlT_T0_E_clISt17integral_constantIbLb0EES17_IbLb1EEEEDaS13_S14_EUlS13_E_NS1_11comp_targetILNS1_3genE10ELNS1_11target_archE1200ELNS1_3gpuE4ELNS1_3repE0EEENS1_30default_config_static_selectorELNS0_4arch9wavefront6targetE0EEEvT1_
; %bb.0:
	.section	.rodata,"a",@progbits
	.p2align	6, 0x0
	.amdhsa_kernel _ZN7rocprim17ROCPRIM_400000_NS6detail17trampoline_kernelINS0_14default_configENS1_25partition_config_selectorILNS1_17partition_subalgoE9EffbEEZZNS1_14partition_implILS5_9ELb0ES3_jN6thrust23THRUST_200600_302600_NS6detail15normal_iteratorINS9_10device_ptrIfEEEESE_PNS0_10empty_typeENS0_5tupleIJSE_SF_EEENSH_IJSE_SG_EEENS0_18inequality_wrapperI22is_equal_div_10_uniqueIfEEEPmJSF_EEE10hipError_tPvRmT3_T4_T5_T6_T7_T9_mT8_P12ihipStream_tbDpT10_ENKUlT_T0_E_clISt17integral_constantIbLb0EES17_IbLb1EEEEDaS13_S14_EUlS13_E_NS1_11comp_targetILNS1_3genE10ELNS1_11target_archE1200ELNS1_3gpuE4ELNS1_3repE0EEENS1_30default_config_static_selectorELNS0_4arch9wavefront6targetE0EEEvT1_
		.amdhsa_group_segment_fixed_size 0
		.amdhsa_private_segment_fixed_size 0
		.amdhsa_kernarg_size 128
		.amdhsa_user_sgpr_count 15
		.amdhsa_user_sgpr_dispatch_ptr 0
		.amdhsa_user_sgpr_queue_ptr 0
		.amdhsa_user_sgpr_kernarg_segment_ptr 1
		.amdhsa_user_sgpr_dispatch_id 0
		.amdhsa_user_sgpr_private_segment_size 0
		.amdhsa_wavefront_size32 1
		.amdhsa_uses_dynamic_stack 0
		.amdhsa_enable_private_segment 0
		.amdhsa_system_sgpr_workgroup_id_x 1
		.amdhsa_system_sgpr_workgroup_id_y 0
		.amdhsa_system_sgpr_workgroup_id_z 0
		.amdhsa_system_sgpr_workgroup_info 0
		.amdhsa_system_vgpr_workitem_id 0
		.amdhsa_next_free_vgpr 1
		.amdhsa_next_free_sgpr 1
		.amdhsa_reserve_vcc 0
		.amdhsa_float_round_mode_32 0
		.amdhsa_float_round_mode_16_64 0
		.amdhsa_float_denorm_mode_32 3
		.amdhsa_float_denorm_mode_16_64 3
		.amdhsa_dx10_clamp 1
		.amdhsa_ieee_mode 1
		.amdhsa_fp16_overflow 0
		.amdhsa_workgroup_processor_mode 1
		.amdhsa_memory_ordered 1
		.amdhsa_forward_progress 0
		.amdhsa_shared_vgpr_count 0
		.amdhsa_exception_fp_ieee_invalid_op 0
		.amdhsa_exception_fp_denorm_src 0
		.amdhsa_exception_fp_ieee_div_zero 0
		.amdhsa_exception_fp_ieee_overflow 0
		.amdhsa_exception_fp_ieee_underflow 0
		.amdhsa_exception_fp_ieee_inexact 0
		.amdhsa_exception_int_div_zero 0
	.end_amdhsa_kernel
	.section	.text._ZN7rocprim17ROCPRIM_400000_NS6detail17trampoline_kernelINS0_14default_configENS1_25partition_config_selectorILNS1_17partition_subalgoE9EffbEEZZNS1_14partition_implILS5_9ELb0ES3_jN6thrust23THRUST_200600_302600_NS6detail15normal_iteratorINS9_10device_ptrIfEEEESE_PNS0_10empty_typeENS0_5tupleIJSE_SF_EEENSH_IJSE_SG_EEENS0_18inequality_wrapperI22is_equal_div_10_uniqueIfEEEPmJSF_EEE10hipError_tPvRmT3_T4_T5_T6_T7_T9_mT8_P12ihipStream_tbDpT10_ENKUlT_T0_E_clISt17integral_constantIbLb0EES17_IbLb1EEEEDaS13_S14_EUlS13_E_NS1_11comp_targetILNS1_3genE10ELNS1_11target_archE1200ELNS1_3gpuE4ELNS1_3repE0EEENS1_30default_config_static_selectorELNS0_4arch9wavefront6targetE0EEEvT1_,"axG",@progbits,_ZN7rocprim17ROCPRIM_400000_NS6detail17trampoline_kernelINS0_14default_configENS1_25partition_config_selectorILNS1_17partition_subalgoE9EffbEEZZNS1_14partition_implILS5_9ELb0ES3_jN6thrust23THRUST_200600_302600_NS6detail15normal_iteratorINS9_10device_ptrIfEEEESE_PNS0_10empty_typeENS0_5tupleIJSE_SF_EEENSH_IJSE_SG_EEENS0_18inequality_wrapperI22is_equal_div_10_uniqueIfEEEPmJSF_EEE10hipError_tPvRmT3_T4_T5_T6_T7_T9_mT8_P12ihipStream_tbDpT10_ENKUlT_T0_E_clISt17integral_constantIbLb0EES17_IbLb1EEEEDaS13_S14_EUlS13_E_NS1_11comp_targetILNS1_3genE10ELNS1_11target_archE1200ELNS1_3gpuE4ELNS1_3repE0EEENS1_30default_config_static_selectorELNS0_4arch9wavefront6targetE0EEEvT1_,comdat
.Lfunc_end141:
	.size	_ZN7rocprim17ROCPRIM_400000_NS6detail17trampoline_kernelINS0_14default_configENS1_25partition_config_selectorILNS1_17partition_subalgoE9EffbEEZZNS1_14partition_implILS5_9ELb0ES3_jN6thrust23THRUST_200600_302600_NS6detail15normal_iteratorINS9_10device_ptrIfEEEESE_PNS0_10empty_typeENS0_5tupleIJSE_SF_EEENSH_IJSE_SG_EEENS0_18inequality_wrapperI22is_equal_div_10_uniqueIfEEEPmJSF_EEE10hipError_tPvRmT3_T4_T5_T6_T7_T9_mT8_P12ihipStream_tbDpT10_ENKUlT_T0_E_clISt17integral_constantIbLb0EES17_IbLb1EEEEDaS13_S14_EUlS13_E_NS1_11comp_targetILNS1_3genE10ELNS1_11target_archE1200ELNS1_3gpuE4ELNS1_3repE0EEENS1_30default_config_static_selectorELNS0_4arch9wavefront6targetE0EEEvT1_, .Lfunc_end141-_ZN7rocprim17ROCPRIM_400000_NS6detail17trampoline_kernelINS0_14default_configENS1_25partition_config_selectorILNS1_17partition_subalgoE9EffbEEZZNS1_14partition_implILS5_9ELb0ES3_jN6thrust23THRUST_200600_302600_NS6detail15normal_iteratorINS9_10device_ptrIfEEEESE_PNS0_10empty_typeENS0_5tupleIJSE_SF_EEENSH_IJSE_SG_EEENS0_18inequality_wrapperI22is_equal_div_10_uniqueIfEEEPmJSF_EEE10hipError_tPvRmT3_T4_T5_T6_T7_T9_mT8_P12ihipStream_tbDpT10_ENKUlT_T0_E_clISt17integral_constantIbLb0EES17_IbLb1EEEEDaS13_S14_EUlS13_E_NS1_11comp_targetILNS1_3genE10ELNS1_11target_archE1200ELNS1_3gpuE4ELNS1_3repE0EEENS1_30default_config_static_selectorELNS0_4arch9wavefront6targetE0EEEvT1_
                                        ; -- End function
	.section	.AMDGPU.csdata,"",@progbits
; Kernel info:
; codeLenInByte = 0
; NumSgprs: 0
; NumVgprs: 0
; ScratchSize: 0
; MemoryBound: 0
; FloatMode: 240
; IeeeMode: 1
; LDSByteSize: 0 bytes/workgroup (compile time only)
; SGPRBlocks: 0
; VGPRBlocks: 0
; NumSGPRsForWavesPerEU: 1
; NumVGPRsForWavesPerEU: 1
; Occupancy: 15
; WaveLimiterHint : 0
; COMPUTE_PGM_RSRC2:SCRATCH_EN: 0
; COMPUTE_PGM_RSRC2:USER_SGPR: 15
; COMPUTE_PGM_RSRC2:TRAP_HANDLER: 0
; COMPUTE_PGM_RSRC2:TGID_X_EN: 1
; COMPUTE_PGM_RSRC2:TGID_Y_EN: 0
; COMPUTE_PGM_RSRC2:TGID_Z_EN: 0
; COMPUTE_PGM_RSRC2:TIDIG_COMP_CNT: 0
	.section	.text._ZN7rocprim17ROCPRIM_400000_NS6detail17trampoline_kernelINS0_14default_configENS1_25partition_config_selectorILNS1_17partition_subalgoE9EffbEEZZNS1_14partition_implILS5_9ELb0ES3_jN6thrust23THRUST_200600_302600_NS6detail15normal_iteratorINS9_10device_ptrIfEEEESE_PNS0_10empty_typeENS0_5tupleIJSE_SF_EEENSH_IJSE_SG_EEENS0_18inequality_wrapperI22is_equal_div_10_uniqueIfEEEPmJSF_EEE10hipError_tPvRmT3_T4_T5_T6_T7_T9_mT8_P12ihipStream_tbDpT10_ENKUlT_T0_E_clISt17integral_constantIbLb0EES17_IbLb1EEEEDaS13_S14_EUlS13_E_NS1_11comp_targetILNS1_3genE9ELNS1_11target_archE1100ELNS1_3gpuE3ELNS1_3repE0EEENS1_30default_config_static_selectorELNS0_4arch9wavefront6targetE0EEEvT1_,"axG",@progbits,_ZN7rocprim17ROCPRIM_400000_NS6detail17trampoline_kernelINS0_14default_configENS1_25partition_config_selectorILNS1_17partition_subalgoE9EffbEEZZNS1_14partition_implILS5_9ELb0ES3_jN6thrust23THRUST_200600_302600_NS6detail15normal_iteratorINS9_10device_ptrIfEEEESE_PNS0_10empty_typeENS0_5tupleIJSE_SF_EEENSH_IJSE_SG_EEENS0_18inequality_wrapperI22is_equal_div_10_uniqueIfEEEPmJSF_EEE10hipError_tPvRmT3_T4_T5_T6_T7_T9_mT8_P12ihipStream_tbDpT10_ENKUlT_T0_E_clISt17integral_constantIbLb0EES17_IbLb1EEEEDaS13_S14_EUlS13_E_NS1_11comp_targetILNS1_3genE9ELNS1_11target_archE1100ELNS1_3gpuE3ELNS1_3repE0EEENS1_30default_config_static_selectorELNS0_4arch9wavefront6targetE0EEEvT1_,comdat
	.protected	_ZN7rocprim17ROCPRIM_400000_NS6detail17trampoline_kernelINS0_14default_configENS1_25partition_config_selectorILNS1_17partition_subalgoE9EffbEEZZNS1_14partition_implILS5_9ELb0ES3_jN6thrust23THRUST_200600_302600_NS6detail15normal_iteratorINS9_10device_ptrIfEEEESE_PNS0_10empty_typeENS0_5tupleIJSE_SF_EEENSH_IJSE_SG_EEENS0_18inequality_wrapperI22is_equal_div_10_uniqueIfEEEPmJSF_EEE10hipError_tPvRmT3_T4_T5_T6_T7_T9_mT8_P12ihipStream_tbDpT10_ENKUlT_T0_E_clISt17integral_constantIbLb0EES17_IbLb1EEEEDaS13_S14_EUlS13_E_NS1_11comp_targetILNS1_3genE9ELNS1_11target_archE1100ELNS1_3gpuE3ELNS1_3repE0EEENS1_30default_config_static_selectorELNS0_4arch9wavefront6targetE0EEEvT1_ ; -- Begin function _ZN7rocprim17ROCPRIM_400000_NS6detail17trampoline_kernelINS0_14default_configENS1_25partition_config_selectorILNS1_17partition_subalgoE9EffbEEZZNS1_14partition_implILS5_9ELb0ES3_jN6thrust23THRUST_200600_302600_NS6detail15normal_iteratorINS9_10device_ptrIfEEEESE_PNS0_10empty_typeENS0_5tupleIJSE_SF_EEENSH_IJSE_SG_EEENS0_18inequality_wrapperI22is_equal_div_10_uniqueIfEEEPmJSF_EEE10hipError_tPvRmT3_T4_T5_T6_T7_T9_mT8_P12ihipStream_tbDpT10_ENKUlT_T0_E_clISt17integral_constantIbLb0EES17_IbLb1EEEEDaS13_S14_EUlS13_E_NS1_11comp_targetILNS1_3genE9ELNS1_11target_archE1100ELNS1_3gpuE3ELNS1_3repE0EEENS1_30default_config_static_selectorELNS0_4arch9wavefront6targetE0EEEvT1_
	.globl	_ZN7rocprim17ROCPRIM_400000_NS6detail17trampoline_kernelINS0_14default_configENS1_25partition_config_selectorILNS1_17partition_subalgoE9EffbEEZZNS1_14partition_implILS5_9ELb0ES3_jN6thrust23THRUST_200600_302600_NS6detail15normal_iteratorINS9_10device_ptrIfEEEESE_PNS0_10empty_typeENS0_5tupleIJSE_SF_EEENSH_IJSE_SG_EEENS0_18inequality_wrapperI22is_equal_div_10_uniqueIfEEEPmJSF_EEE10hipError_tPvRmT3_T4_T5_T6_T7_T9_mT8_P12ihipStream_tbDpT10_ENKUlT_T0_E_clISt17integral_constantIbLb0EES17_IbLb1EEEEDaS13_S14_EUlS13_E_NS1_11comp_targetILNS1_3genE9ELNS1_11target_archE1100ELNS1_3gpuE3ELNS1_3repE0EEENS1_30default_config_static_selectorELNS0_4arch9wavefront6targetE0EEEvT1_
	.p2align	8
	.type	_ZN7rocprim17ROCPRIM_400000_NS6detail17trampoline_kernelINS0_14default_configENS1_25partition_config_selectorILNS1_17partition_subalgoE9EffbEEZZNS1_14partition_implILS5_9ELb0ES3_jN6thrust23THRUST_200600_302600_NS6detail15normal_iteratorINS9_10device_ptrIfEEEESE_PNS0_10empty_typeENS0_5tupleIJSE_SF_EEENSH_IJSE_SG_EEENS0_18inequality_wrapperI22is_equal_div_10_uniqueIfEEEPmJSF_EEE10hipError_tPvRmT3_T4_T5_T6_T7_T9_mT8_P12ihipStream_tbDpT10_ENKUlT_T0_E_clISt17integral_constantIbLb0EES17_IbLb1EEEEDaS13_S14_EUlS13_E_NS1_11comp_targetILNS1_3genE9ELNS1_11target_archE1100ELNS1_3gpuE3ELNS1_3repE0EEENS1_30default_config_static_selectorELNS0_4arch9wavefront6targetE0EEEvT1_,@function
_ZN7rocprim17ROCPRIM_400000_NS6detail17trampoline_kernelINS0_14default_configENS1_25partition_config_selectorILNS1_17partition_subalgoE9EffbEEZZNS1_14partition_implILS5_9ELb0ES3_jN6thrust23THRUST_200600_302600_NS6detail15normal_iteratorINS9_10device_ptrIfEEEESE_PNS0_10empty_typeENS0_5tupleIJSE_SF_EEENSH_IJSE_SG_EEENS0_18inequality_wrapperI22is_equal_div_10_uniqueIfEEEPmJSF_EEE10hipError_tPvRmT3_T4_T5_T6_T7_T9_mT8_P12ihipStream_tbDpT10_ENKUlT_T0_E_clISt17integral_constantIbLb0EES17_IbLb1EEEEDaS13_S14_EUlS13_E_NS1_11comp_targetILNS1_3genE9ELNS1_11target_archE1100ELNS1_3gpuE3ELNS1_3repE0EEENS1_30default_config_static_selectorELNS0_4arch9wavefront6targetE0EEEvT1_: ; @_ZN7rocprim17ROCPRIM_400000_NS6detail17trampoline_kernelINS0_14default_configENS1_25partition_config_selectorILNS1_17partition_subalgoE9EffbEEZZNS1_14partition_implILS5_9ELb0ES3_jN6thrust23THRUST_200600_302600_NS6detail15normal_iteratorINS9_10device_ptrIfEEEESE_PNS0_10empty_typeENS0_5tupleIJSE_SF_EEENSH_IJSE_SG_EEENS0_18inequality_wrapperI22is_equal_div_10_uniqueIfEEEPmJSF_EEE10hipError_tPvRmT3_T4_T5_T6_T7_T9_mT8_P12ihipStream_tbDpT10_ENKUlT_T0_E_clISt17integral_constantIbLb0EES17_IbLb1EEEEDaS13_S14_EUlS13_E_NS1_11comp_targetILNS1_3genE9ELNS1_11target_archE1100ELNS1_3gpuE3ELNS1_3repE0EEENS1_30default_config_static_selectorELNS0_4arch9wavefront6targetE0EEEvT1_
; %bb.0:
	s_clause 0x4
	s_load_b128 s[4:7], s[0:1], 0x8
	s_load_b64 s[18:19], s[0:1], 0x18
	s_load_b128 s[8:11], s[0:1], 0x40
	s_load_b64 s[22:23], s[0:1], 0x50
	s_load_b64 s[16:17], s[0:1], 0x60
	v_cmp_ne_u32_e64 s3, 0, v0
	v_cmp_eq_u32_e64 s2, 0, v0
	s_delay_alu instid0(VALU_DEP_1)
	s_and_saveexec_b32 s12, s2
	s_cbranch_execz .LBB142_4
; %bb.1:
	s_mov_b32 s14, exec_lo
	s_mov_b32 s13, exec_lo
	v_mbcnt_lo_u32_b32 v1, s14, 0
                                        ; implicit-def: $vgpr2
	s_delay_alu instid0(VALU_DEP_1)
	v_cmpx_eq_u32_e32 0, v1
	s_cbranch_execz .LBB142_3
; %bb.2:
	s_load_b64 s[20:21], s[0:1], 0x70
	s_bcnt1_i32_b32 s14, s14
	s_delay_alu instid0(SALU_CYCLE_1)
	v_dual_mov_b32 v2, 0 :: v_dual_mov_b32 v3, s14
	s_waitcnt lgkmcnt(0)
	global_atomic_add_u32 v2, v2, v3, s[20:21] glc
.LBB142_3:
	s_or_b32 exec_lo, exec_lo, s13
	s_waitcnt vmcnt(0)
	v_readfirstlane_b32 s13, v2
	s_delay_alu instid0(VALU_DEP_1)
	v_dual_mov_b32 v2, 0 :: v_dual_add_nc_u32 v1, s13, v1
	ds_store_b32 v2, v1
.LBB142_4:
	s_or_b32 exec_lo, exec_lo, s12
	v_dual_mov_b32 v1, 0 :: v_dual_add_nc_u32 v22, 0x300, v0
	s_clause 0x1
	s_load_b128 s[12:15], s[0:1], 0x28
	s_load_b32 s0, s[0:1], 0x68
	s_waitcnt lgkmcnt(0)
	s_barrier
	buffer_gl0_inv
	ds_load_b32 v3, v1
	s_waitcnt lgkmcnt(0)
	s_barrier
	buffer_gl0_inv
	global_load_b64 v[1:2], v1, s[10:11]
	s_lshl_b64 s[20:21], s[6:7], 2
	s_mov_b32 s11, 0
	s_add_u32 s26, s4, s20
	s_addc_u32 s28, s5, s21
	v_lshrrev_b32_e32 v20, 3, v0
	v_add_nc_u32_e32 v25, 0x180, v0
	v_add_nc_u32_e32 v21, 0x480, v0
	v_or_b32_e32 v23, 0x600, v0
	v_add_nc_u32_e32 v18, 0x780, v0
	v_add_nc_u32_e32 v17, 0x900, v0
	;; [unrolled: 1-line block ×3, first 2 shown]
	s_mul_i32 s1, s0, 0xc00
	s_delay_alu instid0(SALU_CYCLE_1) | instskip(NEXT) | instid1(SALU_CYCLE_1)
	s_add_i32 s4, s1, s6
	s_sub_i32 s25, s22, s4
	s_add_i32 s4, s0, -1
	s_addk_i32 s25, 0xc00
	s_add_u32 s0, s6, s1
	v_readfirstlane_b32 s24, v3
	s_addc_u32 s1, s7, 0
	s_delay_alu instid0(SALU_CYCLE_1) | instskip(NEXT) | instid1(VALU_DEP_2)
	v_cmp_ge_u64_e64 s0, s[0:1], s[22:23]
	s_cmp_eq_u32 s24, s4
	s_mul_i32 s10, s24, 0xc00
	s_cselect_b32 s22, -1, 0
	s_lshl_b64 s[4:5], s[10:11], 2
	s_delay_alu instid0(VALU_DEP_1) | instskip(NEXT) | instid1(SALU_CYCLE_1)
	s_and_b32 s1, s0, s22
	s_xor_b32 s23, s1, -1
	s_add_u32 s27, s26, s4
	s_addc_u32 s26, s28, s5
	s_and_b32 vcc_lo, exec_lo, s23
	s_mov_b32 s28, -1
	s_waitcnt vmcnt(0)
	v_readfirstlane_b32 s10, v1
	v_readfirstlane_b32 s11, v2
	s_cbranch_vccz .LBB142_6
; %bb.5:
	v_lshlrev_b32_e32 v7, 2, v0
	v_lshrrev_b32_e32 v11, 3, v25
	v_lshrrev_b32_e32 v12, 3, v22
	;; [unrolled: 1-line block ×4, first 2 shown]
	v_add_co_u32 v1, s0, s27, v7
	s_delay_alu instid0(VALU_DEP_1) | instskip(SKIP_1) | instid1(VALU_DEP_3)
	v_add_co_ci_u32_e64 v2, null, s26, 0, s0
	v_lshrrev_b32_e32 v15, 3, v18
	v_add_co_u32 v3, vcc_lo, 0x1000, v1
	s_delay_alu instid0(VALU_DEP_3)
	v_add_co_ci_u32_e32 v4, vcc_lo, 0, v2, vcc_lo
	v_add_co_u32 v5, vcc_lo, 0x2000, v1
	v_add_co_ci_u32_e32 v6, vcc_lo, 0, v2, vcc_lo
	s_clause 0x7
	flat_load_b32 v8, v[1:2]
	flat_load_b32 v9, v[1:2] offset:1536
	flat_load_b32 v1, v[1:2] offset:3072
	;; [unrolled: 1-line block ×7, first 2 shown]
	v_and_b32_e32 v6, 60, v20
	v_lshrrev_b32_e32 v16, 3, v17
	v_lshrrev_b32_e32 v19, 3, v24
	v_and_b32_e32 v11, 0x7c, v11
	v_and_b32_e32 v12, 0xfc, v12
	;; [unrolled: 1-line block ×4, first 2 shown]
	v_add_nc_u32_e32 v6, v6, v7
	v_and_b32_e32 v15, 0x1fc, v15
	v_and_b32_e32 v16, 0x17c, v16
	;; [unrolled: 1-line block ×3, first 2 shown]
	v_add_nc_u32_e32 v11, v11, v7
	v_add_nc_u32_e32 v12, v12, v7
	;; [unrolled: 1-line block ×4, first 2 shown]
	s_mov_b32 s28, 0
	v_add_nc_u32_e32 v15, v15, v7
	v_add_nc_u32_e32 v16, v16, v7
	;; [unrolled: 1-line block ×3, first 2 shown]
	s_waitcnt vmcnt(7) lgkmcnt(7)
	ds_store_b32 v6, v8
	s_waitcnt vmcnt(6) lgkmcnt(7)
	ds_store_b32 v11, v9 offset:1536
	s_waitcnt vmcnt(5) lgkmcnt(7)
	ds_store_b32 v12, v1 offset:3072
	;; [unrolled: 2-line block ×7, first 2 shown]
	s_waitcnt lgkmcnt(0)
	s_barrier
.LBB142_6:
	v_cmp_gt_u32_e64 s0, s25, v0
	s_and_not1_b32 vcc_lo, exec_lo, s28
	s_cbranch_vccnz .LBB142_24
; %bb.7:
                                        ; implicit-def: $vgpr1_vgpr2_vgpr3_vgpr4_vgpr5_vgpr6_vgpr7_vgpr8
	s_delay_alu instid0(VALU_DEP_1)
	s_and_saveexec_b32 s28, s0
	s_cbranch_execz .LBB142_15
; %bb.8:
	v_lshlrev_b32_e32 v1, 2, v0
	s_delay_alu instid0(VALU_DEP_1) | instskip(NEXT) | instid1(VALU_DEP_1)
	v_add_co_u32 v1, s0, s27, v1
	v_add_co_ci_u32_e64 v2, null, s26, 0, s0
	flat_load_b32 v1, v[1:2]
	s_or_b32 exec_lo, exec_lo, s28
	s_delay_alu instid0(SALU_CYCLE_1)
	s_mov_b32 s0, exec_lo
	v_cmpx_gt_u32_e64 s25, v25
	s_cbranch_execnz .LBB142_16
.LBB142_9:
	s_or_b32 exec_lo, exec_lo, s0
	s_delay_alu instid0(SALU_CYCLE_1)
	s_mov_b32 s0, exec_lo
	v_cmpx_gt_u32_e64 s25, v22
	s_cbranch_execz .LBB142_17
.LBB142_10:
	v_lshlrev_b32_e32 v3, 2, v0
	s_delay_alu instid0(VALU_DEP_1) | instskip(NEXT) | instid1(VALU_DEP_1)
	v_add_co_u32 v9, s28, s27, v3
	v_add_co_ci_u32_e64 v10, null, s26, 0, s28
	flat_load_b32 v3, v[9:10] offset:3072
	s_or_b32 exec_lo, exec_lo, s0
	s_delay_alu instid0(SALU_CYCLE_1)
	s_mov_b32 s0, exec_lo
	v_cmpx_gt_u32_e64 s25, v21
	s_cbranch_execnz .LBB142_18
.LBB142_11:
	s_or_b32 exec_lo, exec_lo, s0
	s_delay_alu instid0(SALU_CYCLE_1)
	s_mov_b32 s0, exec_lo
	v_cmpx_gt_u32_e64 s25, v23
	s_cbranch_execz .LBB142_19
.LBB142_12:
	v_lshlrev_b32_e32 v5, 2, v23
	s_delay_alu instid0(VALU_DEP_1) | instskip(NEXT) | instid1(VALU_DEP_1)
	v_add_co_u32 v9, s28, s27, v5
	v_add_co_ci_u32_e64 v10, null, s26, 0, s28
	flat_load_b32 v5, v[9:10]
	s_or_b32 exec_lo, exec_lo, s0
	s_delay_alu instid0(SALU_CYCLE_1)
	s_mov_b32 s0, exec_lo
	v_cmpx_gt_u32_e64 s25, v18
	s_cbranch_execnz .LBB142_20
.LBB142_13:
	s_or_b32 exec_lo, exec_lo, s0
	s_delay_alu instid0(SALU_CYCLE_1)
	s_mov_b32 s0, exec_lo
	v_cmpx_gt_u32_e64 s25, v17
	s_cbranch_execz .LBB142_21
.LBB142_14:
	v_lshlrev_b32_e32 v7, 2, v17
	s_delay_alu instid0(VALU_DEP_1) | instskip(NEXT) | instid1(VALU_DEP_1)
	v_add_co_u32 v9, s28, s27, v7
	v_add_co_ci_u32_e64 v10, null, s26, 0, s28
	flat_load_b32 v7, v[9:10]
	s_or_b32 exec_lo, exec_lo, s0
	s_delay_alu instid0(SALU_CYCLE_1)
	s_mov_b32 s0, exec_lo
	v_cmpx_gt_u32_e64 s25, v24
	s_cbranch_execnz .LBB142_22
	s_branch .LBB142_23
.LBB142_15:
	s_or_b32 exec_lo, exec_lo, s28
	s_delay_alu instid0(SALU_CYCLE_1)
	s_mov_b32 s0, exec_lo
	v_cmpx_gt_u32_e64 s25, v25
	s_cbranch_execz .LBB142_9
.LBB142_16:
	v_lshlrev_b32_e32 v2, 2, v0
	s_delay_alu instid0(VALU_DEP_1) | instskip(NEXT) | instid1(VALU_DEP_1)
	v_add_co_u32 v9, s28, s27, v2
	v_add_co_ci_u32_e64 v10, null, s26, 0, s28
	flat_load_b32 v2, v[9:10] offset:1536
	s_or_b32 exec_lo, exec_lo, s0
	s_delay_alu instid0(SALU_CYCLE_1)
	s_mov_b32 s0, exec_lo
	v_cmpx_gt_u32_e64 s25, v22
	s_cbranch_execnz .LBB142_10
.LBB142_17:
	s_or_b32 exec_lo, exec_lo, s0
	s_delay_alu instid0(SALU_CYCLE_1)
	s_mov_b32 s0, exec_lo
	v_cmpx_gt_u32_e64 s25, v21
	s_cbranch_execz .LBB142_11
.LBB142_18:
	v_lshlrev_b32_e32 v4, 2, v21
	s_delay_alu instid0(VALU_DEP_1) | instskip(NEXT) | instid1(VALU_DEP_1)
	v_add_co_u32 v9, s28, s27, v4
	v_add_co_ci_u32_e64 v10, null, s26, 0, s28
	flat_load_b32 v4, v[9:10]
	s_or_b32 exec_lo, exec_lo, s0
	s_delay_alu instid0(SALU_CYCLE_1)
	s_mov_b32 s0, exec_lo
	v_cmpx_gt_u32_e64 s25, v23
	s_cbranch_execnz .LBB142_12
.LBB142_19:
	s_or_b32 exec_lo, exec_lo, s0
	s_delay_alu instid0(SALU_CYCLE_1)
	s_mov_b32 s0, exec_lo
	v_cmpx_gt_u32_e64 s25, v18
	s_cbranch_execz .LBB142_13
.LBB142_20:
	v_lshlrev_b32_e32 v6, 2, v18
	s_delay_alu instid0(VALU_DEP_1) | instskip(NEXT) | instid1(VALU_DEP_1)
	v_add_co_u32 v9, s28, s27, v6
	v_add_co_ci_u32_e64 v10, null, s26, 0, s28
	flat_load_b32 v6, v[9:10]
	s_or_b32 exec_lo, exec_lo, s0
	s_delay_alu instid0(SALU_CYCLE_1)
	s_mov_b32 s0, exec_lo
	v_cmpx_gt_u32_e64 s25, v17
	s_cbranch_execnz .LBB142_14
.LBB142_21:
	s_or_b32 exec_lo, exec_lo, s0
	s_delay_alu instid0(SALU_CYCLE_1)
	s_mov_b32 s0, exec_lo
	v_cmpx_gt_u32_e64 s25, v24
	s_cbranch_execz .LBB142_23
.LBB142_22:
	v_lshlrev_b32_e32 v8, 2, v24
	s_delay_alu instid0(VALU_DEP_1) | instskip(NEXT) | instid1(VALU_DEP_1)
	v_add_co_u32 v8, s28, s27, v8
	v_add_co_ci_u32_e64 v9, null, s26, 0, s28
	flat_load_b32 v8, v[8:9]
.LBB142_23:
	s_or_b32 exec_lo, exec_lo, s0
	v_lshrrev_b32_e32 v9, 3, v25
	v_lshrrev_b32_e32 v10, 3, v22
	;; [unrolled: 1-line block ×4, first 2 shown]
	v_and_b32_e32 v11, 60, v20
	v_lshlrev_b32_e32 v12, 2, v0
	v_lshrrev_b32_e32 v15, 3, v18
	v_lshrrev_b32_e32 v16, 3, v17
	;; [unrolled: 1-line block ×3, first 2 shown]
	v_and_b32_e32 v9, 0x7c, v9
	v_and_b32_e32 v10, 0xfc, v10
	;; [unrolled: 1-line block ×4, first 2 shown]
	v_add_nc_u32_e32 v11, v11, v12
	v_and_b32_e32 v15, 0x1fc, v15
	v_and_b32_e32 v16, 0x1fc, v16
	;; [unrolled: 1-line block ×3, first 2 shown]
	v_add_nc_u32_e32 v9, v9, v12
	v_add_nc_u32_e32 v10, v10, v12
	;; [unrolled: 1-line block ×7, first 2 shown]
	s_waitcnt vmcnt(0) lgkmcnt(0)
	ds_store_b32 v11, v1
	ds_store_b32 v9, v2 offset:1536
	ds_store_b32 v10, v3 offset:3072
	;; [unrolled: 1-line block ×7, first 2 shown]
	s_waitcnt lgkmcnt(0)
	s_barrier
.LBB142_24:
	v_lshlrev_b32_e32 v19, 3, v0
	v_lshrrev_b32_e32 v1, 2, v0
	buffer_gl0_inv
	s_add_u32 s0, s18, s20
	s_addc_u32 s18, s19, s21
	s_add_u32 s0, s0, s4
	v_add_lshl_u32 v1, v1, v19, 2
	s_addc_u32 s4, s18, s5
	s_and_b32 vcc_lo, exec_lo, s23
	s_mov_b32 s5, -1
	ds_load_2addr_b32 v[15:16], v1 offset1:1
	ds_load_2addr_b32 v[13:14], v1 offset0:2 offset1:3
	ds_load_2addr_b32 v[11:12], v1 offset0:4 offset1:5
	;; [unrolled: 1-line block ×3, first 2 shown]
	s_waitcnt lgkmcnt(0)
	s_barrier
	buffer_gl0_inv
	s_cbranch_vccz .LBB142_26
; %bb.25:
	v_lshlrev_b32_e32 v8, 2, v0
	v_lshrrev_b32_e32 v29, 3, v25
	v_lshrrev_b32_e32 v30, 3, v22
	;; [unrolled: 1-line block ×4, first 2 shown]
	v_add_co_u32 v2, s5, s0, v8
	s_delay_alu instid0(VALU_DEP_1) | instskip(SKIP_1) | instid1(VALU_DEP_3)
	v_add_co_ci_u32_e64 v3, null, s4, 0, s5
	v_lshrrev_b32_e32 v33, 3, v18
	v_add_co_u32 v4, vcc_lo, 0x1000, v2
	s_delay_alu instid0(VALU_DEP_3)
	v_add_co_ci_u32_e32 v5, vcc_lo, 0, v3, vcc_lo
	v_add_co_u32 v6, vcc_lo, 0x2000, v2
	v_add_co_ci_u32_e32 v7, vcc_lo, 0, v3, vcc_lo
	s_clause 0x7
	flat_load_b32 v26, v[2:3]
	flat_load_b32 v27, v[2:3] offset:1536
	flat_load_b32 v2, v[2:3] offset:3072
	;; [unrolled: 1-line block ×7, first 2 shown]
	v_and_b32_e32 v7, 60, v20
	v_lshrrev_b32_e32 v34, 3, v17
	v_lshrrev_b32_e32 v35, 3, v24
	v_and_b32_e32 v29, 0x7c, v29
	v_and_b32_e32 v30, 0xfc, v30
	;; [unrolled: 1-line block ×4, first 2 shown]
	v_add_nc_u32_e32 v7, v7, v8
	v_and_b32_e32 v33, 0x1fc, v33
	v_and_b32_e32 v34, 0x17c, v34
	;; [unrolled: 1-line block ×3, first 2 shown]
	v_add_nc_u32_e32 v29, v29, v8
	v_add_nc_u32_e32 v30, v30, v8
	v_add_nc_u32_e32 v31, v31, v8
	v_add_nc_u32_e32 v32, v32, v8
	s_mov_b32 s5, 0
	v_add_nc_u32_e32 v33, v33, v8
	v_add_nc_u32_e32 v34, v34, v8
	;; [unrolled: 1-line block ×3, first 2 shown]
	s_waitcnt vmcnt(7) lgkmcnt(7)
	ds_store_b32 v7, v26
	s_waitcnt vmcnt(6) lgkmcnt(7)
	ds_store_b32 v29, v27 offset:1536
	s_waitcnt vmcnt(5) lgkmcnt(7)
	ds_store_b32 v30, v2 offset:3072
	s_waitcnt vmcnt(4) lgkmcnt(7)
	ds_store_b32 v31, v3 offset:4608
	s_waitcnt vmcnt(3) lgkmcnt(7)
	ds_store_b32 v32, v28 offset:6144
	s_waitcnt vmcnt(2) lgkmcnt(7)
	ds_store_b32 v33, v4 offset:7680
	s_waitcnt vmcnt(1) lgkmcnt(7)
	ds_store_b32 v34, v5 offset:9216
	s_waitcnt vmcnt(0) lgkmcnt(7)
	ds_store_b32 v8, v6 offset:10752
	s_waitcnt lgkmcnt(0)
	s_barrier
.LBB142_26:
	s_and_not1_b32 vcc_lo, exec_lo, s5
	s_cbranch_vccnz .LBB142_44
; %bb.27:
	s_mov_b32 s5, exec_lo
                                        ; implicit-def: $vgpr2
	v_cmpx_gt_u32_e64 s25, v0
	s_cbranch_execz .LBB142_29
; %bb.28:
	v_lshlrev_b32_e32 v2, 2, v0
	s_delay_alu instid0(VALU_DEP_1) | instskip(NEXT) | instid1(VALU_DEP_1)
	v_add_co_u32 v2, s18, s0, v2
	v_add_co_ci_u32_e64 v3, null, s4, 0, s18
	flat_load_b32 v2, v[2:3]
.LBB142_29:
	s_or_b32 exec_lo, exec_lo, s5
	s_delay_alu instid0(SALU_CYCLE_1)
	s_mov_b32 s5, exec_lo
                                        ; implicit-def: $vgpr3
	v_cmpx_gt_u32_e64 s25, v25
	s_cbranch_execz .LBB142_31
; %bb.30:
	v_lshlrev_b32_e32 v3, 2, v0
	s_delay_alu instid0(VALU_DEP_1) | instskip(NEXT) | instid1(VALU_DEP_1)
	v_add_co_u32 v3, s18, s0, v3
	v_add_co_ci_u32_e64 v4, null, s4, 0, s18
	flat_load_b32 v3, v[3:4] offset:1536
.LBB142_31:
	s_or_b32 exec_lo, exec_lo, s5
	s_delay_alu instid0(SALU_CYCLE_1)
	s_mov_b32 s5, exec_lo
                                        ; implicit-def: $vgpr4
	v_cmpx_gt_u32_e64 s25, v22
	s_cbranch_execz .LBB142_33
; %bb.32:
	v_lshlrev_b32_e32 v4, 2, v0
	s_delay_alu instid0(VALU_DEP_1) | instskip(NEXT) | instid1(VALU_DEP_1)
	v_add_co_u32 v4, s18, s0, v4
	v_add_co_ci_u32_e64 v5, null, s4, 0, s18
	flat_load_b32 v4, v[4:5] offset:3072
.LBB142_33:
	s_or_b32 exec_lo, exec_lo, s5
	s_delay_alu instid0(SALU_CYCLE_1)
	s_mov_b32 s5, exec_lo
                                        ; implicit-def: $vgpr5
	v_cmpx_gt_u32_e64 s25, v21
	s_cbranch_execz .LBB142_35
; %bb.34:
	v_lshlrev_b32_e32 v5, 2, v21
	s_delay_alu instid0(VALU_DEP_1) | instskip(NEXT) | instid1(VALU_DEP_1)
	v_add_co_u32 v5, s18, s0, v5
	v_add_co_ci_u32_e64 v6, null, s4, 0, s18
	flat_load_b32 v5, v[5:6]
.LBB142_35:
	s_or_b32 exec_lo, exec_lo, s5
	s_delay_alu instid0(SALU_CYCLE_1)
	s_mov_b32 s5, exec_lo
                                        ; implicit-def: $vgpr6
	v_cmpx_gt_u32_e64 s25, v23
	s_cbranch_execz .LBB142_37
; %bb.36:
	v_lshlrev_b32_e32 v6, 2, v23
	s_delay_alu instid0(VALU_DEP_1) | instskip(NEXT) | instid1(VALU_DEP_1)
	v_add_co_u32 v6, s18, s0, v6
	v_add_co_ci_u32_e64 v7, null, s4, 0, s18
	flat_load_b32 v6, v[6:7]
.LBB142_37:
	s_or_b32 exec_lo, exec_lo, s5
	s_delay_alu instid0(SALU_CYCLE_1)
	s_mov_b32 s5, exec_lo
                                        ; implicit-def: $vgpr7
	v_cmpx_gt_u32_e64 s25, v18
	s_cbranch_execz .LBB142_39
; %bb.38:
	v_lshlrev_b32_e32 v7, 2, v18
	s_delay_alu instid0(VALU_DEP_1) | instskip(NEXT) | instid1(VALU_DEP_1)
	v_add_co_u32 v7, s18, s0, v7
	v_add_co_ci_u32_e64 v8, null, s4, 0, s18
	flat_load_b32 v7, v[7:8]
.LBB142_39:
	s_or_b32 exec_lo, exec_lo, s5
	s_delay_alu instid0(SALU_CYCLE_1)
	s_mov_b32 s5, exec_lo
                                        ; implicit-def: $vgpr8
	v_cmpx_gt_u32_e64 s25, v17
	s_cbranch_execz .LBB142_41
; %bb.40:
	v_lshlrev_b32_e32 v8, 2, v17
	s_delay_alu instid0(VALU_DEP_1) | instskip(NEXT) | instid1(VALU_DEP_1)
	v_add_co_u32 v26, s18, s0, v8
	v_add_co_ci_u32_e64 v27, null, s4, 0, s18
	flat_load_b32 v8, v[26:27]
.LBB142_41:
	s_or_b32 exec_lo, exec_lo, s5
	s_delay_alu instid0(SALU_CYCLE_1)
	s_mov_b32 s5, exec_lo
                                        ; implicit-def: $vgpr26
	v_cmpx_gt_u32_e64 s25, v24
	s_cbranch_execz .LBB142_43
; %bb.42:
	v_lshlrev_b32_e32 v26, 2, v24
	s_delay_alu instid0(VALU_DEP_1) | instskip(NEXT) | instid1(VALU_DEP_1)
	v_add_co_u32 v26, s0, s0, v26
	v_add_co_ci_u32_e64 v27, null, s4, 0, s0
	flat_load_b32 v26, v[26:27]
.LBB142_43:
	s_or_b32 exec_lo, exec_lo, s5
	v_lshrrev_b32_e32 v25, 3, v25
	v_lshrrev_b32_e32 v22, 3, v22
	;; [unrolled: 1-line block ×4, first 2 shown]
	v_and_b32_e32 v20, 60, v20
	v_lshlrev_b32_e32 v27, 2, v0
	v_lshrrev_b32_e32 v18, 3, v18
	v_lshrrev_b32_e32 v17, 3, v17
	;; [unrolled: 1-line block ×3, first 2 shown]
	v_and_b32_e32 v25, 0x7c, v25
	v_and_b32_e32 v22, 0xfc, v22
	;; [unrolled: 1-line block ×4, first 2 shown]
	v_add_nc_u32_e32 v20, v20, v27
	v_and_b32_e32 v18, 0x1fc, v18
	v_and_b32_e32 v17, 0x1fc, v17
	;; [unrolled: 1-line block ×3, first 2 shown]
	v_add_nc_u32_e32 v25, v25, v27
	v_add_nc_u32_e32 v22, v22, v27
	;; [unrolled: 1-line block ×7, first 2 shown]
	s_waitcnt vmcnt(0) lgkmcnt(0)
	ds_store_b32 v20, v2
	ds_store_b32 v25, v3 offset:1536
	ds_store_b32 v22, v4 offset:3072
	;; [unrolled: 1-line block ×7, first 2 shown]
	s_waitcnt lgkmcnt(0)
	s_barrier
.LBB142_44:
	buffer_gl0_inv
	ds_load_2addr_b32 v[7:8], v1 offset1:1
	ds_load_2addr_b32 v[5:6], v1 offset0:2 offset1:3
	ds_load_2addr_b32 v[3:4], v1 offset0:4 offset1:5
	;; [unrolled: 1-line block ×3, first 2 shown]
	s_cmp_lg_u32 s24, 0
	s_waitcnt lgkmcnt(0)
	s_cselect_b32 s18, -1, 0
	s_cmp_lg_u64 s[6:7], 0
	s_barrier
	s_cselect_b32 s0, -1, 0
	buffer_gl0_inv
	s_or_b32 s0, s0, s18
	s_delay_alu instid0(SALU_CYCLE_1)
	s_and_b32 vcc_lo, exec_lo, s0
	s_mov_b32 s0, 0
	s_cbranch_vccz .LBB142_49
; %bb.45:
	v_add_co_u32 v17, s0, -4, s27
	s_delay_alu instid0(VALU_DEP_1)
	v_add_co_ci_u32_e64 v18, null, -1, s26, s0
	v_lshlrev_b32_e32 v21, 2, v0
	s_mov_b32 s0, -1
	s_and_b32 vcc_lo, exec_lo, s23
	flat_load_b32 v20, v[17:18]
	ds_store_b32 v21, v10
	s_cbranch_vccz .LBB142_50
; %bb.46:
	s_waitcnt vmcnt(0) lgkmcnt(1)
	v_mov_b32_e32 v17, v20
	s_waitcnt lgkmcnt(0)
	s_barrier
	buffer_gl0_inv
	s_and_saveexec_b32 s0, s3
	s_cbranch_execz .LBB142_48
; %bb.47:
	v_add_nc_u32_e32 v17, -4, v21
	ds_load_b32 v17, v17
.LBB142_48:
	s_or_b32 exec_lo, exec_lo, s0
	v_cvt_i32_f32_e32 v18, v9
	v_cvt_i32_f32_e32 v22, v10
	;; [unrolled: 1-line block ×5, first 2 shown]
	v_mul_hi_i32 v18, 0x66666667, v18
	v_mul_hi_i32 v22, 0x66666667, v22
	;; [unrolled: 1-line block ×4, first 2 shown]
	v_cvt_i32_f32_e32 v28, v13
	v_mul_hi_i32 v25, 0x66666667, v25
	s_waitcnt lgkmcnt(0)
	v_cvt_i32_f32_e32 v17, v17
	v_lshrrev_b32_e32 v26, 31, v18
	v_ashrrev_i32_e32 v18, 2, v18
	v_lshrrev_b32_e32 v27, 31, v22
	v_ashrrev_i32_e32 v22, 2, v22
	;; [unrolled: 2-line block ×3, first 2 shown]
	v_add_nc_u32_e32 v18, v18, v26
	v_lshrrev_b32_e32 v26, 31, v24
	v_add_nc_u32_e32 v22, v22, v27
	v_ashrrev_i32_e32 v24, 2, v24
	v_add_nc_u32_e32 v23, v23, v29
	v_mul_hi_i32 v27, 0x66666667, v28
	v_cvt_i32_f32_e32 v28, v16
	v_cmp_ne_u32_e32 vcc_lo, v18, v22
	v_add_nc_u32_e32 v24, v24, v26
	v_lshrrev_b32_e32 v26, 31, v25
	v_ashrrev_i32_e32 v25, 2, v25
	v_cvt_i32_f32_e32 v29, v15
	v_cndmask_b32_e64 v22, 0, 1, vcc_lo
	v_cmp_ne_u32_e32 vcc_lo, v23, v18
	v_mul_hi_i32 v28, 0x66666667, v28
	v_lshrrev_b32_e32 v30, 31, v27
	v_ashrrev_i32_e32 v27, 2, v27
	v_add_nc_u32_e32 v25, v25, v26
	v_cndmask_b32_e64 v18, 0, 1, vcc_lo
	v_cmp_ne_u32_e32 vcc_lo, v24, v23
	v_mul_hi_i32 v29, 0x66666667, v29
	v_add_nc_u32_e32 v26, v27, v30
	v_lshrrev_b32_e32 v27, 31, v28
	v_ashrrev_i32_e32 v28, 2, v28
	v_cndmask_b32_e64 v23, 0, 1, vcc_lo
	v_cmp_ne_u32_e32 vcc_lo, v25, v24
	v_mul_hi_i32 v17, 0x66666667, v17
	v_lshlrev_b16 v22, 8, v22
	v_lshrrev_b32_e32 v30, 31, v29
	v_ashrrev_i32_e32 v29, 2, v29
	v_cndmask_b32_e64 v24, 0, 1, vcc_lo
	v_add_nc_u32_e32 v27, v28, v27
	v_cmp_ne_u32_e32 vcc_lo, v26, v25
	v_lshlrev_b16 v23, 8, v23
	v_add_nc_u32_e32 v28, v29, v30
	v_lshrrev_b32_e32 v29, 31, v17
	v_ashrrev_i32_e32 v17, 2, v17
	v_cndmask_b32_e64 v25, 0, 1, vcc_lo
	v_cmp_ne_u32_e32 vcc_lo, v27, v26
	v_or_b32_e32 v23, v24, v23
	v_or_b32_e32 v18, v18, v22
	v_add_nc_u32_e32 v17, v17, v29
	v_lshlrev_b16 v25, 8, v25
	v_cndmask_b32_e64 v26, 0, 1, vcc_lo
	v_cmp_ne_u32_e32 vcc_lo, v28, v27
	v_and_b32_e32 v23, 0xffff, v23
	v_lshlrev_b32_e32 v18, 16, v18
	v_cmp_ne_u32_e64 s4, v17, v28
	v_or_b32_e32 v25, v26, v25
	v_cndmask_b32_e64 v27, 0, 1, vcc_lo
	s_delay_alu instid0(VALU_DEP_4) | instskip(NEXT) | instid1(VALU_DEP_3)
	v_or_b32_e32 v18, v23, v18
	v_lshlrev_b32_e32 v22, 16, v25
	s_delay_alu instid0(VALU_DEP_3) | instskip(NEXT) | instid1(VALU_DEP_1)
	v_lshlrev_b16 v26, 8, v27
	v_and_b32_e32 v24, 0xffff, v26
	s_delay_alu instid0(VALU_DEP_1)
	v_or_b32_e32 v17, v24, v22
	s_branch .LBB142_70
.LBB142_49:
                                        ; implicit-def: $sgpr4
                                        ; implicit-def: $vgpr18
	s_branch .LBB142_71
.LBB142_50:
                                        ; implicit-def: $sgpr4
                                        ; implicit-def: $vgpr18
	s_and_b32 vcc_lo, exec_lo, s0
	s_cbranch_vccz .LBB142_70
; %bb.51:
	v_or_b32_e32 v17, 7, v19
	s_mov_b32 s0, 0
	s_mov_b32 s4, 0
	s_mov_b32 s5, exec_lo
	s_delay_alu instid0(VALU_DEP_1)
	v_cmpx_gt_u32_e64 s25, v17
	s_cbranch_execz .LBB142_53
; %bb.52:
	v_cvt_i32_f32_e32 v17, v9
	v_cvt_i32_f32_e32 v18, v10
	s_delay_alu instid0(VALU_DEP_2) | instskip(NEXT) | instid1(VALU_DEP_2)
	v_mul_hi_i32 v17, 0x66666667, v17
	v_mul_hi_i32 v18, 0x66666667, v18
	s_delay_alu instid0(VALU_DEP_2) | instskip(SKIP_1) | instid1(VALU_DEP_3)
	v_lshrrev_b32_e32 v22, 31, v17
	v_ashrrev_i32_e32 v17, 2, v17
	v_lshrrev_b32_e32 v23, 31, v18
	v_ashrrev_i32_e32 v18, 2, v18
	s_delay_alu instid0(VALU_DEP_3) | instskip(NEXT) | instid1(VALU_DEP_2)
	v_add_nc_u32_e32 v17, v17, v22
	v_add_nc_u32_e32 v18, v18, v23
	s_delay_alu instid0(VALU_DEP_1)
	v_cmp_ne_u32_e32 vcc_lo, v17, v18
	s_and_b32 s4, vcc_lo, exec_lo
.LBB142_53:
	s_or_b32 exec_lo, exec_lo, s5
	v_or_b32_e32 v17, 6, v19
	s_mov_b32 s5, exec_lo
	s_delay_alu instid0(VALU_DEP_1)
	v_cmpx_gt_u32_e64 s25, v17
	s_cbranch_execz .LBB142_55
; %bb.54:
	v_cvt_i32_f32_e32 v17, v12
	v_cvt_i32_f32_e32 v18, v9
	s_delay_alu instid0(VALU_DEP_2) | instskip(NEXT) | instid1(VALU_DEP_2)
	v_mul_hi_i32 v17, 0x66666667, v17
	v_mul_hi_i32 v18, 0x66666667, v18
	s_delay_alu instid0(VALU_DEP_2) | instskip(SKIP_1) | instid1(VALU_DEP_3)
	v_lshrrev_b32_e32 v22, 31, v17
	v_ashrrev_i32_e32 v17, 2, v17
	v_lshrrev_b32_e32 v23, 31, v18
	v_ashrrev_i32_e32 v18, 2, v18
	s_delay_alu instid0(VALU_DEP_3) | instskip(NEXT) | instid1(VALU_DEP_2)
	v_add_nc_u32_e32 v17, v17, v22
	v_add_nc_u32_e32 v18, v18, v23
	s_delay_alu instid0(VALU_DEP_1)
	v_cmp_ne_u32_e32 vcc_lo, v17, v18
	s_and_b32 s0, vcc_lo, exec_lo
.LBB142_55:
	s_or_b32 exec_lo, exec_lo, s5
	v_or_b32_e32 v17, 5, v19
	s_mov_b32 s6, 0
	s_mov_b32 s5, 0
	s_mov_b32 s7, exec_lo
	s_delay_alu instid0(VALU_DEP_1)
	v_cmpx_gt_u32_e64 s25, v17
	s_cbranch_execz .LBB142_57
; %bb.56:
	v_cvt_i32_f32_e32 v17, v11
	v_cvt_i32_f32_e32 v18, v12
	s_delay_alu instid0(VALU_DEP_2) | instskip(NEXT) | instid1(VALU_DEP_2)
	v_mul_hi_i32 v17, 0x66666667, v17
	v_mul_hi_i32 v18, 0x66666667, v18
	s_delay_alu instid0(VALU_DEP_2) | instskip(SKIP_1) | instid1(VALU_DEP_3)
	v_lshrrev_b32_e32 v22, 31, v17
	v_ashrrev_i32_e32 v17, 2, v17
	v_lshrrev_b32_e32 v23, 31, v18
	v_ashrrev_i32_e32 v18, 2, v18
	s_delay_alu instid0(VALU_DEP_3) | instskip(NEXT) | instid1(VALU_DEP_2)
	v_add_nc_u32_e32 v17, v17, v22
	v_add_nc_u32_e32 v18, v18, v23
	s_delay_alu instid0(VALU_DEP_1)
	v_cmp_ne_u32_e32 vcc_lo, v17, v18
	s_and_b32 s5, vcc_lo, exec_lo
.LBB142_57:
	s_or_b32 exec_lo, exec_lo, s7
	v_or_b32_e32 v17, 4, v19
	s_mov_b32 s7, exec_lo
	s_delay_alu instid0(VALU_DEP_1)
	v_cmpx_gt_u32_e64 s25, v17
	s_cbranch_execz .LBB142_59
; %bb.58:
	v_cvt_i32_f32_e32 v17, v14
	v_cvt_i32_f32_e32 v18, v11
	s_delay_alu instid0(VALU_DEP_2) | instskip(NEXT) | instid1(VALU_DEP_2)
	v_mul_hi_i32 v17, 0x66666667, v17
	v_mul_hi_i32 v18, 0x66666667, v18
	s_delay_alu instid0(VALU_DEP_2) | instskip(SKIP_1) | instid1(VALU_DEP_3)
	v_lshrrev_b32_e32 v22, 31, v17
	v_ashrrev_i32_e32 v17, 2, v17
	v_lshrrev_b32_e32 v23, 31, v18
	v_ashrrev_i32_e32 v18, 2, v18
	s_delay_alu instid0(VALU_DEP_3) | instskip(NEXT) | instid1(VALU_DEP_2)
	v_add_nc_u32_e32 v17, v17, v22
	v_add_nc_u32_e32 v18, v18, v23
	s_delay_alu instid0(VALU_DEP_1)
	v_cmp_ne_u32_e32 vcc_lo, v17, v18
	s_and_b32 s6, vcc_lo, exec_lo
.LBB142_59:
	s_or_b32 exec_lo, exec_lo, s7
	;; [unrolled: 50-line block ×3, first 2 shown]
	v_or_b32_e32 v17, 1, v19
	s_mov_b32 s20, 0
	s_mov_b32 s21, exec_lo
	s_delay_alu instid0(VALU_DEP_1)
	v_cmpx_gt_u32_e64 s25, v17
	s_cbranch_execz .LBB142_65
; %bb.64:
	v_cvt_i32_f32_e32 v17, v15
	v_cvt_i32_f32_e32 v18, v16
	s_delay_alu instid0(VALU_DEP_2) | instskip(NEXT) | instid1(VALU_DEP_2)
	v_mul_hi_i32 v17, 0x66666667, v17
	v_mul_hi_i32 v18, 0x66666667, v18
	s_delay_alu instid0(VALU_DEP_2) | instskip(SKIP_1) | instid1(VALU_DEP_3)
	v_lshrrev_b32_e32 v22, 31, v17
	v_ashrrev_i32_e32 v17, 2, v17
	v_lshrrev_b32_e32 v23, 31, v18
	v_ashrrev_i32_e32 v18, 2, v18
	s_delay_alu instid0(VALU_DEP_3) | instskip(NEXT) | instid1(VALU_DEP_2)
	v_add_nc_u32_e32 v17, v17, v22
	v_add_nc_u32_e32 v18, v18, v23
	s_delay_alu instid0(VALU_DEP_1)
	v_cmp_ne_u32_e32 vcc_lo, v17, v18
	s_and_b32 s20, vcc_lo, exec_lo
.LBB142_65:
	s_or_b32 exec_lo, exec_lo, s21
	s_waitcnt vmcnt(0) lgkmcnt(0)
	s_barrier
	buffer_gl0_inv
	s_and_saveexec_b32 s21, s3
	s_cbranch_execz .LBB142_67
; %bb.66:
	v_add_nc_u32_e32 v17, -4, v21
	ds_load_b32 v20, v17
.LBB142_67:
	s_or_b32 exec_lo, exec_lo, s21
	v_cndmask_b32_e64 v18, 0, 1, s7
	v_cndmask_b32_e64 v22, 0, 1, s5
	;; [unrolled: 1-line block ×7, first 2 shown]
	v_lshlrev_b16 v18, 8, v18
	v_lshlrev_b16 v22, 8, v22
	;; [unrolled: 1-line block ×3, first 2 shown]
	s_mov_b32 s4, 0
	v_lshlrev_b16 v25, 8, v25
	v_or_b32_e32 v18, v17, v18
	v_or_b32_e32 v21, v21, v22
	;; [unrolled: 1-line block ×3, first 2 shown]
	s_mov_b32 s0, exec_lo
	v_and_b32_e32 v17, 0xffff, v25
	v_lshlrev_b32_e32 v18, 16, v18
	v_and_b32_e32 v21, 0xffff, v21
	v_lshlrev_b32_e32 v22, 16, v22
	v_cmpx_gt_u32_e64 s25, v19
	s_cbranch_execz .LBB142_69
; %bb.68:
	s_waitcnt lgkmcnt(0)
	v_cvt_i32_f32_e32 v20, v20
	v_cvt_i32_f32_e32 v23, v15
	s_delay_alu instid0(VALU_DEP_2) | instskip(NEXT) | instid1(VALU_DEP_2)
	v_mul_hi_i32 v20, 0x66666667, v20
	v_mul_hi_i32 v23, 0x66666667, v23
	s_delay_alu instid0(VALU_DEP_2) | instskip(SKIP_1) | instid1(VALU_DEP_3)
	v_lshrrev_b32_e32 v24, 31, v20
	v_ashrrev_i32_e32 v20, 2, v20
	v_lshrrev_b32_e32 v25, 31, v23
	v_ashrrev_i32_e32 v23, 2, v23
	s_delay_alu instid0(VALU_DEP_3) | instskip(NEXT) | instid1(VALU_DEP_2)
	v_add_nc_u32_e32 v20, v20, v24
	v_add_nc_u32_e32 v23, v23, v25
	s_delay_alu instid0(VALU_DEP_1)
	v_cmp_ne_u32_e32 vcc_lo, v20, v23
	s_and_b32 s4, vcc_lo, exec_lo
.LBB142_69:
	s_or_b32 exec_lo, exec_lo, s0
	v_or_b32_e32 v17, v17, v18
	v_or_b32_e32 v18, v21, v22
.LBB142_70:
	s_mov_b32 s0, -1
	s_cbranch_execnz .LBB142_95
.LBB142_71:
	v_cvt_i32_f32_e32 v17, v9
	v_cvt_i32_f32_e32 v18, v12
	;; [unrolled: 1-line block ×6, first 2 shown]
	v_mul_hi_i32 v26, 0x66666667, v17
	v_mul_hi_i32 v25, 0x66666667, v18
	;; [unrolled: 1-line block ×6, first 2 shown]
	s_waitcnt vmcnt(0) lgkmcnt(0)
	v_lshlrev_b32_e32 v20, 2, v0
	s_and_b32 vcc_lo, exec_lo, s23
	ds_store_b32 v20, v10
	s_cbranch_vccz .LBB142_75
; %bb.72:
	v_cvt_i32_f32_e32 v17, v10
	v_lshrrev_b32_e32 v18, 31, v26
	v_ashrrev_i32_e32 v27, 2, v26
	v_lshrrev_b32_e32 v28, 31, v25
	v_ashrrev_i32_e32 v29, 2, v25
	v_mul_hi_i32 v17, 0x66666667, v17
	v_lshrrev_b32_e32 v30, 31, v24
	v_add_nc_u32_e32 v18, v27, v18
	v_ashrrev_i32_e32 v31, 2, v24
	v_add_nc_u32_e32 v27, v29, v28
	v_cvt_i32_f32_e32 v36, v15
	v_lshrrev_b32_e32 v32, 31, v23
	v_ashrrev_i32_e32 v33, 2, v23
	v_lshrrev_b32_e32 v35, 31, v17
	v_ashrrev_i32_e32 v17, 2, v17
	v_cmp_ne_u32_e32 vcc_lo, v27, v18
	v_add_nc_u32_e32 v28, v31, v30
	v_mul_hi_i32 v30, 0x66666667, v36
	v_lshrrev_b32_e32 v34, 31, v22
	v_add_nc_u32_e32 v17, v17, v35
	v_cndmask_b32_e64 v31, 0, 1, vcc_lo
	v_add_nc_u32_e32 v29, v33, v32
	v_lshrrev_b32_e32 v32, 31, v21
	v_ashrrev_i32_e32 v33, 2, v21
	v_cmp_ne_u32_e32 vcc_lo, v18, v17
	v_ashrrev_i32_e32 v18, 2, v22
	v_lshrrev_b32_e32 v35, 31, v30
	v_ashrrev_i32_e32 v30, 2, v30
	v_add_nc_u32_e32 v32, v33, v32
	v_cndmask_b32_e64 v17, 0, 1, vcc_lo
	v_cmp_ne_u32_e32 vcc_lo, v28, v27
	v_add_nc_u32_e32 v18, v18, v34
	v_add_nc_u32_e32 v27, v30, v35
	s_waitcnt lgkmcnt(0)
	v_lshlrev_b16 v17, 8, v17
	v_cndmask_b32_e64 v36, 0, 1, vcc_lo
	v_cmp_ne_u32_e32 vcc_lo, v29, v28
	s_barrier
	buffer_gl0_inv
	v_or_b32_e32 v17, v31, v17
                                        ; implicit-def: $sgpr4
	v_cndmask_b32_e64 v28, 0, 1, vcc_lo
	v_cmp_ne_u32_e32 vcc_lo, v18, v29
	s_delay_alu instid0(VALU_DEP_3) | instskip(SKIP_2) | instid1(VALU_DEP_2)
	v_lshlrev_b32_e32 v17, 16, v17
	v_cndmask_b32_e64 v29, 0, 1, vcc_lo
	v_cmp_ne_u32_e32 vcc_lo, v27, v32
	v_lshlrev_b16 v29, 8, v29
	v_cndmask_b32_e64 v30, 0, 1, vcc_lo
	v_cmp_ne_u32_e32 vcc_lo, v32, v18
	v_lshlrev_b16 v32, 8, v36
	s_delay_alu instid0(VALU_DEP_3) | instskip(SKIP_1) | instid1(VALU_DEP_3)
	v_lshlrev_b16 v30, 8, v30
	v_cndmask_b32_e64 v18, 0, 1, vcc_lo
	v_or_b32_e32 v28, v28, v32
	s_delay_alu instid0(VALU_DEP_2) | instskip(NEXT) | instid1(VALU_DEP_4)
	v_or_b32_e32 v18, v18, v29
	v_or_b32_e32 v29, 1, v30
	s_delay_alu instid0(VALU_DEP_3) | instskip(NEXT) | instid1(VALU_DEP_3)
	v_and_b32_e32 v28, 0xffff, v28
	v_lshlrev_b32_e32 v30, 16, v18
	s_delay_alu instid0(VALU_DEP_3) | instskip(NEXT) | instid1(VALU_DEP_3)
	v_and_b32_e32 v29, 0xffff, v29
	v_or_b32_e32 v18, v28, v17
	s_delay_alu instid0(VALU_DEP_2) | instskip(SKIP_1) | instid1(SALU_CYCLE_1)
	v_or_b32_e32 v17, v29, v30
	s_and_saveexec_b32 s5, s3
	s_xor_b32 s5, exec_lo, s5
	s_cbranch_execz .LBB142_74
; %bb.73:
	v_add_nc_u32_e32 v28, -4, v20
	s_or_b32 s0, s0, exec_lo
	ds_load_b32 v28, v28
	s_waitcnt lgkmcnt(0)
	v_cvt_i32_f32_e32 v28, v28
	s_delay_alu instid0(VALU_DEP_1) | instskip(NEXT) | instid1(VALU_DEP_1)
	v_mul_hi_i32 v28, 0x66666667, v28
	v_lshrrev_b32_e32 v29, 31, v28
	v_ashrrev_i32_e32 v28, 2, v28
	s_delay_alu instid0(VALU_DEP_1) | instskip(NEXT) | instid1(VALU_DEP_1)
	v_add_nc_u32_e32 v28, v28, v29
	v_cmp_ne_u32_e32 vcc_lo, v28, v27
	s_and_b32 s4, vcc_lo, exec_lo
.LBB142_74:
	s_or_b32 exec_lo, exec_lo, s5
	s_branch .LBB142_95
.LBB142_75:
                                        ; implicit-def: $sgpr4
                                        ; implicit-def: $vgpr18
	s_cbranch_execz .LBB142_95
; %bb.76:
	v_or_b32_e32 v17, 7, v19
	s_mov_b32 s4, 0
	s_mov_b32 s5, 0
	s_mov_b32 s6, exec_lo
	s_delay_alu instid0(VALU_DEP_1)
	v_cmpx_gt_u32_e64 s25, v17
; %bb.77:
	v_cvt_i32_f32_e32 v17, v10
	v_lshrrev_b32_e32 v18, 31, v26
	v_ashrrev_i32_e32 v27, 2, v26
	s_delay_alu instid0(VALU_DEP_3) | instskip(NEXT) | instid1(VALU_DEP_2)
	v_mul_hi_i32 v17, 0x66666667, v17
	v_add_nc_u32_e32 v18, v27, v18
	s_delay_alu instid0(VALU_DEP_2) | instskip(SKIP_1) | instid1(VALU_DEP_1)
	v_lshrrev_b32_e32 v28, 31, v17
	v_ashrrev_i32_e32 v17, 2, v17
	v_add_nc_u32_e32 v17, v17, v28
	s_delay_alu instid0(VALU_DEP_1)
	v_cmp_ne_u32_e32 vcc_lo, v18, v17
	s_and_b32 s5, vcc_lo, exec_lo
; %bb.78:
	s_or_b32 exec_lo, exec_lo, s6
	v_or_b32_e32 v17, 6, v19
	s_mov_b32 s6, exec_lo
	s_delay_alu instid0(VALU_DEP_1)
	v_cmpx_gt_u32_e64 s25, v17
; %bb.79:
	v_lshrrev_b32_e32 v17, 31, v25
	v_ashrrev_i32_e32 v18, 2, v25
	v_lshrrev_b32_e32 v27, 31, v26
	v_ashrrev_i32_e32 v26, 2, v26
	s_delay_alu instid0(VALU_DEP_3) | instskip(NEXT) | instid1(VALU_DEP_2)
	v_add_nc_u32_e32 v17, v18, v17
	v_add_nc_u32_e32 v18, v26, v27
	s_delay_alu instid0(VALU_DEP_1)
	v_cmp_ne_u32_e32 vcc_lo, v17, v18
	s_and_b32 s4, vcc_lo, exec_lo
; %bb.80:
	s_or_b32 exec_lo, exec_lo, s6
	v_or_b32_e32 v17, 5, v19
	s_mov_b32 s6, 0
	s_mov_b32 s7, 0
	s_mov_b32 s19, exec_lo
	s_delay_alu instid0(VALU_DEP_1)
	v_cmpx_gt_u32_e64 s25, v17
; %bb.81:
	v_lshrrev_b32_e32 v17, 31, v24
	v_ashrrev_i32_e32 v18, 2, v24
	v_lshrrev_b32_e32 v26, 31, v25
	v_ashrrev_i32_e32 v25, 2, v25
	s_delay_alu instid0(VALU_DEP_3) | instskip(NEXT) | instid1(VALU_DEP_2)
	v_add_nc_u32_e32 v17, v18, v17
	v_add_nc_u32_e32 v18, v25, v26
	s_delay_alu instid0(VALU_DEP_1)
	v_cmp_ne_u32_e32 vcc_lo, v17, v18
	s_and_b32 s7, vcc_lo, exec_lo
; %bb.82:
	s_or_b32 exec_lo, exec_lo, s19
	v_or_b32_e32 v17, 4, v19
	s_mov_b32 s19, exec_lo
	s_delay_alu instid0(VALU_DEP_1)
	v_cmpx_gt_u32_e64 s25, v17
; %bb.83:
	v_lshrrev_b32_e32 v17, 31, v23
	v_ashrrev_i32_e32 v18, 2, v23
	v_lshrrev_b32_e32 v25, 31, v24
	v_ashrrev_i32_e32 v24, 2, v24
	s_delay_alu instid0(VALU_DEP_3) | instskip(NEXT) | instid1(VALU_DEP_2)
	v_add_nc_u32_e32 v17, v18, v17
	v_add_nc_u32_e32 v18, v24, v25
	s_delay_alu instid0(VALU_DEP_1)
	v_cmp_ne_u32_e32 vcc_lo, v17, v18
	s_and_b32 s6, vcc_lo, exec_lo
; %bb.84:
	s_or_b32 exec_lo, exec_lo, s19
	v_or_b32_e32 v17, 3, v19
	s_mov_b32 s20, 0
	s_mov_b32 s19, 0
	s_mov_b32 s21, exec_lo
	s_delay_alu instid0(VALU_DEP_1)
	v_cmpx_gt_u32_e64 s25, v17
; %bb.85:
	v_lshrrev_b32_e32 v17, 31, v22
	v_ashrrev_i32_e32 v18, 2, v22
	v_lshrrev_b32_e32 v24, 31, v23
	v_ashrrev_i32_e32 v23, 2, v23
	s_delay_alu instid0(VALU_DEP_3) | instskip(NEXT) | instid1(VALU_DEP_2)
	v_add_nc_u32_e32 v17, v18, v17
	v_add_nc_u32_e32 v18, v23, v24
	s_delay_alu instid0(VALU_DEP_1)
	v_cmp_ne_u32_e32 vcc_lo, v17, v18
	s_and_b32 s19, vcc_lo, exec_lo
; %bb.86:
	s_or_b32 exec_lo, exec_lo, s21
	v_or_b32_e32 v17, 2, v19
	s_mov_b32 s21, exec_lo
	s_delay_alu instid0(VALU_DEP_1)
	v_cmpx_gt_u32_e64 s25, v17
; %bb.87:
	v_lshrrev_b32_e32 v17, 31, v21
	v_ashrrev_i32_e32 v18, 2, v21
	v_lshrrev_b32_e32 v23, 31, v22
	v_ashrrev_i32_e32 v22, 2, v22
	s_delay_alu instid0(VALU_DEP_3) | instskip(NEXT) | instid1(VALU_DEP_2)
	v_add_nc_u32_e32 v17, v18, v17
	v_add_nc_u32_e32 v18, v22, v23
	s_delay_alu instid0(VALU_DEP_1)
	v_cmp_ne_u32_e32 vcc_lo, v17, v18
	s_and_b32 s20, vcc_lo, exec_lo
; %bb.88:
	s_or_b32 exec_lo, exec_lo, s21
	v_or_b32_e32 v17, 1, v19
	s_mov_b32 s26, 0
	s_mov_b32 s21, exec_lo
	s_delay_alu instid0(VALU_DEP_1)
	v_cmpx_gt_u32_e64 s25, v17
; %bb.89:
	v_cvt_i32_f32_e32 v17, v15
	v_lshrrev_b32_e32 v18, 31, v21
	v_ashrrev_i32_e32 v21, 2, v21
	s_delay_alu instid0(VALU_DEP_3) | instskip(NEXT) | instid1(VALU_DEP_2)
	v_mul_hi_i32 v17, 0x66666667, v17
	v_add_nc_u32_e32 v18, v21, v18
	s_delay_alu instid0(VALU_DEP_2) | instskip(SKIP_1) | instid1(VALU_DEP_1)
	v_lshrrev_b32_e32 v22, 31, v17
	v_ashrrev_i32_e32 v17, 2, v17
	v_add_nc_u32_e32 v17, v17, v22
	s_delay_alu instid0(VALU_DEP_1)
	v_cmp_ne_u32_e32 vcc_lo, v17, v18
	s_and_b32 s26, vcc_lo, exec_lo
; %bb.90:
	s_or_b32 exec_lo, exec_lo, s21
	v_cndmask_b32_e64 v18, 0, 1, s19
	v_cndmask_b32_e64 v21, 0, 1, s7
	;; [unrolled: 1-line block ×7, first 2 shown]
	v_lshlrev_b16 v21, 8, v21
	v_lshlrev_b16 v22, 8, v22
	;; [unrolled: 1-line block ×4, first 2 shown]
	s_waitcnt lgkmcnt(0)
	v_or_b32_e32 v21, v24, v21
	v_or_b32_e32 v22, v25, v22
	;; [unrolled: 1-line block ×4, first 2 shown]
	s_barrier
	v_and_b32_e32 v18, 0xffff, v21
	v_lshlrev_b32_e32 v21, 16, v22
	v_and_b32_e32 v22, 0xffff, v23
	v_lshlrev_b32_e32 v17, 16, v17
	buffer_gl0_inv
                                        ; implicit-def: $sgpr4
	v_or_b32_e32 v18, v18, v21
	v_or_b32_e32 v17, v22, v17
	s_and_saveexec_b32 s5, s3
	s_cbranch_execz .LBB142_94
; %bb.91:
	s_mov_b32 s4, 0
	s_mov_b32 s3, exec_lo
	v_cmpx_gt_u32_e64 s25, v19
	s_cbranch_execz .LBB142_93
; %bb.92:
	v_add_nc_u32_e32 v20, -4, v20
	v_cvt_i32_f32_e32 v21, v15
	ds_load_b32 v20, v20
	v_mul_hi_i32 v21, 0x66666667, v21
	s_delay_alu instid0(VALU_DEP_1) | instskip(SKIP_1) | instid1(VALU_DEP_1)
	v_lshrrev_b32_e32 v22, 31, v21
	v_ashrrev_i32_e32 v21, 2, v21
	v_add_nc_u32_e32 v21, v21, v22
	s_waitcnt lgkmcnt(0)
	v_cvt_i32_f32_e32 v20, v20
	s_delay_alu instid0(VALU_DEP_1) | instskip(NEXT) | instid1(VALU_DEP_1)
	v_mul_hi_i32 v20, 0x66666667, v20
	v_lshrrev_b32_e32 v23, 31, v20
	v_ashrrev_i32_e32 v20, 2, v20
	s_delay_alu instid0(VALU_DEP_1) | instskip(NEXT) | instid1(VALU_DEP_1)
	v_add_nc_u32_e32 v20, v20, v23
	v_cmp_ne_u32_e32 vcc_lo, v20, v21
	s_and_b32 s4, vcc_lo, exec_lo
.LBB142_93:
	s_or_b32 exec_lo, exec_lo, s3
	s_delay_alu instid0(SALU_CYCLE_1)
	s_and_b32 s4, s4, exec_lo
	s_or_b32 s0, s0, exec_lo
.LBB142_94:
	s_or_b32 exec_lo, exec_lo, s5
.LBB142_95:
	s_and_saveexec_b32 s3, s0
	s_cbranch_execz .LBB142_97
; %bb.96:
	s_waitcnt vmcnt(0) lgkmcnt(0)
	v_and_b32_e32 v20, 0xffffff00, v17
	v_cndmask_b32_e64 v21, 0, 1, s4
	s_delay_alu instid0(VALU_DEP_1) | instskip(NEXT) | instid1(VALU_DEP_1)
	v_or_b32_e32 v20, v21, v20
	v_and_b32_e32 v20, 0xffff, v20
	s_delay_alu instid0(VALU_DEP_1)
	v_and_or_b32 v17, 0xffff0000, v17, v20
.LBB142_97:
	s_or_b32 exec_lo, exec_lo, s3
	s_delay_alu instid0(SALU_CYCLE_1)
	s_and_not1_b32 vcc_lo, exec_lo, s1
	s_cbranch_vccnz .LBB142_99
; %bb.98:
	v_cmp_gt_u32_e32 vcc_lo, s25, v19
	v_or_b32_e32 v21, 1, v19
	v_and_b32_e32 v22, 0xffffff00, v18
	v_or_b32_e32 v23, 2, v19
	s_waitcnt vmcnt(0) lgkmcnt(0)
	v_cndmask_b32_e32 v20, 0, v17, vcc_lo
	v_cmp_gt_u32_e32 vcc_lo, s25, v21
	v_or_b32_e32 v21, 4, v19
	v_cmp_gt_u32_e64 s0, s25, v23
	v_or_b32_e32 v23, 3, v19
	v_and_b32_e32 v20, 0xff, v20
	s_delay_alu instid0(VALU_DEP_2) | instskip(NEXT) | instid1(VALU_DEP_2)
	v_cmp_gt_u32_e64 s1, s25, v23
	v_cndmask_b32_e32 v20, v20, v17, vcc_lo
	v_cmp_gt_u32_e32 vcc_lo, s25, v21
	s_delay_alu instid0(VALU_DEP_2) | instskip(SKIP_1) | instid1(VALU_DEP_2)
	v_dual_cndmask_b32 v21, v22, v18 :: v_dual_and_b32 v20, 0xffff, v20
	v_or_b32_e32 v22, 5, v19
	v_cndmask_b32_e64 v20, v20, v17, s0
	s_delay_alu instid0(VALU_DEP_3) | instskip(NEXT) | instid1(VALU_DEP_3)
	v_and_b32_e32 v21, 0xffff00ff, v21
	v_cmp_gt_u32_e64 s0, s25, v22
	v_or_b32_e32 v22, 6, v19
	v_or_b32_e32 v19, 7, v19
	v_and_b32_e32 v20, 0xffffff, v20
	s_delay_alu instid0(VALU_DEP_4) | instskip(NEXT) | instid1(VALU_DEP_2)
	v_cndmask_b32_e64 v21, v21, v18, s0
	v_cndmask_b32_e64 v20, v20, v17, s1
	s_delay_alu instid0(VALU_DEP_2) | instskip(NEXT) | instid1(VALU_DEP_2)
	v_and_b32_e32 v21, 0xff00ffff, v21
	v_cndmask_b32_e32 v20, v20, v17, vcc_lo
	v_cmp_gt_u32_e32 vcc_lo, s25, v22
	s_delay_alu instid0(VALU_DEP_2) | instskip(NEXT) | instid1(VALU_DEP_1)
	v_cndmask_b32_e64 v20, v20, v17, s0
	v_dual_cndmask_b32 v21, v21, v18 :: v_dual_cndmask_b32 v20, v20, v17
	s_delay_alu instid0(VALU_DEP_1) | instskip(SKIP_1) | instid1(VALU_DEP_2)
	v_and_b32_e32 v21, 0xffffff, v21
	v_cmp_gt_u32_e32 vcc_lo, s25, v19
	v_dual_cndmask_b32 v18, v21, v18 :: v_dual_cndmask_b32 v17, v20, v17
.LBB142_99:
	s_delay_alu instid0(VALU_DEP_1) | instskip(NEXT) | instid1(VALU_DEP_2)
	v_and_b32_e32 v28, 0xff, v17
	v_alignbit_b32 v19, v18, v17, 24
	v_bfe_u32 v30, v17, 8, 8
	v_bfe_u32 v32, v17, 16, 8
	v_and_b32_e32 v36, 0xff, v18
	v_bfe_u32 v38, v18, 8, 8
	v_and_b32_e32 v34, 0xff, v19
	v_add_nc_u32_e32 v19, v30, v28
	s_waitcnt vmcnt(0) lgkmcnt(0)
	v_and_b32_e32 v20, 0x1e0, v0
	v_mbcnt_lo_u32_b32 v41, -1, 0
	v_bfe_u32 v40, v18, 16, 8
	v_lshrrev_b32_e32 v39, 24, v18
	v_add3_u32 v19, v19, v32, v34
	v_min_u32_e32 v20, 0x160, v20
	v_and_b32_e32 v21, 15, v41
	v_lshrrev_b32_e32 v42, 5, v0
	s_and_b32 vcc_lo, exec_lo, s18
	v_add3_u32 v19, v19, v36, v38
	v_or_b32_e32 v20, 31, v20
	v_cmp_eq_u32_e64 s3, 0, v21
	v_cmp_lt_u32_e64 s4, 1, v21
	v_cmp_lt_u32_e64 s1, 3, v21
	v_add3_u32 v43, v19, v40, v39
	v_and_b32_e32 v19, 16, v41
	v_cmp_lt_u32_e64 s0, 7, v21
	v_cmp_eq_u32_e64 s5, v20, v0
	s_mov_b32 s7, -1
	s_delay_alu instid0(VALU_DEP_3)
	v_cmp_eq_u32_e64 s6, 0, v19
	s_barrier
	buffer_gl0_inv
	s_cbranch_vccz .LBB142_125
; %bb.100:
	v_mov_b32_dpp v19, v43 row_shr:1 row_mask:0xf bank_mask:0xf
	s_delay_alu instid0(VALU_DEP_1) | instskip(NEXT) | instid1(VALU_DEP_1)
	v_cndmask_b32_e64 v19, v19, 0, s3
	v_add_nc_u32_e32 v19, v19, v43
	s_delay_alu instid0(VALU_DEP_1) | instskip(NEXT) | instid1(VALU_DEP_1)
	v_mov_b32_dpp v20, v19 row_shr:2 row_mask:0xf bank_mask:0xf
	v_cndmask_b32_e64 v20, 0, v20, s4
	s_delay_alu instid0(VALU_DEP_1) | instskip(NEXT) | instid1(VALU_DEP_1)
	v_add_nc_u32_e32 v19, v19, v20
	v_mov_b32_dpp v20, v19 row_shr:4 row_mask:0xf bank_mask:0xf
	s_delay_alu instid0(VALU_DEP_1) | instskip(NEXT) | instid1(VALU_DEP_1)
	v_cndmask_b32_e64 v20, 0, v20, s1
	v_add_nc_u32_e32 v19, v19, v20
	s_delay_alu instid0(VALU_DEP_1) | instskip(NEXT) | instid1(VALU_DEP_1)
	v_mov_b32_dpp v20, v19 row_shr:8 row_mask:0xf bank_mask:0xf
	v_cndmask_b32_e64 v20, 0, v20, s0
	s_delay_alu instid0(VALU_DEP_1) | instskip(SKIP_3) | instid1(VALU_DEP_1)
	v_add_nc_u32_e32 v19, v19, v20
	ds_swizzle_b32 v20, v19 offset:swizzle(BROADCAST,32,15)
	s_waitcnt lgkmcnt(0)
	v_cndmask_b32_e64 v20, v20, 0, s6
	v_add_nc_u32_e32 v19, v19, v20
	s_and_saveexec_b32 s7, s5
	s_cbranch_execz .LBB142_102
; %bb.101:
	v_lshlrev_b32_e32 v20, 2, v42
	ds_store_b32 v20, v19
.LBB142_102:
	s_or_b32 exec_lo, exec_lo, s7
	s_delay_alu instid0(SALU_CYCLE_1)
	s_mov_b32 s7, exec_lo
	s_waitcnt lgkmcnt(0)
	s_barrier
	buffer_gl0_inv
	v_cmpx_gt_u32_e32 12, v0
	s_cbranch_execz .LBB142_104
; %bb.103:
	v_lshlrev_b32_e32 v20, 2, v0
	ds_load_b32 v21, v20
	s_waitcnt lgkmcnt(0)
	v_mov_b32_dpp v22, v21 row_shr:1 row_mask:0xf bank_mask:0xf
	s_delay_alu instid0(VALU_DEP_1) | instskip(NEXT) | instid1(VALU_DEP_1)
	v_cndmask_b32_e64 v22, v22, 0, s3
	v_add_nc_u32_e32 v21, v22, v21
	s_delay_alu instid0(VALU_DEP_1) | instskip(NEXT) | instid1(VALU_DEP_1)
	v_mov_b32_dpp v22, v21 row_shr:2 row_mask:0xf bank_mask:0xf
	v_cndmask_b32_e64 v22, 0, v22, s4
	s_delay_alu instid0(VALU_DEP_1) | instskip(NEXT) | instid1(VALU_DEP_1)
	v_add_nc_u32_e32 v21, v21, v22
	v_mov_b32_dpp v22, v21 row_shr:4 row_mask:0xf bank_mask:0xf
	s_delay_alu instid0(VALU_DEP_1) | instskip(NEXT) | instid1(VALU_DEP_1)
	v_cndmask_b32_e64 v22, 0, v22, s1
	v_add_nc_u32_e32 v21, v21, v22
	s_delay_alu instid0(VALU_DEP_1) | instskip(NEXT) | instid1(VALU_DEP_1)
	v_mov_b32_dpp v22, v21 row_shr:8 row_mask:0xf bank_mask:0xf
	v_cndmask_b32_e64 v22, 0, v22, s0
	s_delay_alu instid0(VALU_DEP_1)
	v_add_nc_u32_e32 v21, v21, v22
	ds_store_b32 v20, v21
.LBB142_104:
	s_or_b32 exec_lo, exec_lo, s7
	v_cmp_gt_u32_e32 vcc_lo, 32, v0
	s_mov_b32 s18, exec_lo
	s_waitcnt lgkmcnt(0)
	s_barrier
	buffer_gl0_inv
                                        ; implicit-def: $vgpr27
	v_cmpx_lt_u32_e32 31, v0
	s_cbranch_execz .LBB142_106
; %bb.105:
	v_lshl_add_u32 v20, v42, 2, -4
	ds_load_b32 v27, v20
	s_waitcnt lgkmcnt(0)
	v_add_nc_u32_e32 v19, v27, v19
.LBB142_106:
	s_or_b32 exec_lo, exec_lo, s18
	v_add_nc_u32_e32 v20, -1, v41
	s_delay_alu instid0(VALU_DEP_1) | instskip(NEXT) | instid1(VALU_DEP_1)
	v_cmp_gt_i32_e64 s7, 0, v20
	v_cndmask_b32_e64 v20, v20, v41, s7
	v_cmp_eq_u32_e64 s7, 0, v41
	s_delay_alu instid0(VALU_DEP_2)
	v_lshlrev_b32_e32 v20, 2, v20
	ds_bpermute_b32 v29, v20, v19
	s_and_saveexec_b32 s18, vcc_lo
	s_cbranch_execz .LBB142_124
; %bb.107:
	v_mov_b32_e32 v23, 0
	ds_load_b32 v19, v23 offset:44
	s_and_saveexec_b32 s19, s7
	s_cbranch_execz .LBB142_109
; %bb.108:
	s_add_i32 s20, s24, 32
	s_mov_b32 s21, 0
	v_mov_b32_e32 v20, 1
	s_lshl_b64 s[20:21], s[20:21], 3
	s_delay_alu instid0(SALU_CYCLE_1)
	s_add_u32 s20, s16, s20
	s_addc_u32 s21, s17, s21
	s_waitcnt lgkmcnt(0)
	global_store_b64 v23, v[19:20], s[20:21]
.LBB142_109:
	s_or_b32 exec_lo, exec_lo, s19
	v_xad_u32 v21, v41, -1, s24
	s_mov_b32 s20, 0
	s_mov_b32 s19, exec_lo
	s_delay_alu instid0(VALU_DEP_1) | instskip(NEXT) | instid1(VALU_DEP_1)
	v_add_nc_u32_e32 v22, 32, v21
	v_lshlrev_b64 v[22:23], 3, v[22:23]
	s_delay_alu instid0(VALU_DEP_1) | instskip(NEXT) | instid1(VALU_DEP_2)
	v_add_co_u32 v25, vcc_lo, s16, v22
	v_add_co_ci_u32_e32 v26, vcc_lo, s17, v23, vcc_lo
	global_load_b64 v[23:24], v[25:26], off glc
	s_waitcnt vmcnt(0)
	v_and_b32_e32 v20, 0xff, v24
	s_delay_alu instid0(VALU_DEP_1)
	v_cmpx_eq_u16_e32 0, v20
	s_cbranch_execz .LBB142_112
.LBB142_110:                            ; =>This Inner Loop Header: Depth=1
	global_load_b64 v[23:24], v[25:26], off glc
	s_waitcnt vmcnt(0)
	v_and_b32_e32 v20, 0xff, v24
	s_delay_alu instid0(VALU_DEP_1) | instskip(SKIP_1) | instid1(SALU_CYCLE_1)
	v_cmp_ne_u16_e32 vcc_lo, 0, v20
	s_or_b32 s20, vcc_lo, s20
	s_and_not1_b32 exec_lo, exec_lo, s20
	s_cbranch_execnz .LBB142_110
; %bb.111:
	s_or_b32 exec_lo, exec_lo, s20
.LBB142_112:
	s_delay_alu instid0(SALU_CYCLE_1)
	s_or_b32 exec_lo, exec_lo, s19
	v_cmp_ne_u32_e32 vcc_lo, 31, v41
	v_lshlrev_b32_e64 v33, v41, -1
	v_add_nc_u32_e32 v37, 2, v41
	v_add_nc_u32_e32 v45, 4, v41
	;; [unrolled: 1-line block ×3, first 2 shown]
	v_add_co_ci_u32_e32 v20, vcc_lo, 0, v41, vcc_lo
	v_add_nc_u32_e32 v49, 16, v41
	s_delay_alu instid0(VALU_DEP_2)
	v_lshlrev_b32_e32 v31, 2, v20
	v_and_b32_e32 v20, 0xff, v24
	ds_bpermute_b32 v22, v31, v23
	v_cmp_eq_u16_e32 vcc_lo, 2, v20
	v_and_or_b32 v20, vcc_lo, v33, 0x80000000
	v_cmp_gt_u32_e32 vcc_lo, 30, v41
	s_delay_alu instid0(VALU_DEP_2) | instskip(SKIP_1) | instid1(VALU_DEP_2)
	v_ctz_i32_b32_e32 v20, v20
	v_cndmask_b32_e64 v25, 0, 1, vcc_lo
	v_cmp_lt_u32_e32 vcc_lo, v41, v20
	s_waitcnt lgkmcnt(0)
	s_delay_alu instid0(VALU_DEP_2) | instskip(NEXT) | instid1(VALU_DEP_1)
	v_dual_cndmask_b32 v22, 0, v22 :: v_dual_lshlrev_b32 v25, 1, v25
	v_add_lshl_u32 v35, v25, v41, 2
	v_cmp_gt_u32_e32 vcc_lo, 28, v41
	s_delay_alu instid0(VALU_DEP_3) | instskip(SKIP_4) | instid1(VALU_DEP_1)
	v_add_nc_u32_e32 v22, v22, v23
	v_cndmask_b32_e64 v25, 0, 1, vcc_lo
	v_cmp_le_u32_e32 vcc_lo, v37, v20
	ds_bpermute_b32 v23, v35, v22
	v_lshlrev_b32_e32 v25, 2, v25
	v_add_lshl_u32 v44, v25, v41, 2
	s_waitcnt lgkmcnt(0)
	v_cndmask_b32_e32 v23, 0, v23, vcc_lo
	v_cmp_gt_u32_e32 vcc_lo, 24, v41
	s_delay_alu instid0(VALU_DEP_2) | instskip(SKIP_4) | instid1(VALU_DEP_1)
	v_add_nc_u32_e32 v22, v22, v23
	v_cndmask_b32_e64 v25, 0, 1, vcc_lo
	v_cmp_le_u32_e32 vcc_lo, v45, v20
	ds_bpermute_b32 v23, v44, v22
	v_lshlrev_b32_e32 v25, 3, v25
	v_add_lshl_u32 v46, v25, v41, 2
	s_waitcnt lgkmcnt(0)
	v_cndmask_b32_e32 v23, 0, v23, vcc_lo
	v_cmp_gt_u32_e32 vcc_lo, 16, v41
	s_delay_alu instid0(VALU_DEP_2) | instskip(SKIP_4) | instid1(VALU_DEP_1)
	v_add_nc_u32_e32 v22, v22, v23
	v_cndmask_b32_e64 v25, 0, 1, vcc_lo
	v_cmp_le_u32_e32 vcc_lo, v47, v20
	ds_bpermute_b32 v23, v46, v22
	v_lshlrev_b32_e32 v25, 4, v25
	v_add_lshl_u32 v48, v25, v41, 2
	s_waitcnt lgkmcnt(0)
	v_cndmask_b32_e32 v23, 0, v23, vcc_lo
	v_cmp_le_u32_e32 vcc_lo, v49, v20
	s_delay_alu instid0(VALU_DEP_2) | instskip(SKIP_3) | instid1(VALU_DEP_1)
	v_add_nc_u32_e32 v22, v22, v23
	ds_bpermute_b32 v23, v48, v22
	s_waitcnt lgkmcnt(0)
	v_cndmask_b32_e32 v20, 0, v23, vcc_lo
	v_dual_mov_b32 v22, 0 :: v_dual_add_nc_u32 v23, v22, v20
	s_branch .LBB142_114
.LBB142_113:                            ;   in Loop: Header=BB142_114 Depth=1
	s_or_b32 exec_lo, exec_lo, s19
	ds_bpermute_b32 v26, v31, v23
	v_and_b32_e32 v25, 0xff, v24
	v_subrev_nc_u32_e32 v21, 32, v21
	s_delay_alu instid0(VALU_DEP_2) | instskip(SKIP_1) | instid1(VALU_DEP_1)
	v_cmp_eq_u16_e32 vcc_lo, 2, v25
	v_and_or_b32 v25, vcc_lo, v33, 0x80000000
	v_ctz_i32_b32_e32 v25, v25
	s_delay_alu instid0(VALU_DEP_1) | instskip(SKIP_3) | instid1(VALU_DEP_2)
	v_cmp_lt_u32_e32 vcc_lo, v41, v25
	s_waitcnt lgkmcnt(0)
	v_cndmask_b32_e32 v26, 0, v26, vcc_lo
	v_cmp_le_u32_e32 vcc_lo, v37, v25
	v_add_nc_u32_e32 v23, v26, v23
	ds_bpermute_b32 v26, v35, v23
	s_waitcnt lgkmcnt(0)
	v_cndmask_b32_e32 v26, 0, v26, vcc_lo
	v_cmp_le_u32_e32 vcc_lo, v45, v25
	s_delay_alu instid0(VALU_DEP_2) | instskip(SKIP_4) | instid1(VALU_DEP_2)
	v_add_nc_u32_e32 v23, v23, v26
	ds_bpermute_b32 v26, v44, v23
	s_waitcnt lgkmcnt(0)
	v_cndmask_b32_e32 v26, 0, v26, vcc_lo
	v_cmp_le_u32_e32 vcc_lo, v47, v25
	v_add_nc_u32_e32 v23, v23, v26
	ds_bpermute_b32 v26, v46, v23
	s_waitcnt lgkmcnt(0)
	v_cndmask_b32_e32 v26, 0, v26, vcc_lo
	v_cmp_le_u32_e32 vcc_lo, v49, v25
	s_delay_alu instid0(VALU_DEP_2) | instskip(SKIP_3) | instid1(VALU_DEP_1)
	v_add_nc_u32_e32 v23, v23, v26
	ds_bpermute_b32 v26, v48, v23
	s_waitcnt lgkmcnt(0)
	v_cndmask_b32_e32 v25, 0, v26, vcc_lo
	v_add3_u32 v23, v25, v20, v23
.LBB142_114:                            ; =>This Loop Header: Depth=1
                                        ;     Child Loop BB142_117 Depth 2
	v_and_b32_e32 v20, 0xff, v24
	s_delay_alu instid0(VALU_DEP_1) | instskip(SKIP_2) | instid1(VALU_DEP_1)
	v_cmp_ne_u16_e32 vcc_lo, 2, v20
	v_cndmask_b32_e64 v20, 0, 1, vcc_lo
	;;#ASMSTART
	;;#ASMEND
	v_cmp_ne_u32_e32 vcc_lo, 0, v20
	v_mov_b32_e32 v20, v23
	s_cmp_lg_u32 vcc_lo, exec_lo
	s_cbranch_scc1 .LBB142_119
; %bb.115:                              ;   in Loop: Header=BB142_114 Depth=1
	v_lshlrev_b64 v[23:24], 3, v[21:22]
	s_mov_b32 s19, exec_lo
	s_delay_alu instid0(VALU_DEP_1) | instskip(NEXT) | instid1(VALU_DEP_2)
	v_add_co_u32 v25, vcc_lo, s16, v23
	v_add_co_ci_u32_e32 v26, vcc_lo, s17, v24, vcc_lo
	global_load_b64 v[23:24], v[25:26], off glc
	s_waitcnt vmcnt(0)
	v_and_b32_e32 v50, 0xff, v24
	s_delay_alu instid0(VALU_DEP_1)
	v_cmpx_eq_u16_e32 0, v50
	s_cbranch_execz .LBB142_113
; %bb.116:                              ;   in Loop: Header=BB142_114 Depth=1
	s_mov_b32 s20, 0
.LBB142_117:                            ;   Parent Loop BB142_114 Depth=1
                                        ; =>  This Inner Loop Header: Depth=2
	global_load_b64 v[23:24], v[25:26], off glc
	s_waitcnt vmcnt(0)
	v_and_b32_e32 v50, 0xff, v24
	s_delay_alu instid0(VALU_DEP_1) | instskip(SKIP_1) | instid1(SALU_CYCLE_1)
	v_cmp_ne_u16_e32 vcc_lo, 0, v50
	s_or_b32 s20, vcc_lo, s20
	s_and_not1_b32 exec_lo, exec_lo, s20
	s_cbranch_execnz .LBB142_117
; %bb.118:                              ;   in Loop: Header=BB142_114 Depth=1
	s_or_b32 exec_lo, exec_lo, s20
	s_branch .LBB142_113
.LBB142_119:                            ;   in Loop: Header=BB142_114 Depth=1
                                        ; implicit-def: $vgpr23
                                        ; implicit-def: $vgpr24
	s_cbranch_execz .LBB142_114
; %bb.120:
	s_and_saveexec_b32 s19, s7
	s_cbranch_execz .LBB142_122
; %bb.121:
	s_add_i32 s20, s24, 32
	s_mov_b32 s21, 0
	v_dual_mov_b32 v22, 2 :: v_dual_add_nc_u32 v21, v20, v19
	s_lshl_b64 s[20:21], s[20:21], 3
	v_mov_b32_e32 v23, 0
	s_add_u32 s20, s16, s20
	s_addc_u32 s21, s17, s21
	global_store_b64 v23, v[21:22], s[20:21]
	ds_store_b64 v23, v[19:20] offset:12672
.LBB142_122:
	s_or_b32 exec_lo, exec_lo, s19
	s_delay_alu instid0(SALU_CYCLE_1)
	s_and_b32 exec_lo, exec_lo, s2
	s_cbranch_execz .LBB142_124
; %bb.123:
	v_mov_b32_e32 v19, 0
	ds_store_b32 v19, v20 offset:44
.LBB142_124:
	s_or_b32 exec_lo, exec_lo, s18
	v_mov_b32_e32 v19, 0
	s_waitcnt lgkmcnt(0)
	s_waitcnt_vscnt null, 0x0
	s_barrier
	buffer_gl0_inv
	v_cndmask_b32_e64 v21, v29, v27, s7
	ds_load_b32 v20, v19 offset:44
	s_waitcnt lgkmcnt(0)
	s_barrier
	buffer_gl0_inv
	v_cndmask_b32_e64 v21, v21, 0, s2
	s_delay_alu instid0(VALU_DEP_1) | instskip(SKIP_2) | instid1(VALU_DEP_1)
	v_add_nc_u32_e32 v37, v20, v21
	ds_load_b64 v[19:20], v19 offset:12672
	v_add_nc_u32_e32 v35, v37, v28
	v_add_nc_u32_e32 v33, v35, v30
	s_delay_alu instid0(VALU_DEP_1) | instskip(NEXT) | instid1(VALU_DEP_1)
	v_add_nc_u32_e32 v31, v33, v32
	v_add_nc_u32_e32 v29, v31, v34
	s_delay_alu instid0(VALU_DEP_1) | instskip(NEXT) | instid1(VALU_DEP_1)
	v_add_nc_u32_e32 v27, v29, v36
	v_add_nc_u32_e32 v25, v27, v38
	s_delay_alu instid0(VALU_DEP_1)
	v_add_nc_u32_e32 v23, v25, v40
	v_lshrrev_b64 v[21:22], 24, v[17:18]
	s_branch .LBB142_135
.LBB142_125:
                                        ; implicit-def: $vgpr23
                                        ; implicit-def: $vgpr25
                                        ; implicit-def: $vgpr27
                                        ; implicit-def: $vgpr29
                                        ; implicit-def: $vgpr31
                                        ; implicit-def: $vgpr33
                                        ; implicit-def: $vgpr35
                                        ; implicit-def: $vgpr37
                                        ; implicit-def: $vgpr20
	v_lshrrev_b64 v[21:22], 24, v[17:18]
	s_and_b32 vcc_lo, exec_lo, s7
	s_cbranch_vccz .LBB142_135
; %bb.126:
	s_waitcnt lgkmcnt(0)
	v_mov_b32_dpp v19, v43 row_shr:1 row_mask:0xf bank_mask:0xf
	s_delay_alu instid0(VALU_DEP_1) | instskip(NEXT) | instid1(VALU_DEP_1)
	v_cndmask_b32_e64 v19, v19, 0, s3
	v_add_nc_u32_e32 v19, v19, v43
	s_delay_alu instid0(VALU_DEP_1) | instskip(NEXT) | instid1(VALU_DEP_1)
	v_mov_b32_dpp v20, v19 row_shr:2 row_mask:0xf bank_mask:0xf
	v_cndmask_b32_e64 v20, 0, v20, s4
	s_delay_alu instid0(VALU_DEP_1) | instskip(NEXT) | instid1(VALU_DEP_1)
	v_add_nc_u32_e32 v19, v19, v20
	v_mov_b32_dpp v20, v19 row_shr:4 row_mask:0xf bank_mask:0xf
	s_delay_alu instid0(VALU_DEP_1) | instskip(NEXT) | instid1(VALU_DEP_1)
	v_cndmask_b32_e64 v20, 0, v20, s1
	v_add_nc_u32_e32 v19, v19, v20
	s_delay_alu instid0(VALU_DEP_1) | instskip(NEXT) | instid1(VALU_DEP_1)
	v_mov_b32_dpp v20, v19 row_shr:8 row_mask:0xf bank_mask:0xf
	v_cndmask_b32_e64 v20, 0, v20, s0
	s_delay_alu instid0(VALU_DEP_1) | instskip(SKIP_3) | instid1(VALU_DEP_1)
	v_add_nc_u32_e32 v19, v19, v20
	ds_swizzle_b32 v20, v19 offset:swizzle(BROADCAST,32,15)
	s_waitcnt lgkmcnt(0)
	v_cndmask_b32_e64 v20, v20, 0, s6
	v_add_nc_u32_e32 v19, v19, v20
	s_and_saveexec_b32 s6, s5
	s_cbranch_execz .LBB142_128
; %bb.127:
	v_lshlrev_b32_e32 v20, 2, v42
	ds_store_b32 v20, v19
.LBB142_128:
	s_or_b32 exec_lo, exec_lo, s6
	s_delay_alu instid0(SALU_CYCLE_1)
	s_mov_b32 s5, exec_lo
	s_waitcnt lgkmcnt(0)
	s_barrier
	buffer_gl0_inv
	v_cmpx_gt_u32_e32 12, v0
	s_cbranch_execz .LBB142_130
; %bb.129:
	v_lshlrev_b32_e32 v20, 2, v0
	ds_load_b32 v22, v20
	s_waitcnt lgkmcnt(0)
	v_mov_b32_dpp v23, v22 row_shr:1 row_mask:0xf bank_mask:0xf
	s_delay_alu instid0(VALU_DEP_1) | instskip(NEXT) | instid1(VALU_DEP_1)
	v_cndmask_b32_e64 v23, v23, 0, s3
	v_add_nc_u32_e32 v22, v23, v22
	s_delay_alu instid0(VALU_DEP_1) | instskip(NEXT) | instid1(VALU_DEP_1)
	v_mov_b32_dpp v23, v22 row_shr:2 row_mask:0xf bank_mask:0xf
	v_cndmask_b32_e64 v23, 0, v23, s4
	s_delay_alu instid0(VALU_DEP_1) | instskip(NEXT) | instid1(VALU_DEP_1)
	v_add_nc_u32_e32 v22, v22, v23
	v_mov_b32_dpp v23, v22 row_shr:4 row_mask:0xf bank_mask:0xf
	s_delay_alu instid0(VALU_DEP_1) | instskip(NEXT) | instid1(VALU_DEP_1)
	v_cndmask_b32_e64 v23, 0, v23, s1
	v_add_nc_u32_e32 v22, v22, v23
	s_delay_alu instid0(VALU_DEP_1) | instskip(NEXT) | instid1(VALU_DEP_1)
	v_mov_b32_dpp v23, v22 row_shr:8 row_mask:0xf bank_mask:0xf
	v_cndmask_b32_e64 v23, 0, v23, s0
	s_delay_alu instid0(VALU_DEP_1)
	v_add_nc_u32_e32 v22, v22, v23
	ds_store_b32 v20, v22
.LBB142_130:
	s_or_b32 exec_lo, exec_lo, s5
	v_mov_b32_e32 v20, 0
	v_mov_b32_e32 v22, 0
	s_mov_b32 s0, exec_lo
	s_waitcnt lgkmcnt(0)
	s_barrier
	buffer_gl0_inv
	v_cmpx_lt_u32_e32 31, v0
	s_cbranch_execz .LBB142_132
; %bb.131:
	v_lshl_add_u32 v22, v42, 2, -4
	ds_load_b32 v22, v22
.LBB142_132:
	s_or_b32 exec_lo, exec_lo, s0
	v_add_nc_u32_e32 v23, -1, v41
	s_waitcnt lgkmcnt(0)
	v_add_nc_u32_e32 v19, v22, v19
	s_delay_alu instid0(VALU_DEP_2) | instskip(SKIP_1) | instid1(VALU_DEP_1)
	v_cmp_gt_i32_e32 vcc_lo, 0, v23
	v_cndmask_b32_e32 v23, v23, v41, vcc_lo
	v_lshlrev_b32_e32 v23, 2, v23
	ds_bpermute_b32 v23, v23, v19
	ds_load_b32 v19, v20 offset:44
	s_and_saveexec_b32 s0, s2
	s_cbranch_execz .LBB142_134
; %bb.133:
	v_mov_b32_e32 v24, 0
	v_mov_b32_e32 v20, 2
	s_waitcnt lgkmcnt(0)
	global_store_b64 v24, v[19:20], s[16:17] offset:256
.LBB142_134:
	s_or_b32 exec_lo, exec_lo, s0
	v_cmp_eq_u32_e32 vcc_lo, 0, v41
	s_waitcnt lgkmcnt(0)
	s_waitcnt_vscnt null, 0x0
	s_barrier
	buffer_gl0_inv
	v_cndmask_b32_e32 v20, v23, v22, vcc_lo
	s_delay_alu instid0(VALU_DEP_1) | instskip(NEXT) | instid1(VALU_DEP_1)
	v_cndmask_b32_e64 v37, v20, 0, s2
	v_dual_mov_b32 v20, 0 :: v_dual_add_nc_u32 v35, v37, v28
	s_delay_alu instid0(VALU_DEP_1) | instskip(NEXT) | instid1(VALU_DEP_1)
	v_add_nc_u32_e32 v33, v35, v30
	v_add_nc_u32_e32 v31, v33, v32
	s_delay_alu instid0(VALU_DEP_1) | instskip(NEXT) | instid1(VALU_DEP_1)
	v_add_nc_u32_e32 v29, v31, v34
	v_add_nc_u32_e32 v27, v29, v36
	;; [unrolled: 3-line block ×3, first 2 shown]
.LBB142_135:
	s_waitcnt lgkmcnt(0)
	v_add_nc_u32_e32 v43, v20, v19
	v_cmp_gt_u32_e64 s0, 0x181, v19
	v_lshrrev_b32_e32 v42, 8, v17
	v_lshrrev_b32_e32 v41, 16, v17
	;; [unrolled: 1-line block ×4, first 2 shown]
	v_cmp_lt_u32_e64 s1, v37, v43
	s_and_b32 vcc_lo, exec_lo, s0
	s_mov_b32 s3, -1
	s_cbranch_vccz .LBB142_161
; %bb.136:
	s_lshl_b64 s[4:5], s[10:11], 2
	s_delay_alu instid0(SALU_CYCLE_1) | instskip(SKIP_2) | instid1(SALU_CYCLE_1)
	s_add_u32 s3, s12, s4
	s_addc_u32 s4, s13, s5
	s_or_b32 s5, s23, s1
	s_and_saveexec_b32 s1, s5
	s_cbranch_execz .LBB142_139
; %bb.137:
	v_and_b32_e32 v24, 1, v17
	s_delay_alu instid0(VALU_DEP_1)
	v_cmp_eq_u32_e32 vcc_lo, 1, v24
	s_and_b32 exec_lo, exec_lo, vcc_lo
	s_cbranch_execz .LBB142_139
; %bb.138:
	v_mov_b32_e32 v38, 0
	s_delay_alu instid0(VALU_DEP_1) | instskip(NEXT) | instid1(VALU_DEP_1)
	v_lshlrev_b64 v[44:45], 2, v[37:38]
	v_add_co_u32 v44, vcc_lo, s3, v44
	s_delay_alu instid0(VALU_DEP_2)
	v_add_co_ci_u32_e32 v45, vcc_lo, s4, v45, vcc_lo
	global_store_b32 v[44:45], v15, off
.LBB142_139:
	s_or_b32 exec_lo, exec_lo, s1
	v_cmp_lt_u32_e32 vcc_lo, v35, v43
	s_or_b32 s5, s23, vcc_lo
	s_delay_alu instid0(SALU_CYCLE_1)
	s_and_saveexec_b32 s1, s5
	s_cbranch_execz .LBB142_142
; %bb.140:
	v_and_b32_e32 v24, 1, v42
	s_delay_alu instid0(VALU_DEP_1)
	v_cmp_eq_u32_e32 vcc_lo, 1, v24
	s_and_b32 exec_lo, exec_lo, vcc_lo
	s_cbranch_execz .LBB142_142
; %bb.141:
	v_mov_b32_e32 v36, 0
	s_delay_alu instid0(VALU_DEP_1) | instskip(NEXT) | instid1(VALU_DEP_1)
	v_lshlrev_b64 v[44:45], 2, v[35:36]
	v_add_co_u32 v44, vcc_lo, s3, v44
	s_delay_alu instid0(VALU_DEP_2)
	v_add_co_ci_u32_e32 v45, vcc_lo, s4, v45, vcc_lo
	global_store_b32 v[44:45], v16, off
.LBB142_142:
	s_or_b32 exec_lo, exec_lo, s1
	v_cmp_lt_u32_e32 vcc_lo, v33, v43
	s_or_b32 s5, s23, vcc_lo
	s_delay_alu instid0(SALU_CYCLE_1)
	;; [unrolled: 21-line block ×7, first 2 shown]
	s_and_saveexec_b32 s1, s5
	s_cbranch_execz .LBB142_160
; %bb.158:
	v_and_b32_e32 v24, 1, v39
	s_delay_alu instid0(VALU_DEP_1)
	v_cmp_eq_u32_e32 vcc_lo, 1, v24
	s_and_b32 exec_lo, exec_lo, vcc_lo
	s_cbranch_execz .LBB142_160
; %bb.159:
	v_mov_b32_e32 v24, 0
	s_delay_alu instid0(VALU_DEP_1) | instskip(NEXT) | instid1(VALU_DEP_1)
	v_lshlrev_b64 v[44:45], 2, v[23:24]
	v_add_co_u32 v44, vcc_lo, s3, v44
	s_delay_alu instid0(VALU_DEP_2)
	v_add_co_ci_u32_e32 v45, vcc_lo, s4, v45, vcc_lo
	global_store_b32 v[44:45], v10, off
.LBB142_160:
	s_or_b32 exec_lo, exec_lo, s1
	s_mov_b32 s3, 0
.LBB142_161:
	v_and_b32_e32 v17, 1, v17
	s_and_b32 vcc_lo, exec_lo, s3
	s_delay_alu instid0(VALU_DEP_1)
	v_cmp_eq_u32_e64 s1, 1, v17
	s_cbranch_vccz .LBB142_182
; %bb.162:
	s_delay_alu instid0(VALU_DEP_1)
	s_and_saveexec_b32 s3, s1
	s_cbranch_execz .LBB142_164
; %bb.163:
	v_sub_nc_u32_e32 v24, v37, v20
	s_delay_alu instid0(VALU_DEP_1)
	v_lshlrev_b32_e32 v24, 2, v24
	ds_store_b32 v24, v15
.LBB142_164:
	s_or_b32 exec_lo, exec_lo, s3
	v_and_b32_e32 v15, 1, v42
	s_mov_b32 s1, exec_lo
	s_delay_alu instid0(VALU_DEP_1)
	v_cmpx_eq_u32_e32 1, v15
	s_cbranch_execz .LBB142_166
; %bb.165:
	v_sub_nc_u32_e32 v15, v35, v20
	s_delay_alu instid0(VALU_DEP_1)
	v_lshlrev_b32_e32 v15, 2, v15
	ds_store_b32 v15, v16
.LBB142_166:
	s_or_b32 exec_lo, exec_lo, s1
	v_and_b32_e32 v15, 1, v41
	s_mov_b32 s1, exec_lo
	s_delay_alu instid0(VALU_DEP_1)
	v_cmpx_eq_u32_e32 1, v15
	;; [unrolled: 12-line block ×7, first 2 shown]
	s_cbranch_execz .LBB142_178
; %bb.177:
	v_sub_nc_u32_e32 v9, v23, v20
	s_delay_alu instid0(VALU_DEP_1)
	v_lshlrev_b32_e32 v9, 2, v9
	ds_store_b32 v9, v10
.LBB142_178:
	s_or_b32 exec_lo, exec_lo, s1
	s_delay_alu instid0(SALU_CYCLE_1)
	s_mov_b32 s3, exec_lo
	s_waitcnt lgkmcnt(0)
	s_waitcnt_vscnt null, 0x0
	s_barrier
	buffer_gl0_inv
	v_cmpx_lt_u32_e64 v0, v19
	s_cbranch_execz .LBB142_181
; %bb.179:
	v_dual_mov_b32 v10, 0 :: v_dual_mov_b32 v9, v20
	s_lshl_b64 s[4:5], s[10:11], 2
	v_lshlrev_b32_e32 v11, 2, v0
	s_add_u32 s1, s12, s4
	s_addc_u32 s4, s13, s5
	v_lshlrev_b64 v[12:13], 2, v[9:10]
	v_mov_b32_e32 v9, v0
	s_delay_alu instid0(VALU_DEP_2) | instskip(NEXT) | instid1(VALU_DEP_3)
	v_add_co_u32 v12, vcc_lo, s1, v12
	v_add_co_ci_u32_e32 v13, vcc_lo, s4, v13, vcc_lo
	s_mov_b32 s4, 0
	.p2align	6
.LBB142_180:                            ; =>This Inner Loop Header: Depth=1
	ds_load_b32 v16, v11
	v_lshlrev_b64 v[14:15], 2, v[9:10]
	v_add_nc_u32_e32 v9, 0x180, v9
	v_add_nc_u32_e32 v11, 0x600, v11
	s_delay_alu instid0(VALU_DEP_2) | instskip(NEXT) | instid1(VALU_DEP_4)
	v_cmp_ge_u32_e32 vcc_lo, v9, v19
	v_add_co_u32 v14, s1, v12, v14
	s_delay_alu instid0(VALU_DEP_1)
	v_add_co_ci_u32_e64 v15, s1, v13, v15, s1
	s_or_b32 s4, vcc_lo, s4
	s_waitcnt lgkmcnt(0)
	global_store_b32 v[14:15], v16, off
	s_and_not1_b32 exec_lo, exec_lo, s4
	s_cbranch_execnz .LBB142_180
.LBB142_181:
	s_or_b32 exec_lo, exec_lo, s3
.LBB142_182:
	s_delay_alu instid0(SALU_CYCLE_1)
	s_and_b32 vcc_lo, exec_lo, s0
	s_mov_b32 s0, -1
	s_waitcnt_vscnt null, 0x0
	s_barrier
	buffer_gl0_inv
	s_cbranch_vccz .LBB142_210
; %bb.183:
	v_cmp_lt_u32_e32 vcc_lo, v37, v43
	s_lshl_b64 s[0:1], s[10:11], 2
	s_delay_alu instid0(SALU_CYCLE_1) | instskip(SKIP_2) | instid1(SALU_CYCLE_1)
	s_add_u32 s0, s14, s0
	s_addc_u32 s1, s15, s1
	s_or_b32 s4, s23, vcc_lo
	s_and_saveexec_b32 s3, s4
	s_cbranch_execz .LBB142_186
; %bb.184:
	v_cmp_eq_u32_e32 vcc_lo, 1, v17
	s_and_b32 exec_lo, exec_lo, vcc_lo
	s_cbranch_execz .LBB142_186
; %bb.185:
	v_mov_b32_e32 v38, 0
	s_delay_alu instid0(VALU_DEP_1) | instskip(NEXT) | instid1(VALU_DEP_1)
	v_lshlrev_b64 v[9:10], 2, v[37:38]
	v_add_co_u32 v9, vcc_lo, s0, v9
	s_delay_alu instid0(VALU_DEP_2)
	v_add_co_ci_u32_e32 v10, vcc_lo, s1, v10, vcc_lo
	global_store_b32 v[9:10], v7, off
.LBB142_186:
	s_or_b32 exec_lo, exec_lo, s3
	v_cmp_lt_u32_e32 vcc_lo, v35, v43
	s_or_b32 s4, s23, vcc_lo
	s_delay_alu instid0(SALU_CYCLE_1)
	s_and_saveexec_b32 s3, s4
	s_cbranch_execz .LBB142_189
; %bb.187:
	v_and_b32_e32 v9, 1, v42
	s_delay_alu instid0(VALU_DEP_1)
	v_cmp_eq_u32_e32 vcc_lo, 1, v9
	s_and_b32 exec_lo, exec_lo, vcc_lo
	s_cbranch_execz .LBB142_189
; %bb.188:
	v_mov_b32_e32 v36, 0
	s_delay_alu instid0(VALU_DEP_1) | instskip(NEXT) | instid1(VALU_DEP_1)
	v_lshlrev_b64 v[9:10], 2, v[35:36]
	v_add_co_u32 v9, vcc_lo, s0, v9
	s_delay_alu instid0(VALU_DEP_2)
	v_add_co_ci_u32_e32 v10, vcc_lo, s1, v10, vcc_lo
	global_store_b32 v[9:10], v8, off
.LBB142_189:
	s_or_b32 exec_lo, exec_lo, s3
	v_cmp_lt_u32_e32 vcc_lo, v33, v43
	s_or_b32 s4, s23, vcc_lo
	s_delay_alu instid0(SALU_CYCLE_1)
	s_and_saveexec_b32 s3, s4
	s_cbranch_execz .LBB142_192
; %bb.190:
	v_and_b32_e32 v9, 1, v41
	s_delay_alu instid0(VALU_DEP_1)
	v_cmp_eq_u32_e32 vcc_lo, 1, v9
	s_and_b32 exec_lo, exec_lo, vcc_lo
	s_cbranch_execz .LBB142_192
; %bb.191:
	v_mov_b32_e32 v34, 0
	s_delay_alu instid0(VALU_DEP_1) | instskip(NEXT) | instid1(VALU_DEP_1)
	v_lshlrev_b64 v[9:10], 2, v[33:34]
	v_add_co_u32 v9, vcc_lo, s0, v9
	s_delay_alu instid0(VALU_DEP_2)
	v_add_co_ci_u32_e32 v10, vcc_lo, s1, v10, vcc_lo
	global_store_b32 v[9:10], v5, off
.LBB142_192:
	;; [unrolled: 21-line block ×7, first 2 shown]
	s_or_b32 exec_lo, exec_lo, s3
.LBB142_208:
	s_and_b32 s0, s2, s22
	s_delay_alu instid0(SALU_CYCLE_1)
	s_and_saveexec_b32 s1, s0
	s_cbranch_execz .LBB142_231
.LBB142_209:
	v_add_co_u32 v0, s0, s10, v19
	s_delay_alu instid0(VALU_DEP_1) | instskip(SKIP_1) | instid1(VALU_DEP_3)
	v_add_co_ci_u32_e64 v1, null, s11, 0, s0
	v_mov_b32_e32 v2, 0
	v_add_co_u32 v0, vcc_lo, v0, v20
	s_delay_alu instid0(VALU_DEP_3)
	v_add_co_ci_u32_e32 v1, vcc_lo, 0, v1, vcc_lo
	global_store_b64 v2, v[0:1], s[8:9]
	s_nop 0
	s_sendmsg sendmsg(MSG_DEALLOC_VGPRS)
	s_endpgm
.LBB142_210:
	s_and_b32 vcc_lo, exec_lo, s0
	s_cbranch_vccz .LBB142_208
; %bb.211:
	s_mov_b32 s0, exec_lo
	v_cmpx_eq_u32_e32 1, v17
	s_cbranch_execz .LBB142_213
; %bb.212:
	v_sub_nc_u32_e32 v9, v37, v20
	s_delay_alu instid0(VALU_DEP_1)
	v_lshlrev_b32_e32 v9, 2, v9
	ds_store_b32 v9, v7
.LBB142_213:
	s_or_b32 exec_lo, exec_lo, s0
	v_and_b32_e32 v7, 1, v42
	s_mov_b32 s0, exec_lo
	s_delay_alu instid0(VALU_DEP_1)
	v_cmpx_eq_u32_e32 1, v7
	s_cbranch_execz .LBB142_215
; %bb.214:
	v_sub_nc_u32_e32 v7, v35, v20
	s_delay_alu instid0(VALU_DEP_1)
	v_lshlrev_b32_e32 v7, 2, v7
	ds_store_b32 v7, v8
.LBB142_215:
	s_or_b32 exec_lo, exec_lo, s0
	v_and_b32_e32 v7, 1, v41
	s_mov_b32 s0, exec_lo
	s_delay_alu instid0(VALU_DEP_1)
	;; [unrolled: 12-line block ×7, first 2 shown]
	v_cmpx_eq_u32_e32 1, v1
	s_cbranch_execz .LBB142_227
; %bb.226:
	v_sub_nc_u32_e32 v1, v23, v20
	s_delay_alu instid0(VALU_DEP_1)
	v_lshlrev_b32_e32 v1, 2, v1
	ds_store_b32 v1, v2
.LBB142_227:
	s_or_b32 exec_lo, exec_lo, s0
	s_delay_alu instid0(SALU_CYCLE_1)
	s_mov_b32 s1, exec_lo
	s_waitcnt lgkmcnt(0)
	s_waitcnt_vscnt null, 0x0
	s_barrier
	buffer_gl0_inv
	v_cmpx_lt_u32_e64 v0, v19
	s_cbranch_execz .LBB142_230
; %bb.228:
	v_dual_mov_b32 v1, 0 :: v_dual_mov_b32 v2, v20
	s_lshl_b64 s[4:5], s[10:11], 2
	v_lshlrev_b32_e32 v4, 2, v0
	s_add_u32 s0, s14, s4
	s_delay_alu instid0(VALU_DEP_2) | instskip(SKIP_1) | instid1(VALU_DEP_1)
	v_mov_b32_e32 v3, v1
	s_addc_u32 s3, s15, s5
	v_lshlrev_b64 v[2:3], 2, v[2:3]
	s_delay_alu instid0(VALU_DEP_1) | instskip(NEXT) | instid1(VALU_DEP_2)
	v_add_co_u32 v2, vcc_lo, s0, v2
	v_add_co_ci_u32_e32 v3, vcc_lo, s3, v3, vcc_lo
	s_mov_b32 s3, 0
	.p2align	6
.LBB142_229:                            ; =>This Inner Loop Header: Depth=1
	ds_load_b32 v7, v4
	v_lshlrev_b64 v[5:6], 2, v[0:1]
	v_add_nc_u32_e32 v0, 0x180, v0
	v_add_nc_u32_e32 v4, 0x600, v4
	s_delay_alu instid0(VALU_DEP_2) | instskip(NEXT) | instid1(VALU_DEP_4)
	v_cmp_ge_u32_e32 vcc_lo, v0, v19
	v_add_co_u32 v5, s0, v2, v5
	s_delay_alu instid0(VALU_DEP_1)
	v_add_co_ci_u32_e64 v6, s0, v3, v6, s0
	s_or_b32 s3, vcc_lo, s3
	s_waitcnt lgkmcnt(0)
	global_store_b32 v[5:6], v7, off
	s_and_not1_b32 exec_lo, exec_lo, s3
	s_cbranch_execnz .LBB142_229
.LBB142_230:
	s_or_b32 exec_lo, exec_lo, s1
	s_and_b32 s0, s2, s22
	s_delay_alu instid0(SALU_CYCLE_1)
	s_and_saveexec_b32 s1, s0
	s_cbranch_execnz .LBB142_209
.LBB142_231:
	s_nop 0
	s_sendmsg sendmsg(MSG_DEALLOC_VGPRS)
	s_endpgm
	.section	.rodata,"a",@progbits
	.p2align	6, 0x0
	.amdhsa_kernel _ZN7rocprim17ROCPRIM_400000_NS6detail17trampoline_kernelINS0_14default_configENS1_25partition_config_selectorILNS1_17partition_subalgoE9EffbEEZZNS1_14partition_implILS5_9ELb0ES3_jN6thrust23THRUST_200600_302600_NS6detail15normal_iteratorINS9_10device_ptrIfEEEESE_PNS0_10empty_typeENS0_5tupleIJSE_SF_EEENSH_IJSE_SG_EEENS0_18inequality_wrapperI22is_equal_div_10_uniqueIfEEEPmJSF_EEE10hipError_tPvRmT3_T4_T5_T6_T7_T9_mT8_P12ihipStream_tbDpT10_ENKUlT_T0_E_clISt17integral_constantIbLb0EES17_IbLb1EEEEDaS13_S14_EUlS13_E_NS1_11comp_targetILNS1_3genE9ELNS1_11target_archE1100ELNS1_3gpuE3ELNS1_3repE0EEENS1_30default_config_static_selectorELNS0_4arch9wavefront6targetE0EEEvT1_
		.amdhsa_group_segment_fixed_size 12680
		.amdhsa_private_segment_fixed_size 0
		.amdhsa_kernarg_size 128
		.amdhsa_user_sgpr_count 15
		.amdhsa_user_sgpr_dispatch_ptr 0
		.amdhsa_user_sgpr_queue_ptr 0
		.amdhsa_user_sgpr_kernarg_segment_ptr 1
		.amdhsa_user_sgpr_dispatch_id 0
		.amdhsa_user_sgpr_private_segment_size 0
		.amdhsa_wavefront_size32 1
		.amdhsa_uses_dynamic_stack 0
		.amdhsa_enable_private_segment 0
		.amdhsa_system_sgpr_workgroup_id_x 1
		.amdhsa_system_sgpr_workgroup_id_y 0
		.amdhsa_system_sgpr_workgroup_id_z 0
		.amdhsa_system_sgpr_workgroup_info 0
		.amdhsa_system_vgpr_workitem_id 0
		.amdhsa_next_free_vgpr 51
		.amdhsa_next_free_sgpr 29
		.amdhsa_reserve_vcc 1
		.amdhsa_float_round_mode_32 0
		.amdhsa_float_round_mode_16_64 0
		.amdhsa_float_denorm_mode_32 3
		.amdhsa_float_denorm_mode_16_64 3
		.amdhsa_dx10_clamp 1
		.amdhsa_ieee_mode 1
		.amdhsa_fp16_overflow 0
		.amdhsa_workgroup_processor_mode 1
		.amdhsa_memory_ordered 1
		.amdhsa_forward_progress 0
		.amdhsa_shared_vgpr_count 0
		.amdhsa_exception_fp_ieee_invalid_op 0
		.amdhsa_exception_fp_denorm_src 0
		.amdhsa_exception_fp_ieee_div_zero 0
		.amdhsa_exception_fp_ieee_overflow 0
		.amdhsa_exception_fp_ieee_underflow 0
		.amdhsa_exception_fp_ieee_inexact 0
		.amdhsa_exception_int_div_zero 0
	.end_amdhsa_kernel
	.section	.text._ZN7rocprim17ROCPRIM_400000_NS6detail17trampoline_kernelINS0_14default_configENS1_25partition_config_selectorILNS1_17partition_subalgoE9EffbEEZZNS1_14partition_implILS5_9ELb0ES3_jN6thrust23THRUST_200600_302600_NS6detail15normal_iteratorINS9_10device_ptrIfEEEESE_PNS0_10empty_typeENS0_5tupleIJSE_SF_EEENSH_IJSE_SG_EEENS0_18inequality_wrapperI22is_equal_div_10_uniqueIfEEEPmJSF_EEE10hipError_tPvRmT3_T4_T5_T6_T7_T9_mT8_P12ihipStream_tbDpT10_ENKUlT_T0_E_clISt17integral_constantIbLb0EES17_IbLb1EEEEDaS13_S14_EUlS13_E_NS1_11comp_targetILNS1_3genE9ELNS1_11target_archE1100ELNS1_3gpuE3ELNS1_3repE0EEENS1_30default_config_static_selectorELNS0_4arch9wavefront6targetE0EEEvT1_,"axG",@progbits,_ZN7rocprim17ROCPRIM_400000_NS6detail17trampoline_kernelINS0_14default_configENS1_25partition_config_selectorILNS1_17partition_subalgoE9EffbEEZZNS1_14partition_implILS5_9ELb0ES3_jN6thrust23THRUST_200600_302600_NS6detail15normal_iteratorINS9_10device_ptrIfEEEESE_PNS0_10empty_typeENS0_5tupleIJSE_SF_EEENSH_IJSE_SG_EEENS0_18inequality_wrapperI22is_equal_div_10_uniqueIfEEEPmJSF_EEE10hipError_tPvRmT3_T4_T5_T6_T7_T9_mT8_P12ihipStream_tbDpT10_ENKUlT_T0_E_clISt17integral_constantIbLb0EES17_IbLb1EEEEDaS13_S14_EUlS13_E_NS1_11comp_targetILNS1_3genE9ELNS1_11target_archE1100ELNS1_3gpuE3ELNS1_3repE0EEENS1_30default_config_static_selectorELNS0_4arch9wavefront6targetE0EEEvT1_,comdat
.Lfunc_end142:
	.size	_ZN7rocprim17ROCPRIM_400000_NS6detail17trampoline_kernelINS0_14default_configENS1_25partition_config_selectorILNS1_17partition_subalgoE9EffbEEZZNS1_14partition_implILS5_9ELb0ES3_jN6thrust23THRUST_200600_302600_NS6detail15normal_iteratorINS9_10device_ptrIfEEEESE_PNS0_10empty_typeENS0_5tupleIJSE_SF_EEENSH_IJSE_SG_EEENS0_18inequality_wrapperI22is_equal_div_10_uniqueIfEEEPmJSF_EEE10hipError_tPvRmT3_T4_T5_T6_T7_T9_mT8_P12ihipStream_tbDpT10_ENKUlT_T0_E_clISt17integral_constantIbLb0EES17_IbLb1EEEEDaS13_S14_EUlS13_E_NS1_11comp_targetILNS1_3genE9ELNS1_11target_archE1100ELNS1_3gpuE3ELNS1_3repE0EEENS1_30default_config_static_selectorELNS0_4arch9wavefront6targetE0EEEvT1_, .Lfunc_end142-_ZN7rocprim17ROCPRIM_400000_NS6detail17trampoline_kernelINS0_14default_configENS1_25partition_config_selectorILNS1_17partition_subalgoE9EffbEEZZNS1_14partition_implILS5_9ELb0ES3_jN6thrust23THRUST_200600_302600_NS6detail15normal_iteratorINS9_10device_ptrIfEEEESE_PNS0_10empty_typeENS0_5tupleIJSE_SF_EEENSH_IJSE_SG_EEENS0_18inequality_wrapperI22is_equal_div_10_uniqueIfEEEPmJSF_EEE10hipError_tPvRmT3_T4_T5_T6_T7_T9_mT8_P12ihipStream_tbDpT10_ENKUlT_T0_E_clISt17integral_constantIbLb0EES17_IbLb1EEEEDaS13_S14_EUlS13_E_NS1_11comp_targetILNS1_3genE9ELNS1_11target_archE1100ELNS1_3gpuE3ELNS1_3repE0EEENS1_30default_config_static_selectorELNS0_4arch9wavefront6targetE0EEEvT1_
                                        ; -- End function
	.section	.AMDGPU.csdata,"",@progbits
; Kernel info:
; codeLenInByte = 11004
; NumSgprs: 31
; NumVgprs: 51
; ScratchSize: 0
; MemoryBound: 0
; FloatMode: 240
; IeeeMode: 1
; LDSByteSize: 12680 bytes/workgroup (compile time only)
; SGPRBlocks: 3
; VGPRBlocks: 6
; NumSGPRsForWavesPerEU: 31
; NumVGPRsForWavesPerEU: 51
; Occupancy: 15
; WaveLimiterHint : 1
; COMPUTE_PGM_RSRC2:SCRATCH_EN: 0
; COMPUTE_PGM_RSRC2:USER_SGPR: 15
; COMPUTE_PGM_RSRC2:TRAP_HANDLER: 0
; COMPUTE_PGM_RSRC2:TGID_X_EN: 1
; COMPUTE_PGM_RSRC2:TGID_Y_EN: 0
; COMPUTE_PGM_RSRC2:TGID_Z_EN: 0
; COMPUTE_PGM_RSRC2:TIDIG_COMP_CNT: 0
	.section	.text._ZN7rocprim17ROCPRIM_400000_NS6detail17trampoline_kernelINS0_14default_configENS1_25partition_config_selectorILNS1_17partition_subalgoE9EffbEEZZNS1_14partition_implILS5_9ELb0ES3_jN6thrust23THRUST_200600_302600_NS6detail15normal_iteratorINS9_10device_ptrIfEEEESE_PNS0_10empty_typeENS0_5tupleIJSE_SF_EEENSH_IJSE_SG_EEENS0_18inequality_wrapperI22is_equal_div_10_uniqueIfEEEPmJSF_EEE10hipError_tPvRmT3_T4_T5_T6_T7_T9_mT8_P12ihipStream_tbDpT10_ENKUlT_T0_E_clISt17integral_constantIbLb0EES17_IbLb1EEEEDaS13_S14_EUlS13_E_NS1_11comp_targetILNS1_3genE8ELNS1_11target_archE1030ELNS1_3gpuE2ELNS1_3repE0EEENS1_30default_config_static_selectorELNS0_4arch9wavefront6targetE0EEEvT1_,"axG",@progbits,_ZN7rocprim17ROCPRIM_400000_NS6detail17trampoline_kernelINS0_14default_configENS1_25partition_config_selectorILNS1_17partition_subalgoE9EffbEEZZNS1_14partition_implILS5_9ELb0ES3_jN6thrust23THRUST_200600_302600_NS6detail15normal_iteratorINS9_10device_ptrIfEEEESE_PNS0_10empty_typeENS0_5tupleIJSE_SF_EEENSH_IJSE_SG_EEENS0_18inequality_wrapperI22is_equal_div_10_uniqueIfEEEPmJSF_EEE10hipError_tPvRmT3_T4_T5_T6_T7_T9_mT8_P12ihipStream_tbDpT10_ENKUlT_T0_E_clISt17integral_constantIbLb0EES17_IbLb1EEEEDaS13_S14_EUlS13_E_NS1_11comp_targetILNS1_3genE8ELNS1_11target_archE1030ELNS1_3gpuE2ELNS1_3repE0EEENS1_30default_config_static_selectorELNS0_4arch9wavefront6targetE0EEEvT1_,comdat
	.protected	_ZN7rocprim17ROCPRIM_400000_NS6detail17trampoline_kernelINS0_14default_configENS1_25partition_config_selectorILNS1_17partition_subalgoE9EffbEEZZNS1_14partition_implILS5_9ELb0ES3_jN6thrust23THRUST_200600_302600_NS6detail15normal_iteratorINS9_10device_ptrIfEEEESE_PNS0_10empty_typeENS0_5tupleIJSE_SF_EEENSH_IJSE_SG_EEENS0_18inequality_wrapperI22is_equal_div_10_uniqueIfEEEPmJSF_EEE10hipError_tPvRmT3_T4_T5_T6_T7_T9_mT8_P12ihipStream_tbDpT10_ENKUlT_T0_E_clISt17integral_constantIbLb0EES17_IbLb1EEEEDaS13_S14_EUlS13_E_NS1_11comp_targetILNS1_3genE8ELNS1_11target_archE1030ELNS1_3gpuE2ELNS1_3repE0EEENS1_30default_config_static_selectorELNS0_4arch9wavefront6targetE0EEEvT1_ ; -- Begin function _ZN7rocprim17ROCPRIM_400000_NS6detail17trampoline_kernelINS0_14default_configENS1_25partition_config_selectorILNS1_17partition_subalgoE9EffbEEZZNS1_14partition_implILS5_9ELb0ES3_jN6thrust23THRUST_200600_302600_NS6detail15normal_iteratorINS9_10device_ptrIfEEEESE_PNS0_10empty_typeENS0_5tupleIJSE_SF_EEENSH_IJSE_SG_EEENS0_18inequality_wrapperI22is_equal_div_10_uniqueIfEEEPmJSF_EEE10hipError_tPvRmT3_T4_T5_T6_T7_T9_mT8_P12ihipStream_tbDpT10_ENKUlT_T0_E_clISt17integral_constantIbLb0EES17_IbLb1EEEEDaS13_S14_EUlS13_E_NS1_11comp_targetILNS1_3genE8ELNS1_11target_archE1030ELNS1_3gpuE2ELNS1_3repE0EEENS1_30default_config_static_selectorELNS0_4arch9wavefront6targetE0EEEvT1_
	.globl	_ZN7rocprim17ROCPRIM_400000_NS6detail17trampoline_kernelINS0_14default_configENS1_25partition_config_selectorILNS1_17partition_subalgoE9EffbEEZZNS1_14partition_implILS5_9ELb0ES3_jN6thrust23THRUST_200600_302600_NS6detail15normal_iteratorINS9_10device_ptrIfEEEESE_PNS0_10empty_typeENS0_5tupleIJSE_SF_EEENSH_IJSE_SG_EEENS0_18inequality_wrapperI22is_equal_div_10_uniqueIfEEEPmJSF_EEE10hipError_tPvRmT3_T4_T5_T6_T7_T9_mT8_P12ihipStream_tbDpT10_ENKUlT_T0_E_clISt17integral_constantIbLb0EES17_IbLb1EEEEDaS13_S14_EUlS13_E_NS1_11comp_targetILNS1_3genE8ELNS1_11target_archE1030ELNS1_3gpuE2ELNS1_3repE0EEENS1_30default_config_static_selectorELNS0_4arch9wavefront6targetE0EEEvT1_
	.p2align	8
	.type	_ZN7rocprim17ROCPRIM_400000_NS6detail17trampoline_kernelINS0_14default_configENS1_25partition_config_selectorILNS1_17partition_subalgoE9EffbEEZZNS1_14partition_implILS5_9ELb0ES3_jN6thrust23THRUST_200600_302600_NS6detail15normal_iteratorINS9_10device_ptrIfEEEESE_PNS0_10empty_typeENS0_5tupleIJSE_SF_EEENSH_IJSE_SG_EEENS0_18inequality_wrapperI22is_equal_div_10_uniqueIfEEEPmJSF_EEE10hipError_tPvRmT3_T4_T5_T6_T7_T9_mT8_P12ihipStream_tbDpT10_ENKUlT_T0_E_clISt17integral_constantIbLb0EES17_IbLb1EEEEDaS13_S14_EUlS13_E_NS1_11comp_targetILNS1_3genE8ELNS1_11target_archE1030ELNS1_3gpuE2ELNS1_3repE0EEENS1_30default_config_static_selectorELNS0_4arch9wavefront6targetE0EEEvT1_,@function
_ZN7rocprim17ROCPRIM_400000_NS6detail17trampoline_kernelINS0_14default_configENS1_25partition_config_selectorILNS1_17partition_subalgoE9EffbEEZZNS1_14partition_implILS5_9ELb0ES3_jN6thrust23THRUST_200600_302600_NS6detail15normal_iteratorINS9_10device_ptrIfEEEESE_PNS0_10empty_typeENS0_5tupleIJSE_SF_EEENSH_IJSE_SG_EEENS0_18inequality_wrapperI22is_equal_div_10_uniqueIfEEEPmJSF_EEE10hipError_tPvRmT3_T4_T5_T6_T7_T9_mT8_P12ihipStream_tbDpT10_ENKUlT_T0_E_clISt17integral_constantIbLb0EES17_IbLb1EEEEDaS13_S14_EUlS13_E_NS1_11comp_targetILNS1_3genE8ELNS1_11target_archE1030ELNS1_3gpuE2ELNS1_3repE0EEENS1_30default_config_static_selectorELNS0_4arch9wavefront6targetE0EEEvT1_: ; @_ZN7rocprim17ROCPRIM_400000_NS6detail17trampoline_kernelINS0_14default_configENS1_25partition_config_selectorILNS1_17partition_subalgoE9EffbEEZZNS1_14partition_implILS5_9ELb0ES3_jN6thrust23THRUST_200600_302600_NS6detail15normal_iteratorINS9_10device_ptrIfEEEESE_PNS0_10empty_typeENS0_5tupleIJSE_SF_EEENSH_IJSE_SG_EEENS0_18inequality_wrapperI22is_equal_div_10_uniqueIfEEEPmJSF_EEE10hipError_tPvRmT3_T4_T5_T6_T7_T9_mT8_P12ihipStream_tbDpT10_ENKUlT_T0_E_clISt17integral_constantIbLb0EES17_IbLb1EEEEDaS13_S14_EUlS13_E_NS1_11comp_targetILNS1_3genE8ELNS1_11target_archE1030ELNS1_3gpuE2ELNS1_3repE0EEENS1_30default_config_static_selectorELNS0_4arch9wavefront6targetE0EEEvT1_
; %bb.0:
	.section	.rodata,"a",@progbits
	.p2align	6, 0x0
	.amdhsa_kernel _ZN7rocprim17ROCPRIM_400000_NS6detail17trampoline_kernelINS0_14default_configENS1_25partition_config_selectorILNS1_17partition_subalgoE9EffbEEZZNS1_14partition_implILS5_9ELb0ES3_jN6thrust23THRUST_200600_302600_NS6detail15normal_iteratorINS9_10device_ptrIfEEEESE_PNS0_10empty_typeENS0_5tupleIJSE_SF_EEENSH_IJSE_SG_EEENS0_18inequality_wrapperI22is_equal_div_10_uniqueIfEEEPmJSF_EEE10hipError_tPvRmT3_T4_T5_T6_T7_T9_mT8_P12ihipStream_tbDpT10_ENKUlT_T0_E_clISt17integral_constantIbLb0EES17_IbLb1EEEEDaS13_S14_EUlS13_E_NS1_11comp_targetILNS1_3genE8ELNS1_11target_archE1030ELNS1_3gpuE2ELNS1_3repE0EEENS1_30default_config_static_selectorELNS0_4arch9wavefront6targetE0EEEvT1_
		.amdhsa_group_segment_fixed_size 0
		.amdhsa_private_segment_fixed_size 0
		.amdhsa_kernarg_size 128
		.amdhsa_user_sgpr_count 15
		.amdhsa_user_sgpr_dispatch_ptr 0
		.amdhsa_user_sgpr_queue_ptr 0
		.amdhsa_user_sgpr_kernarg_segment_ptr 1
		.amdhsa_user_sgpr_dispatch_id 0
		.amdhsa_user_sgpr_private_segment_size 0
		.amdhsa_wavefront_size32 1
		.amdhsa_uses_dynamic_stack 0
		.amdhsa_enable_private_segment 0
		.amdhsa_system_sgpr_workgroup_id_x 1
		.amdhsa_system_sgpr_workgroup_id_y 0
		.amdhsa_system_sgpr_workgroup_id_z 0
		.amdhsa_system_sgpr_workgroup_info 0
		.amdhsa_system_vgpr_workitem_id 0
		.amdhsa_next_free_vgpr 1
		.amdhsa_next_free_sgpr 1
		.amdhsa_reserve_vcc 0
		.amdhsa_float_round_mode_32 0
		.amdhsa_float_round_mode_16_64 0
		.amdhsa_float_denorm_mode_32 3
		.amdhsa_float_denorm_mode_16_64 3
		.amdhsa_dx10_clamp 1
		.amdhsa_ieee_mode 1
		.amdhsa_fp16_overflow 0
		.amdhsa_workgroup_processor_mode 1
		.amdhsa_memory_ordered 1
		.amdhsa_forward_progress 0
		.amdhsa_shared_vgpr_count 0
		.amdhsa_exception_fp_ieee_invalid_op 0
		.amdhsa_exception_fp_denorm_src 0
		.amdhsa_exception_fp_ieee_div_zero 0
		.amdhsa_exception_fp_ieee_overflow 0
		.amdhsa_exception_fp_ieee_underflow 0
		.amdhsa_exception_fp_ieee_inexact 0
		.amdhsa_exception_int_div_zero 0
	.end_amdhsa_kernel
	.section	.text._ZN7rocprim17ROCPRIM_400000_NS6detail17trampoline_kernelINS0_14default_configENS1_25partition_config_selectorILNS1_17partition_subalgoE9EffbEEZZNS1_14partition_implILS5_9ELb0ES3_jN6thrust23THRUST_200600_302600_NS6detail15normal_iteratorINS9_10device_ptrIfEEEESE_PNS0_10empty_typeENS0_5tupleIJSE_SF_EEENSH_IJSE_SG_EEENS0_18inequality_wrapperI22is_equal_div_10_uniqueIfEEEPmJSF_EEE10hipError_tPvRmT3_T4_T5_T6_T7_T9_mT8_P12ihipStream_tbDpT10_ENKUlT_T0_E_clISt17integral_constantIbLb0EES17_IbLb1EEEEDaS13_S14_EUlS13_E_NS1_11comp_targetILNS1_3genE8ELNS1_11target_archE1030ELNS1_3gpuE2ELNS1_3repE0EEENS1_30default_config_static_selectorELNS0_4arch9wavefront6targetE0EEEvT1_,"axG",@progbits,_ZN7rocprim17ROCPRIM_400000_NS6detail17trampoline_kernelINS0_14default_configENS1_25partition_config_selectorILNS1_17partition_subalgoE9EffbEEZZNS1_14partition_implILS5_9ELb0ES3_jN6thrust23THRUST_200600_302600_NS6detail15normal_iteratorINS9_10device_ptrIfEEEESE_PNS0_10empty_typeENS0_5tupleIJSE_SF_EEENSH_IJSE_SG_EEENS0_18inequality_wrapperI22is_equal_div_10_uniqueIfEEEPmJSF_EEE10hipError_tPvRmT3_T4_T5_T6_T7_T9_mT8_P12ihipStream_tbDpT10_ENKUlT_T0_E_clISt17integral_constantIbLb0EES17_IbLb1EEEEDaS13_S14_EUlS13_E_NS1_11comp_targetILNS1_3genE8ELNS1_11target_archE1030ELNS1_3gpuE2ELNS1_3repE0EEENS1_30default_config_static_selectorELNS0_4arch9wavefront6targetE0EEEvT1_,comdat
.Lfunc_end143:
	.size	_ZN7rocprim17ROCPRIM_400000_NS6detail17trampoline_kernelINS0_14default_configENS1_25partition_config_selectorILNS1_17partition_subalgoE9EffbEEZZNS1_14partition_implILS5_9ELb0ES3_jN6thrust23THRUST_200600_302600_NS6detail15normal_iteratorINS9_10device_ptrIfEEEESE_PNS0_10empty_typeENS0_5tupleIJSE_SF_EEENSH_IJSE_SG_EEENS0_18inequality_wrapperI22is_equal_div_10_uniqueIfEEEPmJSF_EEE10hipError_tPvRmT3_T4_T5_T6_T7_T9_mT8_P12ihipStream_tbDpT10_ENKUlT_T0_E_clISt17integral_constantIbLb0EES17_IbLb1EEEEDaS13_S14_EUlS13_E_NS1_11comp_targetILNS1_3genE8ELNS1_11target_archE1030ELNS1_3gpuE2ELNS1_3repE0EEENS1_30default_config_static_selectorELNS0_4arch9wavefront6targetE0EEEvT1_, .Lfunc_end143-_ZN7rocprim17ROCPRIM_400000_NS6detail17trampoline_kernelINS0_14default_configENS1_25partition_config_selectorILNS1_17partition_subalgoE9EffbEEZZNS1_14partition_implILS5_9ELb0ES3_jN6thrust23THRUST_200600_302600_NS6detail15normal_iteratorINS9_10device_ptrIfEEEESE_PNS0_10empty_typeENS0_5tupleIJSE_SF_EEENSH_IJSE_SG_EEENS0_18inequality_wrapperI22is_equal_div_10_uniqueIfEEEPmJSF_EEE10hipError_tPvRmT3_T4_T5_T6_T7_T9_mT8_P12ihipStream_tbDpT10_ENKUlT_T0_E_clISt17integral_constantIbLb0EES17_IbLb1EEEEDaS13_S14_EUlS13_E_NS1_11comp_targetILNS1_3genE8ELNS1_11target_archE1030ELNS1_3gpuE2ELNS1_3repE0EEENS1_30default_config_static_selectorELNS0_4arch9wavefront6targetE0EEEvT1_
                                        ; -- End function
	.section	.AMDGPU.csdata,"",@progbits
; Kernel info:
; codeLenInByte = 0
; NumSgprs: 0
; NumVgprs: 0
; ScratchSize: 0
; MemoryBound: 0
; FloatMode: 240
; IeeeMode: 1
; LDSByteSize: 0 bytes/workgroup (compile time only)
; SGPRBlocks: 0
; VGPRBlocks: 0
; NumSGPRsForWavesPerEU: 1
; NumVGPRsForWavesPerEU: 1
; Occupancy: 16
; WaveLimiterHint : 0
; COMPUTE_PGM_RSRC2:SCRATCH_EN: 0
; COMPUTE_PGM_RSRC2:USER_SGPR: 15
; COMPUTE_PGM_RSRC2:TRAP_HANDLER: 0
; COMPUTE_PGM_RSRC2:TGID_X_EN: 1
; COMPUTE_PGM_RSRC2:TGID_Y_EN: 0
; COMPUTE_PGM_RSRC2:TGID_Z_EN: 0
; COMPUTE_PGM_RSRC2:TIDIG_COMP_CNT: 0
	.section	.text._ZN6thrust23THRUST_200600_302600_NS11hip_rocprim14__parallel_for6kernelILj256ENS1_20__uninitialized_fill7functorINS0_10device_ptrIyEEyEEmLj1EEEvT0_T1_SA_,"axG",@progbits,_ZN6thrust23THRUST_200600_302600_NS11hip_rocprim14__parallel_for6kernelILj256ENS1_20__uninitialized_fill7functorINS0_10device_ptrIyEEyEEmLj1EEEvT0_T1_SA_,comdat
	.protected	_ZN6thrust23THRUST_200600_302600_NS11hip_rocprim14__parallel_for6kernelILj256ENS1_20__uninitialized_fill7functorINS0_10device_ptrIyEEyEEmLj1EEEvT0_T1_SA_ ; -- Begin function _ZN6thrust23THRUST_200600_302600_NS11hip_rocprim14__parallel_for6kernelILj256ENS1_20__uninitialized_fill7functorINS0_10device_ptrIyEEyEEmLj1EEEvT0_T1_SA_
	.globl	_ZN6thrust23THRUST_200600_302600_NS11hip_rocprim14__parallel_for6kernelILj256ENS1_20__uninitialized_fill7functorINS0_10device_ptrIyEEyEEmLj1EEEvT0_T1_SA_
	.p2align	8
	.type	_ZN6thrust23THRUST_200600_302600_NS11hip_rocprim14__parallel_for6kernelILj256ENS1_20__uninitialized_fill7functorINS0_10device_ptrIyEEyEEmLj1EEEvT0_T1_SA_,@function
_ZN6thrust23THRUST_200600_302600_NS11hip_rocprim14__parallel_for6kernelILj256ENS1_20__uninitialized_fill7functorINS0_10device_ptrIyEEyEEmLj1EEEvT0_T1_SA_: ; @_ZN6thrust23THRUST_200600_302600_NS11hip_rocprim14__parallel_for6kernelILj256ENS1_20__uninitialized_fill7functorINS0_10device_ptrIyEEyEEmLj1EEEvT0_T1_SA_
; %bb.0:
	s_load_b256 s[0:7], s[0:1], 0x0
	s_lshl_b32 s8, s15, 8
	s_waitcnt lgkmcnt(0)
	s_add_u32 s6, s8, s6
	s_addc_u32 s7, 0, s7
	s_sub_u32 s4, s4, s6
	s_subb_u32 s5, s5, s7
	s_delay_alu instid0(SALU_CYCLE_1) | instskip(NEXT) | instid1(VALU_DEP_1)
	v_cmp_gt_u64_e64 s5, 0x100, s[4:5]
	s_and_b32 vcc_lo, exec_lo, s5
	s_mov_b32 s5, 0
	s_cbranch_vccz .LBB144_2
; %bb.1:
	v_cmp_gt_u32_e32 vcc_lo, s4, v0
	s_and_b32 s5, vcc_lo, exec_lo
	s_cbranch_execz .LBB144_3
	s_branch .LBB144_4
.LBB144_2:
.LBB144_3:
	s_or_b32 s5, s5, exec_lo
.LBB144_4:
	s_delay_alu instid0(SALU_CYCLE_1)
	s_and_saveexec_b32 s4, s5
	s_cbranch_execnz .LBB144_6
; %bb.5:
	s_endpgm
.LBB144_6:
	v_dual_mov_b32 v1, 0 :: v_dual_mov_b32 v2, s2
	s_lshl_b64 s[4:5], s[6:7], 3
	v_mov_b32_e32 v3, s3
	s_add_u32 s0, s0, s4
	s_delay_alu instid0(VALU_DEP_2) | instskip(SKIP_1) | instid1(VALU_DEP_1)
	v_lshlrev_b64 v[0:1], 3, v[0:1]
	s_addc_u32 s1, s1, s5
	v_add_co_u32 v0, vcc_lo, s0, v0
	s_delay_alu instid0(VALU_DEP_2)
	v_add_co_ci_u32_e32 v1, vcc_lo, s1, v1, vcc_lo
	flat_store_b64 v[0:1], v[2:3]
	s_endpgm
	.section	.rodata,"a",@progbits
	.p2align	6, 0x0
	.amdhsa_kernel _ZN6thrust23THRUST_200600_302600_NS11hip_rocprim14__parallel_for6kernelILj256ENS1_20__uninitialized_fill7functorINS0_10device_ptrIyEEyEEmLj1EEEvT0_T1_SA_
		.amdhsa_group_segment_fixed_size 0
		.amdhsa_private_segment_fixed_size 0
		.amdhsa_kernarg_size 32
		.amdhsa_user_sgpr_count 15
		.amdhsa_user_sgpr_dispatch_ptr 0
		.amdhsa_user_sgpr_queue_ptr 0
		.amdhsa_user_sgpr_kernarg_segment_ptr 1
		.amdhsa_user_sgpr_dispatch_id 0
		.amdhsa_user_sgpr_private_segment_size 0
		.amdhsa_wavefront_size32 1
		.amdhsa_uses_dynamic_stack 0
		.amdhsa_enable_private_segment 0
		.amdhsa_system_sgpr_workgroup_id_x 1
		.amdhsa_system_sgpr_workgroup_id_y 0
		.amdhsa_system_sgpr_workgroup_id_z 0
		.amdhsa_system_sgpr_workgroup_info 0
		.amdhsa_system_vgpr_workitem_id 0
		.amdhsa_next_free_vgpr 4
		.amdhsa_next_free_sgpr 16
		.amdhsa_reserve_vcc 1
		.amdhsa_float_round_mode_32 0
		.amdhsa_float_round_mode_16_64 0
		.amdhsa_float_denorm_mode_32 3
		.amdhsa_float_denorm_mode_16_64 3
		.amdhsa_dx10_clamp 1
		.amdhsa_ieee_mode 1
		.amdhsa_fp16_overflow 0
		.amdhsa_workgroup_processor_mode 1
		.amdhsa_memory_ordered 1
		.amdhsa_forward_progress 0
		.amdhsa_shared_vgpr_count 0
		.amdhsa_exception_fp_ieee_invalid_op 0
		.amdhsa_exception_fp_denorm_src 0
		.amdhsa_exception_fp_ieee_div_zero 0
		.amdhsa_exception_fp_ieee_overflow 0
		.amdhsa_exception_fp_ieee_underflow 0
		.amdhsa_exception_fp_ieee_inexact 0
		.amdhsa_exception_int_div_zero 0
	.end_amdhsa_kernel
	.section	.text._ZN6thrust23THRUST_200600_302600_NS11hip_rocprim14__parallel_for6kernelILj256ENS1_20__uninitialized_fill7functorINS0_10device_ptrIyEEyEEmLj1EEEvT0_T1_SA_,"axG",@progbits,_ZN6thrust23THRUST_200600_302600_NS11hip_rocprim14__parallel_for6kernelILj256ENS1_20__uninitialized_fill7functorINS0_10device_ptrIyEEyEEmLj1EEEvT0_T1_SA_,comdat
.Lfunc_end144:
	.size	_ZN6thrust23THRUST_200600_302600_NS11hip_rocprim14__parallel_for6kernelILj256ENS1_20__uninitialized_fill7functorINS0_10device_ptrIyEEyEEmLj1EEEvT0_T1_SA_, .Lfunc_end144-_ZN6thrust23THRUST_200600_302600_NS11hip_rocprim14__parallel_for6kernelILj256ENS1_20__uninitialized_fill7functorINS0_10device_ptrIyEEyEEmLj1EEEvT0_T1_SA_
                                        ; -- End function
	.section	.AMDGPU.csdata,"",@progbits
; Kernel info:
; codeLenInByte = 160
; NumSgprs: 18
; NumVgprs: 4
; ScratchSize: 0
; MemoryBound: 0
; FloatMode: 240
; IeeeMode: 1
; LDSByteSize: 0 bytes/workgroup (compile time only)
; SGPRBlocks: 2
; VGPRBlocks: 0
; NumSGPRsForWavesPerEU: 18
; NumVGPRsForWavesPerEU: 4
; Occupancy: 16
; WaveLimiterHint : 0
; COMPUTE_PGM_RSRC2:SCRATCH_EN: 0
; COMPUTE_PGM_RSRC2:USER_SGPR: 15
; COMPUTE_PGM_RSRC2:TRAP_HANDLER: 0
; COMPUTE_PGM_RSRC2:TGID_X_EN: 1
; COMPUTE_PGM_RSRC2:TGID_Y_EN: 0
; COMPUTE_PGM_RSRC2:TGID_Z_EN: 0
; COMPUTE_PGM_RSRC2:TIDIG_COMP_CNT: 0
	.section	.text._ZN7rocprim17ROCPRIM_400000_NS6detail17trampoline_kernelINS0_14default_configENS1_25partition_config_selectorILNS1_17partition_subalgoE9EyybEEZZNS1_14partition_implILS5_9ELb0ES3_jN6thrust23THRUST_200600_302600_NS6detail15normal_iteratorINS9_10device_ptrIyEEEESE_PNS0_10empty_typeENS0_5tupleIJSE_SF_EEENSH_IJSE_SG_EEENS0_18inequality_wrapperINS9_8equal_toIyEEEEPmJSF_EEE10hipError_tPvRmT3_T4_T5_T6_T7_T9_mT8_P12ihipStream_tbDpT10_ENKUlT_T0_E_clISt17integral_constantIbLb0EES18_EEDaS13_S14_EUlS13_E_NS1_11comp_targetILNS1_3genE0ELNS1_11target_archE4294967295ELNS1_3gpuE0ELNS1_3repE0EEENS1_30default_config_static_selectorELNS0_4arch9wavefront6targetE0EEEvT1_,"axG",@progbits,_ZN7rocprim17ROCPRIM_400000_NS6detail17trampoline_kernelINS0_14default_configENS1_25partition_config_selectorILNS1_17partition_subalgoE9EyybEEZZNS1_14partition_implILS5_9ELb0ES3_jN6thrust23THRUST_200600_302600_NS6detail15normal_iteratorINS9_10device_ptrIyEEEESE_PNS0_10empty_typeENS0_5tupleIJSE_SF_EEENSH_IJSE_SG_EEENS0_18inequality_wrapperINS9_8equal_toIyEEEEPmJSF_EEE10hipError_tPvRmT3_T4_T5_T6_T7_T9_mT8_P12ihipStream_tbDpT10_ENKUlT_T0_E_clISt17integral_constantIbLb0EES18_EEDaS13_S14_EUlS13_E_NS1_11comp_targetILNS1_3genE0ELNS1_11target_archE4294967295ELNS1_3gpuE0ELNS1_3repE0EEENS1_30default_config_static_selectorELNS0_4arch9wavefront6targetE0EEEvT1_,comdat
	.protected	_ZN7rocprim17ROCPRIM_400000_NS6detail17trampoline_kernelINS0_14default_configENS1_25partition_config_selectorILNS1_17partition_subalgoE9EyybEEZZNS1_14partition_implILS5_9ELb0ES3_jN6thrust23THRUST_200600_302600_NS6detail15normal_iteratorINS9_10device_ptrIyEEEESE_PNS0_10empty_typeENS0_5tupleIJSE_SF_EEENSH_IJSE_SG_EEENS0_18inequality_wrapperINS9_8equal_toIyEEEEPmJSF_EEE10hipError_tPvRmT3_T4_T5_T6_T7_T9_mT8_P12ihipStream_tbDpT10_ENKUlT_T0_E_clISt17integral_constantIbLb0EES18_EEDaS13_S14_EUlS13_E_NS1_11comp_targetILNS1_3genE0ELNS1_11target_archE4294967295ELNS1_3gpuE0ELNS1_3repE0EEENS1_30default_config_static_selectorELNS0_4arch9wavefront6targetE0EEEvT1_ ; -- Begin function _ZN7rocprim17ROCPRIM_400000_NS6detail17trampoline_kernelINS0_14default_configENS1_25partition_config_selectorILNS1_17partition_subalgoE9EyybEEZZNS1_14partition_implILS5_9ELb0ES3_jN6thrust23THRUST_200600_302600_NS6detail15normal_iteratorINS9_10device_ptrIyEEEESE_PNS0_10empty_typeENS0_5tupleIJSE_SF_EEENSH_IJSE_SG_EEENS0_18inequality_wrapperINS9_8equal_toIyEEEEPmJSF_EEE10hipError_tPvRmT3_T4_T5_T6_T7_T9_mT8_P12ihipStream_tbDpT10_ENKUlT_T0_E_clISt17integral_constantIbLb0EES18_EEDaS13_S14_EUlS13_E_NS1_11comp_targetILNS1_3genE0ELNS1_11target_archE4294967295ELNS1_3gpuE0ELNS1_3repE0EEENS1_30default_config_static_selectorELNS0_4arch9wavefront6targetE0EEEvT1_
	.globl	_ZN7rocprim17ROCPRIM_400000_NS6detail17trampoline_kernelINS0_14default_configENS1_25partition_config_selectorILNS1_17partition_subalgoE9EyybEEZZNS1_14partition_implILS5_9ELb0ES3_jN6thrust23THRUST_200600_302600_NS6detail15normal_iteratorINS9_10device_ptrIyEEEESE_PNS0_10empty_typeENS0_5tupleIJSE_SF_EEENSH_IJSE_SG_EEENS0_18inequality_wrapperINS9_8equal_toIyEEEEPmJSF_EEE10hipError_tPvRmT3_T4_T5_T6_T7_T9_mT8_P12ihipStream_tbDpT10_ENKUlT_T0_E_clISt17integral_constantIbLb0EES18_EEDaS13_S14_EUlS13_E_NS1_11comp_targetILNS1_3genE0ELNS1_11target_archE4294967295ELNS1_3gpuE0ELNS1_3repE0EEENS1_30default_config_static_selectorELNS0_4arch9wavefront6targetE0EEEvT1_
	.p2align	8
	.type	_ZN7rocprim17ROCPRIM_400000_NS6detail17trampoline_kernelINS0_14default_configENS1_25partition_config_selectorILNS1_17partition_subalgoE9EyybEEZZNS1_14partition_implILS5_9ELb0ES3_jN6thrust23THRUST_200600_302600_NS6detail15normal_iteratorINS9_10device_ptrIyEEEESE_PNS0_10empty_typeENS0_5tupleIJSE_SF_EEENSH_IJSE_SG_EEENS0_18inequality_wrapperINS9_8equal_toIyEEEEPmJSF_EEE10hipError_tPvRmT3_T4_T5_T6_T7_T9_mT8_P12ihipStream_tbDpT10_ENKUlT_T0_E_clISt17integral_constantIbLb0EES18_EEDaS13_S14_EUlS13_E_NS1_11comp_targetILNS1_3genE0ELNS1_11target_archE4294967295ELNS1_3gpuE0ELNS1_3repE0EEENS1_30default_config_static_selectorELNS0_4arch9wavefront6targetE0EEEvT1_,@function
_ZN7rocprim17ROCPRIM_400000_NS6detail17trampoline_kernelINS0_14default_configENS1_25partition_config_selectorILNS1_17partition_subalgoE9EyybEEZZNS1_14partition_implILS5_9ELb0ES3_jN6thrust23THRUST_200600_302600_NS6detail15normal_iteratorINS9_10device_ptrIyEEEESE_PNS0_10empty_typeENS0_5tupleIJSE_SF_EEENSH_IJSE_SG_EEENS0_18inequality_wrapperINS9_8equal_toIyEEEEPmJSF_EEE10hipError_tPvRmT3_T4_T5_T6_T7_T9_mT8_P12ihipStream_tbDpT10_ENKUlT_T0_E_clISt17integral_constantIbLb0EES18_EEDaS13_S14_EUlS13_E_NS1_11comp_targetILNS1_3genE0ELNS1_11target_archE4294967295ELNS1_3gpuE0ELNS1_3repE0EEENS1_30default_config_static_selectorELNS0_4arch9wavefront6targetE0EEEvT1_: ; @_ZN7rocprim17ROCPRIM_400000_NS6detail17trampoline_kernelINS0_14default_configENS1_25partition_config_selectorILNS1_17partition_subalgoE9EyybEEZZNS1_14partition_implILS5_9ELb0ES3_jN6thrust23THRUST_200600_302600_NS6detail15normal_iteratorINS9_10device_ptrIyEEEESE_PNS0_10empty_typeENS0_5tupleIJSE_SF_EEENSH_IJSE_SG_EEENS0_18inequality_wrapperINS9_8equal_toIyEEEEPmJSF_EEE10hipError_tPvRmT3_T4_T5_T6_T7_T9_mT8_P12ihipStream_tbDpT10_ENKUlT_T0_E_clISt17integral_constantIbLb0EES18_EEDaS13_S14_EUlS13_E_NS1_11comp_targetILNS1_3genE0ELNS1_11target_archE4294967295ELNS1_3gpuE0ELNS1_3repE0EEENS1_30default_config_static_selectorELNS0_4arch9wavefront6targetE0EEEvT1_
; %bb.0:
	.section	.rodata,"a",@progbits
	.p2align	6, 0x0
	.amdhsa_kernel _ZN7rocprim17ROCPRIM_400000_NS6detail17trampoline_kernelINS0_14default_configENS1_25partition_config_selectorILNS1_17partition_subalgoE9EyybEEZZNS1_14partition_implILS5_9ELb0ES3_jN6thrust23THRUST_200600_302600_NS6detail15normal_iteratorINS9_10device_ptrIyEEEESE_PNS0_10empty_typeENS0_5tupleIJSE_SF_EEENSH_IJSE_SG_EEENS0_18inequality_wrapperINS9_8equal_toIyEEEEPmJSF_EEE10hipError_tPvRmT3_T4_T5_T6_T7_T9_mT8_P12ihipStream_tbDpT10_ENKUlT_T0_E_clISt17integral_constantIbLb0EES18_EEDaS13_S14_EUlS13_E_NS1_11comp_targetILNS1_3genE0ELNS1_11target_archE4294967295ELNS1_3gpuE0ELNS1_3repE0EEENS1_30default_config_static_selectorELNS0_4arch9wavefront6targetE0EEEvT1_
		.amdhsa_group_segment_fixed_size 0
		.amdhsa_private_segment_fixed_size 0
		.amdhsa_kernarg_size 112
		.amdhsa_user_sgpr_count 15
		.amdhsa_user_sgpr_dispatch_ptr 0
		.amdhsa_user_sgpr_queue_ptr 0
		.amdhsa_user_sgpr_kernarg_segment_ptr 1
		.amdhsa_user_sgpr_dispatch_id 0
		.amdhsa_user_sgpr_private_segment_size 0
		.amdhsa_wavefront_size32 1
		.amdhsa_uses_dynamic_stack 0
		.amdhsa_enable_private_segment 0
		.amdhsa_system_sgpr_workgroup_id_x 1
		.amdhsa_system_sgpr_workgroup_id_y 0
		.amdhsa_system_sgpr_workgroup_id_z 0
		.amdhsa_system_sgpr_workgroup_info 0
		.amdhsa_system_vgpr_workitem_id 0
		.amdhsa_next_free_vgpr 1
		.amdhsa_next_free_sgpr 1
		.amdhsa_reserve_vcc 0
		.amdhsa_float_round_mode_32 0
		.amdhsa_float_round_mode_16_64 0
		.amdhsa_float_denorm_mode_32 3
		.amdhsa_float_denorm_mode_16_64 3
		.amdhsa_dx10_clamp 1
		.amdhsa_ieee_mode 1
		.amdhsa_fp16_overflow 0
		.amdhsa_workgroup_processor_mode 1
		.amdhsa_memory_ordered 1
		.amdhsa_forward_progress 0
		.amdhsa_shared_vgpr_count 0
		.amdhsa_exception_fp_ieee_invalid_op 0
		.amdhsa_exception_fp_denorm_src 0
		.amdhsa_exception_fp_ieee_div_zero 0
		.amdhsa_exception_fp_ieee_overflow 0
		.amdhsa_exception_fp_ieee_underflow 0
		.amdhsa_exception_fp_ieee_inexact 0
		.amdhsa_exception_int_div_zero 0
	.end_amdhsa_kernel
	.section	.text._ZN7rocprim17ROCPRIM_400000_NS6detail17trampoline_kernelINS0_14default_configENS1_25partition_config_selectorILNS1_17partition_subalgoE9EyybEEZZNS1_14partition_implILS5_9ELb0ES3_jN6thrust23THRUST_200600_302600_NS6detail15normal_iteratorINS9_10device_ptrIyEEEESE_PNS0_10empty_typeENS0_5tupleIJSE_SF_EEENSH_IJSE_SG_EEENS0_18inequality_wrapperINS9_8equal_toIyEEEEPmJSF_EEE10hipError_tPvRmT3_T4_T5_T6_T7_T9_mT8_P12ihipStream_tbDpT10_ENKUlT_T0_E_clISt17integral_constantIbLb0EES18_EEDaS13_S14_EUlS13_E_NS1_11comp_targetILNS1_3genE0ELNS1_11target_archE4294967295ELNS1_3gpuE0ELNS1_3repE0EEENS1_30default_config_static_selectorELNS0_4arch9wavefront6targetE0EEEvT1_,"axG",@progbits,_ZN7rocprim17ROCPRIM_400000_NS6detail17trampoline_kernelINS0_14default_configENS1_25partition_config_selectorILNS1_17partition_subalgoE9EyybEEZZNS1_14partition_implILS5_9ELb0ES3_jN6thrust23THRUST_200600_302600_NS6detail15normal_iteratorINS9_10device_ptrIyEEEESE_PNS0_10empty_typeENS0_5tupleIJSE_SF_EEENSH_IJSE_SG_EEENS0_18inequality_wrapperINS9_8equal_toIyEEEEPmJSF_EEE10hipError_tPvRmT3_T4_T5_T6_T7_T9_mT8_P12ihipStream_tbDpT10_ENKUlT_T0_E_clISt17integral_constantIbLb0EES18_EEDaS13_S14_EUlS13_E_NS1_11comp_targetILNS1_3genE0ELNS1_11target_archE4294967295ELNS1_3gpuE0ELNS1_3repE0EEENS1_30default_config_static_selectorELNS0_4arch9wavefront6targetE0EEEvT1_,comdat
.Lfunc_end145:
	.size	_ZN7rocprim17ROCPRIM_400000_NS6detail17trampoline_kernelINS0_14default_configENS1_25partition_config_selectorILNS1_17partition_subalgoE9EyybEEZZNS1_14partition_implILS5_9ELb0ES3_jN6thrust23THRUST_200600_302600_NS6detail15normal_iteratorINS9_10device_ptrIyEEEESE_PNS0_10empty_typeENS0_5tupleIJSE_SF_EEENSH_IJSE_SG_EEENS0_18inequality_wrapperINS9_8equal_toIyEEEEPmJSF_EEE10hipError_tPvRmT3_T4_T5_T6_T7_T9_mT8_P12ihipStream_tbDpT10_ENKUlT_T0_E_clISt17integral_constantIbLb0EES18_EEDaS13_S14_EUlS13_E_NS1_11comp_targetILNS1_3genE0ELNS1_11target_archE4294967295ELNS1_3gpuE0ELNS1_3repE0EEENS1_30default_config_static_selectorELNS0_4arch9wavefront6targetE0EEEvT1_, .Lfunc_end145-_ZN7rocprim17ROCPRIM_400000_NS6detail17trampoline_kernelINS0_14default_configENS1_25partition_config_selectorILNS1_17partition_subalgoE9EyybEEZZNS1_14partition_implILS5_9ELb0ES3_jN6thrust23THRUST_200600_302600_NS6detail15normal_iteratorINS9_10device_ptrIyEEEESE_PNS0_10empty_typeENS0_5tupleIJSE_SF_EEENSH_IJSE_SG_EEENS0_18inequality_wrapperINS9_8equal_toIyEEEEPmJSF_EEE10hipError_tPvRmT3_T4_T5_T6_T7_T9_mT8_P12ihipStream_tbDpT10_ENKUlT_T0_E_clISt17integral_constantIbLb0EES18_EEDaS13_S14_EUlS13_E_NS1_11comp_targetILNS1_3genE0ELNS1_11target_archE4294967295ELNS1_3gpuE0ELNS1_3repE0EEENS1_30default_config_static_selectorELNS0_4arch9wavefront6targetE0EEEvT1_
                                        ; -- End function
	.section	.AMDGPU.csdata,"",@progbits
; Kernel info:
; codeLenInByte = 0
; NumSgprs: 0
; NumVgprs: 0
; ScratchSize: 0
; MemoryBound: 0
; FloatMode: 240
; IeeeMode: 1
; LDSByteSize: 0 bytes/workgroup (compile time only)
; SGPRBlocks: 0
; VGPRBlocks: 0
; NumSGPRsForWavesPerEU: 1
; NumVGPRsForWavesPerEU: 1
; Occupancy: 16
; WaveLimiterHint : 0
; COMPUTE_PGM_RSRC2:SCRATCH_EN: 0
; COMPUTE_PGM_RSRC2:USER_SGPR: 15
; COMPUTE_PGM_RSRC2:TRAP_HANDLER: 0
; COMPUTE_PGM_RSRC2:TGID_X_EN: 1
; COMPUTE_PGM_RSRC2:TGID_Y_EN: 0
; COMPUTE_PGM_RSRC2:TGID_Z_EN: 0
; COMPUTE_PGM_RSRC2:TIDIG_COMP_CNT: 0
	.section	.text._ZN7rocprim17ROCPRIM_400000_NS6detail17trampoline_kernelINS0_14default_configENS1_25partition_config_selectorILNS1_17partition_subalgoE9EyybEEZZNS1_14partition_implILS5_9ELb0ES3_jN6thrust23THRUST_200600_302600_NS6detail15normal_iteratorINS9_10device_ptrIyEEEESE_PNS0_10empty_typeENS0_5tupleIJSE_SF_EEENSH_IJSE_SG_EEENS0_18inequality_wrapperINS9_8equal_toIyEEEEPmJSF_EEE10hipError_tPvRmT3_T4_T5_T6_T7_T9_mT8_P12ihipStream_tbDpT10_ENKUlT_T0_E_clISt17integral_constantIbLb0EES18_EEDaS13_S14_EUlS13_E_NS1_11comp_targetILNS1_3genE5ELNS1_11target_archE942ELNS1_3gpuE9ELNS1_3repE0EEENS1_30default_config_static_selectorELNS0_4arch9wavefront6targetE0EEEvT1_,"axG",@progbits,_ZN7rocprim17ROCPRIM_400000_NS6detail17trampoline_kernelINS0_14default_configENS1_25partition_config_selectorILNS1_17partition_subalgoE9EyybEEZZNS1_14partition_implILS5_9ELb0ES3_jN6thrust23THRUST_200600_302600_NS6detail15normal_iteratorINS9_10device_ptrIyEEEESE_PNS0_10empty_typeENS0_5tupleIJSE_SF_EEENSH_IJSE_SG_EEENS0_18inequality_wrapperINS9_8equal_toIyEEEEPmJSF_EEE10hipError_tPvRmT3_T4_T5_T6_T7_T9_mT8_P12ihipStream_tbDpT10_ENKUlT_T0_E_clISt17integral_constantIbLb0EES18_EEDaS13_S14_EUlS13_E_NS1_11comp_targetILNS1_3genE5ELNS1_11target_archE942ELNS1_3gpuE9ELNS1_3repE0EEENS1_30default_config_static_selectorELNS0_4arch9wavefront6targetE0EEEvT1_,comdat
	.protected	_ZN7rocprim17ROCPRIM_400000_NS6detail17trampoline_kernelINS0_14default_configENS1_25partition_config_selectorILNS1_17partition_subalgoE9EyybEEZZNS1_14partition_implILS5_9ELb0ES3_jN6thrust23THRUST_200600_302600_NS6detail15normal_iteratorINS9_10device_ptrIyEEEESE_PNS0_10empty_typeENS0_5tupleIJSE_SF_EEENSH_IJSE_SG_EEENS0_18inequality_wrapperINS9_8equal_toIyEEEEPmJSF_EEE10hipError_tPvRmT3_T4_T5_T6_T7_T9_mT8_P12ihipStream_tbDpT10_ENKUlT_T0_E_clISt17integral_constantIbLb0EES18_EEDaS13_S14_EUlS13_E_NS1_11comp_targetILNS1_3genE5ELNS1_11target_archE942ELNS1_3gpuE9ELNS1_3repE0EEENS1_30default_config_static_selectorELNS0_4arch9wavefront6targetE0EEEvT1_ ; -- Begin function _ZN7rocprim17ROCPRIM_400000_NS6detail17trampoline_kernelINS0_14default_configENS1_25partition_config_selectorILNS1_17partition_subalgoE9EyybEEZZNS1_14partition_implILS5_9ELb0ES3_jN6thrust23THRUST_200600_302600_NS6detail15normal_iteratorINS9_10device_ptrIyEEEESE_PNS0_10empty_typeENS0_5tupleIJSE_SF_EEENSH_IJSE_SG_EEENS0_18inequality_wrapperINS9_8equal_toIyEEEEPmJSF_EEE10hipError_tPvRmT3_T4_T5_T6_T7_T9_mT8_P12ihipStream_tbDpT10_ENKUlT_T0_E_clISt17integral_constantIbLb0EES18_EEDaS13_S14_EUlS13_E_NS1_11comp_targetILNS1_3genE5ELNS1_11target_archE942ELNS1_3gpuE9ELNS1_3repE0EEENS1_30default_config_static_selectorELNS0_4arch9wavefront6targetE0EEEvT1_
	.globl	_ZN7rocprim17ROCPRIM_400000_NS6detail17trampoline_kernelINS0_14default_configENS1_25partition_config_selectorILNS1_17partition_subalgoE9EyybEEZZNS1_14partition_implILS5_9ELb0ES3_jN6thrust23THRUST_200600_302600_NS6detail15normal_iteratorINS9_10device_ptrIyEEEESE_PNS0_10empty_typeENS0_5tupleIJSE_SF_EEENSH_IJSE_SG_EEENS0_18inequality_wrapperINS9_8equal_toIyEEEEPmJSF_EEE10hipError_tPvRmT3_T4_T5_T6_T7_T9_mT8_P12ihipStream_tbDpT10_ENKUlT_T0_E_clISt17integral_constantIbLb0EES18_EEDaS13_S14_EUlS13_E_NS1_11comp_targetILNS1_3genE5ELNS1_11target_archE942ELNS1_3gpuE9ELNS1_3repE0EEENS1_30default_config_static_selectorELNS0_4arch9wavefront6targetE0EEEvT1_
	.p2align	8
	.type	_ZN7rocprim17ROCPRIM_400000_NS6detail17trampoline_kernelINS0_14default_configENS1_25partition_config_selectorILNS1_17partition_subalgoE9EyybEEZZNS1_14partition_implILS5_9ELb0ES3_jN6thrust23THRUST_200600_302600_NS6detail15normal_iteratorINS9_10device_ptrIyEEEESE_PNS0_10empty_typeENS0_5tupleIJSE_SF_EEENSH_IJSE_SG_EEENS0_18inequality_wrapperINS9_8equal_toIyEEEEPmJSF_EEE10hipError_tPvRmT3_T4_T5_T6_T7_T9_mT8_P12ihipStream_tbDpT10_ENKUlT_T0_E_clISt17integral_constantIbLb0EES18_EEDaS13_S14_EUlS13_E_NS1_11comp_targetILNS1_3genE5ELNS1_11target_archE942ELNS1_3gpuE9ELNS1_3repE0EEENS1_30default_config_static_selectorELNS0_4arch9wavefront6targetE0EEEvT1_,@function
_ZN7rocprim17ROCPRIM_400000_NS6detail17trampoline_kernelINS0_14default_configENS1_25partition_config_selectorILNS1_17partition_subalgoE9EyybEEZZNS1_14partition_implILS5_9ELb0ES3_jN6thrust23THRUST_200600_302600_NS6detail15normal_iteratorINS9_10device_ptrIyEEEESE_PNS0_10empty_typeENS0_5tupleIJSE_SF_EEENSH_IJSE_SG_EEENS0_18inequality_wrapperINS9_8equal_toIyEEEEPmJSF_EEE10hipError_tPvRmT3_T4_T5_T6_T7_T9_mT8_P12ihipStream_tbDpT10_ENKUlT_T0_E_clISt17integral_constantIbLb0EES18_EEDaS13_S14_EUlS13_E_NS1_11comp_targetILNS1_3genE5ELNS1_11target_archE942ELNS1_3gpuE9ELNS1_3repE0EEENS1_30default_config_static_selectorELNS0_4arch9wavefront6targetE0EEEvT1_: ; @_ZN7rocprim17ROCPRIM_400000_NS6detail17trampoline_kernelINS0_14default_configENS1_25partition_config_selectorILNS1_17partition_subalgoE9EyybEEZZNS1_14partition_implILS5_9ELb0ES3_jN6thrust23THRUST_200600_302600_NS6detail15normal_iteratorINS9_10device_ptrIyEEEESE_PNS0_10empty_typeENS0_5tupleIJSE_SF_EEENSH_IJSE_SG_EEENS0_18inequality_wrapperINS9_8equal_toIyEEEEPmJSF_EEE10hipError_tPvRmT3_T4_T5_T6_T7_T9_mT8_P12ihipStream_tbDpT10_ENKUlT_T0_E_clISt17integral_constantIbLb0EES18_EEDaS13_S14_EUlS13_E_NS1_11comp_targetILNS1_3genE5ELNS1_11target_archE942ELNS1_3gpuE9ELNS1_3repE0EEENS1_30default_config_static_selectorELNS0_4arch9wavefront6targetE0EEEvT1_
; %bb.0:
	.section	.rodata,"a",@progbits
	.p2align	6, 0x0
	.amdhsa_kernel _ZN7rocprim17ROCPRIM_400000_NS6detail17trampoline_kernelINS0_14default_configENS1_25partition_config_selectorILNS1_17partition_subalgoE9EyybEEZZNS1_14partition_implILS5_9ELb0ES3_jN6thrust23THRUST_200600_302600_NS6detail15normal_iteratorINS9_10device_ptrIyEEEESE_PNS0_10empty_typeENS0_5tupleIJSE_SF_EEENSH_IJSE_SG_EEENS0_18inequality_wrapperINS9_8equal_toIyEEEEPmJSF_EEE10hipError_tPvRmT3_T4_T5_T6_T7_T9_mT8_P12ihipStream_tbDpT10_ENKUlT_T0_E_clISt17integral_constantIbLb0EES18_EEDaS13_S14_EUlS13_E_NS1_11comp_targetILNS1_3genE5ELNS1_11target_archE942ELNS1_3gpuE9ELNS1_3repE0EEENS1_30default_config_static_selectorELNS0_4arch9wavefront6targetE0EEEvT1_
		.amdhsa_group_segment_fixed_size 0
		.amdhsa_private_segment_fixed_size 0
		.amdhsa_kernarg_size 112
		.amdhsa_user_sgpr_count 15
		.amdhsa_user_sgpr_dispatch_ptr 0
		.amdhsa_user_sgpr_queue_ptr 0
		.amdhsa_user_sgpr_kernarg_segment_ptr 1
		.amdhsa_user_sgpr_dispatch_id 0
		.amdhsa_user_sgpr_private_segment_size 0
		.amdhsa_wavefront_size32 1
		.amdhsa_uses_dynamic_stack 0
		.amdhsa_enable_private_segment 0
		.amdhsa_system_sgpr_workgroup_id_x 1
		.amdhsa_system_sgpr_workgroup_id_y 0
		.amdhsa_system_sgpr_workgroup_id_z 0
		.amdhsa_system_sgpr_workgroup_info 0
		.amdhsa_system_vgpr_workitem_id 0
		.amdhsa_next_free_vgpr 1
		.amdhsa_next_free_sgpr 1
		.amdhsa_reserve_vcc 0
		.amdhsa_float_round_mode_32 0
		.amdhsa_float_round_mode_16_64 0
		.amdhsa_float_denorm_mode_32 3
		.amdhsa_float_denorm_mode_16_64 3
		.amdhsa_dx10_clamp 1
		.amdhsa_ieee_mode 1
		.amdhsa_fp16_overflow 0
		.amdhsa_workgroup_processor_mode 1
		.amdhsa_memory_ordered 1
		.amdhsa_forward_progress 0
		.amdhsa_shared_vgpr_count 0
		.amdhsa_exception_fp_ieee_invalid_op 0
		.amdhsa_exception_fp_denorm_src 0
		.amdhsa_exception_fp_ieee_div_zero 0
		.amdhsa_exception_fp_ieee_overflow 0
		.amdhsa_exception_fp_ieee_underflow 0
		.amdhsa_exception_fp_ieee_inexact 0
		.amdhsa_exception_int_div_zero 0
	.end_amdhsa_kernel
	.section	.text._ZN7rocprim17ROCPRIM_400000_NS6detail17trampoline_kernelINS0_14default_configENS1_25partition_config_selectorILNS1_17partition_subalgoE9EyybEEZZNS1_14partition_implILS5_9ELb0ES3_jN6thrust23THRUST_200600_302600_NS6detail15normal_iteratorINS9_10device_ptrIyEEEESE_PNS0_10empty_typeENS0_5tupleIJSE_SF_EEENSH_IJSE_SG_EEENS0_18inequality_wrapperINS9_8equal_toIyEEEEPmJSF_EEE10hipError_tPvRmT3_T4_T5_T6_T7_T9_mT8_P12ihipStream_tbDpT10_ENKUlT_T0_E_clISt17integral_constantIbLb0EES18_EEDaS13_S14_EUlS13_E_NS1_11comp_targetILNS1_3genE5ELNS1_11target_archE942ELNS1_3gpuE9ELNS1_3repE0EEENS1_30default_config_static_selectorELNS0_4arch9wavefront6targetE0EEEvT1_,"axG",@progbits,_ZN7rocprim17ROCPRIM_400000_NS6detail17trampoline_kernelINS0_14default_configENS1_25partition_config_selectorILNS1_17partition_subalgoE9EyybEEZZNS1_14partition_implILS5_9ELb0ES3_jN6thrust23THRUST_200600_302600_NS6detail15normal_iteratorINS9_10device_ptrIyEEEESE_PNS0_10empty_typeENS0_5tupleIJSE_SF_EEENSH_IJSE_SG_EEENS0_18inequality_wrapperINS9_8equal_toIyEEEEPmJSF_EEE10hipError_tPvRmT3_T4_T5_T6_T7_T9_mT8_P12ihipStream_tbDpT10_ENKUlT_T0_E_clISt17integral_constantIbLb0EES18_EEDaS13_S14_EUlS13_E_NS1_11comp_targetILNS1_3genE5ELNS1_11target_archE942ELNS1_3gpuE9ELNS1_3repE0EEENS1_30default_config_static_selectorELNS0_4arch9wavefront6targetE0EEEvT1_,comdat
.Lfunc_end146:
	.size	_ZN7rocprim17ROCPRIM_400000_NS6detail17trampoline_kernelINS0_14default_configENS1_25partition_config_selectorILNS1_17partition_subalgoE9EyybEEZZNS1_14partition_implILS5_9ELb0ES3_jN6thrust23THRUST_200600_302600_NS6detail15normal_iteratorINS9_10device_ptrIyEEEESE_PNS0_10empty_typeENS0_5tupleIJSE_SF_EEENSH_IJSE_SG_EEENS0_18inequality_wrapperINS9_8equal_toIyEEEEPmJSF_EEE10hipError_tPvRmT3_T4_T5_T6_T7_T9_mT8_P12ihipStream_tbDpT10_ENKUlT_T0_E_clISt17integral_constantIbLb0EES18_EEDaS13_S14_EUlS13_E_NS1_11comp_targetILNS1_3genE5ELNS1_11target_archE942ELNS1_3gpuE9ELNS1_3repE0EEENS1_30default_config_static_selectorELNS0_4arch9wavefront6targetE0EEEvT1_, .Lfunc_end146-_ZN7rocprim17ROCPRIM_400000_NS6detail17trampoline_kernelINS0_14default_configENS1_25partition_config_selectorILNS1_17partition_subalgoE9EyybEEZZNS1_14partition_implILS5_9ELb0ES3_jN6thrust23THRUST_200600_302600_NS6detail15normal_iteratorINS9_10device_ptrIyEEEESE_PNS0_10empty_typeENS0_5tupleIJSE_SF_EEENSH_IJSE_SG_EEENS0_18inequality_wrapperINS9_8equal_toIyEEEEPmJSF_EEE10hipError_tPvRmT3_T4_T5_T6_T7_T9_mT8_P12ihipStream_tbDpT10_ENKUlT_T0_E_clISt17integral_constantIbLb0EES18_EEDaS13_S14_EUlS13_E_NS1_11comp_targetILNS1_3genE5ELNS1_11target_archE942ELNS1_3gpuE9ELNS1_3repE0EEENS1_30default_config_static_selectorELNS0_4arch9wavefront6targetE0EEEvT1_
                                        ; -- End function
	.section	.AMDGPU.csdata,"",@progbits
; Kernel info:
; codeLenInByte = 0
; NumSgprs: 0
; NumVgprs: 0
; ScratchSize: 0
; MemoryBound: 0
; FloatMode: 240
; IeeeMode: 1
; LDSByteSize: 0 bytes/workgroup (compile time only)
; SGPRBlocks: 0
; VGPRBlocks: 0
; NumSGPRsForWavesPerEU: 1
; NumVGPRsForWavesPerEU: 1
; Occupancy: 16
; WaveLimiterHint : 0
; COMPUTE_PGM_RSRC2:SCRATCH_EN: 0
; COMPUTE_PGM_RSRC2:USER_SGPR: 15
; COMPUTE_PGM_RSRC2:TRAP_HANDLER: 0
; COMPUTE_PGM_RSRC2:TGID_X_EN: 1
; COMPUTE_PGM_RSRC2:TGID_Y_EN: 0
; COMPUTE_PGM_RSRC2:TGID_Z_EN: 0
; COMPUTE_PGM_RSRC2:TIDIG_COMP_CNT: 0
	.section	.text._ZN7rocprim17ROCPRIM_400000_NS6detail17trampoline_kernelINS0_14default_configENS1_25partition_config_selectorILNS1_17partition_subalgoE9EyybEEZZNS1_14partition_implILS5_9ELb0ES3_jN6thrust23THRUST_200600_302600_NS6detail15normal_iteratorINS9_10device_ptrIyEEEESE_PNS0_10empty_typeENS0_5tupleIJSE_SF_EEENSH_IJSE_SG_EEENS0_18inequality_wrapperINS9_8equal_toIyEEEEPmJSF_EEE10hipError_tPvRmT3_T4_T5_T6_T7_T9_mT8_P12ihipStream_tbDpT10_ENKUlT_T0_E_clISt17integral_constantIbLb0EES18_EEDaS13_S14_EUlS13_E_NS1_11comp_targetILNS1_3genE4ELNS1_11target_archE910ELNS1_3gpuE8ELNS1_3repE0EEENS1_30default_config_static_selectorELNS0_4arch9wavefront6targetE0EEEvT1_,"axG",@progbits,_ZN7rocprim17ROCPRIM_400000_NS6detail17trampoline_kernelINS0_14default_configENS1_25partition_config_selectorILNS1_17partition_subalgoE9EyybEEZZNS1_14partition_implILS5_9ELb0ES3_jN6thrust23THRUST_200600_302600_NS6detail15normal_iteratorINS9_10device_ptrIyEEEESE_PNS0_10empty_typeENS0_5tupleIJSE_SF_EEENSH_IJSE_SG_EEENS0_18inequality_wrapperINS9_8equal_toIyEEEEPmJSF_EEE10hipError_tPvRmT3_T4_T5_T6_T7_T9_mT8_P12ihipStream_tbDpT10_ENKUlT_T0_E_clISt17integral_constantIbLb0EES18_EEDaS13_S14_EUlS13_E_NS1_11comp_targetILNS1_3genE4ELNS1_11target_archE910ELNS1_3gpuE8ELNS1_3repE0EEENS1_30default_config_static_selectorELNS0_4arch9wavefront6targetE0EEEvT1_,comdat
	.protected	_ZN7rocprim17ROCPRIM_400000_NS6detail17trampoline_kernelINS0_14default_configENS1_25partition_config_selectorILNS1_17partition_subalgoE9EyybEEZZNS1_14partition_implILS5_9ELb0ES3_jN6thrust23THRUST_200600_302600_NS6detail15normal_iteratorINS9_10device_ptrIyEEEESE_PNS0_10empty_typeENS0_5tupleIJSE_SF_EEENSH_IJSE_SG_EEENS0_18inequality_wrapperINS9_8equal_toIyEEEEPmJSF_EEE10hipError_tPvRmT3_T4_T5_T6_T7_T9_mT8_P12ihipStream_tbDpT10_ENKUlT_T0_E_clISt17integral_constantIbLb0EES18_EEDaS13_S14_EUlS13_E_NS1_11comp_targetILNS1_3genE4ELNS1_11target_archE910ELNS1_3gpuE8ELNS1_3repE0EEENS1_30default_config_static_selectorELNS0_4arch9wavefront6targetE0EEEvT1_ ; -- Begin function _ZN7rocprim17ROCPRIM_400000_NS6detail17trampoline_kernelINS0_14default_configENS1_25partition_config_selectorILNS1_17partition_subalgoE9EyybEEZZNS1_14partition_implILS5_9ELb0ES3_jN6thrust23THRUST_200600_302600_NS6detail15normal_iteratorINS9_10device_ptrIyEEEESE_PNS0_10empty_typeENS0_5tupleIJSE_SF_EEENSH_IJSE_SG_EEENS0_18inequality_wrapperINS9_8equal_toIyEEEEPmJSF_EEE10hipError_tPvRmT3_T4_T5_T6_T7_T9_mT8_P12ihipStream_tbDpT10_ENKUlT_T0_E_clISt17integral_constantIbLb0EES18_EEDaS13_S14_EUlS13_E_NS1_11comp_targetILNS1_3genE4ELNS1_11target_archE910ELNS1_3gpuE8ELNS1_3repE0EEENS1_30default_config_static_selectorELNS0_4arch9wavefront6targetE0EEEvT1_
	.globl	_ZN7rocprim17ROCPRIM_400000_NS6detail17trampoline_kernelINS0_14default_configENS1_25partition_config_selectorILNS1_17partition_subalgoE9EyybEEZZNS1_14partition_implILS5_9ELb0ES3_jN6thrust23THRUST_200600_302600_NS6detail15normal_iteratorINS9_10device_ptrIyEEEESE_PNS0_10empty_typeENS0_5tupleIJSE_SF_EEENSH_IJSE_SG_EEENS0_18inequality_wrapperINS9_8equal_toIyEEEEPmJSF_EEE10hipError_tPvRmT3_T4_T5_T6_T7_T9_mT8_P12ihipStream_tbDpT10_ENKUlT_T0_E_clISt17integral_constantIbLb0EES18_EEDaS13_S14_EUlS13_E_NS1_11comp_targetILNS1_3genE4ELNS1_11target_archE910ELNS1_3gpuE8ELNS1_3repE0EEENS1_30default_config_static_selectorELNS0_4arch9wavefront6targetE0EEEvT1_
	.p2align	8
	.type	_ZN7rocprim17ROCPRIM_400000_NS6detail17trampoline_kernelINS0_14default_configENS1_25partition_config_selectorILNS1_17partition_subalgoE9EyybEEZZNS1_14partition_implILS5_9ELb0ES3_jN6thrust23THRUST_200600_302600_NS6detail15normal_iteratorINS9_10device_ptrIyEEEESE_PNS0_10empty_typeENS0_5tupleIJSE_SF_EEENSH_IJSE_SG_EEENS0_18inequality_wrapperINS9_8equal_toIyEEEEPmJSF_EEE10hipError_tPvRmT3_T4_T5_T6_T7_T9_mT8_P12ihipStream_tbDpT10_ENKUlT_T0_E_clISt17integral_constantIbLb0EES18_EEDaS13_S14_EUlS13_E_NS1_11comp_targetILNS1_3genE4ELNS1_11target_archE910ELNS1_3gpuE8ELNS1_3repE0EEENS1_30default_config_static_selectorELNS0_4arch9wavefront6targetE0EEEvT1_,@function
_ZN7rocprim17ROCPRIM_400000_NS6detail17trampoline_kernelINS0_14default_configENS1_25partition_config_selectorILNS1_17partition_subalgoE9EyybEEZZNS1_14partition_implILS5_9ELb0ES3_jN6thrust23THRUST_200600_302600_NS6detail15normal_iteratorINS9_10device_ptrIyEEEESE_PNS0_10empty_typeENS0_5tupleIJSE_SF_EEENSH_IJSE_SG_EEENS0_18inequality_wrapperINS9_8equal_toIyEEEEPmJSF_EEE10hipError_tPvRmT3_T4_T5_T6_T7_T9_mT8_P12ihipStream_tbDpT10_ENKUlT_T0_E_clISt17integral_constantIbLb0EES18_EEDaS13_S14_EUlS13_E_NS1_11comp_targetILNS1_3genE4ELNS1_11target_archE910ELNS1_3gpuE8ELNS1_3repE0EEENS1_30default_config_static_selectorELNS0_4arch9wavefront6targetE0EEEvT1_: ; @_ZN7rocprim17ROCPRIM_400000_NS6detail17trampoline_kernelINS0_14default_configENS1_25partition_config_selectorILNS1_17partition_subalgoE9EyybEEZZNS1_14partition_implILS5_9ELb0ES3_jN6thrust23THRUST_200600_302600_NS6detail15normal_iteratorINS9_10device_ptrIyEEEESE_PNS0_10empty_typeENS0_5tupleIJSE_SF_EEENSH_IJSE_SG_EEENS0_18inequality_wrapperINS9_8equal_toIyEEEEPmJSF_EEE10hipError_tPvRmT3_T4_T5_T6_T7_T9_mT8_P12ihipStream_tbDpT10_ENKUlT_T0_E_clISt17integral_constantIbLb0EES18_EEDaS13_S14_EUlS13_E_NS1_11comp_targetILNS1_3genE4ELNS1_11target_archE910ELNS1_3gpuE8ELNS1_3repE0EEENS1_30default_config_static_selectorELNS0_4arch9wavefront6targetE0EEEvT1_
; %bb.0:
	.section	.rodata,"a",@progbits
	.p2align	6, 0x0
	.amdhsa_kernel _ZN7rocprim17ROCPRIM_400000_NS6detail17trampoline_kernelINS0_14default_configENS1_25partition_config_selectorILNS1_17partition_subalgoE9EyybEEZZNS1_14partition_implILS5_9ELb0ES3_jN6thrust23THRUST_200600_302600_NS6detail15normal_iteratorINS9_10device_ptrIyEEEESE_PNS0_10empty_typeENS0_5tupleIJSE_SF_EEENSH_IJSE_SG_EEENS0_18inequality_wrapperINS9_8equal_toIyEEEEPmJSF_EEE10hipError_tPvRmT3_T4_T5_T6_T7_T9_mT8_P12ihipStream_tbDpT10_ENKUlT_T0_E_clISt17integral_constantIbLb0EES18_EEDaS13_S14_EUlS13_E_NS1_11comp_targetILNS1_3genE4ELNS1_11target_archE910ELNS1_3gpuE8ELNS1_3repE0EEENS1_30default_config_static_selectorELNS0_4arch9wavefront6targetE0EEEvT1_
		.amdhsa_group_segment_fixed_size 0
		.amdhsa_private_segment_fixed_size 0
		.amdhsa_kernarg_size 112
		.amdhsa_user_sgpr_count 15
		.amdhsa_user_sgpr_dispatch_ptr 0
		.amdhsa_user_sgpr_queue_ptr 0
		.amdhsa_user_sgpr_kernarg_segment_ptr 1
		.amdhsa_user_sgpr_dispatch_id 0
		.amdhsa_user_sgpr_private_segment_size 0
		.amdhsa_wavefront_size32 1
		.amdhsa_uses_dynamic_stack 0
		.amdhsa_enable_private_segment 0
		.amdhsa_system_sgpr_workgroup_id_x 1
		.amdhsa_system_sgpr_workgroup_id_y 0
		.amdhsa_system_sgpr_workgroup_id_z 0
		.amdhsa_system_sgpr_workgroup_info 0
		.amdhsa_system_vgpr_workitem_id 0
		.amdhsa_next_free_vgpr 1
		.amdhsa_next_free_sgpr 1
		.amdhsa_reserve_vcc 0
		.amdhsa_float_round_mode_32 0
		.amdhsa_float_round_mode_16_64 0
		.amdhsa_float_denorm_mode_32 3
		.amdhsa_float_denorm_mode_16_64 3
		.amdhsa_dx10_clamp 1
		.amdhsa_ieee_mode 1
		.amdhsa_fp16_overflow 0
		.amdhsa_workgroup_processor_mode 1
		.amdhsa_memory_ordered 1
		.amdhsa_forward_progress 0
		.amdhsa_shared_vgpr_count 0
		.amdhsa_exception_fp_ieee_invalid_op 0
		.amdhsa_exception_fp_denorm_src 0
		.amdhsa_exception_fp_ieee_div_zero 0
		.amdhsa_exception_fp_ieee_overflow 0
		.amdhsa_exception_fp_ieee_underflow 0
		.amdhsa_exception_fp_ieee_inexact 0
		.amdhsa_exception_int_div_zero 0
	.end_amdhsa_kernel
	.section	.text._ZN7rocprim17ROCPRIM_400000_NS6detail17trampoline_kernelINS0_14default_configENS1_25partition_config_selectorILNS1_17partition_subalgoE9EyybEEZZNS1_14partition_implILS5_9ELb0ES3_jN6thrust23THRUST_200600_302600_NS6detail15normal_iteratorINS9_10device_ptrIyEEEESE_PNS0_10empty_typeENS0_5tupleIJSE_SF_EEENSH_IJSE_SG_EEENS0_18inequality_wrapperINS9_8equal_toIyEEEEPmJSF_EEE10hipError_tPvRmT3_T4_T5_T6_T7_T9_mT8_P12ihipStream_tbDpT10_ENKUlT_T0_E_clISt17integral_constantIbLb0EES18_EEDaS13_S14_EUlS13_E_NS1_11comp_targetILNS1_3genE4ELNS1_11target_archE910ELNS1_3gpuE8ELNS1_3repE0EEENS1_30default_config_static_selectorELNS0_4arch9wavefront6targetE0EEEvT1_,"axG",@progbits,_ZN7rocprim17ROCPRIM_400000_NS6detail17trampoline_kernelINS0_14default_configENS1_25partition_config_selectorILNS1_17partition_subalgoE9EyybEEZZNS1_14partition_implILS5_9ELb0ES3_jN6thrust23THRUST_200600_302600_NS6detail15normal_iteratorINS9_10device_ptrIyEEEESE_PNS0_10empty_typeENS0_5tupleIJSE_SF_EEENSH_IJSE_SG_EEENS0_18inequality_wrapperINS9_8equal_toIyEEEEPmJSF_EEE10hipError_tPvRmT3_T4_T5_T6_T7_T9_mT8_P12ihipStream_tbDpT10_ENKUlT_T0_E_clISt17integral_constantIbLb0EES18_EEDaS13_S14_EUlS13_E_NS1_11comp_targetILNS1_3genE4ELNS1_11target_archE910ELNS1_3gpuE8ELNS1_3repE0EEENS1_30default_config_static_selectorELNS0_4arch9wavefront6targetE0EEEvT1_,comdat
.Lfunc_end147:
	.size	_ZN7rocprim17ROCPRIM_400000_NS6detail17trampoline_kernelINS0_14default_configENS1_25partition_config_selectorILNS1_17partition_subalgoE9EyybEEZZNS1_14partition_implILS5_9ELb0ES3_jN6thrust23THRUST_200600_302600_NS6detail15normal_iteratorINS9_10device_ptrIyEEEESE_PNS0_10empty_typeENS0_5tupleIJSE_SF_EEENSH_IJSE_SG_EEENS0_18inequality_wrapperINS9_8equal_toIyEEEEPmJSF_EEE10hipError_tPvRmT3_T4_T5_T6_T7_T9_mT8_P12ihipStream_tbDpT10_ENKUlT_T0_E_clISt17integral_constantIbLb0EES18_EEDaS13_S14_EUlS13_E_NS1_11comp_targetILNS1_3genE4ELNS1_11target_archE910ELNS1_3gpuE8ELNS1_3repE0EEENS1_30default_config_static_selectorELNS0_4arch9wavefront6targetE0EEEvT1_, .Lfunc_end147-_ZN7rocprim17ROCPRIM_400000_NS6detail17trampoline_kernelINS0_14default_configENS1_25partition_config_selectorILNS1_17partition_subalgoE9EyybEEZZNS1_14partition_implILS5_9ELb0ES3_jN6thrust23THRUST_200600_302600_NS6detail15normal_iteratorINS9_10device_ptrIyEEEESE_PNS0_10empty_typeENS0_5tupleIJSE_SF_EEENSH_IJSE_SG_EEENS0_18inequality_wrapperINS9_8equal_toIyEEEEPmJSF_EEE10hipError_tPvRmT3_T4_T5_T6_T7_T9_mT8_P12ihipStream_tbDpT10_ENKUlT_T0_E_clISt17integral_constantIbLb0EES18_EEDaS13_S14_EUlS13_E_NS1_11comp_targetILNS1_3genE4ELNS1_11target_archE910ELNS1_3gpuE8ELNS1_3repE0EEENS1_30default_config_static_selectorELNS0_4arch9wavefront6targetE0EEEvT1_
                                        ; -- End function
	.section	.AMDGPU.csdata,"",@progbits
; Kernel info:
; codeLenInByte = 0
; NumSgprs: 0
; NumVgprs: 0
; ScratchSize: 0
; MemoryBound: 0
; FloatMode: 240
; IeeeMode: 1
; LDSByteSize: 0 bytes/workgroup (compile time only)
; SGPRBlocks: 0
; VGPRBlocks: 0
; NumSGPRsForWavesPerEU: 1
; NumVGPRsForWavesPerEU: 1
; Occupancy: 16
; WaveLimiterHint : 0
; COMPUTE_PGM_RSRC2:SCRATCH_EN: 0
; COMPUTE_PGM_RSRC2:USER_SGPR: 15
; COMPUTE_PGM_RSRC2:TRAP_HANDLER: 0
; COMPUTE_PGM_RSRC2:TGID_X_EN: 1
; COMPUTE_PGM_RSRC2:TGID_Y_EN: 0
; COMPUTE_PGM_RSRC2:TGID_Z_EN: 0
; COMPUTE_PGM_RSRC2:TIDIG_COMP_CNT: 0
	.section	.text._ZN7rocprim17ROCPRIM_400000_NS6detail17trampoline_kernelINS0_14default_configENS1_25partition_config_selectorILNS1_17partition_subalgoE9EyybEEZZNS1_14partition_implILS5_9ELb0ES3_jN6thrust23THRUST_200600_302600_NS6detail15normal_iteratorINS9_10device_ptrIyEEEESE_PNS0_10empty_typeENS0_5tupleIJSE_SF_EEENSH_IJSE_SG_EEENS0_18inequality_wrapperINS9_8equal_toIyEEEEPmJSF_EEE10hipError_tPvRmT3_T4_T5_T6_T7_T9_mT8_P12ihipStream_tbDpT10_ENKUlT_T0_E_clISt17integral_constantIbLb0EES18_EEDaS13_S14_EUlS13_E_NS1_11comp_targetILNS1_3genE3ELNS1_11target_archE908ELNS1_3gpuE7ELNS1_3repE0EEENS1_30default_config_static_selectorELNS0_4arch9wavefront6targetE0EEEvT1_,"axG",@progbits,_ZN7rocprim17ROCPRIM_400000_NS6detail17trampoline_kernelINS0_14default_configENS1_25partition_config_selectorILNS1_17partition_subalgoE9EyybEEZZNS1_14partition_implILS5_9ELb0ES3_jN6thrust23THRUST_200600_302600_NS6detail15normal_iteratorINS9_10device_ptrIyEEEESE_PNS0_10empty_typeENS0_5tupleIJSE_SF_EEENSH_IJSE_SG_EEENS0_18inequality_wrapperINS9_8equal_toIyEEEEPmJSF_EEE10hipError_tPvRmT3_T4_T5_T6_T7_T9_mT8_P12ihipStream_tbDpT10_ENKUlT_T0_E_clISt17integral_constantIbLb0EES18_EEDaS13_S14_EUlS13_E_NS1_11comp_targetILNS1_3genE3ELNS1_11target_archE908ELNS1_3gpuE7ELNS1_3repE0EEENS1_30default_config_static_selectorELNS0_4arch9wavefront6targetE0EEEvT1_,comdat
	.protected	_ZN7rocprim17ROCPRIM_400000_NS6detail17trampoline_kernelINS0_14default_configENS1_25partition_config_selectorILNS1_17partition_subalgoE9EyybEEZZNS1_14partition_implILS5_9ELb0ES3_jN6thrust23THRUST_200600_302600_NS6detail15normal_iteratorINS9_10device_ptrIyEEEESE_PNS0_10empty_typeENS0_5tupleIJSE_SF_EEENSH_IJSE_SG_EEENS0_18inequality_wrapperINS9_8equal_toIyEEEEPmJSF_EEE10hipError_tPvRmT3_T4_T5_T6_T7_T9_mT8_P12ihipStream_tbDpT10_ENKUlT_T0_E_clISt17integral_constantIbLb0EES18_EEDaS13_S14_EUlS13_E_NS1_11comp_targetILNS1_3genE3ELNS1_11target_archE908ELNS1_3gpuE7ELNS1_3repE0EEENS1_30default_config_static_selectorELNS0_4arch9wavefront6targetE0EEEvT1_ ; -- Begin function _ZN7rocprim17ROCPRIM_400000_NS6detail17trampoline_kernelINS0_14default_configENS1_25partition_config_selectorILNS1_17partition_subalgoE9EyybEEZZNS1_14partition_implILS5_9ELb0ES3_jN6thrust23THRUST_200600_302600_NS6detail15normal_iteratorINS9_10device_ptrIyEEEESE_PNS0_10empty_typeENS0_5tupleIJSE_SF_EEENSH_IJSE_SG_EEENS0_18inequality_wrapperINS9_8equal_toIyEEEEPmJSF_EEE10hipError_tPvRmT3_T4_T5_T6_T7_T9_mT8_P12ihipStream_tbDpT10_ENKUlT_T0_E_clISt17integral_constantIbLb0EES18_EEDaS13_S14_EUlS13_E_NS1_11comp_targetILNS1_3genE3ELNS1_11target_archE908ELNS1_3gpuE7ELNS1_3repE0EEENS1_30default_config_static_selectorELNS0_4arch9wavefront6targetE0EEEvT1_
	.globl	_ZN7rocprim17ROCPRIM_400000_NS6detail17trampoline_kernelINS0_14default_configENS1_25partition_config_selectorILNS1_17partition_subalgoE9EyybEEZZNS1_14partition_implILS5_9ELb0ES3_jN6thrust23THRUST_200600_302600_NS6detail15normal_iteratorINS9_10device_ptrIyEEEESE_PNS0_10empty_typeENS0_5tupleIJSE_SF_EEENSH_IJSE_SG_EEENS0_18inequality_wrapperINS9_8equal_toIyEEEEPmJSF_EEE10hipError_tPvRmT3_T4_T5_T6_T7_T9_mT8_P12ihipStream_tbDpT10_ENKUlT_T0_E_clISt17integral_constantIbLb0EES18_EEDaS13_S14_EUlS13_E_NS1_11comp_targetILNS1_3genE3ELNS1_11target_archE908ELNS1_3gpuE7ELNS1_3repE0EEENS1_30default_config_static_selectorELNS0_4arch9wavefront6targetE0EEEvT1_
	.p2align	8
	.type	_ZN7rocprim17ROCPRIM_400000_NS6detail17trampoline_kernelINS0_14default_configENS1_25partition_config_selectorILNS1_17partition_subalgoE9EyybEEZZNS1_14partition_implILS5_9ELb0ES3_jN6thrust23THRUST_200600_302600_NS6detail15normal_iteratorINS9_10device_ptrIyEEEESE_PNS0_10empty_typeENS0_5tupleIJSE_SF_EEENSH_IJSE_SG_EEENS0_18inequality_wrapperINS9_8equal_toIyEEEEPmJSF_EEE10hipError_tPvRmT3_T4_T5_T6_T7_T9_mT8_P12ihipStream_tbDpT10_ENKUlT_T0_E_clISt17integral_constantIbLb0EES18_EEDaS13_S14_EUlS13_E_NS1_11comp_targetILNS1_3genE3ELNS1_11target_archE908ELNS1_3gpuE7ELNS1_3repE0EEENS1_30default_config_static_selectorELNS0_4arch9wavefront6targetE0EEEvT1_,@function
_ZN7rocprim17ROCPRIM_400000_NS6detail17trampoline_kernelINS0_14default_configENS1_25partition_config_selectorILNS1_17partition_subalgoE9EyybEEZZNS1_14partition_implILS5_9ELb0ES3_jN6thrust23THRUST_200600_302600_NS6detail15normal_iteratorINS9_10device_ptrIyEEEESE_PNS0_10empty_typeENS0_5tupleIJSE_SF_EEENSH_IJSE_SG_EEENS0_18inequality_wrapperINS9_8equal_toIyEEEEPmJSF_EEE10hipError_tPvRmT3_T4_T5_T6_T7_T9_mT8_P12ihipStream_tbDpT10_ENKUlT_T0_E_clISt17integral_constantIbLb0EES18_EEDaS13_S14_EUlS13_E_NS1_11comp_targetILNS1_3genE3ELNS1_11target_archE908ELNS1_3gpuE7ELNS1_3repE0EEENS1_30default_config_static_selectorELNS0_4arch9wavefront6targetE0EEEvT1_: ; @_ZN7rocprim17ROCPRIM_400000_NS6detail17trampoline_kernelINS0_14default_configENS1_25partition_config_selectorILNS1_17partition_subalgoE9EyybEEZZNS1_14partition_implILS5_9ELb0ES3_jN6thrust23THRUST_200600_302600_NS6detail15normal_iteratorINS9_10device_ptrIyEEEESE_PNS0_10empty_typeENS0_5tupleIJSE_SF_EEENSH_IJSE_SG_EEENS0_18inequality_wrapperINS9_8equal_toIyEEEEPmJSF_EEE10hipError_tPvRmT3_T4_T5_T6_T7_T9_mT8_P12ihipStream_tbDpT10_ENKUlT_T0_E_clISt17integral_constantIbLb0EES18_EEDaS13_S14_EUlS13_E_NS1_11comp_targetILNS1_3genE3ELNS1_11target_archE908ELNS1_3gpuE7ELNS1_3repE0EEENS1_30default_config_static_selectorELNS0_4arch9wavefront6targetE0EEEvT1_
; %bb.0:
	.section	.rodata,"a",@progbits
	.p2align	6, 0x0
	.amdhsa_kernel _ZN7rocprim17ROCPRIM_400000_NS6detail17trampoline_kernelINS0_14default_configENS1_25partition_config_selectorILNS1_17partition_subalgoE9EyybEEZZNS1_14partition_implILS5_9ELb0ES3_jN6thrust23THRUST_200600_302600_NS6detail15normal_iteratorINS9_10device_ptrIyEEEESE_PNS0_10empty_typeENS0_5tupleIJSE_SF_EEENSH_IJSE_SG_EEENS0_18inequality_wrapperINS9_8equal_toIyEEEEPmJSF_EEE10hipError_tPvRmT3_T4_T5_T6_T7_T9_mT8_P12ihipStream_tbDpT10_ENKUlT_T0_E_clISt17integral_constantIbLb0EES18_EEDaS13_S14_EUlS13_E_NS1_11comp_targetILNS1_3genE3ELNS1_11target_archE908ELNS1_3gpuE7ELNS1_3repE0EEENS1_30default_config_static_selectorELNS0_4arch9wavefront6targetE0EEEvT1_
		.amdhsa_group_segment_fixed_size 0
		.amdhsa_private_segment_fixed_size 0
		.amdhsa_kernarg_size 112
		.amdhsa_user_sgpr_count 15
		.amdhsa_user_sgpr_dispatch_ptr 0
		.amdhsa_user_sgpr_queue_ptr 0
		.amdhsa_user_sgpr_kernarg_segment_ptr 1
		.amdhsa_user_sgpr_dispatch_id 0
		.amdhsa_user_sgpr_private_segment_size 0
		.amdhsa_wavefront_size32 1
		.amdhsa_uses_dynamic_stack 0
		.amdhsa_enable_private_segment 0
		.amdhsa_system_sgpr_workgroup_id_x 1
		.amdhsa_system_sgpr_workgroup_id_y 0
		.amdhsa_system_sgpr_workgroup_id_z 0
		.amdhsa_system_sgpr_workgroup_info 0
		.amdhsa_system_vgpr_workitem_id 0
		.amdhsa_next_free_vgpr 1
		.amdhsa_next_free_sgpr 1
		.amdhsa_reserve_vcc 0
		.amdhsa_float_round_mode_32 0
		.amdhsa_float_round_mode_16_64 0
		.amdhsa_float_denorm_mode_32 3
		.amdhsa_float_denorm_mode_16_64 3
		.amdhsa_dx10_clamp 1
		.amdhsa_ieee_mode 1
		.amdhsa_fp16_overflow 0
		.amdhsa_workgroup_processor_mode 1
		.amdhsa_memory_ordered 1
		.amdhsa_forward_progress 0
		.amdhsa_shared_vgpr_count 0
		.amdhsa_exception_fp_ieee_invalid_op 0
		.amdhsa_exception_fp_denorm_src 0
		.amdhsa_exception_fp_ieee_div_zero 0
		.amdhsa_exception_fp_ieee_overflow 0
		.amdhsa_exception_fp_ieee_underflow 0
		.amdhsa_exception_fp_ieee_inexact 0
		.amdhsa_exception_int_div_zero 0
	.end_amdhsa_kernel
	.section	.text._ZN7rocprim17ROCPRIM_400000_NS6detail17trampoline_kernelINS0_14default_configENS1_25partition_config_selectorILNS1_17partition_subalgoE9EyybEEZZNS1_14partition_implILS5_9ELb0ES3_jN6thrust23THRUST_200600_302600_NS6detail15normal_iteratorINS9_10device_ptrIyEEEESE_PNS0_10empty_typeENS0_5tupleIJSE_SF_EEENSH_IJSE_SG_EEENS0_18inequality_wrapperINS9_8equal_toIyEEEEPmJSF_EEE10hipError_tPvRmT3_T4_T5_T6_T7_T9_mT8_P12ihipStream_tbDpT10_ENKUlT_T0_E_clISt17integral_constantIbLb0EES18_EEDaS13_S14_EUlS13_E_NS1_11comp_targetILNS1_3genE3ELNS1_11target_archE908ELNS1_3gpuE7ELNS1_3repE0EEENS1_30default_config_static_selectorELNS0_4arch9wavefront6targetE0EEEvT1_,"axG",@progbits,_ZN7rocprim17ROCPRIM_400000_NS6detail17trampoline_kernelINS0_14default_configENS1_25partition_config_selectorILNS1_17partition_subalgoE9EyybEEZZNS1_14partition_implILS5_9ELb0ES3_jN6thrust23THRUST_200600_302600_NS6detail15normal_iteratorINS9_10device_ptrIyEEEESE_PNS0_10empty_typeENS0_5tupleIJSE_SF_EEENSH_IJSE_SG_EEENS0_18inequality_wrapperINS9_8equal_toIyEEEEPmJSF_EEE10hipError_tPvRmT3_T4_T5_T6_T7_T9_mT8_P12ihipStream_tbDpT10_ENKUlT_T0_E_clISt17integral_constantIbLb0EES18_EEDaS13_S14_EUlS13_E_NS1_11comp_targetILNS1_3genE3ELNS1_11target_archE908ELNS1_3gpuE7ELNS1_3repE0EEENS1_30default_config_static_selectorELNS0_4arch9wavefront6targetE0EEEvT1_,comdat
.Lfunc_end148:
	.size	_ZN7rocprim17ROCPRIM_400000_NS6detail17trampoline_kernelINS0_14default_configENS1_25partition_config_selectorILNS1_17partition_subalgoE9EyybEEZZNS1_14partition_implILS5_9ELb0ES3_jN6thrust23THRUST_200600_302600_NS6detail15normal_iteratorINS9_10device_ptrIyEEEESE_PNS0_10empty_typeENS0_5tupleIJSE_SF_EEENSH_IJSE_SG_EEENS0_18inequality_wrapperINS9_8equal_toIyEEEEPmJSF_EEE10hipError_tPvRmT3_T4_T5_T6_T7_T9_mT8_P12ihipStream_tbDpT10_ENKUlT_T0_E_clISt17integral_constantIbLb0EES18_EEDaS13_S14_EUlS13_E_NS1_11comp_targetILNS1_3genE3ELNS1_11target_archE908ELNS1_3gpuE7ELNS1_3repE0EEENS1_30default_config_static_selectorELNS0_4arch9wavefront6targetE0EEEvT1_, .Lfunc_end148-_ZN7rocprim17ROCPRIM_400000_NS6detail17trampoline_kernelINS0_14default_configENS1_25partition_config_selectorILNS1_17partition_subalgoE9EyybEEZZNS1_14partition_implILS5_9ELb0ES3_jN6thrust23THRUST_200600_302600_NS6detail15normal_iteratorINS9_10device_ptrIyEEEESE_PNS0_10empty_typeENS0_5tupleIJSE_SF_EEENSH_IJSE_SG_EEENS0_18inequality_wrapperINS9_8equal_toIyEEEEPmJSF_EEE10hipError_tPvRmT3_T4_T5_T6_T7_T9_mT8_P12ihipStream_tbDpT10_ENKUlT_T0_E_clISt17integral_constantIbLb0EES18_EEDaS13_S14_EUlS13_E_NS1_11comp_targetILNS1_3genE3ELNS1_11target_archE908ELNS1_3gpuE7ELNS1_3repE0EEENS1_30default_config_static_selectorELNS0_4arch9wavefront6targetE0EEEvT1_
                                        ; -- End function
	.section	.AMDGPU.csdata,"",@progbits
; Kernel info:
; codeLenInByte = 0
; NumSgprs: 0
; NumVgprs: 0
; ScratchSize: 0
; MemoryBound: 0
; FloatMode: 240
; IeeeMode: 1
; LDSByteSize: 0 bytes/workgroup (compile time only)
; SGPRBlocks: 0
; VGPRBlocks: 0
; NumSGPRsForWavesPerEU: 1
; NumVGPRsForWavesPerEU: 1
; Occupancy: 16
; WaveLimiterHint : 0
; COMPUTE_PGM_RSRC2:SCRATCH_EN: 0
; COMPUTE_PGM_RSRC2:USER_SGPR: 15
; COMPUTE_PGM_RSRC2:TRAP_HANDLER: 0
; COMPUTE_PGM_RSRC2:TGID_X_EN: 1
; COMPUTE_PGM_RSRC2:TGID_Y_EN: 0
; COMPUTE_PGM_RSRC2:TGID_Z_EN: 0
; COMPUTE_PGM_RSRC2:TIDIG_COMP_CNT: 0
	.section	.text._ZN7rocprim17ROCPRIM_400000_NS6detail17trampoline_kernelINS0_14default_configENS1_25partition_config_selectorILNS1_17partition_subalgoE9EyybEEZZNS1_14partition_implILS5_9ELb0ES3_jN6thrust23THRUST_200600_302600_NS6detail15normal_iteratorINS9_10device_ptrIyEEEESE_PNS0_10empty_typeENS0_5tupleIJSE_SF_EEENSH_IJSE_SG_EEENS0_18inequality_wrapperINS9_8equal_toIyEEEEPmJSF_EEE10hipError_tPvRmT3_T4_T5_T6_T7_T9_mT8_P12ihipStream_tbDpT10_ENKUlT_T0_E_clISt17integral_constantIbLb0EES18_EEDaS13_S14_EUlS13_E_NS1_11comp_targetILNS1_3genE2ELNS1_11target_archE906ELNS1_3gpuE6ELNS1_3repE0EEENS1_30default_config_static_selectorELNS0_4arch9wavefront6targetE0EEEvT1_,"axG",@progbits,_ZN7rocprim17ROCPRIM_400000_NS6detail17trampoline_kernelINS0_14default_configENS1_25partition_config_selectorILNS1_17partition_subalgoE9EyybEEZZNS1_14partition_implILS5_9ELb0ES3_jN6thrust23THRUST_200600_302600_NS6detail15normal_iteratorINS9_10device_ptrIyEEEESE_PNS0_10empty_typeENS0_5tupleIJSE_SF_EEENSH_IJSE_SG_EEENS0_18inequality_wrapperINS9_8equal_toIyEEEEPmJSF_EEE10hipError_tPvRmT3_T4_T5_T6_T7_T9_mT8_P12ihipStream_tbDpT10_ENKUlT_T0_E_clISt17integral_constantIbLb0EES18_EEDaS13_S14_EUlS13_E_NS1_11comp_targetILNS1_3genE2ELNS1_11target_archE906ELNS1_3gpuE6ELNS1_3repE0EEENS1_30default_config_static_selectorELNS0_4arch9wavefront6targetE0EEEvT1_,comdat
	.protected	_ZN7rocprim17ROCPRIM_400000_NS6detail17trampoline_kernelINS0_14default_configENS1_25partition_config_selectorILNS1_17partition_subalgoE9EyybEEZZNS1_14partition_implILS5_9ELb0ES3_jN6thrust23THRUST_200600_302600_NS6detail15normal_iteratorINS9_10device_ptrIyEEEESE_PNS0_10empty_typeENS0_5tupleIJSE_SF_EEENSH_IJSE_SG_EEENS0_18inequality_wrapperINS9_8equal_toIyEEEEPmJSF_EEE10hipError_tPvRmT3_T4_T5_T6_T7_T9_mT8_P12ihipStream_tbDpT10_ENKUlT_T0_E_clISt17integral_constantIbLb0EES18_EEDaS13_S14_EUlS13_E_NS1_11comp_targetILNS1_3genE2ELNS1_11target_archE906ELNS1_3gpuE6ELNS1_3repE0EEENS1_30default_config_static_selectorELNS0_4arch9wavefront6targetE0EEEvT1_ ; -- Begin function _ZN7rocprim17ROCPRIM_400000_NS6detail17trampoline_kernelINS0_14default_configENS1_25partition_config_selectorILNS1_17partition_subalgoE9EyybEEZZNS1_14partition_implILS5_9ELb0ES3_jN6thrust23THRUST_200600_302600_NS6detail15normal_iteratorINS9_10device_ptrIyEEEESE_PNS0_10empty_typeENS0_5tupleIJSE_SF_EEENSH_IJSE_SG_EEENS0_18inequality_wrapperINS9_8equal_toIyEEEEPmJSF_EEE10hipError_tPvRmT3_T4_T5_T6_T7_T9_mT8_P12ihipStream_tbDpT10_ENKUlT_T0_E_clISt17integral_constantIbLb0EES18_EEDaS13_S14_EUlS13_E_NS1_11comp_targetILNS1_3genE2ELNS1_11target_archE906ELNS1_3gpuE6ELNS1_3repE0EEENS1_30default_config_static_selectorELNS0_4arch9wavefront6targetE0EEEvT1_
	.globl	_ZN7rocprim17ROCPRIM_400000_NS6detail17trampoline_kernelINS0_14default_configENS1_25partition_config_selectorILNS1_17partition_subalgoE9EyybEEZZNS1_14partition_implILS5_9ELb0ES3_jN6thrust23THRUST_200600_302600_NS6detail15normal_iteratorINS9_10device_ptrIyEEEESE_PNS0_10empty_typeENS0_5tupleIJSE_SF_EEENSH_IJSE_SG_EEENS0_18inequality_wrapperINS9_8equal_toIyEEEEPmJSF_EEE10hipError_tPvRmT3_T4_T5_T6_T7_T9_mT8_P12ihipStream_tbDpT10_ENKUlT_T0_E_clISt17integral_constantIbLb0EES18_EEDaS13_S14_EUlS13_E_NS1_11comp_targetILNS1_3genE2ELNS1_11target_archE906ELNS1_3gpuE6ELNS1_3repE0EEENS1_30default_config_static_selectorELNS0_4arch9wavefront6targetE0EEEvT1_
	.p2align	8
	.type	_ZN7rocprim17ROCPRIM_400000_NS6detail17trampoline_kernelINS0_14default_configENS1_25partition_config_selectorILNS1_17partition_subalgoE9EyybEEZZNS1_14partition_implILS5_9ELb0ES3_jN6thrust23THRUST_200600_302600_NS6detail15normal_iteratorINS9_10device_ptrIyEEEESE_PNS0_10empty_typeENS0_5tupleIJSE_SF_EEENSH_IJSE_SG_EEENS0_18inequality_wrapperINS9_8equal_toIyEEEEPmJSF_EEE10hipError_tPvRmT3_T4_T5_T6_T7_T9_mT8_P12ihipStream_tbDpT10_ENKUlT_T0_E_clISt17integral_constantIbLb0EES18_EEDaS13_S14_EUlS13_E_NS1_11comp_targetILNS1_3genE2ELNS1_11target_archE906ELNS1_3gpuE6ELNS1_3repE0EEENS1_30default_config_static_selectorELNS0_4arch9wavefront6targetE0EEEvT1_,@function
_ZN7rocprim17ROCPRIM_400000_NS6detail17trampoline_kernelINS0_14default_configENS1_25partition_config_selectorILNS1_17partition_subalgoE9EyybEEZZNS1_14partition_implILS5_9ELb0ES3_jN6thrust23THRUST_200600_302600_NS6detail15normal_iteratorINS9_10device_ptrIyEEEESE_PNS0_10empty_typeENS0_5tupleIJSE_SF_EEENSH_IJSE_SG_EEENS0_18inequality_wrapperINS9_8equal_toIyEEEEPmJSF_EEE10hipError_tPvRmT3_T4_T5_T6_T7_T9_mT8_P12ihipStream_tbDpT10_ENKUlT_T0_E_clISt17integral_constantIbLb0EES18_EEDaS13_S14_EUlS13_E_NS1_11comp_targetILNS1_3genE2ELNS1_11target_archE906ELNS1_3gpuE6ELNS1_3repE0EEENS1_30default_config_static_selectorELNS0_4arch9wavefront6targetE0EEEvT1_: ; @_ZN7rocprim17ROCPRIM_400000_NS6detail17trampoline_kernelINS0_14default_configENS1_25partition_config_selectorILNS1_17partition_subalgoE9EyybEEZZNS1_14partition_implILS5_9ELb0ES3_jN6thrust23THRUST_200600_302600_NS6detail15normal_iteratorINS9_10device_ptrIyEEEESE_PNS0_10empty_typeENS0_5tupleIJSE_SF_EEENSH_IJSE_SG_EEENS0_18inequality_wrapperINS9_8equal_toIyEEEEPmJSF_EEE10hipError_tPvRmT3_T4_T5_T6_T7_T9_mT8_P12ihipStream_tbDpT10_ENKUlT_T0_E_clISt17integral_constantIbLb0EES18_EEDaS13_S14_EUlS13_E_NS1_11comp_targetILNS1_3genE2ELNS1_11target_archE906ELNS1_3gpuE6ELNS1_3repE0EEENS1_30default_config_static_selectorELNS0_4arch9wavefront6targetE0EEEvT1_
; %bb.0:
	.section	.rodata,"a",@progbits
	.p2align	6, 0x0
	.amdhsa_kernel _ZN7rocprim17ROCPRIM_400000_NS6detail17trampoline_kernelINS0_14default_configENS1_25partition_config_selectorILNS1_17partition_subalgoE9EyybEEZZNS1_14partition_implILS5_9ELb0ES3_jN6thrust23THRUST_200600_302600_NS6detail15normal_iteratorINS9_10device_ptrIyEEEESE_PNS0_10empty_typeENS0_5tupleIJSE_SF_EEENSH_IJSE_SG_EEENS0_18inequality_wrapperINS9_8equal_toIyEEEEPmJSF_EEE10hipError_tPvRmT3_T4_T5_T6_T7_T9_mT8_P12ihipStream_tbDpT10_ENKUlT_T0_E_clISt17integral_constantIbLb0EES18_EEDaS13_S14_EUlS13_E_NS1_11comp_targetILNS1_3genE2ELNS1_11target_archE906ELNS1_3gpuE6ELNS1_3repE0EEENS1_30default_config_static_selectorELNS0_4arch9wavefront6targetE0EEEvT1_
		.amdhsa_group_segment_fixed_size 0
		.amdhsa_private_segment_fixed_size 0
		.amdhsa_kernarg_size 112
		.amdhsa_user_sgpr_count 15
		.amdhsa_user_sgpr_dispatch_ptr 0
		.amdhsa_user_sgpr_queue_ptr 0
		.amdhsa_user_sgpr_kernarg_segment_ptr 1
		.amdhsa_user_sgpr_dispatch_id 0
		.amdhsa_user_sgpr_private_segment_size 0
		.amdhsa_wavefront_size32 1
		.amdhsa_uses_dynamic_stack 0
		.amdhsa_enable_private_segment 0
		.amdhsa_system_sgpr_workgroup_id_x 1
		.amdhsa_system_sgpr_workgroup_id_y 0
		.amdhsa_system_sgpr_workgroup_id_z 0
		.amdhsa_system_sgpr_workgroup_info 0
		.amdhsa_system_vgpr_workitem_id 0
		.amdhsa_next_free_vgpr 1
		.amdhsa_next_free_sgpr 1
		.amdhsa_reserve_vcc 0
		.amdhsa_float_round_mode_32 0
		.amdhsa_float_round_mode_16_64 0
		.amdhsa_float_denorm_mode_32 3
		.amdhsa_float_denorm_mode_16_64 3
		.amdhsa_dx10_clamp 1
		.amdhsa_ieee_mode 1
		.amdhsa_fp16_overflow 0
		.amdhsa_workgroup_processor_mode 1
		.amdhsa_memory_ordered 1
		.amdhsa_forward_progress 0
		.amdhsa_shared_vgpr_count 0
		.amdhsa_exception_fp_ieee_invalid_op 0
		.amdhsa_exception_fp_denorm_src 0
		.amdhsa_exception_fp_ieee_div_zero 0
		.amdhsa_exception_fp_ieee_overflow 0
		.amdhsa_exception_fp_ieee_underflow 0
		.amdhsa_exception_fp_ieee_inexact 0
		.amdhsa_exception_int_div_zero 0
	.end_amdhsa_kernel
	.section	.text._ZN7rocprim17ROCPRIM_400000_NS6detail17trampoline_kernelINS0_14default_configENS1_25partition_config_selectorILNS1_17partition_subalgoE9EyybEEZZNS1_14partition_implILS5_9ELb0ES3_jN6thrust23THRUST_200600_302600_NS6detail15normal_iteratorINS9_10device_ptrIyEEEESE_PNS0_10empty_typeENS0_5tupleIJSE_SF_EEENSH_IJSE_SG_EEENS0_18inequality_wrapperINS9_8equal_toIyEEEEPmJSF_EEE10hipError_tPvRmT3_T4_T5_T6_T7_T9_mT8_P12ihipStream_tbDpT10_ENKUlT_T0_E_clISt17integral_constantIbLb0EES18_EEDaS13_S14_EUlS13_E_NS1_11comp_targetILNS1_3genE2ELNS1_11target_archE906ELNS1_3gpuE6ELNS1_3repE0EEENS1_30default_config_static_selectorELNS0_4arch9wavefront6targetE0EEEvT1_,"axG",@progbits,_ZN7rocprim17ROCPRIM_400000_NS6detail17trampoline_kernelINS0_14default_configENS1_25partition_config_selectorILNS1_17partition_subalgoE9EyybEEZZNS1_14partition_implILS5_9ELb0ES3_jN6thrust23THRUST_200600_302600_NS6detail15normal_iteratorINS9_10device_ptrIyEEEESE_PNS0_10empty_typeENS0_5tupleIJSE_SF_EEENSH_IJSE_SG_EEENS0_18inequality_wrapperINS9_8equal_toIyEEEEPmJSF_EEE10hipError_tPvRmT3_T4_T5_T6_T7_T9_mT8_P12ihipStream_tbDpT10_ENKUlT_T0_E_clISt17integral_constantIbLb0EES18_EEDaS13_S14_EUlS13_E_NS1_11comp_targetILNS1_3genE2ELNS1_11target_archE906ELNS1_3gpuE6ELNS1_3repE0EEENS1_30default_config_static_selectorELNS0_4arch9wavefront6targetE0EEEvT1_,comdat
.Lfunc_end149:
	.size	_ZN7rocprim17ROCPRIM_400000_NS6detail17trampoline_kernelINS0_14default_configENS1_25partition_config_selectorILNS1_17partition_subalgoE9EyybEEZZNS1_14partition_implILS5_9ELb0ES3_jN6thrust23THRUST_200600_302600_NS6detail15normal_iteratorINS9_10device_ptrIyEEEESE_PNS0_10empty_typeENS0_5tupleIJSE_SF_EEENSH_IJSE_SG_EEENS0_18inequality_wrapperINS9_8equal_toIyEEEEPmJSF_EEE10hipError_tPvRmT3_T4_T5_T6_T7_T9_mT8_P12ihipStream_tbDpT10_ENKUlT_T0_E_clISt17integral_constantIbLb0EES18_EEDaS13_S14_EUlS13_E_NS1_11comp_targetILNS1_3genE2ELNS1_11target_archE906ELNS1_3gpuE6ELNS1_3repE0EEENS1_30default_config_static_selectorELNS0_4arch9wavefront6targetE0EEEvT1_, .Lfunc_end149-_ZN7rocprim17ROCPRIM_400000_NS6detail17trampoline_kernelINS0_14default_configENS1_25partition_config_selectorILNS1_17partition_subalgoE9EyybEEZZNS1_14partition_implILS5_9ELb0ES3_jN6thrust23THRUST_200600_302600_NS6detail15normal_iteratorINS9_10device_ptrIyEEEESE_PNS0_10empty_typeENS0_5tupleIJSE_SF_EEENSH_IJSE_SG_EEENS0_18inequality_wrapperINS9_8equal_toIyEEEEPmJSF_EEE10hipError_tPvRmT3_T4_T5_T6_T7_T9_mT8_P12ihipStream_tbDpT10_ENKUlT_T0_E_clISt17integral_constantIbLb0EES18_EEDaS13_S14_EUlS13_E_NS1_11comp_targetILNS1_3genE2ELNS1_11target_archE906ELNS1_3gpuE6ELNS1_3repE0EEENS1_30default_config_static_selectorELNS0_4arch9wavefront6targetE0EEEvT1_
                                        ; -- End function
	.section	.AMDGPU.csdata,"",@progbits
; Kernel info:
; codeLenInByte = 0
; NumSgprs: 0
; NumVgprs: 0
; ScratchSize: 0
; MemoryBound: 0
; FloatMode: 240
; IeeeMode: 1
; LDSByteSize: 0 bytes/workgroup (compile time only)
; SGPRBlocks: 0
; VGPRBlocks: 0
; NumSGPRsForWavesPerEU: 1
; NumVGPRsForWavesPerEU: 1
; Occupancy: 15
; WaveLimiterHint : 0
; COMPUTE_PGM_RSRC2:SCRATCH_EN: 0
; COMPUTE_PGM_RSRC2:USER_SGPR: 15
; COMPUTE_PGM_RSRC2:TRAP_HANDLER: 0
; COMPUTE_PGM_RSRC2:TGID_X_EN: 1
; COMPUTE_PGM_RSRC2:TGID_Y_EN: 0
; COMPUTE_PGM_RSRC2:TGID_Z_EN: 0
; COMPUTE_PGM_RSRC2:TIDIG_COMP_CNT: 0
	.section	.text._ZN7rocprim17ROCPRIM_400000_NS6detail17trampoline_kernelINS0_14default_configENS1_25partition_config_selectorILNS1_17partition_subalgoE9EyybEEZZNS1_14partition_implILS5_9ELb0ES3_jN6thrust23THRUST_200600_302600_NS6detail15normal_iteratorINS9_10device_ptrIyEEEESE_PNS0_10empty_typeENS0_5tupleIJSE_SF_EEENSH_IJSE_SG_EEENS0_18inequality_wrapperINS9_8equal_toIyEEEEPmJSF_EEE10hipError_tPvRmT3_T4_T5_T6_T7_T9_mT8_P12ihipStream_tbDpT10_ENKUlT_T0_E_clISt17integral_constantIbLb0EES18_EEDaS13_S14_EUlS13_E_NS1_11comp_targetILNS1_3genE10ELNS1_11target_archE1200ELNS1_3gpuE4ELNS1_3repE0EEENS1_30default_config_static_selectorELNS0_4arch9wavefront6targetE0EEEvT1_,"axG",@progbits,_ZN7rocprim17ROCPRIM_400000_NS6detail17trampoline_kernelINS0_14default_configENS1_25partition_config_selectorILNS1_17partition_subalgoE9EyybEEZZNS1_14partition_implILS5_9ELb0ES3_jN6thrust23THRUST_200600_302600_NS6detail15normal_iteratorINS9_10device_ptrIyEEEESE_PNS0_10empty_typeENS0_5tupleIJSE_SF_EEENSH_IJSE_SG_EEENS0_18inequality_wrapperINS9_8equal_toIyEEEEPmJSF_EEE10hipError_tPvRmT3_T4_T5_T6_T7_T9_mT8_P12ihipStream_tbDpT10_ENKUlT_T0_E_clISt17integral_constantIbLb0EES18_EEDaS13_S14_EUlS13_E_NS1_11comp_targetILNS1_3genE10ELNS1_11target_archE1200ELNS1_3gpuE4ELNS1_3repE0EEENS1_30default_config_static_selectorELNS0_4arch9wavefront6targetE0EEEvT1_,comdat
	.protected	_ZN7rocprim17ROCPRIM_400000_NS6detail17trampoline_kernelINS0_14default_configENS1_25partition_config_selectorILNS1_17partition_subalgoE9EyybEEZZNS1_14partition_implILS5_9ELb0ES3_jN6thrust23THRUST_200600_302600_NS6detail15normal_iteratorINS9_10device_ptrIyEEEESE_PNS0_10empty_typeENS0_5tupleIJSE_SF_EEENSH_IJSE_SG_EEENS0_18inequality_wrapperINS9_8equal_toIyEEEEPmJSF_EEE10hipError_tPvRmT3_T4_T5_T6_T7_T9_mT8_P12ihipStream_tbDpT10_ENKUlT_T0_E_clISt17integral_constantIbLb0EES18_EEDaS13_S14_EUlS13_E_NS1_11comp_targetILNS1_3genE10ELNS1_11target_archE1200ELNS1_3gpuE4ELNS1_3repE0EEENS1_30default_config_static_selectorELNS0_4arch9wavefront6targetE0EEEvT1_ ; -- Begin function _ZN7rocprim17ROCPRIM_400000_NS6detail17trampoline_kernelINS0_14default_configENS1_25partition_config_selectorILNS1_17partition_subalgoE9EyybEEZZNS1_14partition_implILS5_9ELb0ES3_jN6thrust23THRUST_200600_302600_NS6detail15normal_iteratorINS9_10device_ptrIyEEEESE_PNS0_10empty_typeENS0_5tupleIJSE_SF_EEENSH_IJSE_SG_EEENS0_18inequality_wrapperINS9_8equal_toIyEEEEPmJSF_EEE10hipError_tPvRmT3_T4_T5_T6_T7_T9_mT8_P12ihipStream_tbDpT10_ENKUlT_T0_E_clISt17integral_constantIbLb0EES18_EEDaS13_S14_EUlS13_E_NS1_11comp_targetILNS1_3genE10ELNS1_11target_archE1200ELNS1_3gpuE4ELNS1_3repE0EEENS1_30default_config_static_selectorELNS0_4arch9wavefront6targetE0EEEvT1_
	.globl	_ZN7rocprim17ROCPRIM_400000_NS6detail17trampoline_kernelINS0_14default_configENS1_25partition_config_selectorILNS1_17partition_subalgoE9EyybEEZZNS1_14partition_implILS5_9ELb0ES3_jN6thrust23THRUST_200600_302600_NS6detail15normal_iteratorINS9_10device_ptrIyEEEESE_PNS0_10empty_typeENS0_5tupleIJSE_SF_EEENSH_IJSE_SG_EEENS0_18inequality_wrapperINS9_8equal_toIyEEEEPmJSF_EEE10hipError_tPvRmT3_T4_T5_T6_T7_T9_mT8_P12ihipStream_tbDpT10_ENKUlT_T0_E_clISt17integral_constantIbLb0EES18_EEDaS13_S14_EUlS13_E_NS1_11comp_targetILNS1_3genE10ELNS1_11target_archE1200ELNS1_3gpuE4ELNS1_3repE0EEENS1_30default_config_static_selectorELNS0_4arch9wavefront6targetE0EEEvT1_
	.p2align	8
	.type	_ZN7rocprim17ROCPRIM_400000_NS6detail17trampoline_kernelINS0_14default_configENS1_25partition_config_selectorILNS1_17partition_subalgoE9EyybEEZZNS1_14partition_implILS5_9ELb0ES3_jN6thrust23THRUST_200600_302600_NS6detail15normal_iteratorINS9_10device_ptrIyEEEESE_PNS0_10empty_typeENS0_5tupleIJSE_SF_EEENSH_IJSE_SG_EEENS0_18inequality_wrapperINS9_8equal_toIyEEEEPmJSF_EEE10hipError_tPvRmT3_T4_T5_T6_T7_T9_mT8_P12ihipStream_tbDpT10_ENKUlT_T0_E_clISt17integral_constantIbLb0EES18_EEDaS13_S14_EUlS13_E_NS1_11comp_targetILNS1_3genE10ELNS1_11target_archE1200ELNS1_3gpuE4ELNS1_3repE0EEENS1_30default_config_static_selectorELNS0_4arch9wavefront6targetE0EEEvT1_,@function
_ZN7rocprim17ROCPRIM_400000_NS6detail17trampoline_kernelINS0_14default_configENS1_25partition_config_selectorILNS1_17partition_subalgoE9EyybEEZZNS1_14partition_implILS5_9ELb0ES3_jN6thrust23THRUST_200600_302600_NS6detail15normal_iteratorINS9_10device_ptrIyEEEESE_PNS0_10empty_typeENS0_5tupleIJSE_SF_EEENSH_IJSE_SG_EEENS0_18inequality_wrapperINS9_8equal_toIyEEEEPmJSF_EEE10hipError_tPvRmT3_T4_T5_T6_T7_T9_mT8_P12ihipStream_tbDpT10_ENKUlT_T0_E_clISt17integral_constantIbLb0EES18_EEDaS13_S14_EUlS13_E_NS1_11comp_targetILNS1_3genE10ELNS1_11target_archE1200ELNS1_3gpuE4ELNS1_3repE0EEENS1_30default_config_static_selectorELNS0_4arch9wavefront6targetE0EEEvT1_: ; @_ZN7rocprim17ROCPRIM_400000_NS6detail17trampoline_kernelINS0_14default_configENS1_25partition_config_selectorILNS1_17partition_subalgoE9EyybEEZZNS1_14partition_implILS5_9ELb0ES3_jN6thrust23THRUST_200600_302600_NS6detail15normal_iteratorINS9_10device_ptrIyEEEESE_PNS0_10empty_typeENS0_5tupleIJSE_SF_EEENSH_IJSE_SG_EEENS0_18inequality_wrapperINS9_8equal_toIyEEEEPmJSF_EEE10hipError_tPvRmT3_T4_T5_T6_T7_T9_mT8_P12ihipStream_tbDpT10_ENKUlT_T0_E_clISt17integral_constantIbLb0EES18_EEDaS13_S14_EUlS13_E_NS1_11comp_targetILNS1_3genE10ELNS1_11target_archE1200ELNS1_3gpuE4ELNS1_3repE0EEENS1_30default_config_static_selectorELNS0_4arch9wavefront6targetE0EEEvT1_
; %bb.0:
	.section	.rodata,"a",@progbits
	.p2align	6, 0x0
	.amdhsa_kernel _ZN7rocprim17ROCPRIM_400000_NS6detail17trampoline_kernelINS0_14default_configENS1_25partition_config_selectorILNS1_17partition_subalgoE9EyybEEZZNS1_14partition_implILS5_9ELb0ES3_jN6thrust23THRUST_200600_302600_NS6detail15normal_iteratorINS9_10device_ptrIyEEEESE_PNS0_10empty_typeENS0_5tupleIJSE_SF_EEENSH_IJSE_SG_EEENS0_18inequality_wrapperINS9_8equal_toIyEEEEPmJSF_EEE10hipError_tPvRmT3_T4_T5_T6_T7_T9_mT8_P12ihipStream_tbDpT10_ENKUlT_T0_E_clISt17integral_constantIbLb0EES18_EEDaS13_S14_EUlS13_E_NS1_11comp_targetILNS1_3genE10ELNS1_11target_archE1200ELNS1_3gpuE4ELNS1_3repE0EEENS1_30default_config_static_selectorELNS0_4arch9wavefront6targetE0EEEvT1_
		.amdhsa_group_segment_fixed_size 0
		.amdhsa_private_segment_fixed_size 0
		.amdhsa_kernarg_size 112
		.amdhsa_user_sgpr_count 15
		.amdhsa_user_sgpr_dispatch_ptr 0
		.amdhsa_user_sgpr_queue_ptr 0
		.amdhsa_user_sgpr_kernarg_segment_ptr 1
		.amdhsa_user_sgpr_dispatch_id 0
		.amdhsa_user_sgpr_private_segment_size 0
		.amdhsa_wavefront_size32 1
		.amdhsa_uses_dynamic_stack 0
		.amdhsa_enable_private_segment 0
		.amdhsa_system_sgpr_workgroup_id_x 1
		.amdhsa_system_sgpr_workgroup_id_y 0
		.amdhsa_system_sgpr_workgroup_id_z 0
		.amdhsa_system_sgpr_workgroup_info 0
		.amdhsa_system_vgpr_workitem_id 0
		.amdhsa_next_free_vgpr 1
		.amdhsa_next_free_sgpr 1
		.amdhsa_reserve_vcc 0
		.amdhsa_float_round_mode_32 0
		.amdhsa_float_round_mode_16_64 0
		.amdhsa_float_denorm_mode_32 3
		.amdhsa_float_denorm_mode_16_64 3
		.amdhsa_dx10_clamp 1
		.amdhsa_ieee_mode 1
		.amdhsa_fp16_overflow 0
		.amdhsa_workgroup_processor_mode 1
		.amdhsa_memory_ordered 1
		.amdhsa_forward_progress 0
		.amdhsa_shared_vgpr_count 0
		.amdhsa_exception_fp_ieee_invalid_op 0
		.amdhsa_exception_fp_denorm_src 0
		.amdhsa_exception_fp_ieee_div_zero 0
		.amdhsa_exception_fp_ieee_overflow 0
		.amdhsa_exception_fp_ieee_underflow 0
		.amdhsa_exception_fp_ieee_inexact 0
		.amdhsa_exception_int_div_zero 0
	.end_amdhsa_kernel
	.section	.text._ZN7rocprim17ROCPRIM_400000_NS6detail17trampoline_kernelINS0_14default_configENS1_25partition_config_selectorILNS1_17partition_subalgoE9EyybEEZZNS1_14partition_implILS5_9ELb0ES3_jN6thrust23THRUST_200600_302600_NS6detail15normal_iteratorINS9_10device_ptrIyEEEESE_PNS0_10empty_typeENS0_5tupleIJSE_SF_EEENSH_IJSE_SG_EEENS0_18inequality_wrapperINS9_8equal_toIyEEEEPmJSF_EEE10hipError_tPvRmT3_T4_T5_T6_T7_T9_mT8_P12ihipStream_tbDpT10_ENKUlT_T0_E_clISt17integral_constantIbLb0EES18_EEDaS13_S14_EUlS13_E_NS1_11comp_targetILNS1_3genE10ELNS1_11target_archE1200ELNS1_3gpuE4ELNS1_3repE0EEENS1_30default_config_static_selectorELNS0_4arch9wavefront6targetE0EEEvT1_,"axG",@progbits,_ZN7rocprim17ROCPRIM_400000_NS6detail17trampoline_kernelINS0_14default_configENS1_25partition_config_selectorILNS1_17partition_subalgoE9EyybEEZZNS1_14partition_implILS5_9ELb0ES3_jN6thrust23THRUST_200600_302600_NS6detail15normal_iteratorINS9_10device_ptrIyEEEESE_PNS0_10empty_typeENS0_5tupleIJSE_SF_EEENSH_IJSE_SG_EEENS0_18inequality_wrapperINS9_8equal_toIyEEEEPmJSF_EEE10hipError_tPvRmT3_T4_T5_T6_T7_T9_mT8_P12ihipStream_tbDpT10_ENKUlT_T0_E_clISt17integral_constantIbLb0EES18_EEDaS13_S14_EUlS13_E_NS1_11comp_targetILNS1_3genE10ELNS1_11target_archE1200ELNS1_3gpuE4ELNS1_3repE0EEENS1_30default_config_static_selectorELNS0_4arch9wavefront6targetE0EEEvT1_,comdat
.Lfunc_end150:
	.size	_ZN7rocprim17ROCPRIM_400000_NS6detail17trampoline_kernelINS0_14default_configENS1_25partition_config_selectorILNS1_17partition_subalgoE9EyybEEZZNS1_14partition_implILS5_9ELb0ES3_jN6thrust23THRUST_200600_302600_NS6detail15normal_iteratorINS9_10device_ptrIyEEEESE_PNS0_10empty_typeENS0_5tupleIJSE_SF_EEENSH_IJSE_SG_EEENS0_18inequality_wrapperINS9_8equal_toIyEEEEPmJSF_EEE10hipError_tPvRmT3_T4_T5_T6_T7_T9_mT8_P12ihipStream_tbDpT10_ENKUlT_T0_E_clISt17integral_constantIbLb0EES18_EEDaS13_S14_EUlS13_E_NS1_11comp_targetILNS1_3genE10ELNS1_11target_archE1200ELNS1_3gpuE4ELNS1_3repE0EEENS1_30default_config_static_selectorELNS0_4arch9wavefront6targetE0EEEvT1_, .Lfunc_end150-_ZN7rocprim17ROCPRIM_400000_NS6detail17trampoline_kernelINS0_14default_configENS1_25partition_config_selectorILNS1_17partition_subalgoE9EyybEEZZNS1_14partition_implILS5_9ELb0ES3_jN6thrust23THRUST_200600_302600_NS6detail15normal_iteratorINS9_10device_ptrIyEEEESE_PNS0_10empty_typeENS0_5tupleIJSE_SF_EEENSH_IJSE_SG_EEENS0_18inequality_wrapperINS9_8equal_toIyEEEEPmJSF_EEE10hipError_tPvRmT3_T4_T5_T6_T7_T9_mT8_P12ihipStream_tbDpT10_ENKUlT_T0_E_clISt17integral_constantIbLb0EES18_EEDaS13_S14_EUlS13_E_NS1_11comp_targetILNS1_3genE10ELNS1_11target_archE1200ELNS1_3gpuE4ELNS1_3repE0EEENS1_30default_config_static_selectorELNS0_4arch9wavefront6targetE0EEEvT1_
                                        ; -- End function
	.section	.AMDGPU.csdata,"",@progbits
; Kernel info:
; codeLenInByte = 0
; NumSgprs: 0
; NumVgprs: 0
; ScratchSize: 0
; MemoryBound: 0
; FloatMode: 240
; IeeeMode: 1
; LDSByteSize: 0 bytes/workgroup (compile time only)
; SGPRBlocks: 0
; VGPRBlocks: 0
; NumSGPRsForWavesPerEU: 1
; NumVGPRsForWavesPerEU: 1
; Occupancy: 15
; WaveLimiterHint : 0
; COMPUTE_PGM_RSRC2:SCRATCH_EN: 0
; COMPUTE_PGM_RSRC2:USER_SGPR: 15
; COMPUTE_PGM_RSRC2:TRAP_HANDLER: 0
; COMPUTE_PGM_RSRC2:TGID_X_EN: 1
; COMPUTE_PGM_RSRC2:TGID_Y_EN: 0
; COMPUTE_PGM_RSRC2:TGID_Z_EN: 0
; COMPUTE_PGM_RSRC2:TIDIG_COMP_CNT: 0
	.section	.text._ZN7rocprim17ROCPRIM_400000_NS6detail17trampoline_kernelINS0_14default_configENS1_25partition_config_selectorILNS1_17partition_subalgoE9EyybEEZZNS1_14partition_implILS5_9ELb0ES3_jN6thrust23THRUST_200600_302600_NS6detail15normal_iteratorINS9_10device_ptrIyEEEESE_PNS0_10empty_typeENS0_5tupleIJSE_SF_EEENSH_IJSE_SG_EEENS0_18inequality_wrapperINS9_8equal_toIyEEEEPmJSF_EEE10hipError_tPvRmT3_T4_T5_T6_T7_T9_mT8_P12ihipStream_tbDpT10_ENKUlT_T0_E_clISt17integral_constantIbLb0EES18_EEDaS13_S14_EUlS13_E_NS1_11comp_targetILNS1_3genE9ELNS1_11target_archE1100ELNS1_3gpuE3ELNS1_3repE0EEENS1_30default_config_static_selectorELNS0_4arch9wavefront6targetE0EEEvT1_,"axG",@progbits,_ZN7rocprim17ROCPRIM_400000_NS6detail17trampoline_kernelINS0_14default_configENS1_25partition_config_selectorILNS1_17partition_subalgoE9EyybEEZZNS1_14partition_implILS5_9ELb0ES3_jN6thrust23THRUST_200600_302600_NS6detail15normal_iteratorINS9_10device_ptrIyEEEESE_PNS0_10empty_typeENS0_5tupleIJSE_SF_EEENSH_IJSE_SG_EEENS0_18inequality_wrapperINS9_8equal_toIyEEEEPmJSF_EEE10hipError_tPvRmT3_T4_T5_T6_T7_T9_mT8_P12ihipStream_tbDpT10_ENKUlT_T0_E_clISt17integral_constantIbLb0EES18_EEDaS13_S14_EUlS13_E_NS1_11comp_targetILNS1_3genE9ELNS1_11target_archE1100ELNS1_3gpuE3ELNS1_3repE0EEENS1_30default_config_static_selectorELNS0_4arch9wavefront6targetE0EEEvT1_,comdat
	.protected	_ZN7rocprim17ROCPRIM_400000_NS6detail17trampoline_kernelINS0_14default_configENS1_25partition_config_selectorILNS1_17partition_subalgoE9EyybEEZZNS1_14partition_implILS5_9ELb0ES3_jN6thrust23THRUST_200600_302600_NS6detail15normal_iteratorINS9_10device_ptrIyEEEESE_PNS0_10empty_typeENS0_5tupleIJSE_SF_EEENSH_IJSE_SG_EEENS0_18inequality_wrapperINS9_8equal_toIyEEEEPmJSF_EEE10hipError_tPvRmT3_T4_T5_T6_T7_T9_mT8_P12ihipStream_tbDpT10_ENKUlT_T0_E_clISt17integral_constantIbLb0EES18_EEDaS13_S14_EUlS13_E_NS1_11comp_targetILNS1_3genE9ELNS1_11target_archE1100ELNS1_3gpuE3ELNS1_3repE0EEENS1_30default_config_static_selectorELNS0_4arch9wavefront6targetE0EEEvT1_ ; -- Begin function _ZN7rocprim17ROCPRIM_400000_NS6detail17trampoline_kernelINS0_14default_configENS1_25partition_config_selectorILNS1_17partition_subalgoE9EyybEEZZNS1_14partition_implILS5_9ELb0ES3_jN6thrust23THRUST_200600_302600_NS6detail15normal_iteratorINS9_10device_ptrIyEEEESE_PNS0_10empty_typeENS0_5tupleIJSE_SF_EEENSH_IJSE_SG_EEENS0_18inequality_wrapperINS9_8equal_toIyEEEEPmJSF_EEE10hipError_tPvRmT3_T4_T5_T6_T7_T9_mT8_P12ihipStream_tbDpT10_ENKUlT_T0_E_clISt17integral_constantIbLb0EES18_EEDaS13_S14_EUlS13_E_NS1_11comp_targetILNS1_3genE9ELNS1_11target_archE1100ELNS1_3gpuE3ELNS1_3repE0EEENS1_30default_config_static_selectorELNS0_4arch9wavefront6targetE0EEEvT1_
	.globl	_ZN7rocprim17ROCPRIM_400000_NS6detail17trampoline_kernelINS0_14default_configENS1_25partition_config_selectorILNS1_17partition_subalgoE9EyybEEZZNS1_14partition_implILS5_9ELb0ES3_jN6thrust23THRUST_200600_302600_NS6detail15normal_iteratorINS9_10device_ptrIyEEEESE_PNS0_10empty_typeENS0_5tupleIJSE_SF_EEENSH_IJSE_SG_EEENS0_18inequality_wrapperINS9_8equal_toIyEEEEPmJSF_EEE10hipError_tPvRmT3_T4_T5_T6_T7_T9_mT8_P12ihipStream_tbDpT10_ENKUlT_T0_E_clISt17integral_constantIbLb0EES18_EEDaS13_S14_EUlS13_E_NS1_11comp_targetILNS1_3genE9ELNS1_11target_archE1100ELNS1_3gpuE3ELNS1_3repE0EEENS1_30default_config_static_selectorELNS0_4arch9wavefront6targetE0EEEvT1_
	.p2align	8
	.type	_ZN7rocprim17ROCPRIM_400000_NS6detail17trampoline_kernelINS0_14default_configENS1_25partition_config_selectorILNS1_17partition_subalgoE9EyybEEZZNS1_14partition_implILS5_9ELb0ES3_jN6thrust23THRUST_200600_302600_NS6detail15normal_iteratorINS9_10device_ptrIyEEEESE_PNS0_10empty_typeENS0_5tupleIJSE_SF_EEENSH_IJSE_SG_EEENS0_18inequality_wrapperINS9_8equal_toIyEEEEPmJSF_EEE10hipError_tPvRmT3_T4_T5_T6_T7_T9_mT8_P12ihipStream_tbDpT10_ENKUlT_T0_E_clISt17integral_constantIbLb0EES18_EEDaS13_S14_EUlS13_E_NS1_11comp_targetILNS1_3genE9ELNS1_11target_archE1100ELNS1_3gpuE3ELNS1_3repE0EEENS1_30default_config_static_selectorELNS0_4arch9wavefront6targetE0EEEvT1_,@function
_ZN7rocprim17ROCPRIM_400000_NS6detail17trampoline_kernelINS0_14default_configENS1_25partition_config_selectorILNS1_17partition_subalgoE9EyybEEZZNS1_14partition_implILS5_9ELb0ES3_jN6thrust23THRUST_200600_302600_NS6detail15normal_iteratorINS9_10device_ptrIyEEEESE_PNS0_10empty_typeENS0_5tupleIJSE_SF_EEENSH_IJSE_SG_EEENS0_18inequality_wrapperINS9_8equal_toIyEEEEPmJSF_EEE10hipError_tPvRmT3_T4_T5_T6_T7_T9_mT8_P12ihipStream_tbDpT10_ENKUlT_T0_E_clISt17integral_constantIbLb0EES18_EEDaS13_S14_EUlS13_E_NS1_11comp_targetILNS1_3genE9ELNS1_11target_archE1100ELNS1_3gpuE3ELNS1_3repE0EEENS1_30default_config_static_selectorELNS0_4arch9wavefront6targetE0EEEvT1_: ; @_ZN7rocprim17ROCPRIM_400000_NS6detail17trampoline_kernelINS0_14default_configENS1_25partition_config_selectorILNS1_17partition_subalgoE9EyybEEZZNS1_14partition_implILS5_9ELb0ES3_jN6thrust23THRUST_200600_302600_NS6detail15normal_iteratorINS9_10device_ptrIyEEEESE_PNS0_10empty_typeENS0_5tupleIJSE_SF_EEENSH_IJSE_SG_EEENS0_18inequality_wrapperINS9_8equal_toIyEEEEPmJSF_EEE10hipError_tPvRmT3_T4_T5_T6_T7_T9_mT8_P12ihipStream_tbDpT10_ENKUlT_T0_E_clISt17integral_constantIbLb0EES18_EEDaS13_S14_EUlS13_E_NS1_11comp_targetILNS1_3genE9ELNS1_11target_archE1100ELNS1_3gpuE3ELNS1_3repE0EEENS1_30default_config_static_selectorELNS0_4arch9wavefront6targetE0EEEvT1_
; %bb.0:
	s_clause 0x4
	s_load_b128 s[4:7], s[0:1], 0x8
	s_load_b32 s14, s[0:1], 0x68
	s_load_b128 s[16:19], s[0:1], 0x40
	s_load_b64 s[2:3], s[0:1], 0x50
	s_load_b64 s[8:9], s[0:1], 0x18
	s_mov_b32 s23, 0
	v_lshlrev_b32_e32 v55, 3, v0
	v_lshrrev_b32_e32 v33, 2, v0
	v_or_b32_e32 v38, 0x200, v0
	v_or_b32_e32 v36, 0x400, v0
	;; [unrolled: 1-line block ×7, first 2 shown]
	s_waitcnt lgkmcnt(0)
	s_lshl_b64 s[12:13], s[6:7], 3
	s_delay_alu instid0(SALU_CYCLE_1)
	s_add_u32 s21, s4, s12
	s_addc_u32 s24, s5, s13
	s_add_i32 s20, s14, -1
	s_load_b64 s[10:11], s[18:19], 0x0
	s_lshl_b32 s4, s20, 12
	s_lshl_b32 s5, s14, 12
	s_add_i32 s4, s6, s4
	s_lshl_b32 s22, s15, 12
	s_sub_i32 s19, s2, s4
	s_add_u32 s4, s6, s5
	s_addc_u32 s5, s7, 0
	s_cmp_eq_u32 s15, s20
	v_cmp_ge_u64_e64 s2, s[4:5], s[2:3]
	s_cselect_b32 s14, -1, 0
	s_lshl_b64 s[4:5], s[22:23], 3
	s_mov_b32 s22, -1
	s_delay_alu instid0(VALU_DEP_1) | instskip(NEXT) | instid1(SALU_CYCLE_1)
	s_and_b32 s20, s14, s2
	s_xor_b32 s18, s20, -1
	s_add_u32 s21, s21, s4
	s_addc_u32 s3, s24, s5
	s_and_b32 vcc_lo, exec_lo, s18
	s_cbranch_vccz .LBB151_2
; %bb.1:
	v_add_co_u32 v1, s2, s21, v55
	s_delay_alu instid0(VALU_DEP_1) | instskip(SKIP_1) | instid1(VALU_DEP_3)
	v_add_co_ci_u32_e64 v2, null, s3, 0, s2
	v_lshrrev_b32_e32 v18, 2, v38
	v_add_co_u32 v3, vcc_lo, 0x1000, v1
	s_delay_alu instid0(VALU_DEP_3)
	v_add_co_ci_u32_e32 v4, vcc_lo, 0, v2, vcc_lo
	v_add_co_u32 v5, vcc_lo, 0x2000, v1
	v_add_co_ci_u32_e32 v6, vcc_lo, 0, v2, vcc_lo
	v_add_co_u32 v7, vcc_lo, 0x3000, v1
	;; [unrolled: 2-line block ×6, first 2 shown]
	v_add_co_ci_u32_e32 v16, vcc_lo, 0, v2, vcc_lo
	s_clause 0x7
	flat_load_b64 v[1:2], v[1:2]
	flat_load_b64 v[3:4], v[3:4]
	flat_load_b64 v[5:6], v[5:6]
	flat_load_b64 v[7:8], v[7:8]
	flat_load_b64 v[9:10], v[9:10]
	flat_load_b64 v[11:12], v[11:12]
	flat_load_b64 v[13:14], v[13:14]
	flat_load_b64 v[15:16], v[15:16]
	v_lshrrev_b32_e32 v19, 2, v36
	v_lshrrev_b32_e32 v20, 2, v40
	;; [unrolled: 1-line block ×3, first 2 shown]
	v_and_b32_e32 v17, 0x78, v33
	v_lshrrev_b32_e32 v22, 2, v37
	v_lshrrev_b32_e32 v23, 2, v34
	;; [unrolled: 1-line block ×3, first 2 shown]
	v_and_b32_e32 v18, 0xf8, v18
	v_and_b32_e32 v19, 0x178, v19
	;; [unrolled: 1-line block ×4, first 2 shown]
	v_add_nc_u32_e32 v17, v17, v55
	v_and_b32_e32 v22, 0x2f8, v22
	v_and_b32_e32 v23, 0x378, v23
	;; [unrolled: 1-line block ×3, first 2 shown]
	v_add_nc_u32_e32 v18, v18, v55
	v_add_nc_u32_e32 v19, v19, v55
	;; [unrolled: 1-line block ×4, first 2 shown]
	s_mov_b32 s22, 0
	v_add_nc_u32_e32 v22, v22, v55
	v_add_nc_u32_e32 v23, v23, v55
	;; [unrolled: 1-line block ×3, first 2 shown]
	s_waitcnt vmcnt(7) lgkmcnt(0)
	ds_store_b64 v17, v[1:2]
	s_waitcnt vmcnt(6)
	ds_store_b64 v18, v[3:4] offset:4096
	s_waitcnt vmcnt(5)
	ds_store_b64 v19, v[5:6] offset:8192
	;; [unrolled: 2-line block ×7, first 2 shown]
	s_waitcnt lgkmcnt(0)
	s_barrier
.LBB151_2:
	v_cmp_gt_u32_e64 s2, s19, v0
	s_and_not1_b32 vcc_lo, exec_lo, s22
	s_cbranch_vccnz .LBB151_20
; %bb.3:
                                        ; implicit-def: $vgpr1_vgpr2_vgpr3_vgpr4_vgpr5_vgpr6_vgpr7_vgpr8_vgpr9_vgpr10_vgpr11_vgpr12_vgpr13_vgpr14_vgpr15_vgpr16
	s_delay_alu instid0(VALU_DEP_1)
	s_and_saveexec_b32 s22, s2
	s_cbranch_execz .LBB151_11
; %bb.4:
	v_add_co_u32 v1, s2, s21, v55
	s_delay_alu instid0(VALU_DEP_1) | instskip(SKIP_2) | instid1(SALU_CYCLE_1)
	v_add_co_ci_u32_e64 v2, null, s3, 0, s2
	flat_load_b64 v[1:2], v[1:2]
	s_or_b32 exec_lo, exec_lo, s22
	s_mov_b32 s2, exec_lo
	v_cmpx_gt_u32_e64 s19, v38
	s_cbranch_execnz .LBB151_12
.LBB151_5:
	s_or_b32 exec_lo, exec_lo, s2
	s_delay_alu instid0(SALU_CYCLE_1)
	s_mov_b32 s2, exec_lo
	v_cmpx_gt_u32_e64 s19, v36
	s_cbranch_execz .LBB151_13
.LBB151_6:
	v_lshlrev_b32_e32 v5, 3, v36
	s_delay_alu instid0(VALU_DEP_1) | instskip(NEXT) | instid1(VALU_DEP_1)
	v_add_co_u32 v5, s22, s21, v5
	v_add_co_ci_u32_e64 v6, null, s3, 0, s22
	flat_load_b64 v[5:6], v[5:6]
	s_or_b32 exec_lo, exec_lo, s2
	s_delay_alu instid0(SALU_CYCLE_1)
	s_mov_b32 s2, exec_lo
	v_cmpx_gt_u32_e64 s19, v40
	s_cbranch_execnz .LBB151_14
.LBB151_7:
	s_or_b32 exec_lo, exec_lo, s2
	s_delay_alu instid0(SALU_CYCLE_1)
	s_mov_b32 s2, exec_lo
	v_cmpx_gt_u32_e64 s19, v39
	s_cbranch_execz .LBB151_15
.LBB151_8:
	v_lshlrev_b32_e32 v9, 3, v39
	s_delay_alu instid0(VALU_DEP_1) | instskip(NEXT) | instid1(VALU_DEP_1)
	v_add_co_u32 v9, s22, s21, v9
	v_add_co_ci_u32_e64 v10, null, s3, 0, s22
	flat_load_b64 v[9:10], v[9:10]
	s_or_b32 exec_lo, exec_lo, s2
	s_delay_alu instid0(SALU_CYCLE_1)
	s_mov_b32 s2, exec_lo
	v_cmpx_gt_u32_e64 s19, v37
	s_cbranch_execnz .LBB151_16
.LBB151_9:
	s_or_b32 exec_lo, exec_lo, s2
	s_delay_alu instid0(SALU_CYCLE_1)
	s_mov_b32 s2, exec_lo
	v_cmpx_gt_u32_e64 s19, v34
	s_cbranch_execz .LBB151_17
.LBB151_10:
	v_lshlrev_b32_e32 v13, 3, v34
	s_delay_alu instid0(VALU_DEP_1) | instskip(NEXT) | instid1(VALU_DEP_1)
	v_add_co_u32 v13, s22, s21, v13
	v_add_co_ci_u32_e64 v14, null, s3, 0, s22
	flat_load_b64 v[13:14], v[13:14]
	s_or_b32 exec_lo, exec_lo, s2
	s_delay_alu instid0(SALU_CYCLE_1)
	s_mov_b32 s2, exec_lo
	v_cmpx_gt_u32_e64 s19, v35
	s_cbranch_execnz .LBB151_18
	s_branch .LBB151_19
.LBB151_11:
	s_or_b32 exec_lo, exec_lo, s22
	s_delay_alu instid0(SALU_CYCLE_1)
	s_mov_b32 s2, exec_lo
	v_cmpx_gt_u32_e64 s19, v38
	s_cbranch_execz .LBB151_5
.LBB151_12:
	v_lshlrev_b32_e32 v3, 3, v38
	s_delay_alu instid0(VALU_DEP_1) | instskip(NEXT) | instid1(VALU_DEP_1)
	v_add_co_u32 v3, s22, s21, v3
	v_add_co_ci_u32_e64 v4, null, s3, 0, s22
	flat_load_b64 v[3:4], v[3:4]
	s_or_b32 exec_lo, exec_lo, s2
	s_delay_alu instid0(SALU_CYCLE_1)
	s_mov_b32 s2, exec_lo
	v_cmpx_gt_u32_e64 s19, v36
	s_cbranch_execnz .LBB151_6
.LBB151_13:
	s_or_b32 exec_lo, exec_lo, s2
	s_delay_alu instid0(SALU_CYCLE_1)
	s_mov_b32 s2, exec_lo
	v_cmpx_gt_u32_e64 s19, v40
	s_cbranch_execz .LBB151_7
.LBB151_14:
	v_lshlrev_b32_e32 v7, 3, v40
	s_delay_alu instid0(VALU_DEP_1) | instskip(NEXT) | instid1(VALU_DEP_1)
	v_add_co_u32 v7, s22, s21, v7
	v_add_co_ci_u32_e64 v8, null, s3, 0, s22
	flat_load_b64 v[7:8], v[7:8]
	s_or_b32 exec_lo, exec_lo, s2
	s_delay_alu instid0(SALU_CYCLE_1)
	s_mov_b32 s2, exec_lo
	v_cmpx_gt_u32_e64 s19, v39
	s_cbranch_execnz .LBB151_8
.LBB151_15:
	s_or_b32 exec_lo, exec_lo, s2
	s_delay_alu instid0(SALU_CYCLE_1)
	s_mov_b32 s2, exec_lo
	v_cmpx_gt_u32_e64 s19, v37
	s_cbranch_execz .LBB151_9
.LBB151_16:
	v_lshlrev_b32_e32 v11, 3, v37
	s_delay_alu instid0(VALU_DEP_1) | instskip(NEXT) | instid1(VALU_DEP_1)
	v_add_co_u32 v11, s22, s21, v11
	v_add_co_ci_u32_e64 v12, null, s3, 0, s22
	flat_load_b64 v[11:12], v[11:12]
	s_or_b32 exec_lo, exec_lo, s2
	s_delay_alu instid0(SALU_CYCLE_1)
	s_mov_b32 s2, exec_lo
	v_cmpx_gt_u32_e64 s19, v34
	s_cbranch_execnz .LBB151_10
.LBB151_17:
	s_or_b32 exec_lo, exec_lo, s2
	s_delay_alu instid0(SALU_CYCLE_1)
	s_mov_b32 s2, exec_lo
	v_cmpx_gt_u32_e64 s19, v35
	s_cbranch_execz .LBB151_19
.LBB151_18:
	v_lshlrev_b32_e32 v15, 3, v35
	s_delay_alu instid0(VALU_DEP_1) | instskip(NEXT) | instid1(VALU_DEP_1)
	v_add_co_u32 v15, s22, s21, v15
	v_add_co_ci_u32_e64 v16, null, s3, 0, s22
	flat_load_b64 v[15:16], v[15:16]
.LBB151_19:
	s_or_b32 exec_lo, exec_lo, s2
	v_lshrrev_b32_e32 v17, 2, v38
	v_lshrrev_b32_e32 v18, 2, v36
	v_lshrrev_b32_e32 v20, 2, v40
	v_lshrrev_b32_e32 v21, 2, v39
	v_and_b32_e32 v19, 0x78, v33
	v_lshrrev_b32_e32 v22, 2, v37
	v_lshrrev_b32_e32 v23, 2, v34
	;; [unrolled: 1-line block ×3, first 2 shown]
	v_and_b32_e32 v17, 0xf8, v17
	v_and_b32_e32 v18, 0x1f8, v18
	;; [unrolled: 1-line block ×4, first 2 shown]
	v_add_nc_u32_e32 v19, v19, v55
	v_and_b32_e32 v22, 0x3f8, v22
	v_and_b32_e32 v23, 0x3f8, v23
	;; [unrolled: 1-line block ×3, first 2 shown]
	v_add_nc_u32_e32 v17, v17, v55
	v_add_nc_u32_e32 v18, v18, v55
	;; [unrolled: 1-line block ×7, first 2 shown]
	s_waitcnt vmcnt(0) lgkmcnt(0)
	ds_store_b64 v19, v[1:2]
	ds_store_b64 v17, v[3:4] offset:4096
	ds_store_b64 v18, v[5:6] offset:8192
	;; [unrolled: 1-line block ×7, first 2 shown]
	s_waitcnt lgkmcnt(0)
	s_barrier
.LBB151_20:
	v_add_lshl_u32 v41, v33, v55, 3
	s_waitcnt lgkmcnt(0)
	buffer_gl0_inv
	s_add_u32 s2, s8, s12
	s_addc_u32 s8, s9, s13
	s_add_u32 s2, s2, s4
	ds_load_2addr_b64 v[29:32], v41 offset1:1
	ds_load_2addr_b64 v[25:28], v41 offset0:2 offset1:3
	ds_load_2addr_b64 v[21:24], v41 offset0:4 offset1:5
	;; [unrolled: 1-line block ×3, first 2 shown]
	s_addc_u32 s4, s8, s5
	s_and_b32 vcc_lo, exec_lo, s18
	s_mov_b32 s5, -1
	s_waitcnt lgkmcnt(0)
	s_barrier
	buffer_gl0_inv
	s_cbranch_vccz .LBB151_22
; %bb.21:
	v_add_co_u32 v1, s5, s2, v55
	s_delay_alu instid0(VALU_DEP_1) | instskip(SKIP_1) | instid1(VALU_DEP_3)
	v_add_co_ci_u32_e64 v2, null, s4, 0, s5
	v_lshrrev_b32_e32 v43, 2, v38
	v_add_co_u32 v3, vcc_lo, 0x1000, v1
	s_delay_alu instid0(VALU_DEP_3)
	v_add_co_ci_u32_e32 v4, vcc_lo, 0, v2, vcc_lo
	v_add_co_u32 v5, vcc_lo, 0x2000, v1
	v_add_co_ci_u32_e32 v6, vcc_lo, 0, v2, vcc_lo
	v_add_co_u32 v7, vcc_lo, 0x3000, v1
	;; [unrolled: 2-line block ×6, first 2 shown]
	v_add_co_ci_u32_e32 v16, vcc_lo, 0, v2, vcc_lo
	s_clause 0x7
	flat_load_b64 v[1:2], v[1:2]
	flat_load_b64 v[3:4], v[3:4]
	;; [unrolled: 1-line block ×8, first 2 shown]
	v_lshrrev_b32_e32 v44, 2, v36
	v_lshrrev_b32_e32 v45, 2, v40
	;; [unrolled: 1-line block ×3, first 2 shown]
	v_and_b32_e32 v42, 0x78, v33
	v_lshrrev_b32_e32 v47, 2, v37
	v_lshrrev_b32_e32 v48, 2, v34
	;; [unrolled: 1-line block ×3, first 2 shown]
	v_and_b32_e32 v43, 0xf8, v43
	v_and_b32_e32 v44, 0x178, v44
	;; [unrolled: 1-line block ×4, first 2 shown]
	v_add_nc_u32_e32 v42, v42, v55
	v_and_b32_e32 v47, 0x2f8, v47
	v_and_b32_e32 v48, 0x378, v48
	;; [unrolled: 1-line block ×3, first 2 shown]
	v_add_nc_u32_e32 v43, v43, v55
	v_add_nc_u32_e32 v44, v44, v55
	;; [unrolled: 1-line block ×4, first 2 shown]
	s_mov_b32 s5, 0
	v_add_nc_u32_e32 v47, v47, v55
	v_add_nc_u32_e32 v48, v48, v55
	v_add_nc_u32_e32 v49, v49, v55
	s_waitcnt vmcnt(7) lgkmcnt(7)
	ds_store_b64 v42, v[1:2]
	s_waitcnt vmcnt(6) lgkmcnt(7)
	ds_store_b64 v43, v[3:4] offset:4096
	s_waitcnt vmcnt(5) lgkmcnt(7)
	ds_store_b64 v44, v[5:6] offset:8192
	;; [unrolled: 2-line block ×7, first 2 shown]
	s_waitcnt lgkmcnt(0)
	s_barrier
.LBB151_22:
	s_and_not1_b32 vcc_lo, exec_lo, s5
	s_cbranch_vccnz .LBB151_40
; %bb.23:
	s_mov_b32 s5, exec_lo
                                        ; implicit-def: $vgpr1_vgpr2
	v_cmpx_gt_u32_e64 s19, v0
	s_cbranch_execz .LBB151_25
; %bb.24:
	v_add_co_u32 v1, s8, s2, v55
	s_delay_alu instid0(VALU_DEP_1)
	v_add_co_ci_u32_e64 v2, null, s4, 0, s8
	flat_load_b64 v[1:2], v[1:2]
.LBB151_25:
	s_or_b32 exec_lo, exec_lo, s5
	s_delay_alu instid0(SALU_CYCLE_1)
	s_mov_b32 s5, exec_lo
                                        ; implicit-def: $vgpr3_vgpr4
	v_cmpx_gt_u32_e64 s19, v38
	s_cbranch_execz .LBB151_27
; %bb.26:
	v_lshlrev_b32_e32 v3, 3, v38
	s_delay_alu instid0(VALU_DEP_1) | instskip(NEXT) | instid1(VALU_DEP_1)
	v_add_co_u32 v3, s8, s2, v3
	v_add_co_ci_u32_e64 v4, null, s4, 0, s8
	flat_load_b64 v[3:4], v[3:4]
.LBB151_27:
	s_or_b32 exec_lo, exec_lo, s5
	s_delay_alu instid0(SALU_CYCLE_1)
	s_mov_b32 s5, exec_lo
                                        ; implicit-def: $vgpr5_vgpr6
	v_cmpx_gt_u32_e64 s19, v36
	s_cbranch_execz .LBB151_29
; %bb.28:
	v_lshlrev_b32_e32 v5, 3, v36
	s_delay_alu instid0(VALU_DEP_1) | instskip(NEXT) | instid1(VALU_DEP_1)
	v_add_co_u32 v5, s8, s2, v5
	v_add_co_ci_u32_e64 v6, null, s4, 0, s8
	flat_load_b64 v[5:6], v[5:6]
.LBB151_29:
	s_or_b32 exec_lo, exec_lo, s5
	s_delay_alu instid0(SALU_CYCLE_1)
	s_mov_b32 s5, exec_lo
                                        ; implicit-def: $vgpr7_vgpr8
	v_cmpx_gt_u32_e64 s19, v40
	s_cbranch_execz .LBB151_31
; %bb.30:
	v_lshlrev_b32_e32 v7, 3, v40
	s_delay_alu instid0(VALU_DEP_1) | instskip(NEXT) | instid1(VALU_DEP_1)
	v_add_co_u32 v7, s8, s2, v7
	v_add_co_ci_u32_e64 v8, null, s4, 0, s8
	flat_load_b64 v[7:8], v[7:8]
.LBB151_31:
	s_or_b32 exec_lo, exec_lo, s5
	s_delay_alu instid0(SALU_CYCLE_1)
	s_mov_b32 s5, exec_lo
                                        ; implicit-def: $vgpr9_vgpr10
	v_cmpx_gt_u32_e64 s19, v39
	s_cbranch_execz .LBB151_33
; %bb.32:
	v_lshlrev_b32_e32 v9, 3, v39
	s_delay_alu instid0(VALU_DEP_1) | instskip(NEXT) | instid1(VALU_DEP_1)
	v_add_co_u32 v9, s8, s2, v9
	v_add_co_ci_u32_e64 v10, null, s4, 0, s8
	flat_load_b64 v[9:10], v[9:10]
.LBB151_33:
	s_or_b32 exec_lo, exec_lo, s5
	s_delay_alu instid0(SALU_CYCLE_1)
	s_mov_b32 s5, exec_lo
                                        ; implicit-def: $vgpr11_vgpr12
	v_cmpx_gt_u32_e64 s19, v37
	s_cbranch_execz .LBB151_35
; %bb.34:
	v_lshlrev_b32_e32 v11, 3, v37
	s_delay_alu instid0(VALU_DEP_1) | instskip(NEXT) | instid1(VALU_DEP_1)
	v_add_co_u32 v11, s8, s2, v11
	v_add_co_ci_u32_e64 v12, null, s4, 0, s8
	flat_load_b64 v[11:12], v[11:12]
.LBB151_35:
	s_or_b32 exec_lo, exec_lo, s5
	s_delay_alu instid0(SALU_CYCLE_1)
	s_mov_b32 s5, exec_lo
                                        ; implicit-def: $vgpr13_vgpr14
	v_cmpx_gt_u32_e64 s19, v34
	s_cbranch_execz .LBB151_37
; %bb.36:
	v_lshlrev_b32_e32 v13, 3, v34
	s_delay_alu instid0(VALU_DEP_1) | instskip(NEXT) | instid1(VALU_DEP_1)
	v_add_co_u32 v13, s8, s2, v13
	v_add_co_ci_u32_e64 v14, null, s4, 0, s8
	flat_load_b64 v[13:14], v[13:14]
.LBB151_37:
	s_or_b32 exec_lo, exec_lo, s5
	s_delay_alu instid0(SALU_CYCLE_1)
	s_mov_b32 s5, exec_lo
                                        ; implicit-def: $vgpr15_vgpr16
	v_cmpx_gt_u32_e64 s19, v35
	s_cbranch_execz .LBB151_39
; %bb.38:
	v_lshlrev_b32_e32 v15, 3, v35
	s_delay_alu instid0(VALU_DEP_1) | instskip(NEXT) | instid1(VALU_DEP_1)
	v_add_co_u32 v15, s2, s2, v15
	v_add_co_ci_u32_e64 v16, null, s4, 0, s2
	flat_load_b64 v[15:16], v[15:16]
.LBB151_39:
	s_or_b32 exec_lo, exec_lo, s5
	v_lshrrev_b32_e32 v38, 2, v38
	v_lshrrev_b32_e32 v36, 2, v36
	;; [unrolled: 1-line block ×4, first 2 shown]
	v_and_b32_e32 v33, 0x78, v33
	v_lshrrev_b32_e32 v37, 2, v37
	v_lshrrev_b32_e32 v34, 2, v34
	;; [unrolled: 1-line block ×3, first 2 shown]
	v_and_b32_e32 v38, 0xf8, v38
	v_and_b32_e32 v36, 0x1f8, v36
	;; [unrolled: 1-line block ×4, first 2 shown]
	v_add_nc_u32_e32 v33, v33, v55
	v_and_b32_e32 v37, 0x3f8, v37
	v_and_b32_e32 v34, 0x3f8, v34
	;; [unrolled: 1-line block ×3, first 2 shown]
	v_add_nc_u32_e32 v38, v38, v55
	v_add_nc_u32_e32 v36, v36, v55
	;; [unrolled: 1-line block ×7, first 2 shown]
	s_waitcnt vmcnt(0) lgkmcnt(0)
	ds_store_b64 v33, v[1:2]
	ds_store_b64 v38, v[3:4] offset:4096
	ds_store_b64 v36, v[5:6] offset:8192
	;; [unrolled: 1-line block ×7, first 2 shown]
	s_waitcnt lgkmcnt(0)
	s_barrier
.LBB151_40:
	buffer_gl0_inv
	ds_load_2addr_b64 v[13:16], v41 offset1:1
	ds_load_2addr_b64 v[9:12], v41 offset0:2 offset1:3
	ds_load_2addr_b64 v[5:8], v41 offset0:4 offset1:5
	ds_load_2addr_b64 v[1:4], v41 offset0:6 offset1:7
	s_cmp_lg_u32 s15, 0
	s_mov_b32 s12, 0
	s_cselect_b32 s9, -1, 0
	s_cmp_lg_u64 s[6:7], 0
	s_waitcnt lgkmcnt(0)
	s_cselect_b32 s2, -1, 0
	s_barrier
	s_or_b32 s2, s9, s2
	buffer_gl0_inv
	s_and_b32 vcc_lo, exec_lo, s2
	s_cbranch_vccz .LBB151_45
; %bb.41:
	v_add_co_u32 v33, s2, -8, s21
	s_delay_alu instid0(VALU_DEP_1)
	v_add_co_ci_u32_e64 v34, null, -1, s3, s2
	s_mov_b32 s3, -1
	s_and_b32 vcc_lo, exec_lo, s18
	flat_load_b64 v[35:36], v[33:34]
	ds_store_b64 v55, v[19:20]
	s_cbranch_vccz .LBB151_46
; %bb.42:
	s_waitcnt vmcnt(0) lgkmcnt(1)
	v_dual_mov_b32 v33, v35 :: v_dual_mov_b32 v34, v36
	s_mov_b32 s3, 0
	s_mov_b32 s2, exec_lo
	s_waitcnt lgkmcnt(0)
	s_barrier
	buffer_gl0_inv
	v_cmpx_ne_u32_e32 0, v0
	s_cbranch_execz .LBB151_44
; %bb.43:
	v_add_nc_u32_e32 v33, -8, v55
	ds_load_b64 v[33:34], v33
.LBB151_44:
	s_or_b32 exec_lo, exec_lo, s2
	v_cmp_ne_u64_e32 vcc_lo, v[17:18], v[19:20]
	s_waitcnt lgkmcnt(0)
	v_cmp_ne_u64_e64 s2, v[33:34], v[29:30]
	v_cndmask_b32_e64 v37, 0, 1, vcc_lo
	v_cmp_ne_u64_e32 vcc_lo, v[23:24], v[17:18]
	s_delay_alu instid0(VALU_DEP_2) | instskip(SKIP_2) | instid1(VALU_DEP_2)
	v_lshlrev_b16 v37, 8, v37
	v_cndmask_b32_e64 v38, 0, 1, vcc_lo
	v_cmp_ne_u64_e32 vcc_lo, v[21:22], v[23:24]
	v_or_b32_e32 v37, v38, v37
	v_cndmask_b32_e64 v39, 0, 1, vcc_lo
	v_cmp_ne_u64_e32 vcc_lo, v[25:26], v[27:28]
	s_delay_alu instid0(VALU_DEP_3) | instskip(NEXT) | instid1(VALU_DEP_3)
	v_lshlrev_b32_e32 v37, 16, v37
	v_lshlrev_b16 v39, 8, v39
	v_cndmask_b32_e64 v40, 0, 1, vcc_lo
	v_cmp_ne_u64_e32 vcc_lo, v[27:28], v[21:22]
	s_delay_alu instid0(VALU_DEP_2) | instskip(SKIP_2) | instid1(VALU_DEP_2)
	v_lshlrev_b16 v40, 8, v40
	v_cndmask_b32_e64 v41, 0, 1, vcc_lo
	v_cmp_ne_u64_e32 vcc_lo, v[31:32], v[25:26]
	v_or_b32_e32 v39, v41, v39
	v_cndmask_b32_e64 v42, 0, 1, vcc_lo
	v_cmp_ne_u64_e32 vcc_lo, v[29:30], v[31:32]
	s_delay_alu instid0(VALU_DEP_3) | instskip(NEXT) | instid1(VALU_DEP_3)
	v_and_b32_e32 v39, 0xffff, v39
	v_or_b32_e32 v40, v42, v40
	v_cndmask_b32_e64 v43, 0, 1, vcc_lo
	s_delay_alu instid0(VALU_DEP_3) | instskip(NEXT) | instid1(VALU_DEP_3)
	v_or_b32_e32 v34, v39, v37
	v_lshlrev_b32_e32 v38, 16, v40
	s_delay_alu instid0(VALU_DEP_3) | instskip(NEXT) | instid1(VALU_DEP_1)
	v_lshlrev_b16 v42, 8, v43
	v_and_b32_e32 v40, 0xffff, v42
	s_delay_alu instid0(VALU_DEP_1)
	v_or_b32_e32 v33, v40, v38
	s_and_b32 vcc_lo, exec_lo, s3
	s_cbranch_vccnz .LBB151_47
	s_branch .LBB151_50
.LBB151_45:
                                        ; implicit-def: $sgpr2
                                        ; implicit-def: $vgpr34
	s_branch .LBB151_51
.LBB151_46:
                                        ; implicit-def: $sgpr2
                                        ; implicit-def: $vgpr34
	s_and_b32 vcc_lo, exec_lo, s3
	s_cbranch_vccz .LBB151_50
.LBB151_47:
	s_mov_b32 s2, exec_lo
	s_waitcnt vmcnt(0) lgkmcnt(0)
	s_barrier
	buffer_gl0_inv
	v_cmpx_ne_u32_e32 0, v0
	s_cbranch_execz .LBB151_49
; %bb.48:
	v_add_nc_u32_e32 v33, -8, v55
	ds_load_b64 v[35:36], v33
.LBB151_49:
	s_or_b32 exec_lo, exec_lo, s2
	v_or_b32_e32 v33, 7, v55
	v_or_b32_e32 v34, 6, v55
	v_cmp_ne_u64_e32 vcc_lo, v[17:18], v[19:20]
	v_or_b32_e32 v37, 5, v55
	v_cmp_ne_u64_e64 s3, v[23:24], v[17:18]
	v_cmp_gt_u32_e64 s2, s19, v33
	v_cmp_gt_u32_e64 s4, s19, v34
	v_cmp_ne_u64_e64 s5, v[21:22], v[23:24]
	v_cmp_gt_u32_e64 s6, s19, v37
	v_or_b32_e32 v37, 3, v55
	s_and_b32 s2, s2, vcc_lo
	v_or_b32_e32 v38, 4, v55
	v_cndmask_b32_e64 v33, 0, 1, s2
	s_and_b32 s2, s4, s3
	v_cmp_ne_u64_e32 vcc_lo, v[25:26], v[27:28]
	v_cndmask_b32_e64 v34, 0, 1, s2
	s_and_b32 s2, s6, s5
	v_cmp_gt_u32_e64 s3, s19, v38
	v_cndmask_b32_e64 v39, 0, 1, s2
	v_cmp_gt_u32_e64 s2, s19, v37
	v_or_b32_e32 v37, 2, v55
	v_or_b32_e32 v38, 1, v55
	v_cmp_ne_u64_e64 s4, v[27:28], v[21:22]
	v_cmp_ne_u64_e64 s6, v[29:30], v[31:32]
	s_and_b32 s2, s2, vcc_lo
	v_cmp_ne_u64_e32 vcc_lo, v[31:32], v[25:26]
	v_cndmask_b32_e64 v40, 0, 1, s2
	v_cmp_gt_u32_e64 s2, s19, v37
	v_cmp_gt_u32_e64 s5, s19, v38
	s_and_b32 s3, s3, s4
	v_lshlrev_b16 v39, 8, v39
	v_cndmask_b32_e64 v37, 0, 1, s3
	s_and_b32 s2, s2, vcc_lo
	v_lshlrev_b16 v40, 8, v40
	v_cndmask_b32_e64 v38, 0, 1, s2
	s_and_b32 s2, s5, s6
	v_lshlrev_b16 v33, 8, v33
	v_cndmask_b32_e64 v41, 0, 1, s2
	v_or_b32_e32 v37, v37, v39
	v_or_b32_e32 v38, v38, v40
	s_waitcnt lgkmcnt(0)
	v_cmp_ne_u64_e32 vcc_lo, v[35:36], v[29:30]
	v_or_b32_e32 v33, v34, v33
	v_lshlrev_b16 v40, 8, v41
	v_and_b32_e32 v37, 0xffff, v37
	v_lshlrev_b32_e32 v34, 16, v38
	v_cmp_gt_u32_e64 s2, s19, v55
	v_lshlrev_b32_e32 v39, 16, v33
	v_and_b32_e32 v38, 0xffff, v40
	s_delay_alu instid0(VALU_DEP_3) | instskip(NEXT) | instid1(VALU_DEP_1)
	s_and_b32 s2, s2, vcc_lo
	v_or_b32_e32 v33, v38, v34
	s_delay_alu instid0(VALU_DEP_3)
	v_or_b32_e32 v34, v37, v39
.LBB151_50:
	s_mov_b32 s12, -1
	s_cbranch_execnz .LBB151_59
.LBB151_51:
	v_cmp_ne_u64_e64 s3, v[17:18], v[19:20]
	v_cmp_ne_u64_e64 s4, v[23:24], v[17:18]
	;; [unrolled: 1-line block ×7, first 2 shown]
	s_and_b32 vcc_lo, exec_lo, s18
	ds_store_b64 v55, v[19:20]
	s_cbranch_vccz .LBB151_55
; %bb.52:
	v_cndmask_b32_e64 v33, 0, 1, s3
	s_waitcnt vmcnt(0) lgkmcnt(2)
	v_cndmask_b32_e64 v35, 0, 1, s5
	v_cndmask_b32_e64 v37, 0, 1, s7
	;; [unrolled: 1-line block ×6, first 2 shown]
	v_lshlrev_b16 v35, 8, v35
	v_lshlrev_b16 v33, 8, v33
	;; [unrolled: 1-line block ×4, first 2 shown]
	s_mov_b32 s3, 0
	v_or_b32_e32 v35, v36, v35
	v_or_b32_e32 v33, v34, v33
	;; [unrolled: 1-line block ×4, first 2 shown]
	s_mov_b32 s4, exec_lo
	v_and_b32_e32 v35, 0xffff, v35
	v_lshlrev_b32_e32 v33, 16, v33
	v_lshlrev_b32_e32 v37, 16, v34
	v_and_b32_e32 v36, 0xffff, v36
	s_waitcnt lgkmcnt(0)
	s_barrier
	v_or_b32_e32 v34, v35, v33
	buffer_gl0_inv
	v_or_b32_e32 v33, v36, v37
                                        ; implicit-def: $sgpr2
	v_cmpx_ne_u32_e32 0, v0
	s_xor_b32 s4, exec_lo, s4
	s_cbranch_execz .LBB151_54
; %bb.53:
	v_add_nc_u32_e32 v35, -8, v55
	s_or_b32 s12, s12, exec_lo
	ds_load_b64 v[35:36], v35
	s_waitcnt lgkmcnt(0)
	v_cmp_ne_u64_e32 vcc_lo, v[35:36], v[29:30]
	s_and_b32 s2, vcc_lo, exec_lo
.LBB151_54:
	s_or_b32 exec_lo, exec_lo, s4
	s_delay_alu instid0(SALU_CYCLE_1)
	s_and_b32 vcc_lo, exec_lo, s3
	s_cbranch_vccnz .LBB151_56
	s_branch .LBB151_59
.LBB151_55:
                                        ; implicit-def: $sgpr2
                                        ; implicit-def: $vgpr34
	s_cbranch_execz .LBB151_59
.LBB151_56:
	v_or_b32_e32 v33, 7, v55
	v_or_b32_e32 v34, 6, v55
	v_cmp_ne_u64_e32 vcc_lo, v[17:18], v[19:20]
	v_cmp_ne_u64_e64 s2, v[23:24], v[17:18]
	s_waitcnt vmcnt(0) lgkmcnt(2)
	v_or_b32_e32 v35, 4, v55
	v_cmp_gt_u32_e64 s3, s19, v33
	v_or_b32_e32 v33, 5, v55
	v_cmp_gt_u32_e64 s5, s19, v34
	v_cmp_ne_u64_e64 s4, v[21:22], v[23:24]
	v_cmp_ne_u64_e64 s6, v[27:28], v[21:22]
	s_and_b32 s3, s3, vcc_lo
	v_cmp_gt_u32_e32 vcc_lo, s19, v33
	v_cndmask_b32_e64 v34, 0, 1, s3
	v_cmp_gt_u32_e64 s3, s19, v35
	s_and_b32 s2, s5, s2
	v_or_b32_e32 v36, 3, v55
	v_cndmask_b32_e64 v33, 0, 1, s2
	s_and_b32 s2, vcc_lo, s4
	v_or_b32_e32 v38, 1, v55
	v_cndmask_b32_e64 v35, 0, 1, s2
	s_and_b32 s2, s3, s6
	v_cmp_ne_u64_e32 vcc_lo, v[25:26], v[27:28]
	v_cndmask_b32_e64 v37, 0, 1, s2
	v_cmp_gt_u32_e64 s2, s19, v36
	v_cmp_ne_u64_e64 s3, v[29:30], v[31:32]
	v_or_b32_e32 v39, 2, v55
	v_cmp_gt_u32_e64 s4, s19, v38
	v_cmp_ne_u64_e64 s5, v[31:32], v[25:26]
	s_and_b32 s2, s2, vcc_lo
	v_lshlrev_b16 v35, 8, v35
	v_cmp_gt_u32_e64 s6, s19, v39
	v_cndmask_b32_e64 v36, 0, 1, s2
	s_and_b32 s2, s4, s3
	v_lshlrev_b16 v34, 8, v34
	v_cndmask_b32_e64 v38, 0, 1, s2
	s_and_b32 s2, s6, s5
	v_lshlrev_b16 v36, 8, v36
	v_cndmask_b32_e64 v39, 0, 1, s2
	v_or_b32_e32 v35, v37, v35
	v_lshlrev_b16 v38, 8, v38
	v_or_b32_e32 v33, v33, v34
	s_mov_b32 s3, exec_lo
	v_or_b32_e32 v34, v39, v36
	v_and_b32_e32 v35, 0xffff, v35
	v_or_b32_e32 v36, 1, v38
	v_lshlrev_b32_e32 v33, 16, v33
	s_waitcnt lgkmcnt(0)
	v_lshlrev_b32_e32 v37, 16, v34
	s_barrier
	v_and_b32_e32 v36, 0xffff, v36
	v_or_b32_e32 v34, v35, v33
	buffer_gl0_inv
                                        ; implicit-def: $sgpr2
	v_or_b32_e32 v33, v36, v37
	v_cmpx_ne_u32_e32 0, v0
	s_cbranch_execz .LBB151_58
; %bb.57:
	v_add_nc_u32_e32 v35, -8, v55
	v_cmp_gt_u32_e64 s2, s19, v55
	s_or_b32 s12, s12, exec_lo
	ds_load_b64 v[35:36], v35
	s_waitcnt lgkmcnt(0)
	v_cmp_ne_u64_e32 vcc_lo, v[35:36], v[29:30]
	s_and_b32 s2, s2, vcc_lo
	s_delay_alu instid0(SALU_CYCLE_1)
	s_and_b32 s2, s2, exec_lo
.LBB151_58:
	s_or_b32 exec_lo, exec_lo, s3
.LBB151_59:
	s_and_saveexec_b32 s3, s12
	s_cbranch_execz .LBB151_61
; %bb.60:
	s_waitcnt vmcnt(0) lgkmcnt(1)
	v_and_b32_e32 v35, 0xffffff00, v33
	v_cndmask_b32_e64 v36, 0, 1, s2
	s_delay_alu instid0(VALU_DEP_1) | instskip(NEXT) | instid1(VALU_DEP_1)
	v_or_b32_e32 v35, v36, v35
	v_and_b32_e32 v35, 0xffff, v35
	s_delay_alu instid0(VALU_DEP_1)
	v_and_or_b32 v33, 0xffff0000, v33, v35
.LBB151_61:
	s_or_b32 exec_lo, exec_lo, s3
	s_load_b64 s[12:13], s[0:1], 0x60
	s_and_not1_b32 vcc_lo, exec_lo, s20
	s_cbranch_vccnz .LBB151_63
; %bb.62:
	v_cmp_gt_u32_e32 vcc_lo, s19, v55
	s_waitcnt vmcnt(0) lgkmcnt(0)
	v_or_b32_e32 v36, 1, v55
	v_and_b32_e32 v37, 0xffffff00, v34
	v_or_b32_e32 v38, 2, v55
	v_cndmask_b32_e32 v35, 0, v33, vcc_lo
	s_delay_alu instid0(VALU_DEP_4) | instskip(SKIP_1) | instid1(VALU_DEP_4)
	v_cmp_gt_u32_e32 vcc_lo, s19, v36
	v_or_b32_e32 v36, 4, v55
	v_cmp_gt_u32_e64 s2, s19, v38
	v_or_b32_e32 v38, 3, v55
	v_and_b32_e32 v35, 0xff, v35
	s_delay_alu instid0(VALU_DEP_2) | instskip(NEXT) | instid1(VALU_DEP_2)
	v_cmp_gt_u32_e64 s3, s19, v38
	v_cndmask_b32_e32 v35, v35, v33, vcc_lo
	v_cmp_gt_u32_e32 vcc_lo, s19, v36
	v_cndmask_b32_e32 v36, v37, v34, vcc_lo
	v_or_b32_e32 v37, 5, v55
	s_delay_alu instid0(VALU_DEP_2) | instskip(SKIP_1) | instid1(VALU_DEP_1)
	v_and_b32_e32 v36, 0xffff00ff, v36
	v_and_b32_e32 v35, 0xffff, v35
	v_cndmask_b32_e64 v35, v35, v33, s2
	s_delay_alu instid0(VALU_DEP_4) | instskip(SKIP_1) | instid1(VALU_DEP_3)
	v_cmp_gt_u32_e64 s2, s19, v37
	v_or_b32_e32 v37, 6, v55
	v_and_b32_e32 v35, 0xffffff, v35
	s_delay_alu instid0(VALU_DEP_3) | instskip(NEXT) | instid1(VALU_DEP_2)
	v_cndmask_b32_e64 v36, v36, v34, s2
	v_cndmask_b32_e64 v35, v35, v33, s3
	s_delay_alu instid0(VALU_DEP_1) | instskip(SKIP_2) | instid1(VALU_DEP_3)
	v_dual_cndmask_b32 v35, v35, v33 :: v_dual_and_b32 v36, 0xff00ffff, v36
	v_cmp_gt_u32_e32 vcc_lo, s19, v37
	v_or_b32_e32 v37, 7, v55
	v_cndmask_b32_e64 v35, v35, v33, s2
	s_delay_alu instid0(VALU_DEP_1) | instskip(NEXT) | instid1(VALU_DEP_1)
	v_dual_cndmask_b32 v36, v36, v34 :: v_dual_cndmask_b32 v35, v35, v33
	v_and_b32_e32 v36, 0xffffff, v36
	s_delay_alu instid0(VALU_DEP_4) | instskip(NEXT) | instid1(VALU_DEP_2)
	v_cmp_gt_u32_e32 vcc_lo, s19, v37
	v_dual_cndmask_b32 v34, v36, v34 :: v_dual_cndmask_b32 v33, v35, v33
.LBB151_63:
	s_delay_alu instid0(VALU_DEP_1) | instskip(SKIP_1) | instid1(VALU_DEP_2)
	v_and_b32_e32 v44, 0xff, v33
	s_waitcnt vmcnt(0) lgkmcnt(0)
	v_alignbit_b32 v35, v34, v33, 24
	v_bfe_u32 v46, v33, 8, 8
	v_bfe_u32 v48, v33, 16, 8
	v_and_b32_e32 v52, 0xff, v34
	v_bfe_u32 v54, v34, 8, 8
	v_and_b32_e32 v50, 0xff, v35
	v_add_nc_u32_e32 v35, v46, v44
	v_mbcnt_lo_u32_b32 v58, -1, 0
	v_bfe_u32 v57, v34, 16, 8
	v_lshrrev_b32_e32 v56, 24, v34
	v_lshrrev_b32_e32 v59, 5, v0
	v_add3_u32 v35, v35, v48, v50
	v_and_b32_e32 v36, 15, v58
	v_and_b32_e32 v37, 16, v58
	s_and_b32 vcc_lo, exec_lo, s9
	s_mov_b32 s9, -1
	v_add3_u32 v35, v35, v52, v54
	v_cmp_eq_u32_e64 s4, 0, v36
	v_cmp_lt_u32_e64 s2, 1, v36
	v_cmp_lt_u32_e64 s5, 3, v36
	;; [unrolled: 1-line block ×3, first 2 shown]
	v_add3_u32 v60, v35, v57, v56
	v_or_b32_e32 v35, 31, v0
	v_cmp_eq_u32_e64 s7, 0, v37
	s_barrier
	buffer_gl0_inv
	v_cmp_eq_u32_e64 s6, v35, v0
	s_cbranch_vccz .LBB151_89
; %bb.64:
	v_mov_b32_dpp v35, v60 row_shr:1 row_mask:0xf bank_mask:0xf
	s_delay_alu instid0(VALU_DEP_1) | instskip(NEXT) | instid1(VALU_DEP_1)
	v_cndmask_b32_e64 v35, v35, 0, s4
	v_add_nc_u32_e32 v35, v35, v60
	s_delay_alu instid0(VALU_DEP_1) | instskip(NEXT) | instid1(VALU_DEP_1)
	v_mov_b32_dpp v36, v35 row_shr:2 row_mask:0xf bank_mask:0xf
	v_cndmask_b32_e64 v36, 0, v36, s2
	s_delay_alu instid0(VALU_DEP_1) | instskip(NEXT) | instid1(VALU_DEP_1)
	v_add_nc_u32_e32 v35, v35, v36
	v_mov_b32_dpp v36, v35 row_shr:4 row_mask:0xf bank_mask:0xf
	s_delay_alu instid0(VALU_DEP_1) | instskip(NEXT) | instid1(VALU_DEP_1)
	v_cndmask_b32_e64 v36, 0, v36, s5
	v_add_nc_u32_e32 v35, v35, v36
	s_delay_alu instid0(VALU_DEP_1) | instskip(NEXT) | instid1(VALU_DEP_1)
	v_mov_b32_dpp v36, v35 row_shr:8 row_mask:0xf bank_mask:0xf
	v_cndmask_b32_e64 v36, 0, v36, s3
	s_delay_alu instid0(VALU_DEP_1) | instskip(SKIP_3) | instid1(VALU_DEP_1)
	v_add_nc_u32_e32 v35, v35, v36
	ds_swizzle_b32 v36, v35 offset:swizzle(BROADCAST,32,15)
	s_waitcnt lgkmcnt(0)
	v_cndmask_b32_e64 v36, v36, 0, s7
	v_add_nc_u32_e32 v35, v35, v36
	s_and_saveexec_b32 s8, s6
	s_cbranch_execz .LBB151_66
; %bb.65:
	v_lshlrev_b32_e32 v36, 2, v59
	ds_store_b32 v36, v35
.LBB151_66:
	s_or_b32 exec_lo, exec_lo, s8
	s_delay_alu instid0(SALU_CYCLE_1)
	s_mov_b32 s8, exec_lo
	s_waitcnt lgkmcnt(0)
	s_barrier
	buffer_gl0_inv
	v_cmpx_gt_u32_e32 16, v0
	s_cbranch_execz .LBB151_68
; %bb.67:
	v_lshlrev_b32_e32 v36, 2, v0
	ds_load_b32 v37, v36
	s_waitcnt lgkmcnt(0)
	v_mov_b32_dpp v38, v37 row_shr:1 row_mask:0xf bank_mask:0xf
	s_delay_alu instid0(VALU_DEP_1) | instskip(NEXT) | instid1(VALU_DEP_1)
	v_cndmask_b32_e64 v38, v38, 0, s4
	v_add_nc_u32_e32 v37, v38, v37
	s_delay_alu instid0(VALU_DEP_1) | instskip(NEXT) | instid1(VALU_DEP_1)
	v_mov_b32_dpp v38, v37 row_shr:2 row_mask:0xf bank_mask:0xf
	v_cndmask_b32_e64 v38, 0, v38, s2
	s_delay_alu instid0(VALU_DEP_1) | instskip(NEXT) | instid1(VALU_DEP_1)
	v_add_nc_u32_e32 v37, v37, v38
	v_mov_b32_dpp v38, v37 row_shr:4 row_mask:0xf bank_mask:0xf
	s_delay_alu instid0(VALU_DEP_1) | instskip(NEXT) | instid1(VALU_DEP_1)
	v_cndmask_b32_e64 v38, 0, v38, s5
	v_add_nc_u32_e32 v37, v37, v38
	s_delay_alu instid0(VALU_DEP_1) | instskip(NEXT) | instid1(VALU_DEP_1)
	v_mov_b32_dpp v38, v37 row_shr:8 row_mask:0xf bank_mask:0xf
	v_cndmask_b32_e64 v38, 0, v38, s3
	s_delay_alu instid0(VALU_DEP_1)
	v_add_nc_u32_e32 v37, v37, v38
	ds_store_b32 v36, v37
.LBB151_68:
	s_or_b32 exec_lo, exec_lo, s8
	v_cmp_gt_u32_e32 vcc_lo, 32, v0
	s_mov_b32 s9, exec_lo
	s_waitcnt lgkmcnt(0)
	s_barrier
	buffer_gl0_inv
                                        ; implicit-def: $vgpr43
	v_cmpx_lt_u32_e32 31, v0
	s_cbranch_execz .LBB151_70
; %bb.69:
	v_lshl_add_u32 v36, v59, 2, -4
	ds_load_b32 v43, v36
	s_waitcnt lgkmcnt(0)
	v_add_nc_u32_e32 v35, v43, v35
.LBB151_70:
	s_or_b32 exec_lo, exec_lo, s9
	v_add_nc_u32_e32 v36, -1, v58
	s_delay_alu instid0(VALU_DEP_1) | instskip(NEXT) | instid1(VALU_DEP_1)
	v_cmp_gt_i32_e64 s8, 0, v36
	v_cndmask_b32_e64 v36, v36, v58, s8
	v_cmp_eq_u32_e64 s8, 0, v58
	s_delay_alu instid0(VALU_DEP_2)
	v_lshlrev_b32_e32 v36, 2, v36
	ds_bpermute_b32 v45, v36, v35
	s_and_saveexec_b32 s9, vcc_lo
	s_cbranch_execz .LBB151_88
; %bb.71:
	v_mov_b32_e32 v39, 0
	ds_load_b32 v35, v39 offset:60
	s_and_saveexec_b32 s19, s8
	s_cbranch_execz .LBB151_73
; %bb.72:
	s_add_i32 s20, s15, 32
	s_mov_b32 s21, 0
	v_mov_b32_e32 v36, 1
	s_lshl_b64 s[20:21], s[20:21], 3
	s_delay_alu instid0(SALU_CYCLE_1)
	s_add_u32 s20, s12, s20
	s_addc_u32 s21, s13, s21
	s_waitcnt lgkmcnt(0)
	global_store_b64 v39, v[35:36], s[20:21]
.LBB151_73:
	s_or_b32 exec_lo, exec_lo, s19
	v_xad_u32 v37, v58, -1, s15
	s_mov_b32 s20, 0
	s_mov_b32 s19, exec_lo
	s_delay_alu instid0(VALU_DEP_1) | instskip(NEXT) | instid1(VALU_DEP_1)
	v_add_nc_u32_e32 v38, 32, v37
	v_lshlrev_b64 v[38:39], 3, v[38:39]
	s_delay_alu instid0(VALU_DEP_1) | instskip(NEXT) | instid1(VALU_DEP_2)
	v_add_co_u32 v41, vcc_lo, s12, v38
	v_add_co_ci_u32_e32 v42, vcc_lo, s13, v39, vcc_lo
	global_load_b64 v[39:40], v[41:42], off glc
	s_waitcnt vmcnt(0)
	v_and_b32_e32 v36, 0xff, v40
	s_delay_alu instid0(VALU_DEP_1)
	v_cmpx_eq_u16_e32 0, v36
	s_cbranch_execz .LBB151_76
.LBB151_74:                             ; =>This Inner Loop Header: Depth=1
	global_load_b64 v[39:40], v[41:42], off glc
	s_waitcnt vmcnt(0)
	v_and_b32_e32 v36, 0xff, v40
	s_delay_alu instid0(VALU_DEP_1) | instskip(SKIP_1) | instid1(SALU_CYCLE_1)
	v_cmp_ne_u16_e32 vcc_lo, 0, v36
	s_or_b32 s20, vcc_lo, s20
	s_and_not1_b32 exec_lo, exec_lo, s20
	s_cbranch_execnz .LBB151_74
; %bb.75:
	s_or_b32 exec_lo, exec_lo, s20
.LBB151_76:
	s_delay_alu instid0(SALU_CYCLE_1)
	s_or_b32 exec_lo, exec_lo, s19
	v_cmp_ne_u32_e32 vcc_lo, 31, v58
	v_lshlrev_b32_e64 v49, v58, -1
	v_add_nc_u32_e32 v53, 2, v58
	v_add_nc_u32_e32 v66, 16, v58
	v_add_co_ci_u32_e32 v36, vcc_lo, 0, v58, vcc_lo
	s_delay_alu instid0(VALU_DEP_1)
	v_lshlrev_b32_e32 v47, 2, v36
	v_and_b32_e32 v36, 0xff, v40
	ds_bpermute_b32 v38, v47, v39
	v_cmp_eq_u16_e32 vcc_lo, 2, v36
	v_and_or_b32 v36, vcc_lo, v49, 0x80000000
	v_cmp_gt_u32_e32 vcc_lo, 30, v58
	s_delay_alu instid0(VALU_DEP_2) | instskip(SKIP_1) | instid1(VALU_DEP_2)
	v_ctz_i32_b32_e32 v36, v36
	v_cndmask_b32_e64 v41, 0, 1, vcc_lo
	v_cmp_lt_u32_e32 vcc_lo, v58, v36
	s_waitcnt lgkmcnt(0)
	s_delay_alu instid0(VALU_DEP_2) | instskip(NEXT) | instid1(VALU_DEP_1)
	v_dual_cndmask_b32 v38, 0, v38 :: v_dual_lshlrev_b32 v41, 1, v41
	v_add_lshl_u32 v51, v41, v58, 2
	v_cmp_gt_u32_e32 vcc_lo, 28, v58
	s_delay_alu instid0(VALU_DEP_3) | instskip(SKIP_4) | instid1(VALU_DEP_1)
	v_add_nc_u32_e32 v38, v38, v39
	v_cndmask_b32_e64 v41, 0, 1, vcc_lo
	v_cmp_le_u32_e32 vcc_lo, v53, v36
	ds_bpermute_b32 v39, v51, v38
	v_lshlrev_b32_e32 v41, 2, v41
	v_add_lshl_u32 v61, v41, v58, 2
	s_waitcnt lgkmcnt(0)
	v_cndmask_b32_e32 v39, 0, v39, vcc_lo
	v_cmp_gt_u32_e32 vcc_lo, 24, v58
	s_delay_alu instid0(VALU_DEP_2) | instskip(SKIP_4) | instid1(VALU_DEP_2)
	v_add_nc_u32_e32 v38, v38, v39
	v_cndmask_b32_e64 v41, 0, 1, vcc_lo
	ds_bpermute_b32 v39, v61, v38
	v_add_nc_u32_e32 v62, 4, v58
	v_lshlrev_b32_e32 v41, 3, v41
	v_cmp_le_u32_e32 vcc_lo, v62, v36
	s_delay_alu instid0(VALU_DEP_2) | instskip(SKIP_3) | instid1(VALU_DEP_2)
	v_add_lshl_u32 v63, v41, v58, 2
	s_waitcnt lgkmcnt(0)
	v_cndmask_b32_e32 v39, 0, v39, vcc_lo
	v_cmp_gt_u32_e32 vcc_lo, 16, v58
	v_add_nc_u32_e32 v38, v38, v39
	v_cndmask_b32_e64 v41, 0, 1, vcc_lo
	ds_bpermute_b32 v39, v63, v38
	v_add_nc_u32_e32 v64, 8, v58
	v_lshlrev_b32_e32 v41, 4, v41
	s_delay_alu instid0(VALU_DEP_2) | instskip(NEXT) | instid1(VALU_DEP_2)
	v_cmp_le_u32_e32 vcc_lo, v64, v36
	v_add_lshl_u32 v65, v41, v58, 2
	s_waitcnt lgkmcnt(0)
	v_cndmask_b32_e32 v39, 0, v39, vcc_lo
	v_cmp_le_u32_e32 vcc_lo, v66, v36
	s_delay_alu instid0(VALU_DEP_2) | instskip(SKIP_3) | instid1(VALU_DEP_1)
	v_add_nc_u32_e32 v38, v38, v39
	ds_bpermute_b32 v39, v65, v38
	s_waitcnt lgkmcnt(0)
	v_cndmask_b32_e32 v36, 0, v39, vcc_lo
	v_dual_mov_b32 v38, 0 :: v_dual_add_nc_u32 v39, v38, v36
	s_branch .LBB151_78
.LBB151_77:                             ;   in Loop: Header=BB151_78 Depth=1
	s_or_b32 exec_lo, exec_lo, s19
	ds_bpermute_b32 v42, v47, v39
	v_and_b32_e32 v41, 0xff, v40
	v_subrev_nc_u32_e32 v37, 32, v37
	s_delay_alu instid0(VALU_DEP_2) | instskip(SKIP_1) | instid1(VALU_DEP_1)
	v_cmp_eq_u16_e32 vcc_lo, 2, v41
	v_and_or_b32 v41, vcc_lo, v49, 0x80000000
	v_ctz_i32_b32_e32 v41, v41
	s_delay_alu instid0(VALU_DEP_1) | instskip(SKIP_3) | instid1(VALU_DEP_2)
	v_cmp_lt_u32_e32 vcc_lo, v58, v41
	s_waitcnt lgkmcnt(0)
	v_cndmask_b32_e32 v42, 0, v42, vcc_lo
	v_cmp_le_u32_e32 vcc_lo, v53, v41
	v_add_nc_u32_e32 v39, v42, v39
	ds_bpermute_b32 v42, v51, v39
	s_waitcnt lgkmcnt(0)
	v_cndmask_b32_e32 v42, 0, v42, vcc_lo
	v_cmp_le_u32_e32 vcc_lo, v62, v41
	s_delay_alu instid0(VALU_DEP_2) | instskip(SKIP_4) | instid1(VALU_DEP_2)
	v_add_nc_u32_e32 v39, v39, v42
	ds_bpermute_b32 v42, v61, v39
	s_waitcnt lgkmcnt(0)
	v_cndmask_b32_e32 v42, 0, v42, vcc_lo
	v_cmp_le_u32_e32 vcc_lo, v64, v41
	v_add_nc_u32_e32 v39, v39, v42
	ds_bpermute_b32 v42, v63, v39
	s_waitcnt lgkmcnt(0)
	v_cndmask_b32_e32 v42, 0, v42, vcc_lo
	v_cmp_le_u32_e32 vcc_lo, v66, v41
	s_delay_alu instid0(VALU_DEP_2) | instskip(SKIP_3) | instid1(VALU_DEP_1)
	v_add_nc_u32_e32 v39, v39, v42
	ds_bpermute_b32 v42, v65, v39
	s_waitcnt lgkmcnt(0)
	v_cndmask_b32_e32 v41, 0, v42, vcc_lo
	v_add3_u32 v39, v41, v36, v39
.LBB151_78:                             ; =>This Loop Header: Depth=1
                                        ;     Child Loop BB151_81 Depth 2
	v_and_b32_e32 v36, 0xff, v40
	s_delay_alu instid0(VALU_DEP_1) | instskip(SKIP_2) | instid1(VALU_DEP_1)
	v_cmp_ne_u16_e32 vcc_lo, 2, v36
	v_cndmask_b32_e64 v36, 0, 1, vcc_lo
	;;#ASMSTART
	;;#ASMEND
	v_cmp_ne_u32_e32 vcc_lo, 0, v36
	v_mov_b32_e32 v36, v39
	s_cmp_lg_u32 vcc_lo, exec_lo
	s_cbranch_scc1 .LBB151_83
; %bb.79:                               ;   in Loop: Header=BB151_78 Depth=1
	v_lshlrev_b64 v[39:40], 3, v[37:38]
	s_mov_b32 s19, exec_lo
	s_delay_alu instid0(VALU_DEP_1) | instskip(NEXT) | instid1(VALU_DEP_2)
	v_add_co_u32 v41, vcc_lo, s12, v39
	v_add_co_ci_u32_e32 v42, vcc_lo, s13, v40, vcc_lo
	global_load_b64 v[39:40], v[41:42], off glc
	s_waitcnt vmcnt(0)
	v_and_b32_e32 v67, 0xff, v40
	s_delay_alu instid0(VALU_DEP_1)
	v_cmpx_eq_u16_e32 0, v67
	s_cbranch_execz .LBB151_77
; %bb.80:                               ;   in Loop: Header=BB151_78 Depth=1
	s_mov_b32 s20, 0
.LBB151_81:                             ;   Parent Loop BB151_78 Depth=1
                                        ; =>  This Inner Loop Header: Depth=2
	global_load_b64 v[39:40], v[41:42], off glc
	s_waitcnt vmcnt(0)
	v_and_b32_e32 v67, 0xff, v40
	s_delay_alu instid0(VALU_DEP_1) | instskip(SKIP_1) | instid1(SALU_CYCLE_1)
	v_cmp_ne_u16_e32 vcc_lo, 0, v67
	s_or_b32 s20, vcc_lo, s20
	s_and_not1_b32 exec_lo, exec_lo, s20
	s_cbranch_execnz .LBB151_81
; %bb.82:                               ;   in Loop: Header=BB151_78 Depth=1
	s_or_b32 exec_lo, exec_lo, s20
	s_branch .LBB151_77
.LBB151_83:                             ;   in Loop: Header=BB151_78 Depth=1
                                        ; implicit-def: $vgpr39
                                        ; implicit-def: $vgpr40
	s_cbranch_execz .LBB151_78
; %bb.84:
	s_and_saveexec_b32 s19, s8
	s_cbranch_execz .LBB151_86
; %bb.85:
	s_add_i32 s20, s15, 32
	s_mov_b32 s21, 0
	v_dual_mov_b32 v38, 2 :: v_dual_add_nc_u32 v37, v36, v35
	s_lshl_b64 s[20:21], s[20:21], 3
	v_mov_b32_e32 v39, 0
	s_add_u32 s20, s12, s20
	s_addc_u32 s21, s13, s21
	global_store_b64 v39, v[37:38], s[20:21]
	ds_store_b64 v39, v[35:36] offset:33792
.LBB151_86:
	s_or_b32 exec_lo, exec_lo, s19
	v_cmp_eq_u32_e32 vcc_lo, 0, v0
	s_and_b32 exec_lo, exec_lo, vcc_lo
	s_cbranch_execz .LBB151_88
; %bb.87:
	v_mov_b32_e32 v35, 0
	ds_store_b32 v35, v36 offset:60
.LBB151_88:
	s_or_b32 exec_lo, exec_lo, s9
	v_mov_b32_e32 v35, 0
	s_waitcnt lgkmcnt(0)
	s_waitcnt_vscnt null, 0x0
	s_barrier
	buffer_gl0_inv
	v_cndmask_b32_e64 v37, v45, v43, s8
	ds_load_b32 v36, v35 offset:60
	v_cmp_ne_u32_e32 vcc_lo, 0, v0
	s_waitcnt lgkmcnt(0)
	s_barrier
	buffer_gl0_inv
	v_cndmask_b32_e32 v37, 0, v37, vcc_lo
	s_delay_alu instid0(VALU_DEP_1) | instskip(SKIP_2) | instid1(VALU_DEP_1)
	v_add_nc_u32_e32 v53, v36, v37
	ds_load_b64 v[35:36], v35 offset:33792
	v_add_nc_u32_e32 v51, v53, v44
	v_add_nc_u32_e32 v49, v51, v46
	s_delay_alu instid0(VALU_DEP_1) | instskip(NEXT) | instid1(VALU_DEP_1)
	v_add_nc_u32_e32 v47, v49, v48
	v_add_nc_u32_e32 v45, v47, v50
	s_waitcnt lgkmcnt(0)
	v_readfirstlane_b32 s8, v36
	s_delay_alu instid0(VALU_DEP_2) | instskip(NEXT) | instid1(VALU_DEP_1)
	v_add_nc_u32_e32 v43, v45, v52
	v_add_nc_u32_e32 v41, v43, v54
	s_delay_alu instid0(VALU_DEP_1)
	v_add_nc_u32_e32 v39, v41, v57
	v_lshrrev_b64 v[37:38], 24, v[33:34]
	s_branch .LBB151_99
.LBB151_89:
                                        ; implicit-def: $vgpr39
                                        ; implicit-def: $vgpr41
                                        ; implicit-def: $vgpr43
                                        ; implicit-def: $vgpr45
                                        ; implicit-def: $vgpr47
                                        ; implicit-def: $vgpr49
                                        ; implicit-def: $vgpr51
                                        ; implicit-def: $vgpr53
                                        ; implicit-def: $sgpr8
                                        ; implicit-def: $vgpr35
	v_lshrrev_b64 v[37:38], 24, v[33:34]
	s_and_b32 vcc_lo, exec_lo, s9
	s_cbranch_vccz .LBB151_99
; %bb.90:
	v_mov_b32_dpp v35, v60 row_shr:1 row_mask:0xf bank_mask:0xf
	s_delay_alu instid0(VALU_DEP_1) | instskip(NEXT) | instid1(VALU_DEP_1)
	v_cndmask_b32_e64 v35, v35, 0, s4
	v_add_nc_u32_e32 v35, v35, v60
	s_delay_alu instid0(VALU_DEP_1) | instskip(NEXT) | instid1(VALU_DEP_1)
	v_mov_b32_dpp v36, v35 row_shr:2 row_mask:0xf bank_mask:0xf
	v_cndmask_b32_e64 v36, 0, v36, s2
	s_delay_alu instid0(VALU_DEP_1) | instskip(NEXT) | instid1(VALU_DEP_1)
	v_add_nc_u32_e32 v35, v35, v36
	v_mov_b32_dpp v36, v35 row_shr:4 row_mask:0xf bank_mask:0xf
	s_delay_alu instid0(VALU_DEP_1) | instskip(NEXT) | instid1(VALU_DEP_1)
	v_cndmask_b32_e64 v36, 0, v36, s5
	v_add_nc_u32_e32 v35, v35, v36
	s_delay_alu instid0(VALU_DEP_1) | instskip(NEXT) | instid1(VALU_DEP_1)
	v_mov_b32_dpp v36, v35 row_shr:8 row_mask:0xf bank_mask:0xf
	v_cndmask_b32_e64 v36, 0, v36, s3
	s_delay_alu instid0(VALU_DEP_1) | instskip(SKIP_3) | instid1(VALU_DEP_1)
	v_add_nc_u32_e32 v35, v35, v36
	ds_swizzle_b32 v36, v35 offset:swizzle(BROADCAST,32,15)
	s_waitcnt lgkmcnt(0)
	v_cndmask_b32_e64 v36, v36, 0, s7
	v_add_nc_u32_e32 v35, v35, v36
	s_and_saveexec_b32 s7, s6
	s_cbranch_execz .LBB151_92
; %bb.91:
	v_lshlrev_b32_e32 v36, 2, v59
	ds_store_b32 v36, v35
.LBB151_92:
	s_or_b32 exec_lo, exec_lo, s7
	s_delay_alu instid0(SALU_CYCLE_1)
	s_mov_b32 s6, exec_lo
	s_waitcnt lgkmcnt(0)
	s_barrier
	buffer_gl0_inv
	v_cmpx_gt_u32_e32 16, v0
	s_cbranch_execz .LBB151_94
; %bb.93:
	v_lshlrev_b32_e32 v36, 2, v0
	ds_load_b32 v38, v36
	s_waitcnt lgkmcnt(0)
	v_mov_b32_dpp v39, v38 row_shr:1 row_mask:0xf bank_mask:0xf
	s_delay_alu instid0(VALU_DEP_1) | instskip(NEXT) | instid1(VALU_DEP_1)
	v_cndmask_b32_e64 v39, v39, 0, s4
	v_add_nc_u32_e32 v38, v39, v38
	s_delay_alu instid0(VALU_DEP_1) | instskip(NEXT) | instid1(VALU_DEP_1)
	v_mov_b32_dpp v39, v38 row_shr:2 row_mask:0xf bank_mask:0xf
	v_cndmask_b32_e64 v39, 0, v39, s2
	s_delay_alu instid0(VALU_DEP_1) | instskip(NEXT) | instid1(VALU_DEP_1)
	v_add_nc_u32_e32 v38, v38, v39
	v_mov_b32_dpp v39, v38 row_shr:4 row_mask:0xf bank_mask:0xf
	s_delay_alu instid0(VALU_DEP_1) | instskip(NEXT) | instid1(VALU_DEP_1)
	v_cndmask_b32_e64 v39, 0, v39, s5
	v_add_nc_u32_e32 v38, v38, v39
	s_delay_alu instid0(VALU_DEP_1) | instskip(NEXT) | instid1(VALU_DEP_1)
	v_mov_b32_dpp v39, v38 row_shr:8 row_mask:0xf bank_mask:0xf
	v_cndmask_b32_e64 v39, 0, v39, s3
	s_delay_alu instid0(VALU_DEP_1)
	v_add_nc_u32_e32 v38, v38, v39
	ds_store_b32 v36, v38
.LBB151_94:
	s_or_b32 exec_lo, exec_lo, s6
	v_mov_b32_e32 v36, 0
	v_mov_b32_e32 v38, 0
	s_mov_b32 s2, exec_lo
	s_waitcnt lgkmcnt(0)
	s_barrier
	buffer_gl0_inv
	v_cmpx_lt_u32_e32 31, v0
	s_cbranch_execz .LBB151_96
; %bb.95:
	v_lshl_add_u32 v38, v59, 2, -4
	ds_load_b32 v38, v38
.LBB151_96:
	s_or_b32 exec_lo, exec_lo, s2
	v_add_nc_u32_e32 v39, -1, v58
	s_waitcnt lgkmcnt(0)
	v_add_nc_u32_e32 v35, v38, v35
	s_mov_b32 s8, 0
	s_delay_alu instid0(VALU_DEP_2) | instskip(SKIP_2) | instid1(VALU_DEP_2)
	v_cmp_gt_i32_e32 vcc_lo, 0, v39
	v_cndmask_b32_e32 v39, v39, v58, vcc_lo
	v_cmp_eq_u32_e32 vcc_lo, 0, v0
	v_lshlrev_b32_e32 v39, 2, v39
	ds_bpermute_b32 v39, v39, v35
	ds_load_b32 v35, v36 offset:60
	s_and_saveexec_b32 s2, vcc_lo
	s_cbranch_execz .LBB151_98
; %bb.97:
	v_mov_b32_e32 v40, 0
	v_mov_b32_e32 v36, 2
	s_waitcnt lgkmcnt(0)
	global_store_b64 v40, v[35:36], s[12:13] offset:256
.LBB151_98:
	s_or_b32 exec_lo, exec_lo, s2
	v_cmp_eq_u32_e64 s2, 0, v58
	s_waitcnt lgkmcnt(0)
	s_waitcnt_vscnt null, 0x0
	s_barrier
	buffer_gl0_inv
	v_cndmask_b32_e64 v36, v39, v38, s2
	s_delay_alu instid0(VALU_DEP_1) | instskip(NEXT) | instid1(VALU_DEP_1)
	v_cndmask_b32_e64 v53, v36, 0, vcc_lo
	v_add_nc_u32_e32 v51, v53, v44
	s_delay_alu instid0(VALU_DEP_1) | instskip(NEXT) | instid1(VALU_DEP_1)
	v_add_nc_u32_e32 v49, v51, v46
	v_add_nc_u32_e32 v47, v49, v48
	s_delay_alu instid0(VALU_DEP_1) | instskip(NEXT) | instid1(VALU_DEP_1)
	v_add_nc_u32_e32 v45, v47, v50
	;; [unrolled: 3-line block ×3, first 2 shown]
	v_add_nc_u32_e32 v39, v41, v57
.LBB151_99:
	s_load_b128 s[4:7], s[0:1], 0x28
	v_add_nc_u32_e32 v59, s8, v35
	v_cmp_gt_u32_e64 s0, 0x201, v35
	v_lshrrev_b32_e32 v58, 8, v33
	v_lshrrev_b32_e32 v57, 16, v33
	;; [unrolled: 1-line block ×4, first 2 shown]
	v_cmp_lt_u32_e64 s1, v53, v59
	s_and_b32 vcc_lo, exec_lo, s0
	s_mov_b32 s2, -1
	s_cbranch_vccz .LBB151_125
; %bb.100:
	s_lshl_b64 s[2:3], s[10:11], 3
	s_waitcnt lgkmcnt(0)
	s_add_u32 s2, s4, s2
	s_addc_u32 s3, s5, s3
	s_or_b32 s9, s18, s1
	s_delay_alu instid0(SALU_CYCLE_1)
	s_and_saveexec_b32 s1, s9
	s_cbranch_execz .LBB151_103
; %bb.101:
	v_and_b32_e32 v40, 1, v33
	s_delay_alu instid0(VALU_DEP_1)
	v_cmp_eq_u32_e32 vcc_lo, 1, v40
	s_and_b32 exec_lo, exec_lo, vcc_lo
	s_cbranch_execz .LBB151_103
; %bb.102:
	v_mov_b32_e32 v54, 0
	s_delay_alu instid0(VALU_DEP_1) | instskip(NEXT) | instid1(VALU_DEP_1)
	v_lshlrev_b64 v[60:61], 3, v[53:54]
	v_add_co_u32 v60, vcc_lo, s2, v60
	s_delay_alu instid0(VALU_DEP_2)
	v_add_co_ci_u32_e32 v61, vcc_lo, s3, v61, vcc_lo
	global_store_b64 v[60:61], v[29:30], off
.LBB151_103:
	s_or_b32 exec_lo, exec_lo, s1
	v_cmp_lt_u32_e32 vcc_lo, v51, v59
	s_or_b32 s9, s18, vcc_lo
	s_delay_alu instid0(SALU_CYCLE_1)
	s_and_saveexec_b32 s1, s9
	s_cbranch_execz .LBB151_106
; %bb.104:
	v_and_b32_e32 v40, 1, v58
	s_delay_alu instid0(VALU_DEP_1)
	v_cmp_eq_u32_e32 vcc_lo, 1, v40
	s_and_b32 exec_lo, exec_lo, vcc_lo
	s_cbranch_execz .LBB151_106
; %bb.105:
	v_mov_b32_e32 v52, 0
	s_delay_alu instid0(VALU_DEP_1) | instskip(NEXT) | instid1(VALU_DEP_1)
	v_lshlrev_b64 v[60:61], 3, v[51:52]
	v_add_co_u32 v60, vcc_lo, s2, v60
	s_delay_alu instid0(VALU_DEP_2)
	v_add_co_ci_u32_e32 v61, vcc_lo, s3, v61, vcc_lo
	global_store_b64 v[60:61], v[31:32], off
.LBB151_106:
	s_or_b32 exec_lo, exec_lo, s1
	v_cmp_lt_u32_e32 vcc_lo, v49, v59
	s_or_b32 s9, s18, vcc_lo
	;; [unrolled: 21-line block ×7, first 2 shown]
	s_delay_alu instid0(SALU_CYCLE_1)
	s_and_saveexec_b32 s1, s9
	s_cbranch_execz .LBB151_124
; %bb.122:
	v_and_b32_e32 v40, 1, v56
	s_delay_alu instid0(VALU_DEP_1)
	v_cmp_eq_u32_e32 vcc_lo, 1, v40
	s_and_b32 exec_lo, exec_lo, vcc_lo
	s_cbranch_execz .LBB151_124
; %bb.123:
	v_mov_b32_e32 v40, 0
	s_delay_alu instid0(VALU_DEP_1) | instskip(NEXT) | instid1(VALU_DEP_1)
	v_lshlrev_b64 v[60:61], 3, v[39:40]
	v_add_co_u32 v60, vcc_lo, s2, v60
	s_delay_alu instid0(VALU_DEP_2)
	v_add_co_ci_u32_e32 v61, vcc_lo, s3, v61, vcc_lo
	global_store_b64 v[60:61], v[19:20], off
.LBB151_124:
	s_or_b32 exec_lo, exec_lo, s1
	s_mov_b32 s2, 0
.LBB151_125:
	v_and_b32_e32 v33, 1, v33
	s_and_b32 vcc_lo, exec_lo, s2
	s_delay_alu instid0(VALU_DEP_1)
	v_cmp_eq_u32_e64 s1, 1, v33
	s_cbranch_vccz .LBB151_146
; %bb.126:
	s_delay_alu instid0(VALU_DEP_1)
	s_and_saveexec_b32 s2, s1
	s_cbranch_execz .LBB151_128
; %bb.127:
	v_subrev_nc_u32_e32 v40, s8, v53
	s_delay_alu instid0(VALU_DEP_1)
	v_lshlrev_b32_e32 v40, 3, v40
	ds_store_b64 v40, v[29:30]
.LBB151_128:
	s_or_b32 exec_lo, exec_lo, s2
	v_and_b32_e32 v29, 1, v58
	s_mov_b32 s1, exec_lo
	s_delay_alu instid0(VALU_DEP_1)
	v_cmpx_eq_u32_e32 1, v29
	s_cbranch_execz .LBB151_130
; %bb.129:
	v_subrev_nc_u32_e32 v29, s8, v51
	s_delay_alu instid0(VALU_DEP_1)
	v_lshlrev_b32_e32 v29, 3, v29
	ds_store_b64 v29, v[31:32]
.LBB151_130:
	s_or_b32 exec_lo, exec_lo, s1
	v_and_b32_e32 v29, 1, v57
	s_mov_b32 s1, exec_lo
	s_delay_alu instid0(VALU_DEP_1)
	v_cmpx_eq_u32_e32 1, v29
	;; [unrolled: 12-line block ×7, first 2 shown]
	s_cbranch_execz .LBB151_142
; %bb.141:
	v_subrev_nc_u32_e32 v17, s8, v39
	s_delay_alu instid0(VALU_DEP_1)
	v_lshlrev_b32_e32 v17, 3, v17
	ds_store_b64 v17, v[19:20]
.LBB151_142:
	s_or_b32 exec_lo, exec_lo, s1
	s_delay_alu instid0(SALU_CYCLE_1)
	s_mov_b32 s2, exec_lo
	s_waitcnt lgkmcnt(0)
	s_waitcnt_vscnt null, 0x0
	s_barrier
	buffer_gl0_inv
	v_cmpx_lt_u32_e64 v0, v35
	s_cbranch_execz .LBB151_145
; %bb.143:
	s_mov_b32 s9, 0
	s_lshl_b64 s[12:13], s[10:11], 3
	s_lshl_b64 s[20:21], s[8:9], 3
	v_dual_mov_b32 v19, v55 :: v_dual_mov_b32 v20, v0
	s_add_u32 s1, s12, s20
	s_addc_u32 s3, s13, s21
	s_add_u32 s1, s4, s1
	s_addc_u32 s3, s5, s3
	v_add_co_u32 v17, s1, s1, v55
	s_delay_alu instid0(VALU_DEP_1)
	v_add_co_ci_u32_e64 v18, null, s3, 0, s1
	.p2align	6
.LBB151_144:                            ; =>This Inner Loop Header: Depth=1
	ds_load_b64 v[21:22], v19
	v_add_nc_u32_e32 v20, 0x200, v20
	v_add_nc_u32_e32 v19, 0x1000, v19
	s_delay_alu instid0(VALU_DEP_2) | instskip(SKIP_4) | instid1(VALU_DEP_1)
	v_cmp_ge_u32_e32 vcc_lo, v20, v35
	s_or_b32 s9, vcc_lo, s9
	s_waitcnt lgkmcnt(0)
	global_store_b64 v[17:18], v[21:22], off
	v_add_co_u32 v17, s1, 0x1000, v17
	v_add_co_ci_u32_e64 v18, s1, 0, v18, s1
	s_and_not1_b32 exec_lo, exec_lo, s9
	s_cbranch_execnz .LBB151_144
.LBB151_145:
	s_or_b32 exec_lo, exec_lo, s2
.LBB151_146:
	s_delay_alu instid0(SALU_CYCLE_1)
	s_and_b32 vcc_lo, exec_lo, s0
	s_mov_b32 s0, -1
	s_waitcnt lgkmcnt(0)
	s_waitcnt_vscnt null, 0x0
	s_barrier
	buffer_gl0_inv
	s_cbranch_vccz .LBB151_174
; %bb.147:
	v_cmp_lt_u32_e32 vcc_lo, v53, v59
	s_lshl_b64 s[0:1], s[10:11], 3
	s_delay_alu instid0(SALU_CYCLE_1) | instskip(SKIP_2) | instid1(SALU_CYCLE_1)
	s_add_u32 s0, s6, s0
	s_addc_u32 s1, s7, s1
	s_or_b32 s3, s18, vcc_lo
	s_and_saveexec_b32 s2, s3
	s_cbranch_execz .LBB151_150
; %bb.148:
	v_cmp_eq_u32_e32 vcc_lo, 1, v33
	s_and_b32 exec_lo, exec_lo, vcc_lo
	s_cbranch_execz .LBB151_150
; %bb.149:
	v_mov_b32_e32 v54, 0
	s_delay_alu instid0(VALU_DEP_1) | instskip(NEXT) | instid1(VALU_DEP_1)
	v_lshlrev_b64 v[17:18], 3, v[53:54]
	v_add_co_u32 v17, vcc_lo, s0, v17
	s_delay_alu instid0(VALU_DEP_2)
	v_add_co_ci_u32_e32 v18, vcc_lo, s1, v18, vcc_lo
	global_store_b64 v[17:18], v[13:14], off
.LBB151_150:
	s_or_b32 exec_lo, exec_lo, s2
	v_cmp_lt_u32_e32 vcc_lo, v51, v59
	s_or_b32 s3, s18, vcc_lo
	s_delay_alu instid0(SALU_CYCLE_1)
	s_and_saveexec_b32 s2, s3
	s_cbranch_execz .LBB151_153
; %bb.151:
	v_and_b32_e32 v17, 1, v58
	s_delay_alu instid0(VALU_DEP_1)
	v_cmp_eq_u32_e32 vcc_lo, 1, v17
	s_and_b32 exec_lo, exec_lo, vcc_lo
	s_cbranch_execz .LBB151_153
; %bb.152:
	v_mov_b32_e32 v52, 0
	s_delay_alu instid0(VALU_DEP_1) | instskip(NEXT) | instid1(VALU_DEP_1)
	v_lshlrev_b64 v[17:18], 3, v[51:52]
	v_add_co_u32 v17, vcc_lo, s0, v17
	s_delay_alu instid0(VALU_DEP_2)
	v_add_co_ci_u32_e32 v18, vcc_lo, s1, v18, vcc_lo
	global_store_b64 v[17:18], v[15:16], off
.LBB151_153:
	s_or_b32 exec_lo, exec_lo, s2
	v_cmp_lt_u32_e32 vcc_lo, v49, v59
	s_or_b32 s3, s18, vcc_lo
	s_delay_alu instid0(SALU_CYCLE_1)
	s_and_saveexec_b32 s2, s3
	s_cbranch_execz .LBB151_156
; %bb.154:
	v_and_b32_e32 v17, 1, v57
	s_delay_alu instid0(VALU_DEP_1)
	v_cmp_eq_u32_e32 vcc_lo, 1, v17
	s_and_b32 exec_lo, exec_lo, vcc_lo
	s_cbranch_execz .LBB151_156
; %bb.155:
	v_mov_b32_e32 v50, 0
	s_delay_alu instid0(VALU_DEP_1) | instskip(NEXT) | instid1(VALU_DEP_1)
	v_lshlrev_b64 v[17:18], 3, v[49:50]
	v_add_co_u32 v17, vcc_lo, s0, v17
	s_delay_alu instid0(VALU_DEP_2)
	v_add_co_ci_u32_e32 v18, vcc_lo, s1, v18, vcc_lo
	global_store_b64 v[17:18], v[9:10], off
.LBB151_156:
	;; [unrolled: 21-line block ×7, first 2 shown]
	s_or_b32 exec_lo, exec_lo, s2
.LBB151_172:
	v_cmp_eq_u32_e32 vcc_lo, 0, v0
	s_and_b32 s0, vcc_lo, s14
	s_delay_alu instid0(SALU_CYCLE_1)
	s_and_saveexec_b32 s1, s0
	s_cbranch_execz .LBB151_195
.LBB151_173:
	v_add_co_u32 v0, s0, s10, v35
	s_delay_alu instid0(VALU_DEP_1) | instskip(SKIP_1) | instid1(VALU_DEP_3)
	v_add_co_ci_u32_e64 v1, null, s11, 0, s0
	v_mov_b32_e32 v2, 0
	v_add_co_u32 v0, vcc_lo, v0, s8
	s_delay_alu instid0(VALU_DEP_3)
	v_add_co_ci_u32_e32 v1, vcc_lo, 0, v1, vcc_lo
	global_store_b64 v2, v[0:1], s[16:17]
	s_nop 0
	s_sendmsg sendmsg(MSG_DEALLOC_VGPRS)
	s_endpgm
.LBB151_174:
	s_and_b32 vcc_lo, exec_lo, s0
	s_cbranch_vccz .LBB151_172
; %bb.175:
	s_mov_b32 s0, exec_lo
	v_cmpx_eq_u32_e32 1, v33
	s_cbranch_execz .LBB151_177
; %bb.176:
	v_subrev_nc_u32_e32 v17, s8, v53
	s_delay_alu instid0(VALU_DEP_1)
	v_lshlrev_b32_e32 v17, 3, v17
	ds_store_b64 v17, v[13:14]
.LBB151_177:
	s_or_b32 exec_lo, exec_lo, s0
	v_and_b32_e32 v13, 1, v58
	s_mov_b32 s0, exec_lo
	s_delay_alu instid0(VALU_DEP_1)
	v_cmpx_eq_u32_e32 1, v13
	s_cbranch_execz .LBB151_179
; %bb.178:
	v_subrev_nc_u32_e32 v13, s8, v51
	s_delay_alu instid0(VALU_DEP_1)
	v_lshlrev_b32_e32 v13, 3, v13
	ds_store_b64 v13, v[15:16]
.LBB151_179:
	s_or_b32 exec_lo, exec_lo, s0
	v_and_b32_e32 v13, 1, v57
	s_mov_b32 s0, exec_lo
	s_delay_alu instid0(VALU_DEP_1)
	;; [unrolled: 12-line block ×7, first 2 shown]
	v_cmpx_eq_u32_e32 1, v1
	s_cbranch_execz .LBB151_191
; %bb.190:
	v_subrev_nc_u32_e32 v1, s8, v39
	s_delay_alu instid0(VALU_DEP_1)
	v_lshlrev_b32_e32 v1, 3, v1
	ds_store_b64 v1, v[3:4]
.LBB151_191:
	s_or_b32 exec_lo, exec_lo, s0
	s_delay_alu instid0(SALU_CYCLE_1)
	s_mov_b32 s1, exec_lo
	s_waitcnt lgkmcnt(0)
	s_waitcnt_vscnt null, 0x0
	s_barrier
	buffer_gl0_inv
	v_cmpx_lt_u32_e64 v0, v35
	s_cbranch_execz .LBB151_194
; %bb.192:
	s_mov_b32 s9, 0
	s_lshl_b64 s[2:3], s[10:11], 3
	s_lshl_b64 s[4:5], s[8:9], 3
	v_mov_b32_e32 v3, v0
	s_add_u32 s0, s2, s4
	s_addc_u32 s2, s3, s5
	s_add_u32 s0, s6, s0
	s_addc_u32 s2, s7, s2
	v_add_co_u32 v1, s0, s0, v55
	s_delay_alu instid0(VALU_DEP_1)
	v_add_co_ci_u32_e64 v2, null, s2, 0, s0
	.p2align	6
.LBB151_193:                            ; =>This Inner Loop Header: Depth=1
	ds_load_b64 v[4:5], v55
	v_add_nc_u32_e32 v3, 0x200, v3
	v_add_nc_u32_e32 v55, 0x1000, v55
	s_delay_alu instid0(VALU_DEP_2) | instskip(SKIP_4) | instid1(VALU_DEP_1)
	v_cmp_ge_u32_e32 vcc_lo, v3, v35
	s_or_b32 s9, vcc_lo, s9
	s_waitcnt lgkmcnt(0)
	global_store_b64 v[1:2], v[4:5], off
	v_add_co_u32 v1, s0, 0x1000, v1
	v_add_co_ci_u32_e64 v2, s0, 0, v2, s0
	s_and_not1_b32 exec_lo, exec_lo, s9
	s_cbranch_execnz .LBB151_193
.LBB151_194:
	s_or_b32 exec_lo, exec_lo, s1
	v_cmp_eq_u32_e32 vcc_lo, 0, v0
	s_and_b32 s0, vcc_lo, s14
	s_delay_alu instid0(SALU_CYCLE_1)
	s_and_saveexec_b32 s1, s0
	s_cbranch_execnz .LBB151_173
.LBB151_195:
	s_nop 0
	s_sendmsg sendmsg(MSG_DEALLOC_VGPRS)
	s_endpgm
	.section	.rodata,"a",@progbits
	.p2align	6, 0x0
	.amdhsa_kernel _ZN7rocprim17ROCPRIM_400000_NS6detail17trampoline_kernelINS0_14default_configENS1_25partition_config_selectorILNS1_17partition_subalgoE9EyybEEZZNS1_14partition_implILS5_9ELb0ES3_jN6thrust23THRUST_200600_302600_NS6detail15normal_iteratorINS9_10device_ptrIyEEEESE_PNS0_10empty_typeENS0_5tupleIJSE_SF_EEENSH_IJSE_SG_EEENS0_18inequality_wrapperINS9_8equal_toIyEEEEPmJSF_EEE10hipError_tPvRmT3_T4_T5_T6_T7_T9_mT8_P12ihipStream_tbDpT10_ENKUlT_T0_E_clISt17integral_constantIbLb0EES18_EEDaS13_S14_EUlS13_E_NS1_11comp_targetILNS1_3genE9ELNS1_11target_archE1100ELNS1_3gpuE3ELNS1_3repE0EEENS1_30default_config_static_selectorELNS0_4arch9wavefront6targetE0EEEvT1_
		.amdhsa_group_segment_fixed_size 33800
		.amdhsa_private_segment_fixed_size 0
		.amdhsa_kernarg_size 112
		.amdhsa_user_sgpr_count 15
		.amdhsa_user_sgpr_dispatch_ptr 0
		.amdhsa_user_sgpr_queue_ptr 0
		.amdhsa_user_sgpr_kernarg_segment_ptr 1
		.amdhsa_user_sgpr_dispatch_id 0
		.amdhsa_user_sgpr_private_segment_size 0
		.amdhsa_wavefront_size32 1
		.amdhsa_uses_dynamic_stack 0
		.amdhsa_enable_private_segment 0
		.amdhsa_system_sgpr_workgroup_id_x 1
		.amdhsa_system_sgpr_workgroup_id_y 0
		.amdhsa_system_sgpr_workgroup_id_z 0
		.amdhsa_system_sgpr_workgroup_info 0
		.amdhsa_system_vgpr_workitem_id 0
		.amdhsa_next_free_vgpr 68
		.amdhsa_next_free_sgpr 25
		.amdhsa_reserve_vcc 1
		.amdhsa_float_round_mode_32 0
		.amdhsa_float_round_mode_16_64 0
		.amdhsa_float_denorm_mode_32 3
		.amdhsa_float_denorm_mode_16_64 3
		.amdhsa_dx10_clamp 1
		.amdhsa_ieee_mode 1
		.amdhsa_fp16_overflow 0
		.amdhsa_workgroup_processor_mode 1
		.amdhsa_memory_ordered 1
		.amdhsa_forward_progress 0
		.amdhsa_shared_vgpr_count 0
		.amdhsa_exception_fp_ieee_invalid_op 0
		.amdhsa_exception_fp_denorm_src 0
		.amdhsa_exception_fp_ieee_div_zero 0
		.amdhsa_exception_fp_ieee_overflow 0
		.amdhsa_exception_fp_ieee_underflow 0
		.amdhsa_exception_fp_ieee_inexact 0
		.amdhsa_exception_int_div_zero 0
	.end_amdhsa_kernel
	.section	.text._ZN7rocprim17ROCPRIM_400000_NS6detail17trampoline_kernelINS0_14default_configENS1_25partition_config_selectorILNS1_17partition_subalgoE9EyybEEZZNS1_14partition_implILS5_9ELb0ES3_jN6thrust23THRUST_200600_302600_NS6detail15normal_iteratorINS9_10device_ptrIyEEEESE_PNS0_10empty_typeENS0_5tupleIJSE_SF_EEENSH_IJSE_SG_EEENS0_18inequality_wrapperINS9_8equal_toIyEEEEPmJSF_EEE10hipError_tPvRmT3_T4_T5_T6_T7_T9_mT8_P12ihipStream_tbDpT10_ENKUlT_T0_E_clISt17integral_constantIbLb0EES18_EEDaS13_S14_EUlS13_E_NS1_11comp_targetILNS1_3genE9ELNS1_11target_archE1100ELNS1_3gpuE3ELNS1_3repE0EEENS1_30default_config_static_selectorELNS0_4arch9wavefront6targetE0EEEvT1_,"axG",@progbits,_ZN7rocprim17ROCPRIM_400000_NS6detail17trampoline_kernelINS0_14default_configENS1_25partition_config_selectorILNS1_17partition_subalgoE9EyybEEZZNS1_14partition_implILS5_9ELb0ES3_jN6thrust23THRUST_200600_302600_NS6detail15normal_iteratorINS9_10device_ptrIyEEEESE_PNS0_10empty_typeENS0_5tupleIJSE_SF_EEENSH_IJSE_SG_EEENS0_18inequality_wrapperINS9_8equal_toIyEEEEPmJSF_EEE10hipError_tPvRmT3_T4_T5_T6_T7_T9_mT8_P12ihipStream_tbDpT10_ENKUlT_T0_E_clISt17integral_constantIbLb0EES18_EEDaS13_S14_EUlS13_E_NS1_11comp_targetILNS1_3genE9ELNS1_11target_archE1100ELNS1_3gpuE3ELNS1_3repE0EEENS1_30default_config_static_selectorELNS0_4arch9wavefront6targetE0EEEvT1_,comdat
.Lfunc_end151:
	.size	_ZN7rocprim17ROCPRIM_400000_NS6detail17trampoline_kernelINS0_14default_configENS1_25partition_config_selectorILNS1_17partition_subalgoE9EyybEEZZNS1_14partition_implILS5_9ELb0ES3_jN6thrust23THRUST_200600_302600_NS6detail15normal_iteratorINS9_10device_ptrIyEEEESE_PNS0_10empty_typeENS0_5tupleIJSE_SF_EEENSH_IJSE_SG_EEENS0_18inequality_wrapperINS9_8equal_toIyEEEEPmJSF_EEE10hipError_tPvRmT3_T4_T5_T6_T7_T9_mT8_P12ihipStream_tbDpT10_ENKUlT_T0_E_clISt17integral_constantIbLb0EES18_EEDaS13_S14_EUlS13_E_NS1_11comp_targetILNS1_3genE9ELNS1_11target_archE1100ELNS1_3gpuE3ELNS1_3repE0EEENS1_30default_config_static_selectorELNS0_4arch9wavefront6targetE0EEEvT1_, .Lfunc_end151-_ZN7rocprim17ROCPRIM_400000_NS6detail17trampoline_kernelINS0_14default_configENS1_25partition_config_selectorILNS1_17partition_subalgoE9EyybEEZZNS1_14partition_implILS5_9ELb0ES3_jN6thrust23THRUST_200600_302600_NS6detail15normal_iteratorINS9_10device_ptrIyEEEESE_PNS0_10empty_typeENS0_5tupleIJSE_SF_EEENSH_IJSE_SG_EEENS0_18inequality_wrapperINS9_8equal_toIyEEEEPmJSF_EEE10hipError_tPvRmT3_T4_T5_T6_T7_T9_mT8_P12ihipStream_tbDpT10_ENKUlT_T0_E_clISt17integral_constantIbLb0EES18_EEDaS13_S14_EUlS13_E_NS1_11comp_targetILNS1_3genE9ELNS1_11target_archE1100ELNS1_3gpuE3ELNS1_3repE0EEENS1_30default_config_static_selectorELNS0_4arch9wavefront6targetE0EEEvT1_
                                        ; -- End function
	.section	.AMDGPU.csdata,"",@progbits
; Kernel info:
; codeLenInByte = 9336
; NumSgprs: 27
; NumVgprs: 68
; ScratchSize: 0
; MemoryBound: 0
; FloatMode: 240
; IeeeMode: 1
; LDSByteSize: 33800 bytes/workgroup (compile time only)
; SGPRBlocks: 3
; VGPRBlocks: 8
; NumSGPRsForWavesPerEU: 27
; NumVGPRsForWavesPerEU: 68
; Occupancy: 12
; WaveLimiterHint : 1
; COMPUTE_PGM_RSRC2:SCRATCH_EN: 0
; COMPUTE_PGM_RSRC2:USER_SGPR: 15
; COMPUTE_PGM_RSRC2:TRAP_HANDLER: 0
; COMPUTE_PGM_RSRC2:TGID_X_EN: 1
; COMPUTE_PGM_RSRC2:TGID_Y_EN: 0
; COMPUTE_PGM_RSRC2:TGID_Z_EN: 0
; COMPUTE_PGM_RSRC2:TIDIG_COMP_CNT: 0
	.section	.text._ZN7rocprim17ROCPRIM_400000_NS6detail17trampoline_kernelINS0_14default_configENS1_25partition_config_selectorILNS1_17partition_subalgoE9EyybEEZZNS1_14partition_implILS5_9ELb0ES3_jN6thrust23THRUST_200600_302600_NS6detail15normal_iteratorINS9_10device_ptrIyEEEESE_PNS0_10empty_typeENS0_5tupleIJSE_SF_EEENSH_IJSE_SG_EEENS0_18inequality_wrapperINS9_8equal_toIyEEEEPmJSF_EEE10hipError_tPvRmT3_T4_T5_T6_T7_T9_mT8_P12ihipStream_tbDpT10_ENKUlT_T0_E_clISt17integral_constantIbLb0EES18_EEDaS13_S14_EUlS13_E_NS1_11comp_targetILNS1_3genE8ELNS1_11target_archE1030ELNS1_3gpuE2ELNS1_3repE0EEENS1_30default_config_static_selectorELNS0_4arch9wavefront6targetE0EEEvT1_,"axG",@progbits,_ZN7rocprim17ROCPRIM_400000_NS6detail17trampoline_kernelINS0_14default_configENS1_25partition_config_selectorILNS1_17partition_subalgoE9EyybEEZZNS1_14partition_implILS5_9ELb0ES3_jN6thrust23THRUST_200600_302600_NS6detail15normal_iteratorINS9_10device_ptrIyEEEESE_PNS0_10empty_typeENS0_5tupleIJSE_SF_EEENSH_IJSE_SG_EEENS0_18inequality_wrapperINS9_8equal_toIyEEEEPmJSF_EEE10hipError_tPvRmT3_T4_T5_T6_T7_T9_mT8_P12ihipStream_tbDpT10_ENKUlT_T0_E_clISt17integral_constantIbLb0EES18_EEDaS13_S14_EUlS13_E_NS1_11comp_targetILNS1_3genE8ELNS1_11target_archE1030ELNS1_3gpuE2ELNS1_3repE0EEENS1_30default_config_static_selectorELNS0_4arch9wavefront6targetE0EEEvT1_,comdat
	.protected	_ZN7rocprim17ROCPRIM_400000_NS6detail17trampoline_kernelINS0_14default_configENS1_25partition_config_selectorILNS1_17partition_subalgoE9EyybEEZZNS1_14partition_implILS5_9ELb0ES3_jN6thrust23THRUST_200600_302600_NS6detail15normal_iteratorINS9_10device_ptrIyEEEESE_PNS0_10empty_typeENS0_5tupleIJSE_SF_EEENSH_IJSE_SG_EEENS0_18inequality_wrapperINS9_8equal_toIyEEEEPmJSF_EEE10hipError_tPvRmT3_T4_T5_T6_T7_T9_mT8_P12ihipStream_tbDpT10_ENKUlT_T0_E_clISt17integral_constantIbLb0EES18_EEDaS13_S14_EUlS13_E_NS1_11comp_targetILNS1_3genE8ELNS1_11target_archE1030ELNS1_3gpuE2ELNS1_3repE0EEENS1_30default_config_static_selectorELNS0_4arch9wavefront6targetE0EEEvT1_ ; -- Begin function _ZN7rocprim17ROCPRIM_400000_NS6detail17trampoline_kernelINS0_14default_configENS1_25partition_config_selectorILNS1_17partition_subalgoE9EyybEEZZNS1_14partition_implILS5_9ELb0ES3_jN6thrust23THRUST_200600_302600_NS6detail15normal_iteratorINS9_10device_ptrIyEEEESE_PNS0_10empty_typeENS0_5tupleIJSE_SF_EEENSH_IJSE_SG_EEENS0_18inequality_wrapperINS9_8equal_toIyEEEEPmJSF_EEE10hipError_tPvRmT3_T4_T5_T6_T7_T9_mT8_P12ihipStream_tbDpT10_ENKUlT_T0_E_clISt17integral_constantIbLb0EES18_EEDaS13_S14_EUlS13_E_NS1_11comp_targetILNS1_3genE8ELNS1_11target_archE1030ELNS1_3gpuE2ELNS1_3repE0EEENS1_30default_config_static_selectorELNS0_4arch9wavefront6targetE0EEEvT1_
	.globl	_ZN7rocprim17ROCPRIM_400000_NS6detail17trampoline_kernelINS0_14default_configENS1_25partition_config_selectorILNS1_17partition_subalgoE9EyybEEZZNS1_14partition_implILS5_9ELb0ES3_jN6thrust23THRUST_200600_302600_NS6detail15normal_iteratorINS9_10device_ptrIyEEEESE_PNS0_10empty_typeENS0_5tupleIJSE_SF_EEENSH_IJSE_SG_EEENS0_18inequality_wrapperINS9_8equal_toIyEEEEPmJSF_EEE10hipError_tPvRmT3_T4_T5_T6_T7_T9_mT8_P12ihipStream_tbDpT10_ENKUlT_T0_E_clISt17integral_constantIbLb0EES18_EEDaS13_S14_EUlS13_E_NS1_11comp_targetILNS1_3genE8ELNS1_11target_archE1030ELNS1_3gpuE2ELNS1_3repE0EEENS1_30default_config_static_selectorELNS0_4arch9wavefront6targetE0EEEvT1_
	.p2align	8
	.type	_ZN7rocprim17ROCPRIM_400000_NS6detail17trampoline_kernelINS0_14default_configENS1_25partition_config_selectorILNS1_17partition_subalgoE9EyybEEZZNS1_14partition_implILS5_9ELb0ES3_jN6thrust23THRUST_200600_302600_NS6detail15normal_iteratorINS9_10device_ptrIyEEEESE_PNS0_10empty_typeENS0_5tupleIJSE_SF_EEENSH_IJSE_SG_EEENS0_18inequality_wrapperINS9_8equal_toIyEEEEPmJSF_EEE10hipError_tPvRmT3_T4_T5_T6_T7_T9_mT8_P12ihipStream_tbDpT10_ENKUlT_T0_E_clISt17integral_constantIbLb0EES18_EEDaS13_S14_EUlS13_E_NS1_11comp_targetILNS1_3genE8ELNS1_11target_archE1030ELNS1_3gpuE2ELNS1_3repE0EEENS1_30default_config_static_selectorELNS0_4arch9wavefront6targetE0EEEvT1_,@function
_ZN7rocprim17ROCPRIM_400000_NS6detail17trampoline_kernelINS0_14default_configENS1_25partition_config_selectorILNS1_17partition_subalgoE9EyybEEZZNS1_14partition_implILS5_9ELb0ES3_jN6thrust23THRUST_200600_302600_NS6detail15normal_iteratorINS9_10device_ptrIyEEEESE_PNS0_10empty_typeENS0_5tupleIJSE_SF_EEENSH_IJSE_SG_EEENS0_18inequality_wrapperINS9_8equal_toIyEEEEPmJSF_EEE10hipError_tPvRmT3_T4_T5_T6_T7_T9_mT8_P12ihipStream_tbDpT10_ENKUlT_T0_E_clISt17integral_constantIbLb0EES18_EEDaS13_S14_EUlS13_E_NS1_11comp_targetILNS1_3genE8ELNS1_11target_archE1030ELNS1_3gpuE2ELNS1_3repE0EEENS1_30default_config_static_selectorELNS0_4arch9wavefront6targetE0EEEvT1_: ; @_ZN7rocprim17ROCPRIM_400000_NS6detail17trampoline_kernelINS0_14default_configENS1_25partition_config_selectorILNS1_17partition_subalgoE9EyybEEZZNS1_14partition_implILS5_9ELb0ES3_jN6thrust23THRUST_200600_302600_NS6detail15normal_iteratorINS9_10device_ptrIyEEEESE_PNS0_10empty_typeENS0_5tupleIJSE_SF_EEENSH_IJSE_SG_EEENS0_18inequality_wrapperINS9_8equal_toIyEEEEPmJSF_EEE10hipError_tPvRmT3_T4_T5_T6_T7_T9_mT8_P12ihipStream_tbDpT10_ENKUlT_T0_E_clISt17integral_constantIbLb0EES18_EEDaS13_S14_EUlS13_E_NS1_11comp_targetILNS1_3genE8ELNS1_11target_archE1030ELNS1_3gpuE2ELNS1_3repE0EEENS1_30default_config_static_selectorELNS0_4arch9wavefront6targetE0EEEvT1_
; %bb.0:
	.section	.rodata,"a",@progbits
	.p2align	6, 0x0
	.amdhsa_kernel _ZN7rocprim17ROCPRIM_400000_NS6detail17trampoline_kernelINS0_14default_configENS1_25partition_config_selectorILNS1_17partition_subalgoE9EyybEEZZNS1_14partition_implILS5_9ELb0ES3_jN6thrust23THRUST_200600_302600_NS6detail15normal_iteratorINS9_10device_ptrIyEEEESE_PNS0_10empty_typeENS0_5tupleIJSE_SF_EEENSH_IJSE_SG_EEENS0_18inequality_wrapperINS9_8equal_toIyEEEEPmJSF_EEE10hipError_tPvRmT3_T4_T5_T6_T7_T9_mT8_P12ihipStream_tbDpT10_ENKUlT_T0_E_clISt17integral_constantIbLb0EES18_EEDaS13_S14_EUlS13_E_NS1_11comp_targetILNS1_3genE8ELNS1_11target_archE1030ELNS1_3gpuE2ELNS1_3repE0EEENS1_30default_config_static_selectorELNS0_4arch9wavefront6targetE0EEEvT1_
		.amdhsa_group_segment_fixed_size 0
		.amdhsa_private_segment_fixed_size 0
		.amdhsa_kernarg_size 112
		.amdhsa_user_sgpr_count 15
		.amdhsa_user_sgpr_dispatch_ptr 0
		.amdhsa_user_sgpr_queue_ptr 0
		.amdhsa_user_sgpr_kernarg_segment_ptr 1
		.amdhsa_user_sgpr_dispatch_id 0
		.amdhsa_user_sgpr_private_segment_size 0
		.amdhsa_wavefront_size32 1
		.amdhsa_uses_dynamic_stack 0
		.amdhsa_enable_private_segment 0
		.amdhsa_system_sgpr_workgroup_id_x 1
		.amdhsa_system_sgpr_workgroup_id_y 0
		.amdhsa_system_sgpr_workgroup_id_z 0
		.amdhsa_system_sgpr_workgroup_info 0
		.amdhsa_system_vgpr_workitem_id 0
		.amdhsa_next_free_vgpr 1
		.amdhsa_next_free_sgpr 1
		.amdhsa_reserve_vcc 0
		.amdhsa_float_round_mode_32 0
		.amdhsa_float_round_mode_16_64 0
		.amdhsa_float_denorm_mode_32 3
		.amdhsa_float_denorm_mode_16_64 3
		.amdhsa_dx10_clamp 1
		.amdhsa_ieee_mode 1
		.amdhsa_fp16_overflow 0
		.amdhsa_workgroup_processor_mode 1
		.amdhsa_memory_ordered 1
		.amdhsa_forward_progress 0
		.amdhsa_shared_vgpr_count 0
		.amdhsa_exception_fp_ieee_invalid_op 0
		.amdhsa_exception_fp_denorm_src 0
		.amdhsa_exception_fp_ieee_div_zero 0
		.amdhsa_exception_fp_ieee_overflow 0
		.amdhsa_exception_fp_ieee_underflow 0
		.amdhsa_exception_fp_ieee_inexact 0
		.amdhsa_exception_int_div_zero 0
	.end_amdhsa_kernel
	.section	.text._ZN7rocprim17ROCPRIM_400000_NS6detail17trampoline_kernelINS0_14default_configENS1_25partition_config_selectorILNS1_17partition_subalgoE9EyybEEZZNS1_14partition_implILS5_9ELb0ES3_jN6thrust23THRUST_200600_302600_NS6detail15normal_iteratorINS9_10device_ptrIyEEEESE_PNS0_10empty_typeENS0_5tupleIJSE_SF_EEENSH_IJSE_SG_EEENS0_18inequality_wrapperINS9_8equal_toIyEEEEPmJSF_EEE10hipError_tPvRmT3_T4_T5_T6_T7_T9_mT8_P12ihipStream_tbDpT10_ENKUlT_T0_E_clISt17integral_constantIbLb0EES18_EEDaS13_S14_EUlS13_E_NS1_11comp_targetILNS1_3genE8ELNS1_11target_archE1030ELNS1_3gpuE2ELNS1_3repE0EEENS1_30default_config_static_selectorELNS0_4arch9wavefront6targetE0EEEvT1_,"axG",@progbits,_ZN7rocprim17ROCPRIM_400000_NS6detail17trampoline_kernelINS0_14default_configENS1_25partition_config_selectorILNS1_17partition_subalgoE9EyybEEZZNS1_14partition_implILS5_9ELb0ES3_jN6thrust23THRUST_200600_302600_NS6detail15normal_iteratorINS9_10device_ptrIyEEEESE_PNS0_10empty_typeENS0_5tupleIJSE_SF_EEENSH_IJSE_SG_EEENS0_18inequality_wrapperINS9_8equal_toIyEEEEPmJSF_EEE10hipError_tPvRmT3_T4_T5_T6_T7_T9_mT8_P12ihipStream_tbDpT10_ENKUlT_T0_E_clISt17integral_constantIbLb0EES18_EEDaS13_S14_EUlS13_E_NS1_11comp_targetILNS1_3genE8ELNS1_11target_archE1030ELNS1_3gpuE2ELNS1_3repE0EEENS1_30default_config_static_selectorELNS0_4arch9wavefront6targetE0EEEvT1_,comdat
.Lfunc_end152:
	.size	_ZN7rocprim17ROCPRIM_400000_NS6detail17trampoline_kernelINS0_14default_configENS1_25partition_config_selectorILNS1_17partition_subalgoE9EyybEEZZNS1_14partition_implILS5_9ELb0ES3_jN6thrust23THRUST_200600_302600_NS6detail15normal_iteratorINS9_10device_ptrIyEEEESE_PNS0_10empty_typeENS0_5tupleIJSE_SF_EEENSH_IJSE_SG_EEENS0_18inequality_wrapperINS9_8equal_toIyEEEEPmJSF_EEE10hipError_tPvRmT3_T4_T5_T6_T7_T9_mT8_P12ihipStream_tbDpT10_ENKUlT_T0_E_clISt17integral_constantIbLb0EES18_EEDaS13_S14_EUlS13_E_NS1_11comp_targetILNS1_3genE8ELNS1_11target_archE1030ELNS1_3gpuE2ELNS1_3repE0EEENS1_30default_config_static_selectorELNS0_4arch9wavefront6targetE0EEEvT1_, .Lfunc_end152-_ZN7rocprim17ROCPRIM_400000_NS6detail17trampoline_kernelINS0_14default_configENS1_25partition_config_selectorILNS1_17partition_subalgoE9EyybEEZZNS1_14partition_implILS5_9ELb0ES3_jN6thrust23THRUST_200600_302600_NS6detail15normal_iteratorINS9_10device_ptrIyEEEESE_PNS0_10empty_typeENS0_5tupleIJSE_SF_EEENSH_IJSE_SG_EEENS0_18inequality_wrapperINS9_8equal_toIyEEEEPmJSF_EEE10hipError_tPvRmT3_T4_T5_T6_T7_T9_mT8_P12ihipStream_tbDpT10_ENKUlT_T0_E_clISt17integral_constantIbLb0EES18_EEDaS13_S14_EUlS13_E_NS1_11comp_targetILNS1_3genE8ELNS1_11target_archE1030ELNS1_3gpuE2ELNS1_3repE0EEENS1_30default_config_static_selectorELNS0_4arch9wavefront6targetE0EEEvT1_
                                        ; -- End function
	.section	.AMDGPU.csdata,"",@progbits
; Kernel info:
; codeLenInByte = 0
; NumSgprs: 0
; NumVgprs: 0
; ScratchSize: 0
; MemoryBound: 0
; FloatMode: 240
; IeeeMode: 1
; LDSByteSize: 0 bytes/workgroup (compile time only)
; SGPRBlocks: 0
; VGPRBlocks: 0
; NumSGPRsForWavesPerEU: 1
; NumVGPRsForWavesPerEU: 1
; Occupancy: 16
; WaveLimiterHint : 0
; COMPUTE_PGM_RSRC2:SCRATCH_EN: 0
; COMPUTE_PGM_RSRC2:USER_SGPR: 15
; COMPUTE_PGM_RSRC2:TRAP_HANDLER: 0
; COMPUTE_PGM_RSRC2:TGID_X_EN: 1
; COMPUTE_PGM_RSRC2:TGID_Y_EN: 0
; COMPUTE_PGM_RSRC2:TGID_Z_EN: 0
; COMPUTE_PGM_RSRC2:TIDIG_COMP_CNT: 0
	.section	.text._ZN7rocprim17ROCPRIM_400000_NS6detail17trampoline_kernelINS0_14default_configENS1_25partition_config_selectorILNS1_17partition_subalgoE9EyybEEZZNS1_14partition_implILS5_9ELb0ES3_jN6thrust23THRUST_200600_302600_NS6detail15normal_iteratorINS9_10device_ptrIyEEEESE_PNS0_10empty_typeENS0_5tupleIJSE_SF_EEENSH_IJSE_SG_EEENS0_18inequality_wrapperINS9_8equal_toIyEEEEPmJSF_EEE10hipError_tPvRmT3_T4_T5_T6_T7_T9_mT8_P12ihipStream_tbDpT10_ENKUlT_T0_E_clISt17integral_constantIbLb1EES18_EEDaS13_S14_EUlS13_E_NS1_11comp_targetILNS1_3genE0ELNS1_11target_archE4294967295ELNS1_3gpuE0ELNS1_3repE0EEENS1_30default_config_static_selectorELNS0_4arch9wavefront6targetE0EEEvT1_,"axG",@progbits,_ZN7rocprim17ROCPRIM_400000_NS6detail17trampoline_kernelINS0_14default_configENS1_25partition_config_selectorILNS1_17partition_subalgoE9EyybEEZZNS1_14partition_implILS5_9ELb0ES3_jN6thrust23THRUST_200600_302600_NS6detail15normal_iteratorINS9_10device_ptrIyEEEESE_PNS0_10empty_typeENS0_5tupleIJSE_SF_EEENSH_IJSE_SG_EEENS0_18inequality_wrapperINS9_8equal_toIyEEEEPmJSF_EEE10hipError_tPvRmT3_T4_T5_T6_T7_T9_mT8_P12ihipStream_tbDpT10_ENKUlT_T0_E_clISt17integral_constantIbLb1EES18_EEDaS13_S14_EUlS13_E_NS1_11comp_targetILNS1_3genE0ELNS1_11target_archE4294967295ELNS1_3gpuE0ELNS1_3repE0EEENS1_30default_config_static_selectorELNS0_4arch9wavefront6targetE0EEEvT1_,comdat
	.protected	_ZN7rocprim17ROCPRIM_400000_NS6detail17trampoline_kernelINS0_14default_configENS1_25partition_config_selectorILNS1_17partition_subalgoE9EyybEEZZNS1_14partition_implILS5_9ELb0ES3_jN6thrust23THRUST_200600_302600_NS6detail15normal_iteratorINS9_10device_ptrIyEEEESE_PNS0_10empty_typeENS0_5tupleIJSE_SF_EEENSH_IJSE_SG_EEENS0_18inequality_wrapperINS9_8equal_toIyEEEEPmJSF_EEE10hipError_tPvRmT3_T4_T5_T6_T7_T9_mT8_P12ihipStream_tbDpT10_ENKUlT_T0_E_clISt17integral_constantIbLb1EES18_EEDaS13_S14_EUlS13_E_NS1_11comp_targetILNS1_3genE0ELNS1_11target_archE4294967295ELNS1_3gpuE0ELNS1_3repE0EEENS1_30default_config_static_selectorELNS0_4arch9wavefront6targetE0EEEvT1_ ; -- Begin function _ZN7rocprim17ROCPRIM_400000_NS6detail17trampoline_kernelINS0_14default_configENS1_25partition_config_selectorILNS1_17partition_subalgoE9EyybEEZZNS1_14partition_implILS5_9ELb0ES3_jN6thrust23THRUST_200600_302600_NS6detail15normal_iteratorINS9_10device_ptrIyEEEESE_PNS0_10empty_typeENS0_5tupleIJSE_SF_EEENSH_IJSE_SG_EEENS0_18inequality_wrapperINS9_8equal_toIyEEEEPmJSF_EEE10hipError_tPvRmT3_T4_T5_T6_T7_T9_mT8_P12ihipStream_tbDpT10_ENKUlT_T0_E_clISt17integral_constantIbLb1EES18_EEDaS13_S14_EUlS13_E_NS1_11comp_targetILNS1_3genE0ELNS1_11target_archE4294967295ELNS1_3gpuE0ELNS1_3repE0EEENS1_30default_config_static_selectorELNS0_4arch9wavefront6targetE0EEEvT1_
	.globl	_ZN7rocprim17ROCPRIM_400000_NS6detail17trampoline_kernelINS0_14default_configENS1_25partition_config_selectorILNS1_17partition_subalgoE9EyybEEZZNS1_14partition_implILS5_9ELb0ES3_jN6thrust23THRUST_200600_302600_NS6detail15normal_iteratorINS9_10device_ptrIyEEEESE_PNS0_10empty_typeENS0_5tupleIJSE_SF_EEENSH_IJSE_SG_EEENS0_18inequality_wrapperINS9_8equal_toIyEEEEPmJSF_EEE10hipError_tPvRmT3_T4_T5_T6_T7_T9_mT8_P12ihipStream_tbDpT10_ENKUlT_T0_E_clISt17integral_constantIbLb1EES18_EEDaS13_S14_EUlS13_E_NS1_11comp_targetILNS1_3genE0ELNS1_11target_archE4294967295ELNS1_3gpuE0ELNS1_3repE0EEENS1_30default_config_static_selectorELNS0_4arch9wavefront6targetE0EEEvT1_
	.p2align	8
	.type	_ZN7rocprim17ROCPRIM_400000_NS6detail17trampoline_kernelINS0_14default_configENS1_25partition_config_selectorILNS1_17partition_subalgoE9EyybEEZZNS1_14partition_implILS5_9ELb0ES3_jN6thrust23THRUST_200600_302600_NS6detail15normal_iteratorINS9_10device_ptrIyEEEESE_PNS0_10empty_typeENS0_5tupleIJSE_SF_EEENSH_IJSE_SG_EEENS0_18inequality_wrapperINS9_8equal_toIyEEEEPmJSF_EEE10hipError_tPvRmT3_T4_T5_T6_T7_T9_mT8_P12ihipStream_tbDpT10_ENKUlT_T0_E_clISt17integral_constantIbLb1EES18_EEDaS13_S14_EUlS13_E_NS1_11comp_targetILNS1_3genE0ELNS1_11target_archE4294967295ELNS1_3gpuE0ELNS1_3repE0EEENS1_30default_config_static_selectorELNS0_4arch9wavefront6targetE0EEEvT1_,@function
_ZN7rocprim17ROCPRIM_400000_NS6detail17trampoline_kernelINS0_14default_configENS1_25partition_config_selectorILNS1_17partition_subalgoE9EyybEEZZNS1_14partition_implILS5_9ELb0ES3_jN6thrust23THRUST_200600_302600_NS6detail15normal_iteratorINS9_10device_ptrIyEEEESE_PNS0_10empty_typeENS0_5tupleIJSE_SF_EEENSH_IJSE_SG_EEENS0_18inequality_wrapperINS9_8equal_toIyEEEEPmJSF_EEE10hipError_tPvRmT3_T4_T5_T6_T7_T9_mT8_P12ihipStream_tbDpT10_ENKUlT_T0_E_clISt17integral_constantIbLb1EES18_EEDaS13_S14_EUlS13_E_NS1_11comp_targetILNS1_3genE0ELNS1_11target_archE4294967295ELNS1_3gpuE0ELNS1_3repE0EEENS1_30default_config_static_selectorELNS0_4arch9wavefront6targetE0EEEvT1_: ; @_ZN7rocprim17ROCPRIM_400000_NS6detail17trampoline_kernelINS0_14default_configENS1_25partition_config_selectorILNS1_17partition_subalgoE9EyybEEZZNS1_14partition_implILS5_9ELb0ES3_jN6thrust23THRUST_200600_302600_NS6detail15normal_iteratorINS9_10device_ptrIyEEEESE_PNS0_10empty_typeENS0_5tupleIJSE_SF_EEENSH_IJSE_SG_EEENS0_18inequality_wrapperINS9_8equal_toIyEEEEPmJSF_EEE10hipError_tPvRmT3_T4_T5_T6_T7_T9_mT8_P12ihipStream_tbDpT10_ENKUlT_T0_E_clISt17integral_constantIbLb1EES18_EEDaS13_S14_EUlS13_E_NS1_11comp_targetILNS1_3genE0ELNS1_11target_archE4294967295ELNS1_3gpuE0ELNS1_3repE0EEENS1_30default_config_static_selectorELNS0_4arch9wavefront6targetE0EEEvT1_
; %bb.0:
	.section	.rodata,"a",@progbits
	.p2align	6, 0x0
	.amdhsa_kernel _ZN7rocprim17ROCPRIM_400000_NS6detail17trampoline_kernelINS0_14default_configENS1_25partition_config_selectorILNS1_17partition_subalgoE9EyybEEZZNS1_14partition_implILS5_9ELb0ES3_jN6thrust23THRUST_200600_302600_NS6detail15normal_iteratorINS9_10device_ptrIyEEEESE_PNS0_10empty_typeENS0_5tupleIJSE_SF_EEENSH_IJSE_SG_EEENS0_18inequality_wrapperINS9_8equal_toIyEEEEPmJSF_EEE10hipError_tPvRmT3_T4_T5_T6_T7_T9_mT8_P12ihipStream_tbDpT10_ENKUlT_T0_E_clISt17integral_constantIbLb1EES18_EEDaS13_S14_EUlS13_E_NS1_11comp_targetILNS1_3genE0ELNS1_11target_archE4294967295ELNS1_3gpuE0ELNS1_3repE0EEENS1_30default_config_static_selectorELNS0_4arch9wavefront6targetE0EEEvT1_
		.amdhsa_group_segment_fixed_size 0
		.amdhsa_private_segment_fixed_size 0
		.amdhsa_kernarg_size 128
		.amdhsa_user_sgpr_count 15
		.amdhsa_user_sgpr_dispatch_ptr 0
		.amdhsa_user_sgpr_queue_ptr 0
		.amdhsa_user_sgpr_kernarg_segment_ptr 1
		.amdhsa_user_sgpr_dispatch_id 0
		.amdhsa_user_sgpr_private_segment_size 0
		.amdhsa_wavefront_size32 1
		.amdhsa_uses_dynamic_stack 0
		.amdhsa_enable_private_segment 0
		.amdhsa_system_sgpr_workgroup_id_x 1
		.amdhsa_system_sgpr_workgroup_id_y 0
		.amdhsa_system_sgpr_workgroup_id_z 0
		.amdhsa_system_sgpr_workgroup_info 0
		.amdhsa_system_vgpr_workitem_id 0
		.amdhsa_next_free_vgpr 1
		.amdhsa_next_free_sgpr 1
		.amdhsa_reserve_vcc 0
		.amdhsa_float_round_mode_32 0
		.amdhsa_float_round_mode_16_64 0
		.amdhsa_float_denorm_mode_32 3
		.amdhsa_float_denorm_mode_16_64 3
		.amdhsa_dx10_clamp 1
		.amdhsa_ieee_mode 1
		.amdhsa_fp16_overflow 0
		.amdhsa_workgroup_processor_mode 1
		.amdhsa_memory_ordered 1
		.amdhsa_forward_progress 0
		.amdhsa_shared_vgpr_count 0
		.amdhsa_exception_fp_ieee_invalid_op 0
		.amdhsa_exception_fp_denorm_src 0
		.amdhsa_exception_fp_ieee_div_zero 0
		.amdhsa_exception_fp_ieee_overflow 0
		.amdhsa_exception_fp_ieee_underflow 0
		.amdhsa_exception_fp_ieee_inexact 0
		.amdhsa_exception_int_div_zero 0
	.end_amdhsa_kernel
	.section	.text._ZN7rocprim17ROCPRIM_400000_NS6detail17trampoline_kernelINS0_14default_configENS1_25partition_config_selectorILNS1_17partition_subalgoE9EyybEEZZNS1_14partition_implILS5_9ELb0ES3_jN6thrust23THRUST_200600_302600_NS6detail15normal_iteratorINS9_10device_ptrIyEEEESE_PNS0_10empty_typeENS0_5tupleIJSE_SF_EEENSH_IJSE_SG_EEENS0_18inequality_wrapperINS9_8equal_toIyEEEEPmJSF_EEE10hipError_tPvRmT3_T4_T5_T6_T7_T9_mT8_P12ihipStream_tbDpT10_ENKUlT_T0_E_clISt17integral_constantIbLb1EES18_EEDaS13_S14_EUlS13_E_NS1_11comp_targetILNS1_3genE0ELNS1_11target_archE4294967295ELNS1_3gpuE0ELNS1_3repE0EEENS1_30default_config_static_selectorELNS0_4arch9wavefront6targetE0EEEvT1_,"axG",@progbits,_ZN7rocprim17ROCPRIM_400000_NS6detail17trampoline_kernelINS0_14default_configENS1_25partition_config_selectorILNS1_17partition_subalgoE9EyybEEZZNS1_14partition_implILS5_9ELb0ES3_jN6thrust23THRUST_200600_302600_NS6detail15normal_iteratorINS9_10device_ptrIyEEEESE_PNS0_10empty_typeENS0_5tupleIJSE_SF_EEENSH_IJSE_SG_EEENS0_18inequality_wrapperINS9_8equal_toIyEEEEPmJSF_EEE10hipError_tPvRmT3_T4_T5_T6_T7_T9_mT8_P12ihipStream_tbDpT10_ENKUlT_T0_E_clISt17integral_constantIbLb1EES18_EEDaS13_S14_EUlS13_E_NS1_11comp_targetILNS1_3genE0ELNS1_11target_archE4294967295ELNS1_3gpuE0ELNS1_3repE0EEENS1_30default_config_static_selectorELNS0_4arch9wavefront6targetE0EEEvT1_,comdat
.Lfunc_end153:
	.size	_ZN7rocprim17ROCPRIM_400000_NS6detail17trampoline_kernelINS0_14default_configENS1_25partition_config_selectorILNS1_17partition_subalgoE9EyybEEZZNS1_14partition_implILS5_9ELb0ES3_jN6thrust23THRUST_200600_302600_NS6detail15normal_iteratorINS9_10device_ptrIyEEEESE_PNS0_10empty_typeENS0_5tupleIJSE_SF_EEENSH_IJSE_SG_EEENS0_18inequality_wrapperINS9_8equal_toIyEEEEPmJSF_EEE10hipError_tPvRmT3_T4_T5_T6_T7_T9_mT8_P12ihipStream_tbDpT10_ENKUlT_T0_E_clISt17integral_constantIbLb1EES18_EEDaS13_S14_EUlS13_E_NS1_11comp_targetILNS1_3genE0ELNS1_11target_archE4294967295ELNS1_3gpuE0ELNS1_3repE0EEENS1_30default_config_static_selectorELNS0_4arch9wavefront6targetE0EEEvT1_, .Lfunc_end153-_ZN7rocprim17ROCPRIM_400000_NS6detail17trampoline_kernelINS0_14default_configENS1_25partition_config_selectorILNS1_17partition_subalgoE9EyybEEZZNS1_14partition_implILS5_9ELb0ES3_jN6thrust23THRUST_200600_302600_NS6detail15normal_iteratorINS9_10device_ptrIyEEEESE_PNS0_10empty_typeENS0_5tupleIJSE_SF_EEENSH_IJSE_SG_EEENS0_18inequality_wrapperINS9_8equal_toIyEEEEPmJSF_EEE10hipError_tPvRmT3_T4_T5_T6_T7_T9_mT8_P12ihipStream_tbDpT10_ENKUlT_T0_E_clISt17integral_constantIbLb1EES18_EEDaS13_S14_EUlS13_E_NS1_11comp_targetILNS1_3genE0ELNS1_11target_archE4294967295ELNS1_3gpuE0ELNS1_3repE0EEENS1_30default_config_static_selectorELNS0_4arch9wavefront6targetE0EEEvT1_
                                        ; -- End function
	.section	.AMDGPU.csdata,"",@progbits
; Kernel info:
; codeLenInByte = 0
; NumSgprs: 0
; NumVgprs: 0
; ScratchSize: 0
; MemoryBound: 0
; FloatMode: 240
; IeeeMode: 1
; LDSByteSize: 0 bytes/workgroup (compile time only)
; SGPRBlocks: 0
; VGPRBlocks: 0
; NumSGPRsForWavesPerEU: 1
; NumVGPRsForWavesPerEU: 1
; Occupancy: 16
; WaveLimiterHint : 0
; COMPUTE_PGM_RSRC2:SCRATCH_EN: 0
; COMPUTE_PGM_RSRC2:USER_SGPR: 15
; COMPUTE_PGM_RSRC2:TRAP_HANDLER: 0
; COMPUTE_PGM_RSRC2:TGID_X_EN: 1
; COMPUTE_PGM_RSRC2:TGID_Y_EN: 0
; COMPUTE_PGM_RSRC2:TGID_Z_EN: 0
; COMPUTE_PGM_RSRC2:TIDIG_COMP_CNT: 0
	.section	.text._ZN7rocprim17ROCPRIM_400000_NS6detail17trampoline_kernelINS0_14default_configENS1_25partition_config_selectorILNS1_17partition_subalgoE9EyybEEZZNS1_14partition_implILS5_9ELb0ES3_jN6thrust23THRUST_200600_302600_NS6detail15normal_iteratorINS9_10device_ptrIyEEEESE_PNS0_10empty_typeENS0_5tupleIJSE_SF_EEENSH_IJSE_SG_EEENS0_18inequality_wrapperINS9_8equal_toIyEEEEPmJSF_EEE10hipError_tPvRmT3_T4_T5_T6_T7_T9_mT8_P12ihipStream_tbDpT10_ENKUlT_T0_E_clISt17integral_constantIbLb1EES18_EEDaS13_S14_EUlS13_E_NS1_11comp_targetILNS1_3genE5ELNS1_11target_archE942ELNS1_3gpuE9ELNS1_3repE0EEENS1_30default_config_static_selectorELNS0_4arch9wavefront6targetE0EEEvT1_,"axG",@progbits,_ZN7rocprim17ROCPRIM_400000_NS6detail17trampoline_kernelINS0_14default_configENS1_25partition_config_selectorILNS1_17partition_subalgoE9EyybEEZZNS1_14partition_implILS5_9ELb0ES3_jN6thrust23THRUST_200600_302600_NS6detail15normal_iteratorINS9_10device_ptrIyEEEESE_PNS0_10empty_typeENS0_5tupleIJSE_SF_EEENSH_IJSE_SG_EEENS0_18inequality_wrapperINS9_8equal_toIyEEEEPmJSF_EEE10hipError_tPvRmT3_T4_T5_T6_T7_T9_mT8_P12ihipStream_tbDpT10_ENKUlT_T0_E_clISt17integral_constantIbLb1EES18_EEDaS13_S14_EUlS13_E_NS1_11comp_targetILNS1_3genE5ELNS1_11target_archE942ELNS1_3gpuE9ELNS1_3repE0EEENS1_30default_config_static_selectorELNS0_4arch9wavefront6targetE0EEEvT1_,comdat
	.protected	_ZN7rocprim17ROCPRIM_400000_NS6detail17trampoline_kernelINS0_14default_configENS1_25partition_config_selectorILNS1_17partition_subalgoE9EyybEEZZNS1_14partition_implILS5_9ELb0ES3_jN6thrust23THRUST_200600_302600_NS6detail15normal_iteratorINS9_10device_ptrIyEEEESE_PNS0_10empty_typeENS0_5tupleIJSE_SF_EEENSH_IJSE_SG_EEENS0_18inequality_wrapperINS9_8equal_toIyEEEEPmJSF_EEE10hipError_tPvRmT3_T4_T5_T6_T7_T9_mT8_P12ihipStream_tbDpT10_ENKUlT_T0_E_clISt17integral_constantIbLb1EES18_EEDaS13_S14_EUlS13_E_NS1_11comp_targetILNS1_3genE5ELNS1_11target_archE942ELNS1_3gpuE9ELNS1_3repE0EEENS1_30default_config_static_selectorELNS0_4arch9wavefront6targetE0EEEvT1_ ; -- Begin function _ZN7rocprim17ROCPRIM_400000_NS6detail17trampoline_kernelINS0_14default_configENS1_25partition_config_selectorILNS1_17partition_subalgoE9EyybEEZZNS1_14partition_implILS5_9ELb0ES3_jN6thrust23THRUST_200600_302600_NS6detail15normal_iteratorINS9_10device_ptrIyEEEESE_PNS0_10empty_typeENS0_5tupleIJSE_SF_EEENSH_IJSE_SG_EEENS0_18inequality_wrapperINS9_8equal_toIyEEEEPmJSF_EEE10hipError_tPvRmT3_T4_T5_T6_T7_T9_mT8_P12ihipStream_tbDpT10_ENKUlT_T0_E_clISt17integral_constantIbLb1EES18_EEDaS13_S14_EUlS13_E_NS1_11comp_targetILNS1_3genE5ELNS1_11target_archE942ELNS1_3gpuE9ELNS1_3repE0EEENS1_30default_config_static_selectorELNS0_4arch9wavefront6targetE0EEEvT1_
	.globl	_ZN7rocprim17ROCPRIM_400000_NS6detail17trampoline_kernelINS0_14default_configENS1_25partition_config_selectorILNS1_17partition_subalgoE9EyybEEZZNS1_14partition_implILS5_9ELb0ES3_jN6thrust23THRUST_200600_302600_NS6detail15normal_iteratorINS9_10device_ptrIyEEEESE_PNS0_10empty_typeENS0_5tupleIJSE_SF_EEENSH_IJSE_SG_EEENS0_18inequality_wrapperINS9_8equal_toIyEEEEPmJSF_EEE10hipError_tPvRmT3_T4_T5_T6_T7_T9_mT8_P12ihipStream_tbDpT10_ENKUlT_T0_E_clISt17integral_constantIbLb1EES18_EEDaS13_S14_EUlS13_E_NS1_11comp_targetILNS1_3genE5ELNS1_11target_archE942ELNS1_3gpuE9ELNS1_3repE0EEENS1_30default_config_static_selectorELNS0_4arch9wavefront6targetE0EEEvT1_
	.p2align	8
	.type	_ZN7rocprim17ROCPRIM_400000_NS6detail17trampoline_kernelINS0_14default_configENS1_25partition_config_selectorILNS1_17partition_subalgoE9EyybEEZZNS1_14partition_implILS5_9ELb0ES3_jN6thrust23THRUST_200600_302600_NS6detail15normal_iteratorINS9_10device_ptrIyEEEESE_PNS0_10empty_typeENS0_5tupleIJSE_SF_EEENSH_IJSE_SG_EEENS0_18inequality_wrapperINS9_8equal_toIyEEEEPmJSF_EEE10hipError_tPvRmT3_T4_T5_T6_T7_T9_mT8_P12ihipStream_tbDpT10_ENKUlT_T0_E_clISt17integral_constantIbLb1EES18_EEDaS13_S14_EUlS13_E_NS1_11comp_targetILNS1_3genE5ELNS1_11target_archE942ELNS1_3gpuE9ELNS1_3repE0EEENS1_30default_config_static_selectorELNS0_4arch9wavefront6targetE0EEEvT1_,@function
_ZN7rocprim17ROCPRIM_400000_NS6detail17trampoline_kernelINS0_14default_configENS1_25partition_config_selectorILNS1_17partition_subalgoE9EyybEEZZNS1_14partition_implILS5_9ELb0ES3_jN6thrust23THRUST_200600_302600_NS6detail15normal_iteratorINS9_10device_ptrIyEEEESE_PNS0_10empty_typeENS0_5tupleIJSE_SF_EEENSH_IJSE_SG_EEENS0_18inequality_wrapperINS9_8equal_toIyEEEEPmJSF_EEE10hipError_tPvRmT3_T4_T5_T6_T7_T9_mT8_P12ihipStream_tbDpT10_ENKUlT_T0_E_clISt17integral_constantIbLb1EES18_EEDaS13_S14_EUlS13_E_NS1_11comp_targetILNS1_3genE5ELNS1_11target_archE942ELNS1_3gpuE9ELNS1_3repE0EEENS1_30default_config_static_selectorELNS0_4arch9wavefront6targetE0EEEvT1_: ; @_ZN7rocprim17ROCPRIM_400000_NS6detail17trampoline_kernelINS0_14default_configENS1_25partition_config_selectorILNS1_17partition_subalgoE9EyybEEZZNS1_14partition_implILS5_9ELb0ES3_jN6thrust23THRUST_200600_302600_NS6detail15normal_iteratorINS9_10device_ptrIyEEEESE_PNS0_10empty_typeENS0_5tupleIJSE_SF_EEENSH_IJSE_SG_EEENS0_18inequality_wrapperINS9_8equal_toIyEEEEPmJSF_EEE10hipError_tPvRmT3_T4_T5_T6_T7_T9_mT8_P12ihipStream_tbDpT10_ENKUlT_T0_E_clISt17integral_constantIbLb1EES18_EEDaS13_S14_EUlS13_E_NS1_11comp_targetILNS1_3genE5ELNS1_11target_archE942ELNS1_3gpuE9ELNS1_3repE0EEENS1_30default_config_static_selectorELNS0_4arch9wavefront6targetE0EEEvT1_
; %bb.0:
	.section	.rodata,"a",@progbits
	.p2align	6, 0x0
	.amdhsa_kernel _ZN7rocprim17ROCPRIM_400000_NS6detail17trampoline_kernelINS0_14default_configENS1_25partition_config_selectorILNS1_17partition_subalgoE9EyybEEZZNS1_14partition_implILS5_9ELb0ES3_jN6thrust23THRUST_200600_302600_NS6detail15normal_iteratorINS9_10device_ptrIyEEEESE_PNS0_10empty_typeENS0_5tupleIJSE_SF_EEENSH_IJSE_SG_EEENS0_18inequality_wrapperINS9_8equal_toIyEEEEPmJSF_EEE10hipError_tPvRmT3_T4_T5_T6_T7_T9_mT8_P12ihipStream_tbDpT10_ENKUlT_T0_E_clISt17integral_constantIbLb1EES18_EEDaS13_S14_EUlS13_E_NS1_11comp_targetILNS1_3genE5ELNS1_11target_archE942ELNS1_3gpuE9ELNS1_3repE0EEENS1_30default_config_static_selectorELNS0_4arch9wavefront6targetE0EEEvT1_
		.amdhsa_group_segment_fixed_size 0
		.amdhsa_private_segment_fixed_size 0
		.amdhsa_kernarg_size 128
		.amdhsa_user_sgpr_count 15
		.amdhsa_user_sgpr_dispatch_ptr 0
		.amdhsa_user_sgpr_queue_ptr 0
		.amdhsa_user_sgpr_kernarg_segment_ptr 1
		.amdhsa_user_sgpr_dispatch_id 0
		.amdhsa_user_sgpr_private_segment_size 0
		.amdhsa_wavefront_size32 1
		.amdhsa_uses_dynamic_stack 0
		.amdhsa_enable_private_segment 0
		.amdhsa_system_sgpr_workgroup_id_x 1
		.amdhsa_system_sgpr_workgroup_id_y 0
		.amdhsa_system_sgpr_workgroup_id_z 0
		.amdhsa_system_sgpr_workgroup_info 0
		.amdhsa_system_vgpr_workitem_id 0
		.amdhsa_next_free_vgpr 1
		.amdhsa_next_free_sgpr 1
		.amdhsa_reserve_vcc 0
		.amdhsa_float_round_mode_32 0
		.amdhsa_float_round_mode_16_64 0
		.amdhsa_float_denorm_mode_32 3
		.amdhsa_float_denorm_mode_16_64 3
		.amdhsa_dx10_clamp 1
		.amdhsa_ieee_mode 1
		.amdhsa_fp16_overflow 0
		.amdhsa_workgroup_processor_mode 1
		.amdhsa_memory_ordered 1
		.amdhsa_forward_progress 0
		.amdhsa_shared_vgpr_count 0
		.amdhsa_exception_fp_ieee_invalid_op 0
		.amdhsa_exception_fp_denorm_src 0
		.amdhsa_exception_fp_ieee_div_zero 0
		.amdhsa_exception_fp_ieee_overflow 0
		.amdhsa_exception_fp_ieee_underflow 0
		.amdhsa_exception_fp_ieee_inexact 0
		.amdhsa_exception_int_div_zero 0
	.end_amdhsa_kernel
	.section	.text._ZN7rocprim17ROCPRIM_400000_NS6detail17trampoline_kernelINS0_14default_configENS1_25partition_config_selectorILNS1_17partition_subalgoE9EyybEEZZNS1_14partition_implILS5_9ELb0ES3_jN6thrust23THRUST_200600_302600_NS6detail15normal_iteratorINS9_10device_ptrIyEEEESE_PNS0_10empty_typeENS0_5tupleIJSE_SF_EEENSH_IJSE_SG_EEENS0_18inequality_wrapperINS9_8equal_toIyEEEEPmJSF_EEE10hipError_tPvRmT3_T4_T5_T6_T7_T9_mT8_P12ihipStream_tbDpT10_ENKUlT_T0_E_clISt17integral_constantIbLb1EES18_EEDaS13_S14_EUlS13_E_NS1_11comp_targetILNS1_3genE5ELNS1_11target_archE942ELNS1_3gpuE9ELNS1_3repE0EEENS1_30default_config_static_selectorELNS0_4arch9wavefront6targetE0EEEvT1_,"axG",@progbits,_ZN7rocprim17ROCPRIM_400000_NS6detail17trampoline_kernelINS0_14default_configENS1_25partition_config_selectorILNS1_17partition_subalgoE9EyybEEZZNS1_14partition_implILS5_9ELb0ES3_jN6thrust23THRUST_200600_302600_NS6detail15normal_iteratorINS9_10device_ptrIyEEEESE_PNS0_10empty_typeENS0_5tupleIJSE_SF_EEENSH_IJSE_SG_EEENS0_18inequality_wrapperINS9_8equal_toIyEEEEPmJSF_EEE10hipError_tPvRmT3_T4_T5_T6_T7_T9_mT8_P12ihipStream_tbDpT10_ENKUlT_T0_E_clISt17integral_constantIbLb1EES18_EEDaS13_S14_EUlS13_E_NS1_11comp_targetILNS1_3genE5ELNS1_11target_archE942ELNS1_3gpuE9ELNS1_3repE0EEENS1_30default_config_static_selectorELNS0_4arch9wavefront6targetE0EEEvT1_,comdat
.Lfunc_end154:
	.size	_ZN7rocprim17ROCPRIM_400000_NS6detail17trampoline_kernelINS0_14default_configENS1_25partition_config_selectorILNS1_17partition_subalgoE9EyybEEZZNS1_14partition_implILS5_9ELb0ES3_jN6thrust23THRUST_200600_302600_NS6detail15normal_iteratorINS9_10device_ptrIyEEEESE_PNS0_10empty_typeENS0_5tupleIJSE_SF_EEENSH_IJSE_SG_EEENS0_18inequality_wrapperINS9_8equal_toIyEEEEPmJSF_EEE10hipError_tPvRmT3_T4_T5_T6_T7_T9_mT8_P12ihipStream_tbDpT10_ENKUlT_T0_E_clISt17integral_constantIbLb1EES18_EEDaS13_S14_EUlS13_E_NS1_11comp_targetILNS1_3genE5ELNS1_11target_archE942ELNS1_3gpuE9ELNS1_3repE0EEENS1_30default_config_static_selectorELNS0_4arch9wavefront6targetE0EEEvT1_, .Lfunc_end154-_ZN7rocprim17ROCPRIM_400000_NS6detail17trampoline_kernelINS0_14default_configENS1_25partition_config_selectorILNS1_17partition_subalgoE9EyybEEZZNS1_14partition_implILS5_9ELb0ES3_jN6thrust23THRUST_200600_302600_NS6detail15normal_iteratorINS9_10device_ptrIyEEEESE_PNS0_10empty_typeENS0_5tupleIJSE_SF_EEENSH_IJSE_SG_EEENS0_18inequality_wrapperINS9_8equal_toIyEEEEPmJSF_EEE10hipError_tPvRmT3_T4_T5_T6_T7_T9_mT8_P12ihipStream_tbDpT10_ENKUlT_T0_E_clISt17integral_constantIbLb1EES18_EEDaS13_S14_EUlS13_E_NS1_11comp_targetILNS1_3genE5ELNS1_11target_archE942ELNS1_3gpuE9ELNS1_3repE0EEENS1_30default_config_static_selectorELNS0_4arch9wavefront6targetE0EEEvT1_
                                        ; -- End function
	.section	.AMDGPU.csdata,"",@progbits
; Kernel info:
; codeLenInByte = 0
; NumSgprs: 0
; NumVgprs: 0
; ScratchSize: 0
; MemoryBound: 0
; FloatMode: 240
; IeeeMode: 1
; LDSByteSize: 0 bytes/workgroup (compile time only)
; SGPRBlocks: 0
; VGPRBlocks: 0
; NumSGPRsForWavesPerEU: 1
; NumVGPRsForWavesPerEU: 1
; Occupancy: 16
; WaveLimiterHint : 0
; COMPUTE_PGM_RSRC2:SCRATCH_EN: 0
; COMPUTE_PGM_RSRC2:USER_SGPR: 15
; COMPUTE_PGM_RSRC2:TRAP_HANDLER: 0
; COMPUTE_PGM_RSRC2:TGID_X_EN: 1
; COMPUTE_PGM_RSRC2:TGID_Y_EN: 0
; COMPUTE_PGM_RSRC2:TGID_Z_EN: 0
; COMPUTE_PGM_RSRC2:TIDIG_COMP_CNT: 0
	.section	.text._ZN7rocprim17ROCPRIM_400000_NS6detail17trampoline_kernelINS0_14default_configENS1_25partition_config_selectorILNS1_17partition_subalgoE9EyybEEZZNS1_14partition_implILS5_9ELb0ES3_jN6thrust23THRUST_200600_302600_NS6detail15normal_iteratorINS9_10device_ptrIyEEEESE_PNS0_10empty_typeENS0_5tupleIJSE_SF_EEENSH_IJSE_SG_EEENS0_18inequality_wrapperINS9_8equal_toIyEEEEPmJSF_EEE10hipError_tPvRmT3_T4_T5_T6_T7_T9_mT8_P12ihipStream_tbDpT10_ENKUlT_T0_E_clISt17integral_constantIbLb1EES18_EEDaS13_S14_EUlS13_E_NS1_11comp_targetILNS1_3genE4ELNS1_11target_archE910ELNS1_3gpuE8ELNS1_3repE0EEENS1_30default_config_static_selectorELNS0_4arch9wavefront6targetE0EEEvT1_,"axG",@progbits,_ZN7rocprim17ROCPRIM_400000_NS6detail17trampoline_kernelINS0_14default_configENS1_25partition_config_selectorILNS1_17partition_subalgoE9EyybEEZZNS1_14partition_implILS5_9ELb0ES3_jN6thrust23THRUST_200600_302600_NS6detail15normal_iteratorINS9_10device_ptrIyEEEESE_PNS0_10empty_typeENS0_5tupleIJSE_SF_EEENSH_IJSE_SG_EEENS0_18inequality_wrapperINS9_8equal_toIyEEEEPmJSF_EEE10hipError_tPvRmT3_T4_T5_T6_T7_T9_mT8_P12ihipStream_tbDpT10_ENKUlT_T0_E_clISt17integral_constantIbLb1EES18_EEDaS13_S14_EUlS13_E_NS1_11comp_targetILNS1_3genE4ELNS1_11target_archE910ELNS1_3gpuE8ELNS1_3repE0EEENS1_30default_config_static_selectorELNS0_4arch9wavefront6targetE0EEEvT1_,comdat
	.protected	_ZN7rocprim17ROCPRIM_400000_NS6detail17trampoline_kernelINS0_14default_configENS1_25partition_config_selectorILNS1_17partition_subalgoE9EyybEEZZNS1_14partition_implILS5_9ELb0ES3_jN6thrust23THRUST_200600_302600_NS6detail15normal_iteratorINS9_10device_ptrIyEEEESE_PNS0_10empty_typeENS0_5tupleIJSE_SF_EEENSH_IJSE_SG_EEENS0_18inequality_wrapperINS9_8equal_toIyEEEEPmJSF_EEE10hipError_tPvRmT3_T4_T5_T6_T7_T9_mT8_P12ihipStream_tbDpT10_ENKUlT_T0_E_clISt17integral_constantIbLb1EES18_EEDaS13_S14_EUlS13_E_NS1_11comp_targetILNS1_3genE4ELNS1_11target_archE910ELNS1_3gpuE8ELNS1_3repE0EEENS1_30default_config_static_selectorELNS0_4arch9wavefront6targetE0EEEvT1_ ; -- Begin function _ZN7rocprim17ROCPRIM_400000_NS6detail17trampoline_kernelINS0_14default_configENS1_25partition_config_selectorILNS1_17partition_subalgoE9EyybEEZZNS1_14partition_implILS5_9ELb0ES3_jN6thrust23THRUST_200600_302600_NS6detail15normal_iteratorINS9_10device_ptrIyEEEESE_PNS0_10empty_typeENS0_5tupleIJSE_SF_EEENSH_IJSE_SG_EEENS0_18inequality_wrapperINS9_8equal_toIyEEEEPmJSF_EEE10hipError_tPvRmT3_T4_T5_T6_T7_T9_mT8_P12ihipStream_tbDpT10_ENKUlT_T0_E_clISt17integral_constantIbLb1EES18_EEDaS13_S14_EUlS13_E_NS1_11comp_targetILNS1_3genE4ELNS1_11target_archE910ELNS1_3gpuE8ELNS1_3repE0EEENS1_30default_config_static_selectorELNS0_4arch9wavefront6targetE0EEEvT1_
	.globl	_ZN7rocprim17ROCPRIM_400000_NS6detail17trampoline_kernelINS0_14default_configENS1_25partition_config_selectorILNS1_17partition_subalgoE9EyybEEZZNS1_14partition_implILS5_9ELb0ES3_jN6thrust23THRUST_200600_302600_NS6detail15normal_iteratorINS9_10device_ptrIyEEEESE_PNS0_10empty_typeENS0_5tupleIJSE_SF_EEENSH_IJSE_SG_EEENS0_18inequality_wrapperINS9_8equal_toIyEEEEPmJSF_EEE10hipError_tPvRmT3_T4_T5_T6_T7_T9_mT8_P12ihipStream_tbDpT10_ENKUlT_T0_E_clISt17integral_constantIbLb1EES18_EEDaS13_S14_EUlS13_E_NS1_11comp_targetILNS1_3genE4ELNS1_11target_archE910ELNS1_3gpuE8ELNS1_3repE0EEENS1_30default_config_static_selectorELNS0_4arch9wavefront6targetE0EEEvT1_
	.p2align	8
	.type	_ZN7rocprim17ROCPRIM_400000_NS6detail17trampoline_kernelINS0_14default_configENS1_25partition_config_selectorILNS1_17partition_subalgoE9EyybEEZZNS1_14partition_implILS5_9ELb0ES3_jN6thrust23THRUST_200600_302600_NS6detail15normal_iteratorINS9_10device_ptrIyEEEESE_PNS0_10empty_typeENS0_5tupleIJSE_SF_EEENSH_IJSE_SG_EEENS0_18inequality_wrapperINS9_8equal_toIyEEEEPmJSF_EEE10hipError_tPvRmT3_T4_T5_T6_T7_T9_mT8_P12ihipStream_tbDpT10_ENKUlT_T0_E_clISt17integral_constantIbLb1EES18_EEDaS13_S14_EUlS13_E_NS1_11comp_targetILNS1_3genE4ELNS1_11target_archE910ELNS1_3gpuE8ELNS1_3repE0EEENS1_30default_config_static_selectorELNS0_4arch9wavefront6targetE0EEEvT1_,@function
_ZN7rocprim17ROCPRIM_400000_NS6detail17trampoline_kernelINS0_14default_configENS1_25partition_config_selectorILNS1_17partition_subalgoE9EyybEEZZNS1_14partition_implILS5_9ELb0ES3_jN6thrust23THRUST_200600_302600_NS6detail15normal_iteratorINS9_10device_ptrIyEEEESE_PNS0_10empty_typeENS0_5tupleIJSE_SF_EEENSH_IJSE_SG_EEENS0_18inequality_wrapperINS9_8equal_toIyEEEEPmJSF_EEE10hipError_tPvRmT3_T4_T5_T6_T7_T9_mT8_P12ihipStream_tbDpT10_ENKUlT_T0_E_clISt17integral_constantIbLb1EES18_EEDaS13_S14_EUlS13_E_NS1_11comp_targetILNS1_3genE4ELNS1_11target_archE910ELNS1_3gpuE8ELNS1_3repE0EEENS1_30default_config_static_selectorELNS0_4arch9wavefront6targetE0EEEvT1_: ; @_ZN7rocprim17ROCPRIM_400000_NS6detail17trampoline_kernelINS0_14default_configENS1_25partition_config_selectorILNS1_17partition_subalgoE9EyybEEZZNS1_14partition_implILS5_9ELb0ES3_jN6thrust23THRUST_200600_302600_NS6detail15normal_iteratorINS9_10device_ptrIyEEEESE_PNS0_10empty_typeENS0_5tupleIJSE_SF_EEENSH_IJSE_SG_EEENS0_18inequality_wrapperINS9_8equal_toIyEEEEPmJSF_EEE10hipError_tPvRmT3_T4_T5_T6_T7_T9_mT8_P12ihipStream_tbDpT10_ENKUlT_T0_E_clISt17integral_constantIbLb1EES18_EEDaS13_S14_EUlS13_E_NS1_11comp_targetILNS1_3genE4ELNS1_11target_archE910ELNS1_3gpuE8ELNS1_3repE0EEENS1_30default_config_static_selectorELNS0_4arch9wavefront6targetE0EEEvT1_
; %bb.0:
	.section	.rodata,"a",@progbits
	.p2align	6, 0x0
	.amdhsa_kernel _ZN7rocprim17ROCPRIM_400000_NS6detail17trampoline_kernelINS0_14default_configENS1_25partition_config_selectorILNS1_17partition_subalgoE9EyybEEZZNS1_14partition_implILS5_9ELb0ES3_jN6thrust23THRUST_200600_302600_NS6detail15normal_iteratorINS9_10device_ptrIyEEEESE_PNS0_10empty_typeENS0_5tupleIJSE_SF_EEENSH_IJSE_SG_EEENS0_18inequality_wrapperINS9_8equal_toIyEEEEPmJSF_EEE10hipError_tPvRmT3_T4_T5_T6_T7_T9_mT8_P12ihipStream_tbDpT10_ENKUlT_T0_E_clISt17integral_constantIbLb1EES18_EEDaS13_S14_EUlS13_E_NS1_11comp_targetILNS1_3genE4ELNS1_11target_archE910ELNS1_3gpuE8ELNS1_3repE0EEENS1_30default_config_static_selectorELNS0_4arch9wavefront6targetE0EEEvT1_
		.amdhsa_group_segment_fixed_size 0
		.amdhsa_private_segment_fixed_size 0
		.amdhsa_kernarg_size 128
		.amdhsa_user_sgpr_count 15
		.amdhsa_user_sgpr_dispatch_ptr 0
		.amdhsa_user_sgpr_queue_ptr 0
		.amdhsa_user_sgpr_kernarg_segment_ptr 1
		.amdhsa_user_sgpr_dispatch_id 0
		.amdhsa_user_sgpr_private_segment_size 0
		.amdhsa_wavefront_size32 1
		.amdhsa_uses_dynamic_stack 0
		.amdhsa_enable_private_segment 0
		.amdhsa_system_sgpr_workgroup_id_x 1
		.amdhsa_system_sgpr_workgroup_id_y 0
		.amdhsa_system_sgpr_workgroup_id_z 0
		.amdhsa_system_sgpr_workgroup_info 0
		.amdhsa_system_vgpr_workitem_id 0
		.amdhsa_next_free_vgpr 1
		.amdhsa_next_free_sgpr 1
		.amdhsa_reserve_vcc 0
		.amdhsa_float_round_mode_32 0
		.amdhsa_float_round_mode_16_64 0
		.amdhsa_float_denorm_mode_32 3
		.amdhsa_float_denorm_mode_16_64 3
		.amdhsa_dx10_clamp 1
		.amdhsa_ieee_mode 1
		.amdhsa_fp16_overflow 0
		.amdhsa_workgroup_processor_mode 1
		.amdhsa_memory_ordered 1
		.amdhsa_forward_progress 0
		.amdhsa_shared_vgpr_count 0
		.amdhsa_exception_fp_ieee_invalid_op 0
		.amdhsa_exception_fp_denorm_src 0
		.amdhsa_exception_fp_ieee_div_zero 0
		.amdhsa_exception_fp_ieee_overflow 0
		.amdhsa_exception_fp_ieee_underflow 0
		.amdhsa_exception_fp_ieee_inexact 0
		.amdhsa_exception_int_div_zero 0
	.end_amdhsa_kernel
	.section	.text._ZN7rocprim17ROCPRIM_400000_NS6detail17trampoline_kernelINS0_14default_configENS1_25partition_config_selectorILNS1_17partition_subalgoE9EyybEEZZNS1_14partition_implILS5_9ELb0ES3_jN6thrust23THRUST_200600_302600_NS6detail15normal_iteratorINS9_10device_ptrIyEEEESE_PNS0_10empty_typeENS0_5tupleIJSE_SF_EEENSH_IJSE_SG_EEENS0_18inequality_wrapperINS9_8equal_toIyEEEEPmJSF_EEE10hipError_tPvRmT3_T4_T5_T6_T7_T9_mT8_P12ihipStream_tbDpT10_ENKUlT_T0_E_clISt17integral_constantIbLb1EES18_EEDaS13_S14_EUlS13_E_NS1_11comp_targetILNS1_3genE4ELNS1_11target_archE910ELNS1_3gpuE8ELNS1_3repE0EEENS1_30default_config_static_selectorELNS0_4arch9wavefront6targetE0EEEvT1_,"axG",@progbits,_ZN7rocprim17ROCPRIM_400000_NS6detail17trampoline_kernelINS0_14default_configENS1_25partition_config_selectorILNS1_17partition_subalgoE9EyybEEZZNS1_14partition_implILS5_9ELb0ES3_jN6thrust23THRUST_200600_302600_NS6detail15normal_iteratorINS9_10device_ptrIyEEEESE_PNS0_10empty_typeENS0_5tupleIJSE_SF_EEENSH_IJSE_SG_EEENS0_18inequality_wrapperINS9_8equal_toIyEEEEPmJSF_EEE10hipError_tPvRmT3_T4_T5_T6_T7_T9_mT8_P12ihipStream_tbDpT10_ENKUlT_T0_E_clISt17integral_constantIbLb1EES18_EEDaS13_S14_EUlS13_E_NS1_11comp_targetILNS1_3genE4ELNS1_11target_archE910ELNS1_3gpuE8ELNS1_3repE0EEENS1_30default_config_static_selectorELNS0_4arch9wavefront6targetE0EEEvT1_,comdat
.Lfunc_end155:
	.size	_ZN7rocprim17ROCPRIM_400000_NS6detail17trampoline_kernelINS0_14default_configENS1_25partition_config_selectorILNS1_17partition_subalgoE9EyybEEZZNS1_14partition_implILS5_9ELb0ES3_jN6thrust23THRUST_200600_302600_NS6detail15normal_iteratorINS9_10device_ptrIyEEEESE_PNS0_10empty_typeENS0_5tupleIJSE_SF_EEENSH_IJSE_SG_EEENS0_18inequality_wrapperINS9_8equal_toIyEEEEPmJSF_EEE10hipError_tPvRmT3_T4_T5_T6_T7_T9_mT8_P12ihipStream_tbDpT10_ENKUlT_T0_E_clISt17integral_constantIbLb1EES18_EEDaS13_S14_EUlS13_E_NS1_11comp_targetILNS1_3genE4ELNS1_11target_archE910ELNS1_3gpuE8ELNS1_3repE0EEENS1_30default_config_static_selectorELNS0_4arch9wavefront6targetE0EEEvT1_, .Lfunc_end155-_ZN7rocprim17ROCPRIM_400000_NS6detail17trampoline_kernelINS0_14default_configENS1_25partition_config_selectorILNS1_17partition_subalgoE9EyybEEZZNS1_14partition_implILS5_9ELb0ES3_jN6thrust23THRUST_200600_302600_NS6detail15normal_iteratorINS9_10device_ptrIyEEEESE_PNS0_10empty_typeENS0_5tupleIJSE_SF_EEENSH_IJSE_SG_EEENS0_18inequality_wrapperINS9_8equal_toIyEEEEPmJSF_EEE10hipError_tPvRmT3_T4_T5_T6_T7_T9_mT8_P12ihipStream_tbDpT10_ENKUlT_T0_E_clISt17integral_constantIbLb1EES18_EEDaS13_S14_EUlS13_E_NS1_11comp_targetILNS1_3genE4ELNS1_11target_archE910ELNS1_3gpuE8ELNS1_3repE0EEENS1_30default_config_static_selectorELNS0_4arch9wavefront6targetE0EEEvT1_
                                        ; -- End function
	.section	.AMDGPU.csdata,"",@progbits
; Kernel info:
; codeLenInByte = 0
; NumSgprs: 0
; NumVgprs: 0
; ScratchSize: 0
; MemoryBound: 0
; FloatMode: 240
; IeeeMode: 1
; LDSByteSize: 0 bytes/workgroup (compile time only)
; SGPRBlocks: 0
; VGPRBlocks: 0
; NumSGPRsForWavesPerEU: 1
; NumVGPRsForWavesPerEU: 1
; Occupancy: 16
; WaveLimiterHint : 0
; COMPUTE_PGM_RSRC2:SCRATCH_EN: 0
; COMPUTE_PGM_RSRC2:USER_SGPR: 15
; COMPUTE_PGM_RSRC2:TRAP_HANDLER: 0
; COMPUTE_PGM_RSRC2:TGID_X_EN: 1
; COMPUTE_PGM_RSRC2:TGID_Y_EN: 0
; COMPUTE_PGM_RSRC2:TGID_Z_EN: 0
; COMPUTE_PGM_RSRC2:TIDIG_COMP_CNT: 0
	.section	.text._ZN7rocprim17ROCPRIM_400000_NS6detail17trampoline_kernelINS0_14default_configENS1_25partition_config_selectorILNS1_17partition_subalgoE9EyybEEZZNS1_14partition_implILS5_9ELb0ES3_jN6thrust23THRUST_200600_302600_NS6detail15normal_iteratorINS9_10device_ptrIyEEEESE_PNS0_10empty_typeENS0_5tupleIJSE_SF_EEENSH_IJSE_SG_EEENS0_18inequality_wrapperINS9_8equal_toIyEEEEPmJSF_EEE10hipError_tPvRmT3_T4_T5_T6_T7_T9_mT8_P12ihipStream_tbDpT10_ENKUlT_T0_E_clISt17integral_constantIbLb1EES18_EEDaS13_S14_EUlS13_E_NS1_11comp_targetILNS1_3genE3ELNS1_11target_archE908ELNS1_3gpuE7ELNS1_3repE0EEENS1_30default_config_static_selectorELNS0_4arch9wavefront6targetE0EEEvT1_,"axG",@progbits,_ZN7rocprim17ROCPRIM_400000_NS6detail17trampoline_kernelINS0_14default_configENS1_25partition_config_selectorILNS1_17partition_subalgoE9EyybEEZZNS1_14partition_implILS5_9ELb0ES3_jN6thrust23THRUST_200600_302600_NS6detail15normal_iteratorINS9_10device_ptrIyEEEESE_PNS0_10empty_typeENS0_5tupleIJSE_SF_EEENSH_IJSE_SG_EEENS0_18inequality_wrapperINS9_8equal_toIyEEEEPmJSF_EEE10hipError_tPvRmT3_T4_T5_T6_T7_T9_mT8_P12ihipStream_tbDpT10_ENKUlT_T0_E_clISt17integral_constantIbLb1EES18_EEDaS13_S14_EUlS13_E_NS1_11comp_targetILNS1_3genE3ELNS1_11target_archE908ELNS1_3gpuE7ELNS1_3repE0EEENS1_30default_config_static_selectorELNS0_4arch9wavefront6targetE0EEEvT1_,comdat
	.protected	_ZN7rocprim17ROCPRIM_400000_NS6detail17trampoline_kernelINS0_14default_configENS1_25partition_config_selectorILNS1_17partition_subalgoE9EyybEEZZNS1_14partition_implILS5_9ELb0ES3_jN6thrust23THRUST_200600_302600_NS6detail15normal_iteratorINS9_10device_ptrIyEEEESE_PNS0_10empty_typeENS0_5tupleIJSE_SF_EEENSH_IJSE_SG_EEENS0_18inequality_wrapperINS9_8equal_toIyEEEEPmJSF_EEE10hipError_tPvRmT3_T4_T5_T6_T7_T9_mT8_P12ihipStream_tbDpT10_ENKUlT_T0_E_clISt17integral_constantIbLb1EES18_EEDaS13_S14_EUlS13_E_NS1_11comp_targetILNS1_3genE3ELNS1_11target_archE908ELNS1_3gpuE7ELNS1_3repE0EEENS1_30default_config_static_selectorELNS0_4arch9wavefront6targetE0EEEvT1_ ; -- Begin function _ZN7rocprim17ROCPRIM_400000_NS6detail17trampoline_kernelINS0_14default_configENS1_25partition_config_selectorILNS1_17partition_subalgoE9EyybEEZZNS1_14partition_implILS5_9ELb0ES3_jN6thrust23THRUST_200600_302600_NS6detail15normal_iteratorINS9_10device_ptrIyEEEESE_PNS0_10empty_typeENS0_5tupleIJSE_SF_EEENSH_IJSE_SG_EEENS0_18inequality_wrapperINS9_8equal_toIyEEEEPmJSF_EEE10hipError_tPvRmT3_T4_T5_T6_T7_T9_mT8_P12ihipStream_tbDpT10_ENKUlT_T0_E_clISt17integral_constantIbLb1EES18_EEDaS13_S14_EUlS13_E_NS1_11comp_targetILNS1_3genE3ELNS1_11target_archE908ELNS1_3gpuE7ELNS1_3repE0EEENS1_30default_config_static_selectorELNS0_4arch9wavefront6targetE0EEEvT1_
	.globl	_ZN7rocprim17ROCPRIM_400000_NS6detail17trampoline_kernelINS0_14default_configENS1_25partition_config_selectorILNS1_17partition_subalgoE9EyybEEZZNS1_14partition_implILS5_9ELb0ES3_jN6thrust23THRUST_200600_302600_NS6detail15normal_iteratorINS9_10device_ptrIyEEEESE_PNS0_10empty_typeENS0_5tupleIJSE_SF_EEENSH_IJSE_SG_EEENS0_18inequality_wrapperINS9_8equal_toIyEEEEPmJSF_EEE10hipError_tPvRmT3_T4_T5_T6_T7_T9_mT8_P12ihipStream_tbDpT10_ENKUlT_T0_E_clISt17integral_constantIbLb1EES18_EEDaS13_S14_EUlS13_E_NS1_11comp_targetILNS1_3genE3ELNS1_11target_archE908ELNS1_3gpuE7ELNS1_3repE0EEENS1_30default_config_static_selectorELNS0_4arch9wavefront6targetE0EEEvT1_
	.p2align	8
	.type	_ZN7rocprim17ROCPRIM_400000_NS6detail17trampoline_kernelINS0_14default_configENS1_25partition_config_selectorILNS1_17partition_subalgoE9EyybEEZZNS1_14partition_implILS5_9ELb0ES3_jN6thrust23THRUST_200600_302600_NS6detail15normal_iteratorINS9_10device_ptrIyEEEESE_PNS0_10empty_typeENS0_5tupleIJSE_SF_EEENSH_IJSE_SG_EEENS0_18inequality_wrapperINS9_8equal_toIyEEEEPmJSF_EEE10hipError_tPvRmT3_T4_T5_T6_T7_T9_mT8_P12ihipStream_tbDpT10_ENKUlT_T0_E_clISt17integral_constantIbLb1EES18_EEDaS13_S14_EUlS13_E_NS1_11comp_targetILNS1_3genE3ELNS1_11target_archE908ELNS1_3gpuE7ELNS1_3repE0EEENS1_30default_config_static_selectorELNS0_4arch9wavefront6targetE0EEEvT1_,@function
_ZN7rocprim17ROCPRIM_400000_NS6detail17trampoline_kernelINS0_14default_configENS1_25partition_config_selectorILNS1_17partition_subalgoE9EyybEEZZNS1_14partition_implILS5_9ELb0ES3_jN6thrust23THRUST_200600_302600_NS6detail15normal_iteratorINS9_10device_ptrIyEEEESE_PNS0_10empty_typeENS0_5tupleIJSE_SF_EEENSH_IJSE_SG_EEENS0_18inequality_wrapperINS9_8equal_toIyEEEEPmJSF_EEE10hipError_tPvRmT3_T4_T5_T6_T7_T9_mT8_P12ihipStream_tbDpT10_ENKUlT_T0_E_clISt17integral_constantIbLb1EES18_EEDaS13_S14_EUlS13_E_NS1_11comp_targetILNS1_3genE3ELNS1_11target_archE908ELNS1_3gpuE7ELNS1_3repE0EEENS1_30default_config_static_selectorELNS0_4arch9wavefront6targetE0EEEvT1_: ; @_ZN7rocprim17ROCPRIM_400000_NS6detail17trampoline_kernelINS0_14default_configENS1_25partition_config_selectorILNS1_17partition_subalgoE9EyybEEZZNS1_14partition_implILS5_9ELb0ES3_jN6thrust23THRUST_200600_302600_NS6detail15normal_iteratorINS9_10device_ptrIyEEEESE_PNS0_10empty_typeENS0_5tupleIJSE_SF_EEENSH_IJSE_SG_EEENS0_18inequality_wrapperINS9_8equal_toIyEEEEPmJSF_EEE10hipError_tPvRmT3_T4_T5_T6_T7_T9_mT8_P12ihipStream_tbDpT10_ENKUlT_T0_E_clISt17integral_constantIbLb1EES18_EEDaS13_S14_EUlS13_E_NS1_11comp_targetILNS1_3genE3ELNS1_11target_archE908ELNS1_3gpuE7ELNS1_3repE0EEENS1_30default_config_static_selectorELNS0_4arch9wavefront6targetE0EEEvT1_
; %bb.0:
	.section	.rodata,"a",@progbits
	.p2align	6, 0x0
	.amdhsa_kernel _ZN7rocprim17ROCPRIM_400000_NS6detail17trampoline_kernelINS0_14default_configENS1_25partition_config_selectorILNS1_17partition_subalgoE9EyybEEZZNS1_14partition_implILS5_9ELb0ES3_jN6thrust23THRUST_200600_302600_NS6detail15normal_iteratorINS9_10device_ptrIyEEEESE_PNS0_10empty_typeENS0_5tupleIJSE_SF_EEENSH_IJSE_SG_EEENS0_18inequality_wrapperINS9_8equal_toIyEEEEPmJSF_EEE10hipError_tPvRmT3_T4_T5_T6_T7_T9_mT8_P12ihipStream_tbDpT10_ENKUlT_T0_E_clISt17integral_constantIbLb1EES18_EEDaS13_S14_EUlS13_E_NS1_11comp_targetILNS1_3genE3ELNS1_11target_archE908ELNS1_3gpuE7ELNS1_3repE0EEENS1_30default_config_static_selectorELNS0_4arch9wavefront6targetE0EEEvT1_
		.amdhsa_group_segment_fixed_size 0
		.amdhsa_private_segment_fixed_size 0
		.amdhsa_kernarg_size 128
		.amdhsa_user_sgpr_count 15
		.amdhsa_user_sgpr_dispatch_ptr 0
		.amdhsa_user_sgpr_queue_ptr 0
		.amdhsa_user_sgpr_kernarg_segment_ptr 1
		.amdhsa_user_sgpr_dispatch_id 0
		.amdhsa_user_sgpr_private_segment_size 0
		.amdhsa_wavefront_size32 1
		.amdhsa_uses_dynamic_stack 0
		.amdhsa_enable_private_segment 0
		.amdhsa_system_sgpr_workgroup_id_x 1
		.amdhsa_system_sgpr_workgroup_id_y 0
		.amdhsa_system_sgpr_workgroup_id_z 0
		.amdhsa_system_sgpr_workgroup_info 0
		.amdhsa_system_vgpr_workitem_id 0
		.amdhsa_next_free_vgpr 1
		.amdhsa_next_free_sgpr 1
		.amdhsa_reserve_vcc 0
		.amdhsa_float_round_mode_32 0
		.amdhsa_float_round_mode_16_64 0
		.amdhsa_float_denorm_mode_32 3
		.amdhsa_float_denorm_mode_16_64 3
		.amdhsa_dx10_clamp 1
		.amdhsa_ieee_mode 1
		.amdhsa_fp16_overflow 0
		.amdhsa_workgroup_processor_mode 1
		.amdhsa_memory_ordered 1
		.amdhsa_forward_progress 0
		.amdhsa_shared_vgpr_count 0
		.amdhsa_exception_fp_ieee_invalid_op 0
		.amdhsa_exception_fp_denorm_src 0
		.amdhsa_exception_fp_ieee_div_zero 0
		.amdhsa_exception_fp_ieee_overflow 0
		.amdhsa_exception_fp_ieee_underflow 0
		.amdhsa_exception_fp_ieee_inexact 0
		.amdhsa_exception_int_div_zero 0
	.end_amdhsa_kernel
	.section	.text._ZN7rocprim17ROCPRIM_400000_NS6detail17trampoline_kernelINS0_14default_configENS1_25partition_config_selectorILNS1_17partition_subalgoE9EyybEEZZNS1_14partition_implILS5_9ELb0ES3_jN6thrust23THRUST_200600_302600_NS6detail15normal_iteratorINS9_10device_ptrIyEEEESE_PNS0_10empty_typeENS0_5tupleIJSE_SF_EEENSH_IJSE_SG_EEENS0_18inequality_wrapperINS9_8equal_toIyEEEEPmJSF_EEE10hipError_tPvRmT3_T4_T5_T6_T7_T9_mT8_P12ihipStream_tbDpT10_ENKUlT_T0_E_clISt17integral_constantIbLb1EES18_EEDaS13_S14_EUlS13_E_NS1_11comp_targetILNS1_3genE3ELNS1_11target_archE908ELNS1_3gpuE7ELNS1_3repE0EEENS1_30default_config_static_selectorELNS0_4arch9wavefront6targetE0EEEvT1_,"axG",@progbits,_ZN7rocprim17ROCPRIM_400000_NS6detail17trampoline_kernelINS0_14default_configENS1_25partition_config_selectorILNS1_17partition_subalgoE9EyybEEZZNS1_14partition_implILS5_9ELb0ES3_jN6thrust23THRUST_200600_302600_NS6detail15normal_iteratorINS9_10device_ptrIyEEEESE_PNS0_10empty_typeENS0_5tupleIJSE_SF_EEENSH_IJSE_SG_EEENS0_18inequality_wrapperINS9_8equal_toIyEEEEPmJSF_EEE10hipError_tPvRmT3_T4_T5_T6_T7_T9_mT8_P12ihipStream_tbDpT10_ENKUlT_T0_E_clISt17integral_constantIbLb1EES18_EEDaS13_S14_EUlS13_E_NS1_11comp_targetILNS1_3genE3ELNS1_11target_archE908ELNS1_3gpuE7ELNS1_3repE0EEENS1_30default_config_static_selectorELNS0_4arch9wavefront6targetE0EEEvT1_,comdat
.Lfunc_end156:
	.size	_ZN7rocprim17ROCPRIM_400000_NS6detail17trampoline_kernelINS0_14default_configENS1_25partition_config_selectorILNS1_17partition_subalgoE9EyybEEZZNS1_14partition_implILS5_9ELb0ES3_jN6thrust23THRUST_200600_302600_NS6detail15normal_iteratorINS9_10device_ptrIyEEEESE_PNS0_10empty_typeENS0_5tupleIJSE_SF_EEENSH_IJSE_SG_EEENS0_18inequality_wrapperINS9_8equal_toIyEEEEPmJSF_EEE10hipError_tPvRmT3_T4_T5_T6_T7_T9_mT8_P12ihipStream_tbDpT10_ENKUlT_T0_E_clISt17integral_constantIbLb1EES18_EEDaS13_S14_EUlS13_E_NS1_11comp_targetILNS1_3genE3ELNS1_11target_archE908ELNS1_3gpuE7ELNS1_3repE0EEENS1_30default_config_static_selectorELNS0_4arch9wavefront6targetE0EEEvT1_, .Lfunc_end156-_ZN7rocprim17ROCPRIM_400000_NS6detail17trampoline_kernelINS0_14default_configENS1_25partition_config_selectorILNS1_17partition_subalgoE9EyybEEZZNS1_14partition_implILS5_9ELb0ES3_jN6thrust23THRUST_200600_302600_NS6detail15normal_iteratorINS9_10device_ptrIyEEEESE_PNS0_10empty_typeENS0_5tupleIJSE_SF_EEENSH_IJSE_SG_EEENS0_18inequality_wrapperINS9_8equal_toIyEEEEPmJSF_EEE10hipError_tPvRmT3_T4_T5_T6_T7_T9_mT8_P12ihipStream_tbDpT10_ENKUlT_T0_E_clISt17integral_constantIbLb1EES18_EEDaS13_S14_EUlS13_E_NS1_11comp_targetILNS1_3genE3ELNS1_11target_archE908ELNS1_3gpuE7ELNS1_3repE0EEENS1_30default_config_static_selectorELNS0_4arch9wavefront6targetE0EEEvT1_
                                        ; -- End function
	.section	.AMDGPU.csdata,"",@progbits
; Kernel info:
; codeLenInByte = 0
; NumSgprs: 0
; NumVgprs: 0
; ScratchSize: 0
; MemoryBound: 0
; FloatMode: 240
; IeeeMode: 1
; LDSByteSize: 0 bytes/workgroup (compile time only)
; SGPRBlocks: 0
; VGPRBlocks: 0
; NumSGPRsForWavesPerEU: 1
; NumVGPRsForWavesPerEU: 1
; Occupancy: 16
; WaveLimiterHint : 0
; COMPUTE_PGM_RSRC2:SCRATCH_EN: 0
; COMPUTE_PGM_RSRC2:USER_SGPR: 15
; COMPUTE_PGM_RSRC2:TRAP_HANDLER: 0
; COMPUTE_PGM_RSRC2:TGID_X_EN: 1
; COMPUTE_PGM_RSRC2:TGID_Y_EN: 0
; COMPUTE_PGM_RSRC2:TGID_Z_EN: 0
; COMPUTE_PGM_RSRC2:TIDIG_COMP_CNT: 0
	.section	.text._ZN7rocprim17ROCPRIM_400000_NS6detail17trampoline_kernelINS0_14default_configENS1_25partition_config_selectorILNS1_17partition_subalgoE9EyybEEZZNS1_14partition_implILS5_9ELb0ES3_jN6thrust23THRUST_200600_302600_NS6detail15normal_iteratorINS9_10device_ptrIyEEEESE_PNS0_10empty_typeENS0_5tupleIJSE_SF_EEENSH_IJSE_SG_EEENS0_18inequality_wrapperINS9_8equal_toIyEEEEPmJSF_EEE10hipError_tPvRmT3_T4_T5_T6_T7_T9_mT8_P12ihipStream_tbDpT10_ENKUlT_T0_E_clISt17integral_constantIbLb1EES18_EEDaS13_S14_EUlS13_E_NS1_11comp_targetILNS1_3genE2ELNS1_11target_archE906ELNS1_3gpuE6ELNS1_3repE0EEENS1_30default_config_static_selectorELNS0_4arch9wavefront6targetE0EEEvT1_,"axG",@progbits,_ZN7rocprim17ROCPRIM_400000_NS6detail17trampoline_kernelINS0_14default_configENS1_25partition_config_selectorILNS1_17partition_subalgoE9EyybEEZZNS1_14partition_implILS5_9ELb0ES3_jN6thrust23THRUST_200600_302600_NS6detail15normal_iteratorINS9_10device_ptrIyEEEESE_PNS0_10empty_typeENS0_5tupleIJSE_SF_EEENSH_IJSE_SG_EEENS0_18inequality_wrapperINS9_8equal_toIyEEEEPmJSF_EEE10hipError_tPvRmT3_T4_T5_T6_T7_T9_mT8_P12ihipStream_tbDpT10_ENKUlT_T0_E_clISt17integral_constantIbLb1EES18_EEDaS13_S14_EUlS13_E_NS1_11comp_targetILNS1_3genE2ELNS1_11target_archE906ELNS1_3gpuE6ELNS1_3repE0EEENS1_30default_config_static_selectorELNS0_4arch9wavefront6targetE0EEEvT1_,comdat
	.protected	_ZN7rocprim17ROCPRIM_400000_NS6detail17trampoline_kernelINS0_14default_configENS1_25partition_config_selectorILNS1_17partition_subalgoE9EyybEEZZNS1_14partition_implILS5_9ELb0ES3_jN6thrust23THRUST_200600_302600_NS6detail15normal_iteratorINS9_10device_ptrIyEEEESE_PNS0_10empty_typeENS0_5tupleIJSE_SF_EEENSH_IJSE_SG_EEENS0_18inequality_wrapperINS9_8equal_toIyEEEEPmJSF_EEE10hipError_tPvRmT3_T4_T5_T6_T7_T9_mT8_P12ihipStream_tbDpT10_ENKUlT_T0_E_clISt17integral_constantIbLb1EES18_EEDaS13_S14_EUlS13_E_NS1_11comp_targetILNS1_3genE2ELNS1_11target_archE906ELNS1_3gpuE6ELNS1_3repE0EEENS1_30default_config_static_selectorELNS0_4arch9wavefront6targetE0EEEvT1_ ; -- Begin function _ZN7rocprim17ROCPRIM_400000_NS6detail17trampoline_kernelINS0_14default_configENS1_25partition_config_selectorILNS1_17partition_subalgoE9EyybEEZZNS1_14partition_implILS5_9ELb0ES3_jN6thrust23THRUST_200600_302600_NS6detail15normal_iteratorINS9_10device_ptrIyEEEESE_PNS0_10empty_typeENS0_5tupleIJSE_SF_EEENSH_IJSE_SG_EEENS0_18inequality_wrapperINS9_8equal_toIyEEEEPmJSF_EEE10hipError_tPvRmT3_T4_T5_T6_T7_T9_mT8_P12ihipStream_tbDpT10_ENKUlT_T0_E_clISt17integral_constantIbLb1EES18_EEDaS13_S14_EUlS13_E_NS1_11comp_targetILNS1_3genE2ELNS1_11target_archE906ELNS1_3gpuE6ELNS1_3repE0EEENS1_30default_config_static_selectorELNS0_4arch9wavefront6targetE0EEEvT1_
	.globl	_ZN7rocprim17ROCPRIM_400000_NS6detail17trampoline_kernelINS0_14default_configENS1_25partition_config_selectorILNS1_17partition_subalgoE9EyybEEZZNS1_14partition_implILS5_9ELb0ES3_jN6thrust23THRUST_200600_302600_NS6detail15normal_iteratorINS9_10device_ptrIyEEEESE_PNS0_10empty_typeENS0_5tupleIJSE_SF_EEENSH_IJSE_SG_EEENS0_18inequality_wrapperINS9_8equal_toIyEEEEPmJSF_EEE10hipError_tPvRmT3_T4_T5_T6_T7_T9_mT8_P12ihipStream_tbDpT10_ENKUlT_T0_E_clISt17integral_constantIbLb1EES18_EEDaS13_S14_EUlS13_E_NS1_11comp_targetILNS1_3genE2ELNS1_11target_archE906ELNS1_3gpuE6ELNS1_3repE0EEENS1_30default_config_static_selectorELNS0_4arch9wavefront6targetE0EEEvT1_
	.p2align	8
	.type	_ZN7rocprim17ROCPRIM_400000_NS6detail17trampoline_kernelINS0_14default_configENS1_25partition_config_selectorILNS1_17partition_subalgoE9EyybEEZZNS1_14partition_implILS5_9ELb0ES3_jN6thrust23THRUST_200600_302600_NS6detail15normal_iteratorINS9_10device_ptrIyEEEESE_PNS0_10empty_typeENS0_5tupleIJSE_SF_EEENSH_IJSE_SG_EEENS0_18inequality_wrapperINS9_8equal_toIyEEEEPmJSF_EEE10hipError_tPvRmT3_T4_T5_T6_T7_T9_mT8_P12ihipStream_tbDpT10_ENKUlT_T0_E_clISt17integral_constantIbLb1EES18_EEDaS13_S14_EUlS13_E_NS1_11comp_targetILNS1_3genE2ELNS1_11target_archE906ELNS1_3gpuE6ELNS1_3repE0EEENS1_30default_config_static_selectorELNS0_4arch9wavefront6targetE0EEEvT1_,@function
_ZN7rocprim17ROCPRIM_400000_NS6detail17trampoline_kernelINS0_14default_configENS1_25partition_config_selectorILNS1_17partition_subalgoE9EyybEEZZNS1_14partition_implILS5_9ELb0ES3_jN6thrust23THRUST_200600_302600_NS6detail15normal_iteratorINS9_10device_ptrIyEEEESE_PNS0_10empty_typeENS0_5tupleIJSE_SF_EEENSH_IJSE_SG_EEENS0_18inequality_wrapperINS9_8equal_toIyEEEEPmJSF_EEE10hipError_tPvRmT3_T4_T5_T6_T7_T9_mT8_P12ihipStream_tbDpT10_ENKUlT_T0_E_clISt17integral_constantIbLb1EES18_EEDaS13_S14_EUlS13_E_NS1_11comp_targetILNS1_3genE2ELNS1_11target_archE906ELNS1_3gpuE6ELNS1_3repE0EEENS1_30default_config_static_selectorELNS0_4arch9wavefront6targetE0EEEvT1_: ; @_ZN7rocprim17ROCPRIM_400000_NS6detail17trampoline_kernelINS0_14default_configENS1_25partition_config_selectorILNS1_17partition_subalgoE9EyybEEZZNS1_14partition_implILS5_9ELb0ES3_jN6thrust23THRUST_200600_302600_NS6detail15normal_iteratorINS9_10device_ptrIyEEEESE_PNS0_10empty_typeENS0_5tupleIJSE_SF_EEENSH_IJSE_SG_EEENS0_18inequality_wrapperINS9_8equal_toIyEEEEPmJSF_EEE10hipError_tPvRmT3_T4_T5_T6_T7_T9_mT8_P12ihipStream_tbDpT10_ENKUlT_T0_E_clISt17integral_constantIbLb1EES18_EEDaS13_S14_EUlS13_E_NS1_11comp_targetILNS1_3genE2ELNS1_11target_archE906ELNS1_3gpuE6ELNS1_3repE0EEENS1_30default_config_static_selectorELNS0_4arch9wavefront6targetE0EEEvT1_
; %bb.0:
	.section	.rodata,"a",@progbits
	.p2align	6, 0x0
	.amdhsa_kernel _ZN7rocprim17ROCPRIM_400000_NS6detail17trampoline_kernelINS0_14default_configENS1_25partition_config_selectorILNS1_17partition_subalgoE9EyybEEZZNS1_14partition_implILS5_9ELb0ES3_jN6thrust23THRUST_200600_302600_NS6detail15normal_iteratorINS9_10device_ptrIyEEEESE_PNS0_10empty_typeENS0_5tupleIJSE_SF_EEENSH_IJSE_SG_EEENS0_18inequality_wrapperINS9_8equal_toIyEEEEPmJSF_EEE10hipError_tPvRmT3_T4_T5_T6_T7_T9_mT8_P12ihipStream_tbDpT10_ENKUlT_T0_E_clISt17integral_constantIbLb1EES18_EEDaS13_S14_EUlS13_E_NS1_11comp_targetILNS1_3genE2ELNS1_11target_archE906ELNS1_3gpuE6ELNS1_3repE0EEENS1_30default_config_static_selectorELNS0_4arch9wavefront6targetE0EEEvT1_
		.amdhsa_group_segment_fixed_size 0
		.amdhsa_private_segment_fixed_size 0
		.amdhsa_kernarg_size 128
		.amdhsa_user_sgpr_count 15
		.amdhsa_user_sgpr_dispatch_ptr 0
		.amdhsa_user_sgpr_queue_ptr 0
		.amdhsa_user_sgpr_kernarg_segment_ptr 1
		.amdhsa_user_sgpr_dispatch_id 0
		.amdhsa_user_sgpr_private_segment_size 0
		.amdhsa_wavefront_size32 1
		.amdhsa_uses_dynamic_stack 0
		.amdhsa_enable_private_segment 0
		.amdhsa_system_sgpr_workgroup_id_x 1
		.amdhsa_system_sgpr_workgroup_id_y 0
		.amdhsa_system_sgpr_workgroup_id_z 0
		.amdhsa_system_sgpr_workgroup_info 0
		.amdhsa_system_vgpr_workitem_id 0
		.amdhsa_next_free_vgpr 1
		.amdhsa_next_free_sgpr 1
		.amdhsa_reserve_vcc 0
		.amdhsa_float_round_mode_32 0
		.amdhsa_float_round_mode_16_64 0
		.amdhsa_float_denorm_mode_32 3
		.amdhsa_float_denorm_mode_16_64 3
		.amdhsa_dx10_clamp 1
		.amdhsa_ieee_mode 1
		.amdhsa_fp16_overflow 0
		.amdhsa_workgroup_processor_mode 1
		.amdhsa_memory_ordered 1
		.amdhsa_forward_progress 0
		.amdhsa_shared_vgpr_count 0
		.amdhsa_exception_fp_ieee_invalid_op 0
		.amdhsa_exception_fp_denorm_src 0
		.amdhsa_exception_fp_ieee_div_zero 0
		.amdhsa_exception_fp_ieee_overflow 0
		.amdhsa_exception_fp_ieee_underflow 0
		.amdhsa_exception_fp_ieee_inexact 0
		.amdhsa_exception_int_div_zero 0
	.end_amdhsa_kernel
	.section	.text._ZN7rocprim17ROCPRIM_400000_NS6detail17trampoline_kernelINS0_14default_configENS1_25partition_config_selectorILNS1_17partition_subalgoE9EyybEEZZNS1_14partition_implILS5_9ELb0ES3_jN6thrust23THRUST_200600_302600_NS6detail15normal_iteratorINS9_10device_ptrIyEEEESE_PNS0_10empty_typeENS0_5tupleIJSE_SF_EEENSH_IJSE_SG_EEENS0_18inequality_wrapperINS9_8equal_toIyEEEEPmJSF_EEE10hipError_tPvRmT3_T4_T5_T6_T7_T9_mT8_P12ihipStream_tbDpT10_ENKUlT_T0_E_clISt17integral_constantIbLb1EES18_EEDaS13_S14_EUlS13_E_NS1_11comp_targetILNS1_3genE2ELNS1_11target_archE906ELNS1_3gpuE6ELNS1_3repE0EEENS1_30default_config_static_selectorELNS0_4arch9wavefront6targetE0EEEvT1_,"axG",@progbits,_ZN7rocprim17ROCPRIM_400000_NS6detail17trampoline_kernelINS0_14default_configENS1_25partition_config_selectorILNS1_17partition_subalgoE9EyybEEZZNS1_14partition_implILS5_9ELb0ES3_jN6thrust23THRUST_200600_302600_NS6detail15normal_iteratorINS9_10device_ptrIyEEEESE_PNS0_10empty_typeENS0_5tupleIJSE_SF_EEENSH_IJSE_SG_EEENS0_18inequality_wrapperINS9_8equal_toIyEEEEPmJSF_EEE10hipError_tPvRmT3_T4_T5_T6_T7_T9_mT8_P12ihipStream_tbDpT10_ENKUlT_T0_E_clISt17integral_constantIbLb1EES18_EEDaS13_S14_EUlS13_E_NS1_11comp_targetILNS1_3genE2ELNS1_11target_archE906ELNS1_3gpuE6ELNS1_3repE0EEENS1_30default_config_static_selectorELNS0_4arch9wavefront6targetE0EEEvT1_,comdat
.Lfunc_end157:
	.size	_ZN7rocprim17ROCPRIM_400000_NS6detail17trampoline_kernelINS0_14default_configENS1_25partition_config_selectorILNS1_17partition_subalgoE9EyybEEZZNS1_14partition_implILS5_9ELb0ES3_jN6thrust23THRUST_200600_302600_NS6detail15normal_iteratorINS9_10device_ptrIyEEEESE_PNS0_10empty_typeENS0_5tupleIJSE_SF_EEENSH_IJSE_SG_EEENS0_18inequality_wrapperINS9_8equal_toIyEEEEPmJSF_EEE10hipError_tPvRmT3_T4_T5_T6_T7_T9_mT8_P12ihipStream_tbDpT10_ENKUlT_T0_E_clISt17integral_constantIbLb1EES18_EEDaS13_S14_EUlS13_E_NS1_11comp_targetILNS1_3genE2ELNS1_11target_archE906ELNS1_3gpuE6ELNS1_3repE0EEENS1_30default_config_static_selectorELNS0_4arch9wavefront6targetE0EEEvT1_, .Lfunc_end157-_ZN7rocprim17ROCPRIM_400000_NS6detail17trampoline_kernelINS0_14default_configENS1_25partition_config_selectorILNS1_17partition_subalgoE9EyybEEZZNS1_14partition_implILS5_9ELb0ES3_jN6thrust23THRUST_200600_302600_NS6detail15normal_iteratorINS9_10device_ptrIyEEEESE_PNS0_10empty_typeENS0_5tupleIJSE_SF_EEENSH_IJSE_SG_EEENS0_18inequality_wrapperINS9_8equal_toIyEEEEPmJSF_EEE10hipError_tPvRmT3_T4_T5_T6_T7_T9_mT8_P12ihipStream_tbDpT10_ENKUlT_T0_E_clISt17integral_constantIbLb1EES18_EEDaS13_S14_EUlS13_E_NS1_11comp_targetILNS1_3genE2ELNS1_11target_archE906ELNS1_3gpuE6ELNS1_3repE0EEENS1_30default_config_static_selectorELNS0_4arch9wavefront6targetE0EEEvT1_
                                        ; -- End function
	.section	.AMDGPU.csdata,"",@progbits
; Kernel info:
; codeLenInByte = 0
; NumSgprs: 0
; NumVgprs: 0
; ScratchSize: 0
; MemoryBound: 0
; FloatMode: 240
; IeeeMode: 1
; LDSByteSize: 0 bytes/workgroup (compile time only)
; SGPRBlocks: 0
; VGPRBlocks: 0
; NumSGPRsForWavesPerEU: 1
; NumVGPRsForWavesPerEU: 1
; Occupancy: 15
; WaveLimiterHint : 0
; COMPUTE_PGM_RSRC2:SCRATCH_EN: 0
; COMPUTE_PGM_RSRC2:USER_SGPR: 15
; COMPUTE_PGM_RSRC2:TRAP_HANDLER: 0
; COMPUTE_PGM_RSRC2:TGID_X_EN: 1
; COMPUTE_PGM_RSRC2:TGID_Y_EN: 0
; COMPUTE_PGM_RSRC2:TGID_Z_EN: 0
; COMPUTE_PGM_RSRC2:TIDIG_COMP_CNT: 0
	.section	.text._ZN7rocprim17ROCPRIM_400000_NS6detail17trampoline_kernelINS0_14default_configENS1_25partition_config_selectorILNS1_17partition_subalgoE9EyybEEZZNS1_14partition_implILS5_9ELb0ES3_jN6thrust23THRUST_200600_302600_NS6detail15normal_iteratorINS9_10device_ptrIyEEEESE_PNS0_10empty_typeENS0_5tupleIJSE_SF_EEENSH_IJSE_SG_EEENS0_18inequality_wrapperINS9_8equal_toIyEEEEPmJSF_EEE10hipError_tPvRmT3_T4_T5_T6_T7_T9_mT8_P12ihipStream_tbDpT10_ENKUlT_T0_E_clISt17integral_constantIbLb1EES18_EEDaS13_S14_EUlS13_E_NS1_11comp_targetILNS1_3genE10ELNS1_11target_archE1200ELNS1_3gpuE4ELNS1_3repE0EEENS1_30default_config_static_selectorELNS0_4arch9wavefront6targetE0EEEvT1_,"axG",@progbits,_ZN7rocprim17ROCPRIM_400000_NS6detail17trampoline_kernelINS0_14default_configENS1_25partition_config_selectorILNS1_17partition_subalgoE9EyybEEZZNS1_14partition_implILS5_9ELb0ES3_jN6thrust23THRUST_200600_302600_NS6detail15normal_iteratorINS9_10device_ptrIyEEEESE_PNS0_10empty_typeENS0_5tupleIJSE_SF_EEENSH_IJSE_SG_EEENS0_18inequality_wrapperINS9_8equal_toIyEEEEPmJSF_EEE10hipError_tPvRmT3_T4_T5_T6_T7_T9_mT8_P12ihipStream_tbDpT10_ENKUlT_T0_E_clISt17integral_constantIbLb1EES18_EEDaS13_S14_EUlS13_E_NS1_11comp_targetILNS1_3genE10ELNS1_11target_archE1200ELNS1_3gpuE4ELNS1_3repE0EEENS1_30default_config_static_selectorELNS0_4arch9wavefront6targetE0EEEvT1_,comdat
	.protected	_ZN7rocprim17ROCPRIM_400000_NS6detail17trampoline_kernelINS0_14default_configENS1_25partition_config_selectorILNS1_17partition_subalgoE9EyybEEZZNS1_14partition_implILS5_9ELb0ES3_jN6thrust23THRUST_200600_302600_NS6detail15normal_iteratorINS9_10device_ptrIyEEEESE_PNS0_10empty_typeENS0_5tupleIJSE_SF_EEENSH_IJSE_SG_EEENS0_18inequality_wrapperINS9_8equal_toIyEEEEPmJSF_EEE10hipError_tPvRmT3_T4_T5_T6_T7_T9_mT8_P12ihipStream_tbDpT10_ENKUlT_T0_E_clISt17integral_constantIbLb1EES18_EEDaS13_S14_EUlS13_E_NS1_11comp_targetILNS1_3genE10ELNS1_11target_archE1200ELNS1_3gpuE4ELNS1_3repE0EEENS1_30default_config_static_selectorELNS0_4arch9wavefront6targetE0EEEvT1_ ; -- Begin function _ZN7rocprim17ROCPRIM_400000_NS6detail17trampoline_kernelINS0_14default_configENS1_25partition_config_selectorILNS1_17partition_subalgoE9EyybEEZZNS1_14partition_implILS5_9ELb0ES3_jN6thrust23THRUST_200600_302600_NS6detail15normal_iteratorINS9_10device_ptrIyEEEESE_PNS0_10empty_typeENS0_5tupleIJSE_SF_EEENSH_IJSE_SG_EEENS0_18inequality_wrapperINS9_8equal_toIyEEEEPmJSF_EEE10hipError_tPvRmT3_T4_T5_T6_T7_T9_mT8_P12ihipStream_tbDpT10_ENKUlT_T0_E_clISt17integral_constantIbLb1EES18_EEDaS13_S14_EUlS13_E_NS1_11comp_targetILNS1_3genE10ELNS1_11target_archE1200ELNS1_3gpuE4ELNS1_3repE0EEENS1_30default_config_static_selectorELNS0_4arch9wavefront6targetE0EEEvT1_
	.globl	_ZN7rocprim17ROCPRIM_400000_NS6detail17trampoline_kernelINS0_14default_configENS1_25partition_config_selectorILNS1_17partition_subalgoE9EyybEEZZNS1_14partition_implILS5_9ELb0ES3_jN6thrust23THRUST_200600_302600_NS6detail15normal_iteratorINS9_10device_ptrIyEEEESE_PNS0_10empty_typeENS0_5tupleIJSE_SF_EEENSH_IJSE_SG_EEENS0_18inequality_wrapperINS9_8equal_toIyEEEEPmJSF_EEE10hipError_tPvRmT3_T4_T5_T6_T7_T9_mT8_P12ihipStream_tbDpT10_ENKUlT_T0_E_clISt17integral_constantIbLb1EES18_EEDaS13_S14_EUlS13_E_NS1_11comp_targetILNS1_3genE10ELNS1_11target_archE1200ELNS1_3gpuE4ELNS1_3repE0EEENS1_30default_config_static_selectorELNS0_4arch9wavefront6targetE0EEEvT1_
	.p2align	8
	.type	_ZN7rocprim17ROCPRIM_400000_NS6detail17trampoline_kernelINS0_14default_configENS1_25partition_config_selectorILNS1_17partition_subalgoE9EyybEEZZNS1_14partition_implILS5_9ELb0ES3_jN6thrust23THRUST_200600_302600_NS6detail15normal_iteratorINS9_10device_ptrIyEEEESE_PNS0_10empty_typeENS0_5tupleIJSE_SF_EEENSH_IJSE_SG_EEENS0_18inequality_wrapperINS9_8equal_toIyEEEEPmJSF_EEE10hipError_tPvRmT3_T4_T5_T6_T7_T9_mT8_P12ihipStream_tbDpT10_ENKUlT_T0_E_clISt17integral_constantIbLb1EES18_EEDaS13_S14_EUlS13_E_NS1_11comp_targetILNS1_3genE10ELNS1_11target_archE1200ELNS1_3gpuE4ELNS1_3repE0EEENS1_30default_config_static_selectorELNS0_4arch9wavefront6targetE0EEEvT1_,@function
_ZN7rocprim17ROCPRIM_400000_NS6detail17trampoline_kernelINS0_14default_configENS1_25partition_config_selectorILNS1_17partition_subalgoE9EyybEEZZNS1_14partition_implILS5_9ELb0ES3_jN6thrust23THRUST_200600_302600_NS6detail15normal_iteratorINS9_10device_ptrIyEEEESE_PNS0_10empty_typeENS0_5tupleIJSE_SF_EEENSH_IJSE_SG_EEENS0_18inequality_wrapperINS9_8equal_toIyEEEEPmJSF_EEE10hipError_tPvRmT3_T4_T5_T6_T7_T9_mT8_P12ihipStream_tbDpT10_ENKUlT_T0_E_clISt17integral_constantIbLb1EES18_EEDaS13_S14_EUlS13_E_NS1_11comp_targetILNS1_3genE10ELNS1_11target_archE1200ELNS1_3gpuE4ELNS1_3repE0EEENS1_30default_config_static_selectorELNS0_4arch9wavefront6targetE0EEEvT1_: ; @_ZN7rocprim17ROCPRIM_400000_NS6detail17trampoline_kernelINS0_14default_configENS1_25partition_config_selectorILNS1_17partition_subalgoE9EyybEEZZNS1_14partition_implILS5_9ELb0ES3_jN6thrust23THRUST_200600_302600_NS6detail15normal_iteratorINS9_10device_ptrIyEEEESE_PNS0_10empty_typeENS0_5tupleIJSE_SF_EEENSH_IJSE_SG_EEENS0_18inequality_wrapperINS9_8equal_toIyEEEEPmJSF_EEE10hipError_tPvRmT3_T4_T5_T6_T7_T9_mT8_P12ihipStream_tbDpT10_ENKUlT_T0_E_clISt17integral_constantIbLb1EES18_EEDaS13_S14_EUlS13_E_NS1_11comp_targetILNS1_3genE10ELNS1_11target_archE1200ELNS1_3gpuE4ELNS1_3repE0EEENS1_30default_config_static_selectorELNS0_4arch9wavefront6targetE0EEEvT1_
; %bb.0:
	.section	.rodata,"a",@progbits
	.p2align	6, 0x0
	.amdhsa_kernel _ZN7rocprim17ROCPRIM_400000_NS6detail17trampoline_kernelINS0_14default_configENS1_25partition_config_selectorILNS1_17partition_subalgoE9EyybEEZZNS1_14partition_implILS5_9ELb0ES3_jN6thrust23THRUST_200600_302600_NS6detail15normal_iteratorINS9_10device_ptrIyEEEESE_PNS0_10empty_typeENS0_5tupleIJSE_SF_EEENSH_IJSE_SG_EEENS0_18inequality_wrapperINS9_8equal_toIyEEEEPmJSF_EEE10hipError_tPvRmT3_T4_T5_T6_T7_T9_mT8_P12ihipStream_tbDpT10_ENKUlT_T0_E_clISt17integral_constantIbLb1EES18_EEDaS13_S14_EUlS13_E_NS1_11comp_targetILNS1_3genE10ELNS1_11target_archE1200ELNS1_3gpuE4ELNS1_3repE0EEENS1_30default_config_static_selectorELNS0_4arch9wavefront6targetE0EEEvT1_
		.amdhsa_group_segment_fixed_size 0
		.amdhsa_private_segment_fixed_size 0
		.amdhsa_kernarg_size 128
		.amdhsa_user_sgpr_count 15
		.amdhsa_user_sgpr_dispatch_ptr 0
		.amdhsa_user_sgpr_queue_ptr 0
		.amdhsa_user_sgpr_kernarg_segment_ptr 1
		.amdhsa_user_sgpr_dispatch_id 0
		.amdhsa_user_sgpr_private_segment_size 0
		.amdhsa_wavefront_size32 1
		.amdhsa_uses_dynamic_stack 0
		.amdhsa_enable_private_segment 0
		.amdhsa_system_sgpr_workgroup_id_x 1
		.amdhsa_system_sgpr_workgroup_id_y 0
		.amdhsa_system_sgpr_workgroup_id_z 0
		.amdhsa_system_sgpr_workgroup_info 0
		.amdhsa_system_vgpr_workitem_id 0
		.amdhsa_next_free_vgpr 1
		.amdhsa_next_free_sgpr 1
		.amdhsa_reserve_vcc 0
		.amdhsa_float_round_mode_32 0
		.amdhsa_float_round_mode_16_64 0
		.amdhsa_float_denorm_mode_32 3
		.amdhsa_float_denorm_mode_16_64 3
		.amdhsa_dx10_clamp 1
		.amdhsa_ieee_mode 1
		.amdhsa_fp16_overflow 0
		.amdhsa_workgroup_processor_mode 1
		.amdhsa_memory_ordered 1
		.amdhsa_forward_progress 0
		.amdhsa_shared_vgpr_count 0
		.amdhsa_exception_fp_ieee_invalid_op 0
		.amdhsa_exception_fp_denorm_src 0
		.amdhsa_exception_fp_ieee_div_zero 0
		.amdhsa_exception_fp_ieee_overflow 0
		.amdhsa_exception_fp_ieee_underflow 0
		.amdhsa_exception_fp_ieee_inexact 0
		.amdhsa_exception_int_div_zero 0
	.end_amdhsa_kernel
	.section	.text._ZN7rocprim17ROCPRIM_400000_NS6detail17trampoline_kernelINS0_14default_configENS1_25partition_config_selectorILNS1_17partition_subalgoE9EyybEEZZNS1_14partition_implILS5_9ELb0ES3_jN6thrust23THRUST_200600_302600_NS6detail15normal_iteratorINS9_10device_ptrIyEEEESE_PNS0_10empty_typeENS0_5tupleIJSE_SF_EEENSH_IJSE_SG_EEENS0_18inequality_wrapperINS9_8equal_toIyEEEEPmJSF_EEE10hipError_tPvRmT3_T4_T5_T6_T7_T9_mT8_P12ihipStream_tbDpT10_ENKUlT_T0_E_clISt17integral_constantIbLb1EES18_EEDaS13_S14_EUlS13_E_NS1_11comp_targetILNS1_3genE10ELNS1_11target_archE1200ELNS1_3gpuE4ELNS1_3repE0EEENS1_30default_config_static_selectorELNS0_4arch9wavefront6targetE0EEEvT1_,"axG",@progbits,_ZN7rocprim17ROCPRIM_400000_NS6detail17trampoline_kernelINS0_14default_configENS1_25partition_config_selectorILNS1_17partition_subalgoE9EyybEEZZNS1_14partition_implILS5_9ELb0ES3_jN6thrust23THRUST_200600_302600_NS6detail15normal_iteratorINS9_10device_ptrIyEEEESE_PNS0_10empty_typeENS0_5tupleIJSE_SF_EEENSH_IJSE_SG_EEENS0_18inequality_wrapperINS9_8equal_toIyEEEEPmJSF_EEE10hipError_tPvRmT3_T4_T5_T6_T7_T9_mT8_P12ihipStream_tbDpT10_ENKUlT_T0_E_clISt17integral_constantIbLb1EES18_EEDaS13_S14_EUlS13_E_NS1_11comp_targetILNS1_3genE10ELNS1_11target_archE1200ELNS1_3gpuE4ELNS1_3repE0EEENS1_30default_config_static_selectorELNS0_4arch9wavefront6targetE0EEEvT1_,comdat
.Lfunc_end158:
	.size	_ZN7rocprim17ROCPRIM_400000_NS6detail17trampoline_kernelINS0_14default_configENS1_25partition_config_selectorILNS1_17partition_subalgoE9EyybEEZZNS1_14partition_implILS5_9ELb0ES3_jN6thrust23THRUST_200600_302600_NS6detail15normal_iteratorINS9_10device_ptrIyEEEESE_PNS0_10empty_typeENS0_5tupleIJSE_SF_EEENSH_IJSE_SG_EEENS0_18inequality_wrapperINS9_8equal_toIyEEEEPmJSF_EEE10hipError_tPvRmT3_T4_T5_T6_T7_T9_mT8_P12ihipStream_tbDpT10_ENKUlT_T0_E_clISt17integral_constantIbLb1EES18_EEDaS13_S14_EUlS13_E_NS1_11comp_targetILNS1_3genE10ELNS1_11target_archE1200ELNS1_3gpuE4ELNS1_3repE0EEENS1_30default_config_static_selectorELNS0_4arch9wavefront6targetE0EEEvT1_, .Lfunc_end158-_ZN7rocprim17ROCPRIM_400000_NS6detail17trampoline_kernelINS0_14default_configENS1_25partition_config_selectorILNS1_17partition_subalgoE9EyybEEZZNS1_14partition_implILS5_9ELb0ES3_jN6thrust23THRUST_200600_302600_NS6detail15normal_iteratorINS9_10device_ptrIyEEEESE_PNS0_10empty_typeENS0_5tupleIJSE_SF_EEENSH_IJSE_SG_EEENS0_18inequality_wrapperINS9_8equal_toIyEEEEPmJSF_EEE10hipError_tPvRmT3_T4_T5_T6_T7_T9_mT8_P12ihipStream_tbDpT10_ENKUlT_T0_E_clISt17integral_constantIbLb1EES18_EEDaS13_S14_EUlS13_E_NS1_11comp_targetILNS1_3genE10ELNS1_11target_archE1200ELNS1_3gpuE4ELNS1_3repE0EEENS1_30default_config_static_selectorELNS0_4arch9wavefront6targetE0EEEvT1_
                                        ; -- End function
	.section	.AMDGPU.csdata,"",@progbits
; Kernel info:
; codeLenInByte = 0
; NumSgprs: 0
; NumVgprs: 0
; ScratchSize: 0
; MemoryBound: 0
; FloatMode: 240
; IeeeMode: 1
; LDSByteSize: 0 bytes/workgroup (compile time only)
; SGPRBlocks: 0
; VGPRBlocks: 0
; NumSGPRsForWavesPerEU: 1
; NumVGPRsForWavesPerEU: 1
; Occupancy: 15
; WaveLimiterHint : 0
; COMPUTE_PGM_RSRC2:SCRATCH_EN: 0
; COMPUTE_PGM_RSRC2:USER_SGPR: 15
; COMPUTE_PGM_RSRC2:TRAP_HANDLER: 0
; COMPUTE_PGM_RSRC2:TGID_X_EN: 1
; COMPUTE_PGM_RSRC2:TGID_Y_EN: 0
; COMPUTE_PGM_RSRC2:TGID_Z_EN: 0
; COMPUTE_PGM_RSRC2:TIDIG_COMP_CNT: 0
	.section	.text._ZN7rocprim17ROCPRIM_400000_NS6detail17trampoline_kernelINS0_14default_configENS1_25partition_config_selectorILNS1_17partition_subalgoE9EyybEEZZNS1_14partition_implILS5_9ELb0ES3_jN6thrust23THRUST_200600_302600_NS6detail15normal_iteratorINS9_10device_ptrIyEEEESE_PNS0_10empty_typeENS0_5tupleIJSE_SF_EEENSH_IJSE_SG_EEENS0_18inequality_wrapperINS9_8equal_toIyEEEEPmJSF_EEE10hipError_tPvRmT3_T4_T5_T6_T7_T9_mT8_P12ihipStream_tbDpT10_ENKUlT_T0_E_clISt17integral_constantIbLb1EES18_EEDaS13_S14_EUlS13_E_NS1_11comp_targetILNS1_3genE9ELNS1_11target_archE1100ELNS1_3gpuE3ELNS1_3repE0EEENS1_30default_config_static_selectorELNS0_4arch9wavefront6targetE0EEEvT1_,"axG",@progbits,_ZN7rocprim17ROCPRIM_400000_NS6detail17trampoline_kernelINS0_14default_configENS1_25partition_config_selectorILNS1_17partition_subalgoE9EyybEEZZNS1_14partition_implILS5_9ELb0ES3_jN6thrust23THRUST_200600_302600_NS6detail15normal_iteratorINS9_10device_ptrIyEEEESE_PNS0_10empty_typeENS0_5tupleIJSE_SF_EEENSH_IJSE_SG_EEENS0_18inequality_wrapperINS9_8equal_toIyEEEEPmJSF_EEE10hipError_tPvRmT3_T4_T5_T6_T7_T9_mT8_P12ihipStream_tbDpT10_ENKUlT_T0_E_clISt17integral_constantIbLb1EES18_EEDaS13_S14_EUlS13_E_NS1_11comp_targetILNS1_3genE9ELNS1_11target_archE1100ELNS1_3gpuE3ELNS1_3repE0EEENS1_30default_config_static_selectorELNS0_4arch9wavefront6targetE0EEEvT1_,comdat
	.protected	_ZN7rocprim17ROCPRIM_400000_NS6detail17trampoline_kernelINS0_14default_configENS1_25partition_config_selectorILNS1_17partition_subalgoE9EyybEEZZNS1_14partition_implILS5_9ELb0ES3_jN6thrust23THRUST_200600_302600_NS6detail15normal_iteratorINS9_10device_ptrIyEEEESE_PNS0_10empty_typeENS0_5tupleIJSE_SF_EEENSH_IJSE_SG_EEENS0_18inequality_wrapperINS9_8equal_toIyEEEEPmJSF_EEE10hipError_tPvRmT3_T4_T5_T6_T7_T9_mT8_P12ihipStream_tbDpT10_ENKUlT_T0_E_clISt17integral_constantIbLb1EES18_EEDaS13_S14_EUlS13_E_NS1_11comp_targetILNS1_3genE9ELNS1_11target_archE1100ELNS1_3gpuE3ELNS1_3repE0EEENS1_30default_config_static_selectorELNS0_4arch9wavefront6targetE0EEEvT1_ ; -- Begin function _ZN7rocprim17ROCPRIM_400000_NS6detail17trampoline_kernelINS0_14default_configENS1_25partition_config_selectorILNS1_17partition_subalgoE9EyybEEZZNS1_14partition_implILS5_9ELb0ES3_jN6thrust23THRUST_200600_302600_NS6detail15normal_iteratorINS9_10device_ptrIyEEEESE_PNS0_10empty_typeENS0_5tupleIJSE_SF_EEENSH_IJSE_SG_EEENS0_18inequality_wrapperINS9_8equal_toIyEEEEPmJSF_EEE10hipError_tPvRmT3_T4_T5_T6_T7_T9_mT8_P12ihipStream_tbDpT10_ENKUlT_T0_E_clISt17integral_constantIbLb1EES18_EEDaS13_S14_EUlS13_E_NS1_11comp_targetILNS1_3genE9ELNS1_11target_archE1100ELNS1_3gpuE3ELNS1_3repE0EEENS1_30default_config_static_selectorELNS0_4arch9wavefront6targetE0EEEvT1_
	.globl	_ZN7rocprim17ROCPRIM_400000_NS6detail17trampoline_kernelINS0_14default_configENS1_25partition_config_selectorILNS1_17partition_subalgoE9EyybEEZZNS1_14partition_implILS5_9ELb0ES3_jN6thrust23THRUST_200600_302600_NS6detail15normal_iteratorINS9_10device_ptrIyEEEESE_PNS0_10empty_typeENS0_5tupleIJSE_SF_EEENSH_IJSE_SG_EEENS0_18inequality_wrapperINS9_8equal_toIyEEEEPmJSF_EEE10hipError_tPvRmT3_T4_T5_T6_T7_T9_mT8_P12ihipStream_tbDpT10_ENKUlT_T0_E_clISt17integral_constantIbLb1EES18_EEDaS13_S14_EUlS13_E_NS1_11comp_targetILNS1_3genE9ELNS1_11target_archE1100ELNS1_3gpuE3ELNS1_3repE0EEENS1_30default_config_static_selectorELNS0_4arch9wavefront6targetE0EEEvT1_
	.p2align	8
	.type	_ZN7rocprim17ROCPRIM_400000_NS6detail17trampoline_kernelINS0_14default_configENS1_25partition_config_selectorILNS1_17partition_subalgoE9EyybEEZZNS1_14partition_implILS5_9ELb0ES3_jN6thrust23THRUST_200600_302600_NS6detail15normal_iteratorINS9_10device_ptrIyEEEESE_PNS0_10empty_typeENS0_5tupleIJSE_SF_EEENSH_IJSE_SG_EEENS0_18inequality_wrapperINS9_8equal_toIyEEEEPmJSF_EEE10hipError_tPvRmT3_T4_T5_T6_T7_T9_mT8_P12ihipStream_tbDpT10_ENKUlT_T0_E_clISt17integral_constantIbLb1EES18_EEDaS13_S14_EUlS13_E_NS1_11comp_targetILNS1_3genE9ELNS1_11target_archE1100ELNS1_3gpuE3ELNS1_3repE0EEENS1_30default_config_static_selectorELNS0_4arch9wavefront6targetE0EEEvT1_,@function
_ZN7rocprim17ROCPRIM_400000_NS6detail17trampoline_kernelINS0_14default_configENS1_25partition_config_selectorILNS1_17partition_subalgoE9EyybEEZZNS1_14partition_implILS5_9ELb0ES3_jN6thrust23THRUST_200600_302600_NS6detail15normal_iteratorINS9_10device_ptrIyEEEESE_PNS0_10empty_typeENS0_5tupleIJSE_SF_EEENSH_IJSE_SG_EEENS0_18inequality_wrapperINS9_8equal_toIyEEEEPmJSF_EEE10hipError_tPvRmT3_T4_T5_T6_T7_T9_mT8_P12ihipStream_tbDpT10_ENKUlT_T0_E_clISt17integral_constantIbLb1EES18_EEDaS13_S14_EUlS13_E_NS1_11comp_targetILNS1_3genE9ELNS1_11target_archE1100ELNS1_3gpuE3ELNS1_3repE0EEENS1_30default_config_static_selectorELNS0_4arch9wavefront6targetE0EEEvT1_: ; @_ZN7rocprim17ROCPRIM_400000_NS6detail17trampoline_kernelINS0_14default_configENS1_25partition_config_selectorILNS1_17partition_subalgoE9EyybEEZZNS1_14partition_implILS5_9ELb0ES3_jN6thrust23THRUST_200600_302600_NS6detail15normal_iteratorINS9_10device_ptrIyEEEESE_PNS0_10empty_typeENS0_5tupleIJSE_SF_EEENSH_IJSE_SG_EEENS0_18inequality_wrapperINS9_8equal_toIyEEEEPmJSF_EEE10hipError_tPvRmT3_T4_T5_T6_T7_T9_mT8_P12ihipStream_tbDpT10_ENKUlT_T0_E_clISt17integral_constantIbLb1EES18_EEDaS13_S14_EUlS13_E_NS1_11comp_targetILNS1_3genE9ELNS1_11target_archE1100ELNS1_3gpuE3ELNS1_3repE0EEENS1_30default_config_static_selectorELNS0_4arch9wavefront6targetE0EEEvT1_
; %bb.0:
	s_clause 0x4
	s_load_b128 s[4:7], s[0:1], 0x8
	s_load_b64 s[8:9], s[0:1], 0x18
	s_load_b128 s[12:15], s[0:1], 0x40
	s_load_b64 s[10:11], s[0:1], 0x50
	s_load_b64 s[20:21], s[0:1], 0x60
	v_cmp_ne_u32_e64 s3, 0, v0
	v_cmp_eq_u32_e64 s2, 0, v0
	s_delay_alu instid0(VALU_DEP_1)
	s_and_saveexec_b32 s16, s2
	s_cbranch_execz .LBB159_4
; %bb.1:
	s_mov_b32 s18, exec_lo
	s_mov_b32 s17, exec_lo
	v_mbcnt_lo_u32_b32 v1, s18, 0
                                        ; implicit-def: $vgpr2
	s_delay_alu instid0(VALU_DEP_1)
	v_cmpx_eq_u32_e32 0, v1
	s_cbranch_execz .LBB159_3
; %bb.2:
	s_load_b64 s[22:23], s[0:1], 0x70
	s_bcnt1_i32_b32 s18, s18
	s_delay_alu instid0(SALU_CYCLE_1)
	v_dual_mov_b32 v2, 0 :: v_dual_mov_b32 v3, s18
	s_waitcnt lgkmcnt(0)
	global_atomic_add_u32 v2, v2, v3, s[22:23] glc
.LBB159_3:
	s_or_b32 exec_lo, exec_lo, s17
	s_waitcnt vmcnt(0)
	v_readfirstlane_b32 s17, v2
	s_delay_alu instid0(VALU_DEP_1)
	v_dual_mov_b32 v2, 0 :: v_dual_add_nc_u32 v1, s17, v1
	ds_store_b32 v2, v1
.LBB159_4:
	s_or_b32 exec_lo, exec_lo, s16
	v_mov_b32_e32 v1, 0
	s_clause 0x1
	s_load_b128 s[16:19], s[0:1], 0x28
	s_load_b32 s0, s[0:1], 0x68
	s_waitcnt lgkmcnt(0)
	s_barrier
	buffer_gl0_inv
	ds_load_b32 v3, v1
	s_waitcnt lgkmcnt(0)
	s_barrier
	buffer_gl0_inv
	global_load_b64 v[1:2], v1, s[14:15]
	s_lshl_b64 s[14:15], s[6:7], 3
	s_mov_b32 s1, 0
	s_add_u32 s27, s4, s14
	s_addc_u32 s28, s5, s15
	v_lshlrev_b32_e32 v55, 3, v0
	v_lshrrev_b32_e32 v34, 2, v0
	v_or_b32_e32 v39, 0x200, v0
	v_or_b32_e32 v38, 0x400, v0
	;; [unrolled: 1-line block ×5, first 2 shown]
	s_add_i32 s22, s0, -1
	s_lshl_b32 s5, s0, 12
	s_lshl_b32 s4, s22, 12
	v_or_b32_e32 v33, 0xc00, v0
	v_readfirstlane_b32 s24, v3
	s_add_i32 s4, s6, s4
	v_or_b32_e32 v36, 0xe00, v0
	s_sub_i32 s25, s10, s4
	s_delay_alu instid0(VALU_DEP_2)
	s_lshl_b32 s0, s24, 12
	s_add_u32 s4, s6, s5
	s_addc_u32 s5, s7, 0
	s_cmp_eq_u32 s24, s22
	v_cmp_ge_u64_e64 s4, s[4:5], s[10:11]
	s_cselect_b32 s22, -1, 0
	s_delay_alu instid0(VALU_DEP_1) | instid1(SALU_CYCLE_1)
	s_and_b32 s26, s4, s22
	s_lshl_b64 s[4:5], s[0:1], 3
	s_xor_b32 s23, s26, -1
	s_add_u32 s27, s27, s4
	s_addc_u32 s1, s28, s5
	s_and_b32 vcc_lo, exec_lo, s23
	s_mov_b32 s28, -1
	s_waitcnt vmcnt(0)
	v_readfirstlane_b32 s10, v1
	v_readfirstlane_b32 s11, v2
	s_cbranch_vccz .LBB159_6
; %bb.5:
	v_add_co_u32 v1, s0, s27, v55
	s_delay_alu instid0(VALU_DEP_1) | instskip(SKIP_1) | instid1(VALU_DEP_3)
	v_add_co_ci_u32_e64 v2, null, s1, 0, s0
	v_lshrrev_b32_e32 v18, 2, v39
	v_add_co_u32 v3, vcc_lo, 0x1000, v1
	s_delay_alu instid0(VALU_DEP_3)
	v_add_co_ci_u32_e32 v4, vcc_lo, 0, v2, vcc_lo
	v_add_co_u32 v5, vcc_lo, 0x2000, v1
	v_add_co_ci_u32_e32 v6, vcc_lo, 0, v2, vcc_lo
	v_add_co_u32 v7, vcc_lo, 0x3000, v1
	;; [unrolled: 2-line block ×6, first 2 shown]
	v_add_co_ci_u32_e32 v16, vcc_lo, 0, v2, vcc_lo
	s_clause 0x7
	flat_load_b64 v[1:2], v[1:2]
	flat_load_b64 v[3:4], v[3:4]
	;; [unrolled: 1-line block ×8, first 2 shown]
	v_lshrrev_b32_e32 v19, 2, v38
	v_lshrrev_b32_e32 v20, 2, v40
	;; [unrolled: 1-line block ×3, first 2 shown]
	v_and_b32_e32 v17, 0x78, v34
	v_lshrrev_b32_e32 v22, 2, v35
	v_lshrrev_b32_e32 v23, 2, v33
	;; [unrolled: 1-line block ×3, first 2 shown]
	v_and_b32_e32 v18, 0xf8, v18
	v_and_b32_e32 v19, 0x178, v19
	;; [unrolled: 1-line block ×4, first 2 shown]
	v_add_nc_u32_e32 v17, v17, v55
	v_and_b32_e32 v22, 0x2f8, v22
	v_and_b32_e32 v23, 0x378, v23
	;; [unrolled: 1-line block ×3, first 2 shown]
	v_add_nc_u32_e32 v18, v18, v55
	v_add_nc_u32_e32 v19, v19, v55
	;; [unrolled: 1-line block ×4, first 2 shown]
	s_mov_b32 s28, 0
	v_add_nc_u32_e32 v22, v22, v55
	v_add_nc_u32_e32 v23, v23, v55
	;; [unrolled: 1-line block ×3, first 2 shown]
	s_waitcnt vmcnt(7) lgkmcnt(7)
	ds_store_b64 v17, v[1:2]
	s_waitcnt vmcnt(6) lgkmcnt(7)
	ds_store_b64 v18, v[3:4] offset:4096
	s_waitcnt vmcnt(5) lgkmcnt(7)
	ds_store_b64 v19, v[5:6] offset:8192
	;; [unrolled: 2-line block ×7, first 2 shown]
	s_waitcnt lgkmcnt(0)
	s_barrier
.LBB159_6:
	v_cmp_gt_u32_e64 s0, s25, v0
	s_and_not1_b32 vcc_lo, exec_lo, s28
	s_cbranch_vccnz .LBB159_24
; %bb.7:
                                        ; implicit-def: $vgpr1_vgpr2_vgpr3_vgpr4_vgpr5_vgpr6_vgpr7_vgpr8_vgpr9_vgpr10_vgpr11_vgpr12_vgpr13_vgpr14_vgpr15_vgpr16
	s_delay_alu instid0(VALU_DEP_1)
	s_and_saveexec_b32 s28, s0
	s_cbranch_execz .LBB159_15
; %bb.8:
	v_add_co_u32 v1, s0, s27, v55
	s_delay_alu instid0(VALU_DEP_1) | instskip(SKIP_2) | instid1(SALU_CYCLE_1)
	v_add_co_ci_u32_e64 v2, null, s1, 0, s0
	flat_load_b64 v[1:2], v[1:2]
	s_or_b32 exec_lo, exec_lo, s28
	s_mov_b32 s0, exec_lo
	v_cmpx_gt_u32_e64 s25, v39
	s_cbranch_execnz .LBB159_16
.LBB159_9:
	s_or_b32 exec_lo, exec_lo, s0
	s_delay_alu instid0(SALU_CYCLE_1)
	s_mov_b32 s0, exec_lo
	v_cmpx_gt_u32_e64 s25, v38
	s_cbranch_execz .LBB159_17
.LBB159_10:
	v_lshlrev_b32_e32 v5, 3, v38
	s_delay_alu instid0(VALU_DEP_1) | instskip(NEXT) | instid1(VALU_DEP_1)
	v_add_co_u32 v5, s28, s27, v5
	v_add_co_ci_u32_e64 v6, null, s1, 0, s28
	flat_load_b64 v[5:6], v[5:6]
	s_or_b32 exec_lo, exec_lo, s0
	s_delay_alu instid0(SALU_CYCLE_1)
	s_mov_b32 s0, exec_lo
	v_cmpx_gt_u32_e64 s25, v40
	s_cbranch_execnz .LBB159_18
.LBB159_11:
	s_or_b32 exec_lo, exec_lo, s0
	s_delay_alu instid0(SALU_CYCLE_1)
	s_mov_b32 s0, exec_lo
	v_cmpx_gt_u32_e64 s25, v37
	s_cbranch_execz .LBB159_19
.LBB159_12:
	v_lshlrev_b32_e32 v9, 3, v37
	s_delay_alu instid0(VALU_DEP_1) | instskip(NEXT) | instid1(VALU_DEP_1)
	v_add_co_u32 v9, s28, s27, v9
	v_add_co_ci_u32_e64 v10, null, s1, 0, s28
	flat_load_b64 v[9:10], v[9:10]
	s_or_b32 exec_lo, exec_lo, s0
	s_delay_alu instid0(SALU_CYCLE_1)
	s_mov_b32 s0, exec_lo
	v_cmpx_gt_u32_e64 s25, v35
	s_cbranch_execnz .LBB159_20
.LBB159_13:
	s_or_b32 exec_lo, exec_lo, s0
	s_delay_alu instid0(SALU_CYCLE_1)
	s_mov_b32 s0, exec_lo
	v_cmpx_gt_u32_e64 s25, v33
	s_cbranch_execz .LBB159_21
.LBB159_14:
	v_lshlrev_b32_e32 v13, 3, v33
	s_delay_alu instid0(VALU_DEP_1) | instskip(NEXT) | instid1(VALU_DEP_1)
	v_add_co_u32 v13, s28, s27, v13
	v_add_co_ci_u32_e64 v14, null, s1, 0, s28
	flat_load_b64 v[13:14], v[13:14]
	s_or_b32 exec_lo, exec_lo, s0
	s_delay_alu instid0(SALU_CYCLE_1)
	s_mov_b32 s0, exec_lo
	v_cmpx_gt_u32_e64 s25, v36
	s_cbranch_execnz .LBB159_22
	s_branch .LBB159_23
.LBB159_15:
	s_or_b32 exec_lo, exec_lo, s28
	s_delay_alu instid0(SALU_CYCLE_1)
	s_mov_b32 s0, exec_lo
	v_cmpx_gt_u32_e64 s25, v39
	s_cbranch_execz .LBB159_9
.LBB159_16:
	v_lshlrev_b32_e32 v3, 3, v39
	s_delay_alu instid0(VALU_DEP_1) | instskip(NEXT) | instid1(VALU_DEP_1)
	v_add_co_u32 v3, s28, s27, v3
	v_add_co_ci_u32_e64 v4, null, s1, 0, s28
	flat_load_b64 v[3:4], v[3:4]
	s_or_b32 exec_lo, exec_lo, s0
	s_delay_alu instid0(SALU_CYCLE_1)
	s_mov_b32 s0, exec_lo
	v_cmpx_gt_u32_e64 s25, v38
	s_cbranch_execnz .LBB159_10
.LBB159_17:
	s_or_b32 exec_lo, exec_lo, s0
	s_delay_alu instid0(SALU_CYCLE_1)
	s_mov_b32 s0, exec_lo
	v_cmpx_gt_u32_e64 s25, v40
	s_cbranch_execz .LBB159_11
.LBB159_18:
	v_lshlrev_b32_e32 v7, 3, v40
	s_delay_alu instid0(VALU_DEP_1) | instskip(NEXT) | instid1(VALU_DEP_1)
	v_add_co_u32 v7, s28, s27, v7
	v_add_co_ci_u32_e64 v8, null, s1, 0, s28
	flat_load_b64 v[7:8], v[7:8]
	s_or_b32 exec_lo, exec_lo, s0
	s_delay_alu instid0(SALU_CYCLE_1)
	s_mov_b32 s0, exec_lo
	v_cmpx_gt_u32_e64 s25, v37
	s_cbranch_execnz .LBB159_12
.LBB159_19:
	s_or_b32 exec_lo, exec_lo, s0
	s_delay_alu instid0(SALU_CYCLE_1)
	s_mov_b32 s0, exec_lo
	v_cmpx_gt_u32_e64 s25, v35
	s_cbranch_execz .LBB159_13
.LBB159_20:
	v_lshlrev_b32_e32 v11, 3, v35
	s_delay_alu instid0(VALU_DEP_1) | instskip(NEXT) | instid1(VALU_DEP_1)
	v_add_co_u32 v11, s28, s27, v11
	v_add_co_ci_u32_e64 v12, null, s1, 0, s28
	flat_load_b64 v[11:12], v[11:12]
	s_or_b32 exec_lo, exec_lo, s0
	s_delay_alu instid0(SALU_CYCLE_1)
	s_mov_b32 s0, exec_lo
	v_cmpx_gt_u32_e64 s25, v33
	s_cbranch_execnz .LBB159_14
.LBB159_21:
	s_or_b32 exec_lo, exec_lo, s0
	s_delay_alu instid0(SALU_CYCLE_1)
	s_mov_b32 s0, exec_lo
	v_cmpx_gt_u32_e64 s25, v36
	s_cbranch_execz .LBB159_23
.LBB159_22:
	v_lshlrev_b32_e32 v15, 3, v36
	s_delay_alu instid0(VALU_DEP_1) | instskip(NEXT) | instid1(VALU_DEP_1)
	v_add_co_u32 v15, s28, s27, v15
	v_add_co_ci_u32_e64 v16, null, s1, 0, s28
	flat_load_b64 v[15:16], v[15:16]
.LBB159_23:
	s_or_b32 exec_lo, exec_lo, s0
	v_lshrrev_b32_e32 v17, 2, v39
	v_lshrrev_b32_e32 v18, 2, v38
	;; [unrolled: 1-line block ×4, first 2 shown]
	v_and_b32_e32 v19, 0x78, v34
	v_lshrrev_b32_e32 v22, 2, v35
	v_lshrrev_b32_e32 v23, 2, v33
	;; [unrolled: 1-line block ×3, first 2 shown]
	v_and_b32_e32 v17, 0xf8, v17
	v_and_b32_e32 v18, 0x1f8, v18
	;; [unrolled: 1-line block ×4, first 2 shown]
	v_add_nc_u32_e32 v19, v19, v55
	v_and_b32_e32 v22, 0x3f8, v22
	v_and_b32_e32 v23, 0x3f8, v23
	v_and_b32_e32 v24, 0x3f8, v24
	v_add_nc_u32_e32 v17, v17, v55
	v_add_nc_u32_e32 v18, v18, v55
	;; [unrolled: 1-line block ×7, first 2 shown]
	s_waitcnt vmcnt(0) lgkmcnt(0)
	ds_store_b64 v19, v[1:2]
	ds_store_b64 v17, v[3:4] offset:4096
	ds_store_b64 v18, v[5:6] offset:8192
	;; [unrolled: 1-line block ×7, first 2 shown]
	s_waitcnt lgkmcnt(0)
	s_barrier
.LBB159_24:
	v_add_lshl_u32 v41, v34, v55, 3
	buffer_gl0_inv
	s_add_u32 s0, s8, s14
	s_addc_u32 s8, s9, s15
	s_add_u32 s0, s0, s4
	ds_load_2addr_b64 v[29:32], v41 offset1:1
	ds_load_2addr_b64 v[25:28], v41 offset0:2 offset1:3
	ds_load_2addr_b64 v[21:24], v41 offset0:4 offset1:5
	;; [unrolled: 1-line block ×3, first 2 shown]
	s_addc_u32 s4, s8, s5
	s_and_b32 vcc_lo, exec_lo, s23
	s_mov_b32 s5, -1
	s_waitcnt lgkmcnt(0)
	s_barrier
	buffer_gl0_inv
	s_cbranch_vccz .LBB159_26
; %bb.25:
	v_add_co_u32 v1, s5, s0, v55
	s_delay_alu instid0(VALU_DEP_1) | instskip(SKIP_1) | instid1(VALU_DEP_3)
	v_add_co_ci_u32_e64 v2, null, s4, 0, s5
	v_lshrrev_b32_e32 v43, 2, v39
	v_add_co_u32 v3, vcc_lo, 0x1000, v1
	s_delay_alu instid0(VALU_DEP_3)
	v_add_co_ci_u32_e32 v4, vcc_lo, 0, v2, vcc_lo
	v_add_co_u32 v5, vcc_lo, 0x2000, v1
	v_add_co_ci_u32_e32 v6, vcc_lo, 0, v2, vcc_lo
	v_add_co_u32 v7, vcc_lo, 0x3000, v1
	;; [unrolled: 2-line block ×6, first 2 shown]
	v_add_co_ci_u32_e32 v16, vcc_lo, 0, v2, vcc_lo
	s_clause 0x7
	flat_load_b64 v[1:2], v[1:2]
	flat_load_b64 v[3:4], v[3:4]
	;; [unrolled: 1-line block ×8, first 2 shown]
	v_lshrrev_b32_e32 v44, 2, v38
	v_lshrrev_b32_e32 v45, 2, v40
	;; [unrolled: 1-line block ×3, first 2 shown]
	v_and_b32_e32 v42, 0x78, v34
	v_lshrrev_b32_e32 v47, 2, v35
	v_lshrrev_b32_e32 v48, 2, v33
	;; [unrolled: 1-line block ×3, first 2 shown]
	v_and_b32_e32 v43, 0xf8, v43
	v_and_b32_e32 v44, 0x178, v44
	v_and_b32_e32 v45, 0x1f8, v45
	v_and_b32_e32 v46, 0x278, v46
	v_add_nc_u32_e32 v42, v42, v55
	v_and_b32_e32 v47, 0x2f8, v47
	v_and_b32_e32 v48, 0x378, v48
	;; [unrolled: 1-line block ×3, first 2 shown]
	v_add_nc_u32_e32 v43, v43, v55
	v_add_nc_u32_e32 v44, v44, v55
	;; [unrolled: 1-line block ×4, first 2 shown]
	s_mov_b32 s5, 0
	v_add_nc_u32_e32 v47, v47, v55
	v_add_nc_u32_e32 v48, v48, v55
	;; [unrolled: 1-line block ×3, first 2 shown]
	s_waitcnt vmcnt(7) lgkmcnt(7)
	ds_store_b64 v42, v[1:2]
	s_waitcnt vmcnt(6) lgkmcnt(7)
	ds_store_b64 v43, v[3:4] offset:4096
	s_waitcnt vmcnt(5) lgkmcnt(7)
	ds_store_b64 v44, v[5:6] offset:8192
	;; [unrolled: 2-line block ×7, first 2 shown]
	s_waitcnt lgkmcnt(0)
	s_barrier
.LBB159_26:
	s_and_not1_b32 vcc_lo, exec_lo, s5
	s_cbranch_vccnz .LBB159_44
; %bb.27:
	s_mov_b32 s5, exec_lo
                                        ; implicit-def: $vgpr1_vgpr2
	v_cmpx_gt_u32_e64 s25, v0
	s_cbranch_execz .LBB159_29
; %bb.28:
	v_add_co_u32 v1, s8, s0, v55
	s_delay_alu instid0(VALU_DEP_1)
	v_add_co_ci_u32_e64 v2, null, s4, 0, s8
	flat_load_b64 v[1:2], v[1:2]
.LBB159_29:
	s_or_b32 exec_lo, exec_lo, s5
	s_delay_alu instid0(SALU_CYCLE_1)
	s_mov_b32 s5, exec_lo
                                        ; implicit-def: $vgpr3_vgpr4
	v_cmpx_gt_u32_e64 s25, v39
	s_cbranch_execz .LBB159_31
; %bb.30:
	v_lshlrev_b32_e32 v3, 3, v39
	s_delay_alu instid0(VALU_DEP_1) | instskip(NEXT) | instid1(VALU_DEP_1)
	v_add_co_u32 v3, s8, s0, v3
	v_add_co_ci_u32_e64 v4, null, s4, 0, s8
	flat_load_b64 v[3:4], v[3:4]
.LBB159_31:
	s_or_b32 exec_lo, exec_lo, s5
	s_delay_alu instid0(SALU_CYCLE_1)
	s_mov_b32 s5, exec_lo
                                        ; implicit-def: $vgpr5_vgpr6
	v_cmpx_gt_u32_e64 s25, v38
	s_cbranch_execz .LBB159_33
; %bb.32:
	v_lshlrev_b32_e32 v5, 3, v38
	s_delay_alu instid0(VALU_DEP_1) | instskip(NEXT) | instid1(VALU_DEP_1)
	v_add_co_u32 v5, s8, s0, v5
	v_add_co_ci_u32_e64 v6, null, s4, 0, s8
	flat_load_b64 v[5:6], v[5:6]
.LBB159_33:
	s_or_b32 exec_lo, exec_lo, s5
	s_delay_alu instid0(SALU_CYCLE_1)
	s_mov_b32 s5, exec_lo
                                        ; implicit-def: $vgpr7_vgpr8
	v_cmpx_gt_u32_e64 s25, v40
	s_cbranch_execz .LBB159_35
; %bb.34:
	v_lshlrev_b32_e32 v7, 3, v40
	s_delay_alu instid0(VALU_DEP_1) | instskip(NEXT) | instid1(VALU_DEP_1)
	v_add_co_u32 v7, s8, s0, v7
	v_add_co_ci_u32_e64 v8, null, s4, 0, s8
	flat_load_b64 v[7:8], v[7:8]
.LBB159_35:
	s_or_b32 exec_lo, exec_lo, s5
	s_delay_alu instid0(SALU_CYCLE_1)
	s_mov_b32 s5, exec_lo
                                        ; implicit-def: $vgpr9_vgpr10
	v_cmpx_gt_u32_e64 s25, v37
	s_cbranch_execz .LBB159_37
; %bb.36:
	v_lshlrev_b32_e32 v9, 3, v37
	s_delay_alu instid0(VALU_DEP_1) | instskip(NEXT) | instid1(VALU_DEP_1)
	v_add_co_u32 v9, s8, s0, v9
	v_add_co_ci_u32_e64 v10, null, s4, 0, s8
	flat_load_b64 v[9:10], v[9:10]
.LBB159_37:
	s_or_b32 exec_lo, exec_lo, s5
	s_delay_alu instid0(SALU_CYCLE_1)
	s_mov_b32 s5, exec_lo
                                        ; implicit-def: $vgpr11_vgpr12
	v_cmpx_gt_u32_e64 s25, v35
	s_cbranch_execz .LBB159_39
; %bb.38:
	v_lshlrev_b32_e32 v11, 3, v35
	s_delay_alu instid0(VALU_DEP_1) | instskip(NEXT) | instid1(VALU_DEP_1)
	v_add_co_u32 v11, s8, s0, v11
	v_add_co_ci_u32_e64 v12, null, s4, 0, s8
	flat_load_b64 v[11:12], v[11:12]
.LBB159_39:
	s_or_b32 exec_lo, exec_lo, s5
	s_delay_alu instid0(SALU_CYCLE_1)
	s_mov_b32 s5, exec_lo
                                        ; implicit-def: $vgpr13_vgpr14
	v_cmpx_gt_u32_e64 s25, v33
	s_cbranch_execz .LBB159_41
; %bb.40:
	v_lshlrev_b32_e32 v13, 3, v33
	s_delay_alu instid0(VALU_DEP_1) | instskip(NEXT) | instid1(VALU_DEP_1)
	v_add_co_u32 v13, s8, s0, v13
	v_add_co_ci_u32_e64 v14, null, s4, 0, s8
	flat_load_b64 v[13:14], v[13:14]
.LBB159_41:
	s_or_b32 exec_lo, exec_lo, s5
	s_delay_alu instid0(SALU_CYCLE_1)
	s_mov_b32 s5, exec_lo
                                        ; implicit-def: $vgpr15_vgpr16
	v_cmpx_gt_u32_e64 s25, v36
	s_cbranch_execz .LBB159_43
; %bb.42:
	v_lshlrev_b32_e32 v15, 3, v36
	s_delay_alu instid0(VALU_DEP_1) | instskip(NEXT) | instid1(VALU_DEP_1)
	v_add_co_u32 v15, s0, s0, v15
	v_add_co_ci_u32_e64 v16, null, s4, 0, s0
	flat_load_b64 v[15:16], v[15:16]
.LBB159_43:
	s_or_b32 exec_lo, exec_lo, s5
	v_lshrrev_b32_e32 v39, 2, v39
	v_lshrrev_b32_e32 v38, 2, v38
	;; [unrolled: 1-line block ×4, first 2 shown]
	v_and_b32_e32 v34, 0x78, v34
	v_lshrrev_b32_e32 v35, 2, v35
	v_lshrrev_b32_e32 v33, 2, v33
	;; [unrolled: 1-line block ×3, first 2 shown]
	v_and_b32_e32 v39, 0xf8, v39
	v_and_b32_e32 v38, 0x1f8, v38
	;; [unrolled: 1-line block ×4, first 2 shown]
	v_add_nc_u32_e32 v34, v34, v55
	v_and_b32_e32 v35, 0x3f8, v35
	v_and_b32_e32 v33, 0x3f8, v33
	;; [unrolled: 1-line block ×3, first 2 shown]
	v_add_nc_u32_e32 v39, v39, v55
	v_add_nc_u32_e32 v38, v38, v55
	v_add_nc_u32_e32 v40, v40, v55
	v_add_nc_u32_e32 v37, v37, v55
	v_add_nc_u32_e32 v35, v35, v55
	v_add_nc_u32_e32 v33, v33, v55
	v_add_nc_u32_e32 v36, v36, v55
	s_waitcnt vmcnt(0) lgkmcnt(0)
	ds_store_b64 v34, v[1:2]
	ds_store_b64 v39, v[3:4] offset:4096
	ds_store_b64 v38, v[5:6] offset:8192
	;; [unrolled: 1-line block ×7, first 2 shown]
	s_waitcnt lgkmcnt(0)
	s_barrier
.LBB159_44:
	buffer_gl0_inv
	ds_load_2addr_b64 v[13:16], v41 offset1:1
	ds_load_2addr_b64 v[9:12], v41 offset0:2 offset1:3
	ds_load_2addr_b64 v[5:8], v41 offset0:4 offset1:5
	;; [unrolled: 1-line block ×3, first 2 shown]
	s_cmp_lg_u32 s24, 0
	s_mov_b32 s14, 0
	s_cselect_b32 s9, -1, 0
	s_cmp_lg_u64 s[6:7], 0
	s_waitcnt lgkmcnt(0)
	s_cselect_b32 s0, -1, 0
	s_barrier
	s_or_b32 s0, s0, s9
	buffer_gl0_inv
	s_and_b32 vcc_lo, exec_lo, s0
	s_cbranch_vccz .LBB159_49
; %bb.45:
	v_add_co_u32 v33, s0, -8, s27
	s_delay_alu instid0(VALU_DEP_1)
	v_add_co_ci_u32_e64 v34, null, -1, s1, s0
	s_mov_b32 s1, -1
	s_and_b32 vcc_lo, exec_lo, s23
	flat_load_b64 v[35:36], v[33:34]
	ds_store_b64 v55, v[19:20]
	s_cbranch_vccz .LBB159_50
; %bb.46:
	s_waitcnt vmcnt(0) lgkmcnt(1)
	v_dual_mov_b32 v33, v35 :: v_dual_mov_b32 v34, v36
	s_waitcnt lgkmcnt(0)
	s_barrier
	buffer_gl0_inv
	s_and_saveexec_b32 s0, s3
	s_cbranch_execz .LBB159_48
; %bb.47:
	v_add_nc_u32_e32 v33, -8, v55
	ds_load_b64 v[33:34], v33
.LBB159_48:
	s_or_b32 exec_lo, exec_lo, s0
	v_cmp_ne_u64_e32 vcc_lo, v[17:18], v[19:20]
	s_waitcnt lgkmcnt(0)
	v_cmp_ne_u64_e64 s0, v[33:34], v[29:30]
	v_cndmask_b32_e64 v37, 0, 1, vcc_lo
	v_cmp_ne_u64_e32 vcc_lo, v[23:24], v[17:18]
	s_delay_alu instid0(VALU_DEP_2) | instskip(SKIP_2) | instid1(VALU_DEP_2)
	v_lshlrev_b16 v37, 8, v37
	v_cndmask_b32_e64 v38, 0, 1, vcc_lo
	v_cmp_ne_u64_e32 vcc_lo, v[21:22], v[23:24]
	v_or_b32_e32 v37, v38, v37
	v_cndmask_b32_e64 v39, 0, 1, vcc_lo
	v_cmp_ne_u64_e32 vcc_lo, v[25:26], v[27:28]
	s_delay_alu instid0(VALU_DEP_3) | instskip(NEXT) | instid1(VALU_DEP_3)
	v_lshlrev_b32_e32 v37, 16, v37
	v_lshlrev_b16 v39, 8, v39
	v_cndmask_b32_e64 v40, 0, 1, vcc_lo
	v_cmp_ne_u64_e32 vcc_lo, v[27:28], v[21:22]
	s_delay_alu instid0(VALU_DEP_2) | instskip(SKIP_2) | instid1(VALU_DEP_2)
	v_lshlrev_b16 v40, 8, v40
	v_cndmask_b32_e64 v41, 0, 1, vcc_lo
	v_cmp_ne_u64_e32 vcc_lo, v[31:32], v[25:26]
	v_or_b32_e32 v39, v41, v39
	v_cndmask_b32_e64 v42, 0, 1, vcc_lo
	v_cmp_ne_u64_e32 vcc_lo, v[29:30], v[31:32]
	s_delay_alu instid0(VALU_DEP_3) | instskip(NEXT) | instid1(VALU_DEP_3)
	v_and_b32_e32 v39, 0xffff, v39
	v_or_b32_e32 v40, v42, v40
	v_cndmask_b32_e64 v43, 0, 1, vcc_lo
	s_delay_alu instid0(VALU_DEP_3) | instskip(NEXT) | instid1(VALU_DEP_3)
	v_or_b32_e32 v34, v39, v37
	v_lshlrev_b32_e32 v38, 16, v40
	s_delay_alu instid0(VALU_DEP_3) | instskip(NEXT) | instid1(VALU_DEP_1)
	v_lshlrev_b16 v42, 8, v43
	v_and_b32_e32 v40, 0xffff, v42
	s_delay_alu instid0(VALU_DEP_1)
	v_or_b32_e32 v33, v40, v38
	s_branch .LBB159_54
.LBB159_49:
                                        ; implicit-def: $sgpr0
                                        ; implicit-def: $vgpr34
	s_branch .LBB159_55
.LBB159_50:
                                        ; implicit-def: $sgpr0
                                        ; implicit-def: $vgpr34
	s_and_b32 vcc_lo, exec_lo, s1
	s_cbranch_vccz .LBB159_54
; %bb.51:
	s_waitcnt vmcnt(0) lgkmcnt(0)
	s_barrier
	buffer_gl0_inv
	s_and_saveexec_b32 s0, s3
	s_cbranch_execz .LBB159_53
; %bb.52:
	v_add_nc_u32_e32 v33, -8, v55
	ds_load_b64 v[35:36], v33
.LBB159_53:
	s_or_b32 exec_lo, exec_lo, s0
	v_or_b32_e32 v33, 7, v55
	v_or_b32_e32 v34, 6, v55
	v_cmp_ne_u64_e32 vcc_lo, v[17:18], v[19:20]
	v_or_b32_e32 v37, 5, v55
	v_cmp_ne_u64_e64 s1, v[23:24], v[17:18]
	v_cmp_gt_u32_e64 s0, s25, v33
	v_cmp_gt_u32_e64 s4, s25, v34
	v_cmp_ne_u64_e64 s5, v[21:22], v[23:24]
	v_cmp_gt_u32_e64 s6, s25, v37
	v_or_b32_e32 v37, 3, v55
	s_and_b32 s0, s0, vcc_lo
	v_or_b32_e32 v38, 4, v55
	v_cndmask_b32_e64 v33, 0, 1, s0
	s_and_b32 s0, s4, s1
	v_cmp_ne_u64_e32 vcc_lo, v[25:26], v[27:28]
	v_cndmask_b32_e64 v34, 0, 1, s0
	s_and_b32 s0, s6, s5
	v_cmp_gt_u32_e64 s1, s25, v38
	v_cndmask_b32_e64 v39, 0, 1, s0
	v_cmp_gt_u32_e64 s0, s25, v37
	v_or_b32_e32 v37, 2, v55
	v_or_b32_e32 v38, 1, v55
	v_cmp_ne_u64_e64 s4, v[27:28], v[21:22]
	v_cmp_ne_u64_e64 s6, v[29:30], v[31:32]
	s_and_b32 s0, s0, vcc_lo
	v_cmp_ne_u64_e32 vcc_lo, v[31:32], v[25:26]
	v_cndmask_b32_e64 v40, 0, 1, s0
	v_cmp_gt_u32_e64 s0, s25, v37
	v_cmp_gt_u32_e64 s5, s25, v38
	s_and_b32 s1, s1, s4
	v_lshlrev_b16 v39, 8, v39
	v_cndmask_b32_e64 v37, 0, 1, s1
	s_and_b32 s0, s0, vcc_lo
	v_lshlrev_b16 v40, 8, v40
	v_cndmask_b32_e64 v38, 0, 1, s0
	s_and_b32 s0, s5, s6
	v_lshlrev_b16 v33, 8, v33
	v_cndmask_b32_e64 v41, 0, 1, s0
	v_or_b32_e32 v37, v37, v39
	v_or_b32_e32 v38, v38, v40
	s_waitcnt lgkmcnt(0)
	v_cmp_ne_u64_e32 vcc_lo, v[35:36], v[29:30]
	v_or_b32_e32 v33, v34, v33
	v_lshlrev_b16 v40, 8, v41
	v_and_b32_e32 v37, 0xffff, v37
	v_lshlrev_b32_e32 v34, 16, v38
	v_cmp_gt_u32_e64 s0, s25, v55
	v_lshlrev_b32_e32 v39, 16, v33
	v_and_b32_e32 v38, 0xffff, v40
	s_delay_alu instid0(VALU_DEP_3) | instskip(NEXT) | instid1(VALU_DEP_1)
	s_and_b32 s0, s0, vcc_lo
	v_or_b32_e32 v33, v38, v34
	s_delay_alu instid0(VALU_DEP_3)
	v_or_b32_e32 v34, v37, v39
.LBB159_54:
	s_mov_b32 s14, -1
	s_cbranch_execnz .LBB159_63
.LBB159_55:
	v_cmp_ne_u64_e64 s1, v[17:18], v[19:20]
	v_cmp_ne_u64_e64 s4, v[23:24], v[17:18]
	;; [unrolled: 1-line block ×7, first 2 shown]
	s_and_b32 vcc_lo, exec_lo, s23
	ds_store_b64 v55, v[19:20]
	s_cbranch_vccz .LBB159_59
; %bb.56:
	v_cndmask_b32_e64 v33, 0, 1, s1
	s_waitcnt vmcnt(0) lgkmcnt(2)
	v_cndmask_b32_e64 v35, 0, 1, s5
	v_cndmask_b32_e64 v37, 0, 1, s7
	v_cndmask_b32_e64 v38, 0, 1, s8
	v_cndmask_b32_e64 v34, 0, 1, s4
	v_cndmask_b32_e64 v36, 0, 1, s6
	v_cndmask_b32_e64 v39, 0, 1, s0
	v_lshlrev_b16 v35, 8, v35
	v_lshlrev_b16 v33, 8, v33
	;; [unrolled: 1-line block ×4, first 2 shown]
	s_waitcnt lgkmcnt(0)
	v_or_b32_e32 v35, v36, v35
	v_or_b32_e32 v33, v34, v33
	;; [unrolled: 1-line block ×4, first 2 shown]
	s_barrier
	v_and_b32_e32 v35, 0xffff, v35
	v_lshlrev_b32_e32 v33, 16, v33
	v_lshlrev_b32_e32 v37, 16, v34
	v_and_b32_e32 v36, 0xffff, v36
	buffer_gl0_inv
                                        ; implicit-def: $sgpr0
	v_or_b32_e32 v34, v35, v33
	v_or_b32_e32 v33, v36, v37
	s_and_saveexec_b32 s1, s3
	s_delay_alu instid0(SALU_CYCLE_1)
	s_xor_b32 s1, exec_lo, s1
	s_cbranch_execz .LBB159_58
; %bb.57:
	v_add_nc_u32_e32 v35, -8, v55
	s_or_b32 s14, s14, exec_lo
	ds_load_b64 v[35:36], v35
	s_waitcnt lgkmcnt(0)
	v_cmp_ne_u64_e32 vcc_lo, v[35:36], v[29:30]
	s_and_b32 s0, vcc_lo, exec_lo
.LBB159_58:
	s_or_b32 exec_lo, exec_lo, s1
	s_branch .LBB159_63
.LBB159_59:
                                        ; implicit-def: $sgpr0
                                        ; implicit-def: $vgpr34
	s_cbranch_execz .LBB159_63
; %bb.60:
	v_or_b32_e32 v33, 7, v55
	v_or_b32_e32 v34, 6, v55
	v_cmp_ne_u64_e32 vcc_lo, v[17:18], v[19:20]
	v_cmp_ne_u64_e64 s0, v[23:24], v[17:18]
	s_waitcnt vmcnt(0) lgkmcnt(2)
	v_or_b32_e32 v35, 4, v55
	v_cmp_gt_u32_e64 s1, s25, v33
	v_or_b32_e32 v33, 5, v55
	v_cmp_gt_u32_e64 s5, s25, v34
	v_cmp_ne_u64_e64 s4, v[21:22], v[23:24]
	v_cmp_ne_u64_e64 s6, v[27:28], v[21:22]
	s_and_b32 s1, s1, vcc_lo
	v_cmp_gt_u32_e32 vcc_lo, s25, v33
	v_cndmask_b32_e64 v34, 0, 1, s1
	v_cmp_gt_u32_e64 s1, s25, v35
	s_and_b32 s0, s5, s0
	v_or_b32_e32 v36, 3, v55
	v_cndmask_b32_e64 v33, 0, 1, s0
	s_and_b32 s0, vcc_lo, s4
	v_or_b32_e32 v38, 1, v55
	v_cndmask_b32_e64 v35, 0, 1, s0
	s_and_b32 s0, s1, s6
	v_cmp_ne_u64_e32 vcc_lo, v[25:26], v[27:28]
	v_cndmask_b32_e64 v37, 0, 1, s0
	v_cmp_gt_u32_e64 s0, s25, v36
	v_cmp_ne_u64_e64 s1, v[29:30], v[31:32]
	v_or_b32_e32 v39, 2, v55
	v_cmp_gt_u32_e64 s4, s25, v38
	v_cmp_ne_u64_e64 s5, v[31:32], v[25:26]
	s_and_b32 s0, s0, vcc_lo
	v_lshlrev_b16 v35, 8, v35
	v_cmp_gt_u32_e64 s6, s25, v39
	v_cndmask_b32_e64 v36, 0, 1, s0
	s_and_b32 s0, s4, s1
	v_lshlrev_b16 v34, 8, v34
	v_cndmask_b32_e64 v38, 0, 1, s0
	s_and_b32 s0, s6, s5
	v_lshlrev_b16 v36, 8, v36
	v_cndmask_b32_e64 v39, 0, 1, s0
	v_or_b32_e32 v35, v37, v35
	v_lshlrev_b16 v38, 8, v38
	v_or_b32_e32 v33, v33, v34
	s_waitcnt lgkmcnt(0)
	v_or_b32_e32 v34, v39, v36
	v_and_b32_e32 v35, 0xffff, v35
	v_or_b32_e32 v36, 1, v38
	v_lshlrev_b32_e32 v33, 16, v33
	s_barrier
	v_lshlrev_b32_e32 v37, 16, v34
	buffer_gl0_inv
	v_and_b32_e32 v36, 0xffff, v36
	v_or_b32_e32 v34, v35, v33
                                        ; implicit-def: $sgpr0
	s_delay_alu instid0(VALU_DEP_2)
	v_or_b32_e32 v33, v36, v37
	s_and_saveexec_b32 s1, s3
	s_cbranch_execz .LBB159_62
; %bb.61:
	v_add_nc_u32_e32 v35, -8, v55
	v_cmp_gt_u32_e64 s0, s25, v55
	s_or_b32 s14, s14, exec_lo
	ds_load_b64 v[35:36], v35
	s_waitcnt lgkmcnt(0)
	v_cmp_ne_u64_e32 vcc_lo, v[35:36], v[29:30]
	s_and_b32 s0, s0, vcc_lo
	s_delay_alu instid0(SALU_CYCLE_1)
	s_and_b32 s0, s0, exec_lo
.LBB159_62:
	s_or_b32 exec_lo, exec_lo, s1
.LBB159_63:
	s_and_saveexec_b32 s1, s14
	s_cbranch_execz .LBB159_65
; %bb.64:
	s_waitcnt vmcnt(0) lgkmcnt(1)
	v_and_b32_e32 v35, 0xffffff00, v33
	v_cndmask_b32_e64 v36, 0, 1, s0
	s_delay_alu instid0(VALU_DEP_1) | instskip(NEXT) | instid1(VALU_DEP_1)
	v_or_b32_e32 v35, v36, v35
	v_and_b32_e32 v35, 0xffff, v35
	s_delay_alu instid0(VALU_DEP_1)
	v_and_or_b32 v33, 0xffff0000, v33, v35
.LBB159_65:
	s_or_b32 exec_lo, exec_lo, s1
	s_delay_alu instid0(SALU_CYCLE_1)
	s_and_not1_b32 vcc_lo, exec_lo, s26
	s_cbranch_vccnz .LBB159_67
; %bb.66:
	v_cmp_gt_u32_e32 vcc_lo, s25, v55
	s_waitcnt vmcnt(0) lgkmcnt(1)
	v_or_b32_e32 v36, 1, v55
	v_and_b32_e32 v37, 0xffffff00, v34
	v_or_b32_e32 v38, 2, v55
	v_cndmask_b32_e32 v35, 0, v33, vcc_lo
	s_delay_alu instid0(VALU_DEP_4) | instskip(SKIP_1) | instid1(VALU_DEP_4)
	v_cmp_gt_u32_e32 vcc_lo, s25, v36
	v_or_b32_e32 v36, 4, v55
	v_cmp_gt_u32_e64 s0, s25, v38
	v_or_b32_e32 v38, 3, v55
	v_and_b32_e32 v35, 0xff, v35
	s_delay_alu instid0(VALU_DEP_2) | instskip(NEXT) | instid1(VALU_DEP_2)
	v_cmp_gt_u32_e64 s1, s25, v38
	v_cndmask_b32_e32 v35, v35, v33, vcc_lo
	v_cmp_gt_u32_e32 vcc_lo, s25, v36
	v_cndmask_b32_e32 v36, v37, v34, vcc_lo
	v_or_b32_e32 v37, 5, v55
	s_delay_alu instid0(VALU_DEP_2) | instskip(SKIP_1) | instid1(VALU_DEP_1)
	v_and_b32_e32 v36, 0xffff00ff, v36
	v_and_b32_e32 v35, 0xffff, v35
	v_cndmask_b32_e64 v35, v35, v33, s0
	s_delay_alu instid0(VALU_DEP_4) | instskip(SKIP_1) | instid1(VALU_DEP_3)
	v_cmp_gt_u32_e64 s0, s25, v37
	v_or_b32_e32 v37, 6, v55
	v_and_b32_e32 v35, 0xffffff, v35
	s_delay_alu instid0(VALU_DEP_3) | instskip(NEXT) | instid1(VALU_DEP_2)
	v_cndmask_b32_e64 v36, v36, v34, s0
	v_cndmask_b32_e64 v35, v35, v33, s1
	s_delay_alu instid0(VALU_DEP_1) | instskip(SKIP_2) | instid1(VALU_DEP_3)
	v_dual_cndmask_b32 v35, v35, v33 :: v_dual_and_b32 v36, 0xff00ffff, v36
	v_cmp_gt_u32_e32 vcc_lo, s25, v37
	v_or_b32_e32 v37, 7, v55
	v_cndmask_b32_e64 v35, v35, v33, s0
	s_delay_alu instid0(VALU_DEP_1) | instskip(NEXT) | instid1(VALU_DEP_1)
	v_dual_cndmask_b32 v36, v36, v34 :: v_dual_cndmask_b32 v35, v35, v33
	v_and_b32_e32 v36, 0xffffff, v36
	s_delay_alu instid0(VALU_DEP_4) | instskip(NEXT) | instid1(VALU_DEP_2)
	v_cmp_gt_u32_e32 vcc_lo, s25, v37
	v_dual_cndmask_b32 v34, v36, v34 :: v_dual_cndmask_b32 v33, v35, v33
.LBB159_67:
	s_delay_alu instid0(VALU_DEP_1) | instskip(SKIP_1) | instid1(VALU_DEP_2)
	v_and_b32_e32 v44, 0xff, v33
	s_waitcnt vmcnt(0) lgkmcnt(1)
	v_alignbit_b32 v35, v34, v33, 24
	v_bfe_u32 v46, v33, 8, 8
	v_bfe_u32 v48, v33, 16, 8
	v_and_b32_e32 v52, 0xff, v34
	v_bfe_u32 v54, v34, 8, 8
	v_and_b32_e32 v50, 0xff, v35
	v_add_nc_u32_e32 v35, v46, v44
	v_mbcnt_lo_u32_b32 v58, -1, 0
	v_bfe_u32 v57, v34, 16, 8
	v_lshrrev_b32_e32 v56, 24, v34
	v_lshrrev_b32_e32 v59, 5, v0
	v_add3_u32 v35, v35, v48, v50
	v_and_b32_e32 v36, 15, v58
	v_and_b32_e32 v37, 16, v58
	s_and_b32 vcc_lo, exec_lo, s9
	s_mov_b32 s7, -1
	v_add3_u32 v35, v35, v52, v54
	v_cmp_eq_u32_e64 s3, 0, v36
	v_cmp_lt_u32_e64 s0, 1, v36
	v_cmp_lt_u32_e64 s4, 3, v36
	;; [unrolled: 1-line block ×3, first 2 shown]
	v_add3_u32 v60, v35, v57, v56
	v_or_b32_e32 v35, 31, v0
	v_cmp_eq_u32_e64 s6, 0, v37
	s_waitcnt lgkmcnt(0)
	s_barrier
	buffer_gl0_inv
	v_cmp_eq_u32_e64 s5, v35, v0
	s_cbranch_vccz .LBB159_98
; %bb.68:
	v_mov_b32_dpp v35, v60 row_shr:1 row_mask:0xf bank_mask:0xf
	s_delay_alu instid0(VALU_DEP_1) | instskip(NEXT) | instid1(VALU_DEP_1)
	v_cndmask_b32_e64 v35, v35, 0, s3
	v_add_nc_u32_e32 v35, v35, v60
	s_delay_alu instid0(VALU_DEP_1) | instskip(NEXT) | instid1(VALU_DEP_1)
	v_mov_b32_dpp v36, v35 row_shr:2 row_mask:0xf bank_mask:0xf
	v_cndmask_b32_e64 v36, 0, v36, s0
	s_delay_alu instid0(VALU_DEP_1) | instskip(NEXT) | instid1(VALU_DEP_1)
	v_add_nc_u32_e32 v35, v35, v36
	v_mov_b32_dpp v36, v35 row_shr:4 row_mask:0xf bank_mask:0xf
	s_delay_alu instid0(VALU_DEP_1) | instskip(NEXT) | instid1(VALU_DEP_1)
	v_cndmask_b32_e64 v36, 0, v36, s4
	v_add_nc_u32_e32 v35, v35, v36
	s_delay_alu instid0(VALU_DEP_1) | instskip(NEXT) | instid1(VALU_DEP_1)
	v_mov_b32_dpp v36, v35 row_shr:8 row_mask:0xf bank_mask:0xf
	v_cndmask_b32_e64 v36, 0, v36, s1
	s_delay_alu instid0(VALU_DEP_1) | instskip(SKIP_3) | instid1(VALU_DEP_1)
	v_add_nc_u32_e32 v35, v35, v36
	ds_swizzle_b32 v36, v35 offset:swizzle(BROADCAST,32,15)
	s_waitcnt lgkmcnt(0)
	v_cndmask_b32_e64 v36, v36, 0, s6
	v_add_nc_u32_e32 v35, v35, v36
	s_and_saveexec_b32 s7, s5
	s_cbranch_execz .LBB159_70
; %bb.69:
	v_lshlrev_b32_e32 v36, 2, v59
	ds_store_b32 v36, v35
.LBB159_70:
	s_or_b32 exec_lo, exec_lo, s7
	s_delay_alu instid0(SALU_CYCLE_1)
	s_mov_b32 s7, exec_lo
	s_waitcnt lgkmcnt(0)
	s_barrier
	buffer_gl0_inv
	v_cmpx_gt_u32_e32 16, v0
	s_cbranch_execz .LBB159_72
; %bb.71:
	v_lshlrev_b32_e32 v36, 2, v0
	ds_load_b32 v37, v36
	s_waitcnt lgkmcnt(0)
	v_mov_b32_dpp v38, v37 row_shr:1 row_mask:0xf bank_mask:0xf
	s_delay_alu instid0(VALU_DEP_1) | instskip(NEXT) | instid1(VALU_DEP_1)
	v_cndmask_b32_e64 v38, v38, 0, s3
	v_add_nc_u32_e32 v37, v38, v37
	s_delay_alu instid0(VALU_DEP_1) | instskip(NEXT) | instid1(VALU_DEP_1)
	v_mov_b32_dpp v38, v37 row_shr:2 row_mask:0xf bank_mask:0xf
	v_cndmask_b32_e64 v38, 0, v38, s0
	s_delay_alu instid0(VALU_DEP_1) | instskip(NEXT) | instid1(VALU_DEP_1)
	v_add_nc_u32_e32 v37, v37, v38
	v_mov_b32_dpp v38, v37 row_shr:4 row_mask:0xf bank_mask:0xf
	s_delay_alu instid0(VALU_DEP_1) | instskip(NEXT) | instid1(VALU_DEP_1)
	v_cndmask_b32_e64 v38, 0, v38, s4
	v_add_nc_u32_e32 v37, v37, v38
	s_delay_alu instid0(VALU_DEP_1) | instskip(NEXT) | instid1(VALU_DEP_1)
	v_mov_b32_dpp v38, v37 row_shr:8 row_mask:0xf bank_mask:0xf
	v_cndmask_b32_e64 v38, 0, v38, s1
	s_delay_alu instid0(VALU_DEP_1)
	v_add_nc_u32_e32 v37, v37, v38
	ds_store_b32 v36, v37
.LBB159_72:
	s_or_b32 exec_lo, exec_lo, s7
	v_cmp_gt_u32_e32 vcc_lo, 32, v0
	s_mov_b32 s8, exec_lo
	s_waitcnt lgkmcnt(0)
	s_barrier
	buffer_gl0_inv
                                        ; implicit-def: $vgpr43
	v_cmpx_lt_u32_e32 31, v0
	s_cbranch_execz .LBB159_74
; %bb.73:
	v_lshl_add_u32 v36, v59, 2, -4
	ds_load_b32 v43, v36
	s_waitcnt lgkmcnt(0)
	v_add_nc_u32_e32 v35, v43, v35
.LBB159_74:
	s_or_b32 exec_lo, exec_lo, s8
	v_add_nc_u32_e32 v36, -1, v58
	s_delay_alu instid0(VALU_DEP_1) | instskip(NEXT) | instid1(VALU_DEP_1)
	v_cmp_gt_i32_e64 s7, 0, v36
	v_cndmask_b32_e64 v36, v36, v58, s7
	v_cmp_eq_u32_e64 s7, 0, v58
	s_delay_alu instid0(VALU_DEP_2)
	v_lshlrev_b32_e32 v36, 2, v36
	ds_bpermute_b32 v45, v36, v35
	s_and_saveexec_b32 s8, vcc_lo
	s_cbranch_execz .LBB159_97
; %bb.75:
	v_mov_b32_e32 v39, 0
	ds_load_b32 v35, v39 offset:60
	s_and_saveexec_b32 s9, s7
	s_cbranch_execz .LBB159_77
; %bb.76:
	s_add_i32 s14, s24, 32
	s_mov_b32 s15, 0
	v_mov_b32_e32 v36, 1
	s_lshl_b64 s[14:15], s[14:15], 3
	s_delay_alu instid0(SALU_CYCLE_1)
	s_add_u32 s14, s20, s14
	s_addc_u32 s15, s21, s15
	s_waitcnt lgkmcnt(0)
	global_store_b64 v39, v[35:36], s[14:15]
.LBB159_77:
	s_or_b32 exec_lo, exec_lo, s9
	v_xad_u32 v37, v58, -1, s24
	s_mov_b32 s14, 0
	s_mov_b32 s9, exec_lo
	s_delay_alu instid0(VALU_DEP_1) | instskip(NEXT) | instid1(VALU_DEP_1)
	v_add_nc_u32_e32 v38, 32, v37
	v_lshlrev_b64 v[38:39], 3, v[38:39]
	s_delay_alu instid0(VALU_DEP_1) | instskip(NEXT) | instid1(VALU_DEP_2)
	v_add_co_u32 v41, vcc_lo, s20, v38
	v_add_co_ci_u32_e32 v42, vcc_lo, s21, v39, vcc_lo
	global_load_b64 v[39:40], v[41:42], off glc
	s_waitcnt vmcnt(0)
	v_and_b32_e32 v36, 0xff, v40
	s_delay_alu instid0(VALU_DEP_1)
	v_cmpx_eq_u16_e32 0, v36
	s_cbranch_execz .LBB159_83
; %bb.78:
	s_mov_b32 s15, 1
	.p2align	6
.LBB159_79:                             ; =>This Loop Header: Depth=1
                                        ;     Child Loop BB159_80 Depth 2
	s_delay_alu instid0(SALU_CYCLE_1)
	s_max_u32 s25, s15, 1
.LBB159_80:                             ;   Parent Loop BB159_79 Depth=1
                                        ; =>  This Inner Loop Header: Depth=2
	s_delay_alu instid0(SALU_CYCLE_1)
	s_add_i32 s25, s25, -1
	s_sleep 1
	s_cmp_eq_u32 s25, 0
	s_cbranch_scc0 .LBB159_80
; %bb.81:                               ;   in Loop: Header=BB159_79 Depth=1
	global_load_b64 v[39:40], v[41:42], off glc
	s_cmp_lt_u32 s15, 32
	s_cselect_b32 s25, -1, 0
	s_delay_alu instid0(SALU_CYCLE_1) | instskip(SKIP_3) | instid1(VALU_DEP_1)
	s_cmp_lg_u32 s25, 0
	s_addc_u32 s15, s15, 0
	s_waitcnt vmcnt(0)
	v_and_b32_e32 v36, 0xff, v40
	v_cmp_ne_u16_e32 vcc_lo, 0, v36
	s_or_b32 s14, vcc_lo, s14
	s_delay_alu instid0(SALU_CYCLE_1)
	s_and_not1_b32 exec_lo, exec_lo, s14
	s_cbranch_execnz .LBB159_79
; %bb.82:
	s_or_b32 exec_lo, exec_lo, s14
.LBB159_83:
	s_delay_alu instid0(SALU_CYCLE_1)
	s_or_b32 exec_lo, exec_lo, s9
	v_cmp_ne_u32_e32 vcc_lo, 31, v58
	v_lshlrev_b32_e64 v49, v58, -1
	v_add_nc_u32_e32 v53, 2, v58
	v_add_nc_u32_e32 v66, 16, v58
	v_add_co_ci_u32_e32 v36, vcc_lo, 0, v58, vcc_lo
	s_delay_alu instid0(VALU_DEP_1)
	v_lshlrev_b32_e32 v47, 2, v36
	v_and_b32_e32 v36, 0xff, v40
	ds_bpermute_b32 v38, v47, v39
	v_cmp_eq_u16_e32 vcc_lo, 2, v36
	v_and_or_b32 v36, vcc_lo, v49, 0x80000000
	v_cmp_gt_u32_e32 vcc_lo, 30, v58
	s_delay_alu instid0(VALU_DEP_2) | instskip(SKIP_1) | instid1(VALU_DEP_2)
	v_ctz_i32_b32_e32 v36, v36
	v_cndmask_b32_e64 v41, 0, 1, vcc_lo
	v_cmp_lt_u32_e32 vcc_lo, v58, v36
	s_waitcnt lgkmcnt(0)
	s_delay_alu instid0(VALU_DEP_2) | instskip(NEXT) | instid1(VALU_DEP_1)
	v_dual_cndmask_b32 v38, 0, v38 :: v_dual_lshlrev_b32 v41, 1, v41
	v_add_lshl_u32 v51, v41, v58, 2
	v_cmp_gt_u32_e32 vcc_lo, 28, v58
	s_delay_alu instid0(VALU_DEP_3) | instskip(SKIP_4) | instid1(VALU_DEP_1)
	v_add_nc_u32_e32 v38, v38, v39
	v_cndmask_b32_e64 v41, 0, 1, vcc_lo
	v_cmp_le_u32_e32 vcc_lo, v53, v36
	ds_bpermute_b32 v39, v51, v38
	v_lshlrev_b32_e32 v41, 2, v41
	v_add_lshl_u32 v61, v41, v58, 2
	s_waitcnt lgkmcnt(0)
	v_cndmask_b32_e32 v39, 0, v39, vcc_lo
	v_cmp_gt_u32_e32 vcc_lo, 24, v58
	s_delay_alu instid0(VALU_DEP_2) | instskip(SKIP_4) | instid1(VALU_DEP_2)
	v_add_nc_u32_e32 v38, v38, v39
	v_cndmask_b32_e64 v41, 0, 1, vcc_lo
	ds_bpermute_b32 v39, v61, v38
	v_add_nc_u32_e32 v62, 4, v58
	v_lshlrev_b32_e32 v41, 3, v41
	v_cmp_le_u32_e32 vcc_lo, v62, v36
	s_delay_alu instid0(VALU_DEP_2) | instskip(SKIP_3) | instid1(VALU_DEP_2)
	v_add_lshl_u32 v63, v41, v58, 2
	s_waitcnt lgkmcnt(0)
	v_cndmask_b32_e32 v39, 0, v39, vcc_lo
	v_cmp_gt_u32_e32 vcc_lo, 16, v58
	v_add_nc_u32_e32 v38, v38, v39
	v_cndmask_b32_e64 v41, 0, 1, vcc_lo
	ds_bpermute_b32 v39, v63, v38
	v_add_nc_u32_e32 v64, 8, v58
	v_lshlrev_b32_e32 v41, 4, v41
	s_delay_alu instid0(VALU_DEP_2) | instskip(NEXT) | instid1(VALU_DEP_2)
	v_cmp_le_u32_e32 vcc_lo, v64, v36
	v_add_lshl_u32 v65, v41, v58, 2
	s_waitcnt lgkmcnt(0)
	v_cndmask_b32_e32 v39, 0, v39, vcc_lo
	v_cmp_le_u32_e32 vcc_lo, v66, v36
	s_delay_alu instid0(VALU_DEP_2) | instskip(SKIP_3) | instid1(VALU_DEP_1)
	v_add_nc_u32_e32 v38, v38, v39
	ds_bpermute_b32 v39, v65, v38
	s_waitcnt lgkmcnt(0)
	v_cndmask_b32_e32 v36, 0, v39, vcc_lo
	v_dual_mov_b32 v38, 0 :: v_dual_add_nc_u32 v39, v38, v36
	s_branch .LBB159_85
.LBB159_84:                             ;   in Loop: Header=BB159_85 Depth=1
	s_or_b32 exec_lo, exec_lo, s9
	ds_bpermute_b32 v42, v47, v39
	v_and_b32_e32 v41, 0xff, v40
	v_subrev_nc_u32_e32 v37, 32, v37
	s_delay_alu instid0(VALU_DEP_2) | instskip(SKIP_1) | instid1(VALU_DEP_1)
	v_cmp_eq_u16_e32 vcc_lo, 2, v41
	v_and_or_b32 v41, vcc_lo, v49, 0x80000000
	v_ctz_i32_b32_e32 v41, v41
	s_delay_alu instid0(VALU_DEP_1) | instskip(SKIP_3) | instid1(VALU_DEP_2)
	v_cmp_lt_u32_e32 vcc_lo, v58, v41
	s_waitcnt lgkmcnt(0)
	v_cndmask_b32_e32 v42, 0, v42, vcc_lo
	v_cmp_le_u32_e32 vcc_lo, v53, v41
	v_add_nc_u32_e32 v39, v42, v39
	ds_bpermute_b32 v42, v51, v39
	s_waitcnt lgkmcnt(0)
	v_cndmask_b32_e32 v42, 0, v42, vcc_lo
	v_cmp_le_u32_e32 vcc_lo, v62, v41
	s_delay_alu instid0(VALU_DEP_2) | instskip(SKIP_4) | instid1(VALU_DEP_2)
	v_add_nc_u32_e32 v39, v39, v42
	ds_bpermute_b32 v42, v61, v39
	s_waitcnt lgkmcnt(0)
	v_cndmask_b32_e32 v42, 0, v42, vcc_lo
	v_cmp_le_u32_e32 vcc_lo, v64, v41
	v_add_nc_u32_e32 v39, v39, v42
	ds_bpermute_b32 v42, v63, v39
	s_waitcnt lgkmcnt(0)
	v_cndmask_b32_e32 v42, 0, v42, vcc_lo
	v_cmp_le_u32_e32 vcc_lo, v66, v41
	s_delay_alu instid0(VALU_DEP_2) | instskip(SKIP_3) | instid1(VALU_DEP_1)
	v_add_nc_u32_e32 v39, v39, v42
	ds_bpermute_b32 v42, v65, v39
	s_waitcnt lgkmcnt(0)
	v_cndmask_b32_e32 v41, 0, v42, vcc_lo
	v_add3_u32 v39, v41, v36, v39
.LBB159_85:                             ; =>This Loop Header: Depth=1
                                        ;     Child Loop BB159_88 Depth 2
                                        ;       Child Loop BB159_89 Depth 3
	v_and_b32_e32 v36, 0xff, v40
	s_delay_alu instid0(VALU_DEP_1) | instskip(SKIP_2) | instid1(VALU_DEP_1)
	v_cmp_ne_u16_e32 vcc_lo, 2, v36
	v_cndmask_b32_e64 v36, 0, 1, vcc_lo
	;;#ASMSTART
	;;#ASMEND
	v_cmp_ne_u32_e32 vcc_lo, 0, v36
	v_mov_b32_e32 v36, v39
	s_cmp_lg_u32 vcc_lo, exec_lo
	s_cbranch_scc1 .LBB159_92
; %bb.86:                               ;   in Loop: Header=BB159_85 Depth=1
	v_lshlrev_b64 v[39:40], 3, v[37:38]
	s_mov_b32 s9, exec_lo
	s_delay_alu instid0(VALU_DEP_1) | instskip(NEXT) | instid1(VALU_DEP_2)
	v_add_co_u32 v41, vcc_lo, s20, v39
	v_add_co_ci_u32_e32 v42, vcc_lo, s21, v40, vcc_lo
	global_load_b64 v[39:40], v[41:42], off glc
	s_waitcnt vmcnt(0)
	v_and_b32_e32 v67, 0xff, v40
	s_delay_alu instid0(VALU_DEP_1)
	v_cmpx_eq_u16_e32 0, v67
	s_cbranch_execz .LBB159_84
; %bb.87:                               ;   in Loop: Header=BB159_85 Depth=1
	s_mov_b32 s15, 1
	s_mov_b32 s14, 0
	.p2align	6
.LBB159_88:                             ;   Parent Loop BB159_85 Depth=1
                                        ; =>  This Loop Header: Depth=2
                                        ;       Child Loop BB159_89 Depth 3
	s_max_u32 s25, s15, 1
.LBB159_89:                             ;   Parent Loop BB159_85 Depth=1
                                        ;     Parent Loop BB159_88 Depth=2
                                        ; =>    This Inner Loop Header: Depth=3
	s_delay_alu instid0(SALU_CYCLE_1)
	s_add_i32 s25, s25, -1
	s_sleep 1
	s_cmp_eq_u32 s25, 0
	s_cbranch_scc0 .LBB159_89
; %bb.90:                               ;   in Loop: Header=BB159_88 Depth=2
	global_load_b64 v[39:40], v[41:42], off glc
	s_cmp_lt_u32 s15, 32
	s_cselect_b32 s25, -1, 0
	s_delay_alu instid0(SALU_CYCLE_1) | instskip(SKIP_3) | instid1(VALU_DEP_1)
	s_cmp_lg_u32 s25, 0
	s_addc_u32 s15, s15, 0
	s_waitcnt vmcnt(0)
	v_and_b32_e32 v67, 0xff, v40
	v_cmp_ne_u16_e32 vcc_lo, 0, v67
	s_or_b32 s14, vcc_lo, s14
	s_delay_alu instid0(SALU_CYCLE_1)
	s_and_not1_b32 exec_lo, exec_lo, s14
	s_cbranch_execnz .LBB159_88
; %bb.91:                               ;   in Loop: Header=BB159_85 Depth=1
	s_or_b32 exec_lo, exec_lo, s14
	s_branch .LBB159_84
.LBB159_92:                             ;   in Loop: Header=BB159_85 Depth=1
                                        ; implicit-def: $vgpr39
                                        ; implicit-def: $vgpr40
	s_cbranch_execz .LBB159_85
; %bb.93:
	s_and_saveexec_b32 s9, s7
	s_cbranch_execz .LBB159_95
; %bb.94:
	s_add_i32 s14, s24, 32
	s_mov_b32 s15, 0
	v_dual_mov_b32 v38, 2 :: v_dual_add_nc_u32 v37, v36, v35
	s_lshl_b64 s[14:15], s[14:15], 3
	v_mov_b32_e32 v39, 0
	s_add_u32 s14, s20, s14
	s_addc_u32 s15, s21, s15
	global_store_b64 v39, v[37:38], s[14:15]
	ds_store_b64 v39, v[35:36] offset:33792
.LBB159_95:
	s_or_b32 exec_lo, exec_lo, s9
	s_delay_alu instid0(SALU_CYCLE_1)
	s_and_b32 exec_lo, exec_lo, s2
	s_cbranch_execz .LBB159_97
; %bb.96:
	v_mov_b32_e32 v35, 0
	ds_store_b32 v35, v36 offset:60
.LBB159_97:
	s_or_b32 exec_lo, exec_lo, s8
	v_mov_b32_e32 v35, 0
	s_waitcnt lgkmcnt(0)
	s_waitcnt_vscnt null, 0x0
	s_barrier
	buffer_gl0_inv
	v_cndmask_b32_e64 v37, v45, v43, s7
	ds_load_b32 v36, v35 offset:60
	s_waitcnt lgkmcnt(0)
	s_barrier
	buffer_gl0_inv
	v_cndmask_b32_e64 v37, v37, 0, s2
	s_delay_alu instid0(VALU_DEP_1) | instskip(SKIP_2) | instid1(VALU_DEP_1)
	v_add_nc_u32_e32 v53, v36, v37
	ds_load_b64 v[35:36], v35 offset:33792
	v_add_nc_u32_e32 v51, v53, v44
	v_add_nc_u32_e32 v49, v51, v46
	s_delay_alu instid0(VALU_DEP_1) | instskip(NEXT) | instid1(VALU_DEP_1)
	v_add_nc_u32_e32 v47, v49, v48
	v_add_nc_u32_e32 v45, v47, v50
	s_waitcnt lgkmcnt(0)
	v_readfirstlane_b32 s8, v36
	s_delay_alu instid0(VALU_DEP_2) | instskip(NEXT) | instid1(VALU_DEP_1)
	v_add_nc_u32_e32 v43, v45, v52
	v_add_nc_u32_e32 v41, v43, v54
	s_delay_alu instid0(VALU_DEP_1)
	v_add_nc_u32_e32 v39, v41, v57
	v_lshrrev_b64 v[37:38], 24, v[33:34]
	s_branch .LBB159_108
.LBB159_98:
                                        ; implicit-def: $vgpr39
                                        ; implicit-def: $vgpr41
                                        ; implicit-def: $vgpr43
                                        ; implicit-def: $vgpr45
                                        ; implicit-def: $vgpr47
                                        ; implicit-def: $vgpr49
                                        ; implicit-def: $vgpr51
                                        ; implicit-def: $vgpr53
                                        ; implicit-def: $sgpr8
                                        ; implicit-def: $vgpr35
	v_lshrrev_b64 v[37:38], 24, v[33:34]
	s_and_b32 vcc_lo, exec_lo, s7
	s_cbranch_vccz .LBB159_108
; %bb.99:
	v_mov_b32_dpp v35, v60 row_shr:1 row_mask:0xf bank_mask:0xf
	s_delay_alu instid0(VALU_DEP_1) | instskip(NEXT) | instid1(VALU_DEP_1)
	v_cndmask_b32_e64 v35, v35, 0, s3
	v_add_nc_u32_e32 v35, v35, v60
	s_delay_alu instid0(VALU_DEP_1) | instskip(NEXT) | instid1(VALU_DEP_1)
	v_mov_b32_dpp v36, v35 row_shr:2 row_mask:0xf bank_mask:0xf
	v_cndmask_b32_e64 v36, 0, v36, s0
	s_delay_alu instid0(VALU_DEP_1) | instskip(NEXT) | instid1(VALU_DEP_1)
	v_add_nc_u32_e32 v35, v35, v36
	v_mov_b32_dpp v36, v35 row_shr:4 row_mask:0xf bank_mask:0xf
	s_delay_alu instid0(VALU_DEP_1) | instskip(NEXT) | instid1(VALU_DEP_1)
	v_cndmask_b32_e64 v36, 0, v36, s4
	v_add_nc_u32_e32 v35, v35, v36
	s_delay_alu instid0(VALU_DEP_1) | instskip(NEXT) | instid1(VALU_DEP_1)
	v_mov_b32_dpp v36, v35 row_shr:8 row_mask:0xf bank_mask:0xf
	v_cndmask_b32_e64 v36, 0, v36, s1
	s_delay_alu instid0(VALU_DEP_1) | instskip(SKIP_3) | instid1(VALU_DEP_1)
	v_add_nc_u32_e32 v35, v35, v36
	ds_swizzle_b32 v36, v35 offset:swizzle(BROADCAST,32,15)
	s_waitcnt lgkmcnt(0)
	v_cndmask_b32_e64 v36, v36, 0, s6
	v_add_nc_u32_e32 v35, v35, v36
	s_and_saveexec_b32 s6, s5
	s_cbranch_execz .LBB159_101
; %bb.100:
	v_lshlrev_b32_e32 v36, 2, v59
	ds_store_b32 v36, v35
.LBB159_101:
	s_or_b32 exec_lo, exec_lo, s6
	s_delay_alu instid0(SALU_CYCLE_1)
	s_mov_b32 s5, exec_lo
	s_waitcnt lgkmcnt(0)
	s_barrier
	buffer_gl0_inv
	v_cmpx_gt_u32_e32 16, v0
	s_cbranch_execz .LBB159_103
; %bb.102:
	v_lshlrev_b32_e32 v36, 2, v0
	ds_load_b32 v38, v36
	s_waitcnt lgkmcnt(0)
	v_mov_b32_dpp v39, v38 row_shr:1 row_mask:0xf bank_mask:0xf
	s_delay_alu instid0(VALU_DEP_1) | instskip(NEXT) | instid1(VALU_DEP_1)
	v_cndmask_b32_e64 v39, v39, 0, s3
	v_add_nc_u32_e32 v38, v39, v38
	s_delay_alu instid0(VALU_DEP_1) | instskip(NEXT) | instid1(VALU_DEP_1)
	v_mov_b32_dpp v39, v38 row_shr:2 row_mask:0xf bank_mask:0xf
	v_cndmask_b32_e64 v39, 0, v39, s0
	s_delay_alu instid0(VALU_DEP_1) | instskip(NEXT) | instid1(VALU_DEP_1)
	v_add_nc_u32_e32 v38, v38, v39
	v_mov_b32_dpp v39, v38 row_shr:4 row_mask:0xf bank_mask:0xf
	s_delay_alu instid0(VALU_DEP_1) | instskip(NEXT) | instid1(VALU_DEP_1)
	v_cndmask_b32_e64 v39, 0, v39, s4
	v_add_nc_u32_e32 v38, v38, v39
	s_delay_alu instid0(VALU_DEP_1) | instskip(NEXT) | instid1(VALU_DEP_1)
	v_mov_b32_dpp v39, v38 row_shr:8 row_mask:0xf bank_mask:0xf
	v_cndmask_b32_e64 v39, 0, v39, s1
	s_delay_alu instid0(VALU_DEP_1)
	v_add_nc_u32_e32 v38, v38, v39
	ds_store_b32 v36, v38
.LBB159_103:
	s_or_b32 exec_lo, exec_lo, s5
	v_mov_b32_e32 v36, 0
	v_mov_b32_e32 v38, 0
	s_mov_b32 s0, exec_lo
	s_waitcnt lgkmcnt(0)
	s_barrier
	buffer_gl0_inv
	v_cmpx_lt_u32_e32 31, v0
	s_cbranch_execz .LBB159_105
; %bb.104:
	v_lshl_add_u32 v38, v59, 2, -4
	ds_load_b32 v38, v38
.LBB159_105:
	s_or_b32 exec_lo, exec_lo, s0
	v_add_nc_u32_e32 v39, -1, v58
	s_waitcnt lgkmcnt(0)
	v_add_nc_u32_e32 v35, v38, v35
	s_mov_b32 s8, 0
	s_delay_alu instid0(VALU_DEP_2) | instskip(SKIP_1) | instid1(VALU_DEP_1)
	v_cmp_gt_i32_e32 vcc_lo, 0, v39
	v_cndmask_b32_e32 v39, v39, v58, vcc_lo
	v_lshlrev_b32_e32 v39, 2, v39
	ds_bpermute_b32 v39, v39, v35
	ds_load_b32 v35, v36 offset:60
	s_and_saveexec_b32 s0, s2
	s_cbranch_execz .LBB159_107
; %bb.106:
	v_mov_b32_e32 v40, 0
	v_mov_b32_e32 v36, 2
	s_waitcnt lgkmcnt(0)
	global_store_b64 v40, v[35:36], s[20:21] offset:256
.LBB159_107:
	s_or_b32 exec_lo, exec_lo, s0
	v_cmp_eq_u32_e32 vcc_lo, 0, v58
	s_waitcnt lgkmcnt(0)
	s_waitcnt_vscnt null, 0x0
	s_barrier
	buffer_gl0_inv
	v_cndmask_b32_e32 v36, v39, v38, vcc_lo
	s_delay_alu instid0(VALU_DEP_1) | instskip(NEXT) | instid1(VALU_DEP_1)
	v_cndmask_b32_e64 v53, v36, 0, s2
	v_add_nc_u32_e32 v51, v53, v44
	s_delay_alu instid0(VALU_DEP_1) | instskip(NEXT) | instid1(VALU_DEP_1)
	v_add_nc_u32_e32 v49, v51, v46
	v_add_nc_u32_e32 v47, v49, v48
	s_delay_alu instid0(VALU_DEP_1) | instskip(NEXT) | instid1(VALU_DEP_1)
	v_add_nc_u32_e32 v45, v47, v50
	;; [unrolled: 3-line block ×3, first 2 shown]
	v_add_nc_u32_e32 v39, v41, v57
.LBB159_108:
	v_add_nc_u32_e32 v59, s8, v35
	v_cmp_gt_u32_e64 s0, 0x201, v35
	v_lshrrev_b32_e32 v58, 8, v33
	v_lshrrev_b32_e32 v57, 16, v33
	;; [unrolled: 1-line block ×4, first 2 shown]
	v_cmp_lt_u32_e64 s1, v53, v59
	s_and_b32 vcc_lo, exec_lo, s0
	s_mov_b32 s3, -1
	s_cbranch_vccz .LBB159_134
; %bb.109:
	s_lshl_b64 s[4:5], s[10:11], 3
	s_delay_alu instid0(SALU_CYCLE_1) | instskip(SKIP_2) | instid1(SALU_CYCLE_1)
	s_add_u32 s3, s16, s4
	s_addc_u32 s4, s17, s5
	s_or_b32 s5, s23, s1
	s_and_saveexec_b32 s1, s5
	s_cbranch_execz .LBB159_112
; %bb.110:
	v_and_b32_e32 v40, 1, v33
	s_delay_alu instid0(VALU_DEP_1)
	v_cmp_eq_u32_e32 vcc_lo, 1, v40
	s_and_b32 exec_lo, exec_lo, vcc_lo
	s_cbranch_execz .LBB159_112
; %bb.111:
	v_mov_b32_e32 v54, 0
	s_delay_alu instid0(VALU_DEP_1) | instskip(NEXT) | instid1(VALU_DEP_1)
	v_lshlrev_b64 v[60:61], 3, v[53:54]
	v_add_co_u32 v60, vcc_lo, s3, v60
	s_delay_alu instid0(VALU_DEP_2)
	v_add_co_ci_u32_e32 v61, vcc_lo, s4, v61, vcc_lo
	global_store_b64 v[60:61], v[29:30], off
.LBB159_112:
	s_or_b32 exec_lo, exec_lo, s1
	v_cmp_lt_u32_e32 vcc_lo, v51, v59
	s_or_b32 s5, s23, vcc_lo
	s_delay_alu instid0(SALU_CYCLE_1)
	s_and_saveexec_b32 s1, s5
	s_cbranch_execz .LBB159_115
; %bb.113:
	v_and_b32_e32 v40, 1, v58
	s_delay_alu instid0(VALU_DEP_1)
	v_cmp_eq_u32_e32 vcc_lo, 1, v40
	s_and_b32 exec_lo, exec_lo, vcc_lo
	s_cbranch_execz .LBB159_115
; %bb.114:
	v_mov_b32_e32 v52, 0
	s_delay_alu instid0(VALU_DEP_1) | instskip(NEXT) | instid1(VALU_DEP_1)
	v_lshlrev_b64 v[60:61], 3, v[51:52]
	v_add_co_u32 v60, vcc_lo, s3, v60
	s_delay_alu instid0(VALU_DEP_2)
	v_add_co_ci_u32_e32 v61, vcc_lo, s4, v61, vcc_lo
	global_store_b64 v[60:61], v[31:32], off
.LBB159_115:
	s_or_b32 exec_lo, exec_lo, s1
	v_cmp_lt_u32_e32 vcc_lo, v49, v59
	s_or_b32 s5, s23, vcc_lo
	s_delay_alu instid0(SALU_CYCLE_1)
	;; [unrolled: 21-line block ×7, first 2 shown]
	s_and_saveexec_b32 s1, s5
	s_cbranch_execz .LBB159_133
; %bb.131:
	v_and_b32_e32 v40, 1, v56
	s_delay_alu instid0(VALU_DEP_1)
	v_cmp_eq_u32_e32 vcc_lo, 1, v40
	s_and_b32 exec_lo, exec_lo, vcc_lo
	s_cbranch_execz .LBB159_133
; %bb.132:
	v_mov_b32_e32 v40, 0
	s_delay_alu instid0(VALU_DEP_1) | instskip(NEXT) | instid1(VALU_DEP_1)
	v_lshlrev_b64 v[60:61], 3, v[39:40]
	v_add_co_u32 v60, vcc_lo, s3, v60
	s_delay_alu instid0(VALU_DEP_2)
	v_add_co_ci_u32_e32 v61, vcc_lo, s4, v61, vcc_lo
	global_store_b64 v[60:61], v[19:20], off
.LBB159_133:
	s_or_b32 exec_lo, exec_lo, s1
	s_mov_b32 s3, 0
.LBB159_134:
	v_and_b32_e32 v33, 1, v33
	s_and_b32 vcc_lo, exec_lo, s3
	s_delay_alu instid0(VALU_DEP_1)
	v_cmp_eq_u32_e64 s1, 1, v33
	s_cbranch_vccz .LBB159_155
; %bb.135:
	s_delay_alu instid0(VALU_DEP_1)
	s_and_saveexec_b32 s3, s1
	s_cbranch_execz .LBB159_137
; %bb.136:
	v_subrev_nc_u32_e32 v40, s8, v53
	s_delay_alu instid0(VALU_DEP_1)
	v_lshlrev_b32_e32 v40, 3, v40
	ds_store_b64 v40, v[29:30]
.LBB159_137:
	s_or_b32 exec_lo, exec_lo, s3
	v_and_b32_e32 v29, 1, v58
	s_mov_b32 s1, exec_lo
	s_delay_alu instid0(VALU_DEP_1)
	v_cmpx_eq_u32_e32 1, v29
	s_cbranch_execz .LBB159_139
; %bb.138:
	v_subrev_nc_u32_e32 v29, s8, v51
	s_delay_alu instid0(VALU_DEP_1)
	v_lshlrev_b32_e32 v29, 3, v29
	ds_store_b64 v29, v[31:32]
.LBB159_139:
	s_or_b32 exec_lo, exec_lo, s1
	v_and_b32_e32 v29, 1, v57
	s_mov_b32 s1, exec_lo
	s_delay_alu instid0(VALU_DEP_1)
	v_cmpx_eq_u32_e32 1, v29
	;; [unrolled: 12-line block ×7, first 2 shown]
	s_cbranch_execz .LBB159_151
; %bb.150:
	v_subrev_nc_u32_e32 v17, s8, v39
	s_delay_alu instid0(VALU_DEP_1)
	v_lshlrev_b32_e32 v17, 3, v17
	ds_store_b64 v17, v[19:20]
.LBB159_151:
	s_or_b32 exec_lo, exec_lo, s1
	s_delay_alu instid0(SALU_CYCLE_1)
	s_mov_b32 s3, exec_lo
	s_waitcnt lgkmcnt(0)
	s_waitcnt_vscnt null, 0x0
	s_barrier
	buffer_gl0_inv
	v_cmpx_lt_u32_e64 v0, v35
	s_cbranch_execz .LBB159_154
; %bb.152:
	s_mov_b32 s9, 0
	s_lshl_b64 s[4:5], s[10:11], 3
	s_lshl_b64 s[6:7], s[8:9], 3
	v_dual_mov_b32 v19, v55 :: v_dual_mov_b32 v20, v0
	s_add_u32 s1, s4, s6
	s_addc_u32 s4, s5, s7
	s_add_u32 s1, s16, s1
	s_addc_u32 s4, s17, s4
	v_add_co_u32 v17, s1, s1, v55
	s_delay_alu instid0(VALU_DEP_1)
	v_add_co_ci_u32_e64 v18, null, s4, 0, s1
	.p2align	6
.LBB159_153:                            ; =>This Inner Loop Header: Depth=1
	ds_load_b64 v[21:22], v19
	v_add_nc_u32_e32 v20, 0x200, v20
	v_add_nc_u32_e32 v19, 0x1000, v19
	s_delay_alu instid0(VALU_DEP_2) | instskip(SKIP_4) | instid1(VALU_DEP_1)
	v_cmp_ge_u32_e32 vcc_lo, v20, v35
	s_or_b32 s9, vcc_lo, s9
	s_waitcnt lgkmcnt(0)
	global_store_b64 v[17:18], v[21:22], off
	v_add_co_u32 v17, s1, 0x1000, v17
	v_add_co_ci_u32_e64 v18, s1, 0, v18, s1
	s_and_not1_b32 exec_lo, exec_lo, s9
	s_cbranch_execnz .LBB159_153
.LBB159_154:
	s_or_b32 exec_lo, exec_lo, s3
.LBB159_155:
	s_delay_alu instid0(SALU_CYCLE_1)
	s_and_b32 vcc_lo, exec_lo, s0
	s_mov_b32 s0, -1
	s_waitcnt_vscnt null, 0x0
	s_barrier
	buffer_gl0_inv
	s_cbranch_vccz .LBB159_183
; %bb.156:
	v_cmp_lt_u32_e32 vcc_lo, v53, v59
	s_lshl_b64 s[0:1], s[10:11], 3
	s_delay_alu instid0(SALU_CYCLE_1) | instskip(SKIP_2) | instid1(SALU_CYCLE_1)
	s_add_u32 s0, s18, s0
	s_addc_u32 s1, s19, s1
	s_or_b32 s4, s23, vcc_lo
	s_and_saveexec_b32 s3, s4
	s_cbranch_execz .LBB159_159
; %bb.157:
	v_cmp_eq_u32_e32 vcc_lo, 1, v33
	s_and_b32 exec_lo, exec_lo, vcc_lo
	s_cbranch_execz .LBB159_159
; %bb.158:
	v_mov_b32_e32 v54, 0
	s_delay_alu instid0(VALU_DEP_1) | instskip(NEXT) | instid1(VALU_DEP_1)
	v_lshlrev_b64 v[17:18], 3, v[53:54]
	v_add_co_u32 v17, vcc_lo, s0, v17
	s_delay_alu instid0(VALU_DEP_2)
	v_add_co_ci_u32_e32 v18, vcc_lo, s1, v18, vcc_lo
	global_store_b64 v[17:18], v[13:14], off
.LBB159_159:
	s_or_b32 exec_lo, exec_lo, s3
	v_cmp_lt_u32_e32 vcc_lo, v51, v59
	s_or_b32 s4, s23, vcc_lo
	s_delay_alu instid0(SALU_CYCLE_1)
	s_and_saveexec_b32 s3, s4
	s_cbranch_execz .LBB159_162
; %bb.160:
	v_and_b32_e32 v17, 1, v58
	s_delay_alu instid0(VALU_DEP_1)
	v_cmp_eq_u32_e32 vcc_lo, 1, v17
	s_and_b32 exec_lo, exec_lo, vcc_lo
	s_cbranch_execz .LBB159_162
; %bb.161:
	v_mov_b32_e32 v52, 0
	s_delay_alu instid0(VALU_DEP_1) | instskip(NEXT) | instid1(VALU_DEP_1)
	v_lshlrev_b64 v[17:18], 3, v[51:52]
	v_add_co_u32 v17, vcc_lo, s0, v17
	s_delay_alu instid0(VALU_DEP_2)
	v_add_co_ci_u32_e32 v18, vcc_lo, s1, v18, vcc_lo
	global_store_b64 v[17:18], v[15:16], off
.LBB159_162:
	s_or_b32 exec_lo, exec_lo, s3
	v_cmp_lt_u32_e32 vcc_lo, v49, v59
	s_or_b32 s4, s23, vcc_lo
	s_delay_alu instid0(SALU_CYCLE_1)
	s_and_saveexec_b32 s3, s4
	s_cbranch_execz .LBB159_165
; %bb.163:
	v_and_b32_e32 v17, 1, v57
	s_delay_alu instid0(VALU_DEP_1)
	v_cmp_eq_u32_e32 vcc_lo, 1, v17
	s_and_b32 exec_lo, exec_lo, vcc_lo
	s_cbranch_execz .LBB159_165
; %bb.164:
	v_mov_b32_e32 v50, 0
	s_delay_alu instid0(VALU_DEP_1) | instskip(NEXT) | instid1(VALU_DEP_1)
	v_lshlrev_b64 v[17:18], 3, v[49:50]
	v_add_co_u32 v17, vcc_lo, s0, v17
	s_delay_alu instid0(VALU_DEP_2)
	v_add_co_ci_u32_e32 v18, vcc_lo, s1, v18, vcc_lo
	global_store_b64 v[17:18], v[9:10], off
.LBB159_165:
	s_or_b32 exec_lo, exec_lo, s3
	v_cmp_lt_u32_e32 vcc_lo, v47, v59
	s_or_b32 s4, s23, vcc_lo
	s_delay_alu instid0(SALU_CYCLE_1)
	s_and_saveexec_b32 s3, s4
	s_cbranch_execz .LBB159_168
; %bb.166:
	v_and_b32_e32 v17, 1, v37
	s_delay_alu instid0(VALU_DEP_1)
	v_cmp_eq_u32_e32 vcc_lo, 1, v17
	s_and_b32 exec_lo, exec_lo, vcc_lo
	s_cbranch_execz .LBB159_168
; %bb.167:
	v_mov_b32_e32 v48, 0
	s_delay_alu instid0(VALU_DEP_1) | instskip(NEXT) | instid1(VALU_DEP_1)
	v_lshlrev_b64 v[17:18], 3, v[47:48]
	v_add_co_u32 v17, vcc_lo, s0, v17
	s_delay_alu instid0(VALU_DEP_2)
	v_add_co_ci_u32_e32 v18, vcc_lo, s1, v18, vcc_lo
	global_store_b64 v[17:18], v[11:12], off
.LBB159_168:
	s_or_b32 exec_lo, exec_lo, s3
	v_cmp_lt_u32_e32 vcc_lo, v45, v59
	s_or_b32 s4, s23, vcc_lo
	s_delay_alu instid0(SALU_CYCLE_1)
	s_and_saveexec_b32 s3, s4
	s_cbranch_execz .LBB159_171
; %bb.169:
	v_and_b32_e32 v17, 1, v34
	s_delay_alu instid0(VALU_DEP_1)
	v_cmp_eq_u32_e32 vcc_lo, 1, v17
	s_and_b32 exec_lo, exec_lo, vcc_lo
	s_cbranch_execz .LBB159_171
; %bb.170:
	v_mov_b32_e32 v46, 0
	s_delay_alu instid0(VALU_DEP_1) | instskip(NEXT) | instid1(VALU_DEP_1)
	v_lshlrev_b64 v[17:18], 3, v[45:46]
	v_add_co_u32 v17, vcc_lo, s0, v17
	s_delay_alu instid0(VALU_DEP_2)
	v_add_co_ci_u32_e32 v18, vcc_lo, s1, v18, vcc_lo
	global_store_b64 v[17:18], v[5:6], off
.LBB159_171:
	s_or_b32 exec_lo, exec_lo, s3
	v_cmp_lt_u32_e32 vcc_lo, v43, v59
	s_or_b32 s4, s23, vcc_lo
	s_delay_alu instid0(SALU_CYCLE_1)
	s_and_saveexec_b32 s3, s4
	s_cbranch_execz .LBB159_174
; %bb.172:
	v_and_b32_e32 v17, 1, v38
	s_delay_alu instid0(VALU_DEP_1)
	v_cmp_eq_u32_e32 vcc_lo, 1, v17
	s_and_b32 exec_lo, exec_lo, vcc_lo
	s_cbranch_execz .LBB159_174
; %bb.173:
	v_mov_b32_e32 v44, 0
	s_delay_alu instid0(VALU_DEP_1) | instskip(NEXT) | instid1(VALU_DEP_1)
	v_lshlrev_b64 v[17:18], 3, v[43:44]
	v_add_co_u32 v17, vcc_lo, s0, v17
	s_delay_alu instid0(VALU_DEP_2)
	v_add_co_ci_u32_e32 v18, vcc_lo, s1, v18, vcc_lo
	global_store_b64 v[17:18], v[7:8], off
.LBB159_174:
	s_or_b32 exec_lo, exec_lo, s3
	v_cmp_lt_u32_e32 vcc_lo, v41, v59
	s_or_b32 s4, s23, vcc_lo
	s_delay_alu instid0(SALU_CYCLE_1)
	s_and_saveexec_b32 s3, s4
	s_cbranch_execz .LBB159_177
; %bb.175:
	v_and_b32_e32 v17, 1, v36
	s_delay_alu instid0(VALU_DEP_1)
	v_cmp_eq_u32_e32 vcc_lo, 1, v17
	s_and_b32 exec_lo, exec_lo, vcc_lo
	s_cbranch_execz .LBB159_177
; %bb.176:
	v_mov_b32_e32 v42, 0
	s_delay_alu instid0(VALU_DEP_1) | instskip(NEXT) | instid1(VALU_DEP_1)
	v_lshlrev_b64 v[17:18], 3, v[41:42]
	v_add_co_u32 v17, vcc_lo, s0, v17
	s_delay_alu instid0(VALU_DEP_2)
	v_add_co_ci_u32_e32 v18, vcc_lo, s1, v18, vcc_lo
	global_store_b64 v[17:18], v[1:2], off
.LBB159_177:
	s_or_b32 exec_lo, exec_lo, s3
	v_cmp_lt_u32_e32 vcc_lo, v39, v59
	s_or_b32 s4, s23, vcc_lo
	s_delay_alu instid0(SALU_CYCLE_1)
	s_and_saveexec_b32 s3, s4
	s_cbranch_execz .LBB159_180
; %bb.178:
	v_and_b32_e32 v17, 1, v56
	s_delay_alu instid0(VALU_DEP_1)
	v_cmp_eq_u32_e32 vcc_lo, 1, v17
	s_and_b32 exec_lo, exec_lo, vcc_lo
	s_cbranch_execz .LBB159_180
; %bb.179:
	v_mov_b32_e32 v40, 0
	s_delay_alu instid0(VALU_DEP_1) | instskip(NEXT) | instid1(VALU_DEP_1)
	v_lshlrev_b64 v[17:18], 3, v[39:40]
	v_add_co_u32 v17, vcc_lo, s0, v17
	s_delay_alu instid0(VALU_DEP_2)
	v_add_co_ci_u32_e32 v18, vcc_lo, s1, v18, vcc_lo
	global_store_b64 v[17:18], v[3:4], off
.LBB159_180:
	s_or_b32 exec_lo, exec_lo, s3
.LBB159_181:
	s_and_b32 s0, s2, s22
	s_delay_alu instid0(SALU_CYCLE_1)
	s_and_saveexec_b32 s1, s0
	s_cbranch_execz .LBB159_204
.LBB159_182:
	v_add_co_u32 v0, s0, s10, v35
	s_delay_alu instid0(VALU_DEP_1) | instskip(SKIP_1) | instid1(VALU_DEP_3)
	v_add_co_ci_u32_e64 v1, null, s11, 0, s0
	v_mov_b32_e32 v2, 0
	v_add_co_u32 v0, vcc_lo, v0, s8
	s_delay_alu instid0(VALU_DEP_3)
	v_add_co_ci_u32_e32 v1, vcc_lo, 0, v1, vcc_lo
	global_store_b64 v2, v[0:1], s[12:13]
	s_nop 0
	s_sendmsg sendmsg(MSG_DEALLOC_VGPRS)
	s_endpgm
.LBB159_183:
	s_and_b32 vcc_lo, exec_lo, s0
	s_cbranch_vccz .LBB159_181
; %bb.184:
	s_mov_b32 s0, exec_lo
	v_cmpx_eq_u32_e32 1, v33
	s_cbranch_execz .LBB159_186
; %bb.185:
	v_subrev_nc_u32_e32 v17, s8, v53
	s_delay_alu instid0(VALU_DEP_1)
	v_lshlrev_b32_e32 v17, 3, v17
	ds_store_b64 v17, v[13:14]
.LBB159_186:
	s_or_b32 exec_lo, exec_lo, s0
	v_and_b32_e32 v13, 1, v58
	s_mov_b32 s0, exec_lo
	s_delay_alu instid0(VALU_DEP_1)
	v_cmpx_eq_u32_e32 1, v13
	s_cbranch_execz .LBB159_188
; %bb.187:
	v_subrev_nc_u32_e32 v13, s8, v51
	s_delay_alu instid0(VALU_DEP_1)
	v_lshlrev_b32_e32 v13, 3, v13
	ds_store_b64 v13, v[15:16]
.LBB159_188:
	s_or_b32 exec_lo, exec_lo, s0
	v_and_b32_e32 v13, 1, v57
	s_mov_b32 s0, exec_lo
	s_delay_alu instid0(VALU_DEP_1)
	;; [unrolled: 12-line block ×7, first 2 shown]
	v_cmpx_eq_u32_e32 1, v1
	s_cbranch_execz .LBB159_200
; %bb.199:
	v_subrev_nc_u32_e32 v1, s8, v39
	s_delay_alu instid0(VALU_DEP_1)
	v_lshlrev_b32_e32 v1, 3, v1
	ds_store_b64 v1, v[3:4]
.LBB159_200:
	s_or_b32 exec_lo, exec_lo, s0
	s_delay_alu instid0(SALU_CYCLE_1)
	s_mov_b32 s1, exec_lo
	s_waitcnt lgkmcnt(0)
	s_waitcnt_vscnt null, 0x0
	s_barrier
	buffer_gl0_inv
	v_cmpx_lt_u32_e64 v0, v35
	s_cbranch_execz .LBB159_203
; %bb.201:
	s_mov_b32 s9, 0
	s_lshl_b64 s[4:5], s[10:11], 3
	s_lshl_b64 s[6:7], s[8:9], 3
	s_delay_alu instid0(SALU_CYCLE_1) | instskip(SKIP_4) | instid1(VALU_DEP_1)
	s_add_u32 s0, s4, s6
	s_addc_u32 s3, s5, s7
	s_add_u32 s0, s18, s0
	s_addc_u32 s3, s19, s3
	v_add_co_u32 v1, s0, s0, v55
	v_add_co_ci_u32_e64 v2, null, s3, 0, s0
	.p2align	6
.LBB159_202:                            ; =>This Inner Loop Header: Depth=1
	ds_load_b64 v[3:4], v55
	v_add_nc_u32_e32 v0, 0x200, v0
	v_add_nc_u32_e32 v55, 0x1000, v55
	s_delay_alu instid0(VALU_DEP_2) | instskip(SKIP_4) | instid1(VALU_DEP_1)
	v_cmp_ge_u32_e32 vcc_lo, v0, v35
	s_or_b32 s9, vcc_lo, s9
	s_waitcnt lgkmcnt(0)
	global_store_b64 v[1:2], v[3:4], off
	v_add_co_u32 v1, s0, 0x1000, v1
	v_add_co_ci_u32_e64 v2, s0, 0, v2, s0
	s_and_not1_b32 exec_lo, exec_lo, s9
	s_cbranch_execnz .LBB159_202
.LBB159_203:
	s_or_b32 exec_lo, exec_lo, s1
	s_and_b32 s0, s2, s22
	s_delay_alu instid0(SALU_CYCLE_1)
	s_and_saveexec_b32 s1, s0
	s_cbranch_execnz .LBB159_182
.LBB159_204:
	s_nop 0
	s_sendmsg sendmsg(MSG_DEALLOC_VGPRS)
	s_endpgm
	.section	.rodata,"a",@progbits
	.p2align	6, 0x0
	.amdhsa_kernel _ZN7rocprim17ROCPRIM_400000_NS6detail17trampoline_kernelINS0_14default_configENS1_25partition_config_selectorILNS1_17partition_subalgoE9EyybEEZZNS1_14partition_implILS5_9ELb0ES3_jN6thrust23THRUST_200600_302600_NS6detail15normal_iteratorINS9_10device_ptrIyEEEESE_PNS0_10empty_typeENS0_5tupleIJSE_SF_EEENSH_IJSE_SG_EEENS0_18inequality_wrapperINS9_8equal_toIyEEEEPmJSF_EEE10hipError_tPvRmT3_T4_T5_T6_T7_T9_mT8_P12ihipStream_tbDpT10_ENKUlT_T0_E_clISt17integral_constantIbLb1EES18_EEDaS13_S14_EUlS13_E_NS1_11comp_targetILNS1_3genE9ELNS1_11target_archE1100ELNS1_3gpuE3ELNS1_3repE0EEENS1_30default_config_static_selectorELNS0_4arch9wavefront6targetE0EEEvT1_
		.amdhsa_group_segment_fixed_size 33800
		.amdhsa_private_segment_fixed_size 0
		.amdhsa_kernarg_size 128
		.amdhsa_user_sgpr_count 15
		.amdhsa_user_sgpr_dispatch_ptr 0
		.amdhsa_user_sgpr_queue_ptr 0
		.amdhsa_user_sgpr_kernarg_segment_ptr 1
		.amdhsa_user_sgpr_dispatch_id 0
		.amdhsa_user_sgpr_private_segment_size 0
		.amdhsa_wavefront_size32 1
		.amdhsa_uses_dynamic_stack 0
		.amdhsa_enable_private_segment 0
		.amdhsa_system_sgpr_workgroup_id_x 1
		.amdhsa_system_sgpr_workgroup_id_y 0
		.amdhsa_system_sgpr_workgroup_id_z 0
		.amdhsa_system_sgpr_workgroup_info 0
		.amdhsa_system_vgpr_workitem_id 0
		.amdhsa_next_free_vgpr 68
		.amdhsa_next_free_sgpr 29
		.amdhsa_reserve_vcc 1
		.amdhsa_float_round_mode_32 0
		.amdhsa_float_round_mode_16_64 0
		.amdhsa_float_denorm_mode_32 3
		.amdhsa_float_denorm_mode_16_64 3
		.amdhsa_dx10_clamp 1
		.amdhsa_ieee_mode 1
		.amdhsa_fp16_overflow 0
		.amdhsa_workgroup_processor_mode 1
		.amdhsa_memory_ordered 1
		.amdhsa_forward_progress 0
		.amdhsa_shared_vgpr_count 0
		.amdhsa_exception_fp_ieee_invalid_op 0
		.amdhsa_exception_fp_denorm_src 0
		.amdhsa_exception_fp_ieee_div_zero 0
		.amdhsa_exception_fp_ieee_overflow 0
		.amdhsa_exception_fp_ieee_underflow 0
		.amdhsa_exception_fp_ieee_inexact 0
		.amdhsa_exception_int_div_zero 0
	.end_amdhsa_kernel
	.section	.text._ZN7rocprim17ROCPRIM_400000_NS6detail17trampoline_kernelINS0_14default_configENS1_25partition_config_selectorILNS1_17partition_subalgoE9EyybEEZZNS1_14partition_implILS5_9ELb0ES3_jN6thrust23THRUST_200600_302600_NS6detail15normal_iteratorINS9_10device_ptrIyEEEESE_PNS0_10empty_typeENS0_5tupleIJSE_SF_EEENSH_IJSE_SG_EEENS0_18inequality_wrapperINS9_8equal_toIyEEEEPmJSF_EEE10hipError_tPvRmT3_T4_T5_T6_T7_T9_mT8_P12ihipStream_tbDpT10_ENKUlT_T0_E_clISt17integral_constantIbLb1EES18_EEDaS13_S14_EUlS13_E_NS1_11comp_targetILNS1_3genE9ELNS1_11target_archE1100ELNS1_3gpuE3ELNS1_3repE0EEENS1_30default_config_static_selectorELNS0_4arch9wavefront6targetE0EEEvT1_,"axG",@progbits,_ZN7rocprim17ROCPRIM_400000_NS6detail17trampoline_kernelINS0_14default_configENS1_25partition_config_selectorILNS1_17partition_subalgoE9EyybEEZZNS1_14partition_implILS5_9ELb0ES3_jN6thrust23THRUST_200600_302600_NS6detail15normal_iteratorINS9_10device_ptrIyEEEESE_PNS0_10empty_typeENS0_5tupleIJSE_SF_EEENSH_IJSE_SG_EEENS0_18inequality_wrapperINS9_8equal_toIyEEEEPmJSF_EEE10hipError_tPvRmT3_T4_T5_T6_T7_T9_mT8_P12ihipStream_tbDpT10_ENKUlT_T0_E_clISt17integral_constantIbLb1EES18_EEDaS13_S14_EUlS13_E_NS1_11comp_targetILNS1_3genE9ELNS1_11target_archE1100ELNS1_3gpuE3ELNS1_3repE0EEENS1_30default_config_static_selectorELNS0_4arch9wavefront6targetE0EEEvT1_,comdat
.Lfunc_end159:
	.size	_ZN7rocprim17ROCPRIM_400000_NS6detail17trampoline_kernelINS0_14default_configENS1_25partition_config_selectorILNS1_17partition_subalgoE9EyybEEZZNS1_14partition_implILS5_9ELb0ES3_jN6thrust23THRUST_200600_302600_NS6detail15normal_iteratorINS9_10device_ptrIyEEEESE_PNS0_10empty_typeENS0_5tupleIJSE_SF_EEENSH_IJSE_SG_EEENS0_18inequality_wrapperINS9_8equal_toIyEEEEPmJSF_EEE10hipError_tPvRmT3_T4_T5_T6_T7_T9_mT8_P12ihipStream_tbDpT10_ENKUlT_T0_E_clISt17integral_constantIbLb1EES18_EEDaS13_S14_EUlS13_E_NS1_11comp_targetILNS1_3genE9ELNS1_11target_archE1100ELNS1_3gpuE3ELNS1_3repE0EEENS1_30default_config_static_selectorELNS0_4arch9wavefront6targetE0EEEvT1_, .Lfunc_end159-_ZN7rocprim17ROCPRIM_400000_NS6detail17trampoline_kernelINS0_14default_configENS1_25partition_config_selectorILNS1_17partition_subalgoE9EyybEEZZNS1_14partition_implILS5_9ELb0ES3_jN6thrust23THRUST_200600_302600_NS6detail15normal_iteratorINS9_10device_ptrIyEEEESE_PNS0_10empty_typeENS0_5tupleIJSE_SF_EEENSH_IJSE_SG_EEENS0_18inequality_wrapperINS9_8equal_toIyEEEEPmJSF_EEE10hipError_tPvRmT3_T4_T5_T6_T7_T9_mT8_P12ihipStream_tbDpT10_ENKUlT_T0_E_clISt17integral_constantIbLb1EES18_EEDaS13_S14_EUlS13_E_NS1_11comp_targetILNS1_3genE9ELNS1_11target_archE1100ELNS1_3gpuE3ELNS1_3repE0EEENS1_30default_config_static_selectorELNS0_4arch9wavefront6targetE0EEEvT1_
                                        ; -- End function
	.section	.AMDGPU.csdata,"",@progbits
; Kernel info:
; codeLenInByte = 9560
; NumSgprs: 31
; NumVgprs: 68
; ScratchSize: 0
; MemoryBound: 0
; FloatMode: 240
; IeeeMode: 1
; LDSByteSize: 33800 bytes/workgroup (compile time only)
; SGPRBlocks: 3
; VGPRBlocks: 8
; NumSGPRsForWavesPerEU: 31
; NumVGPRsForWavesPerEU: 68
; Occupancy: 12
; WaveLimiterHint : 1
; COMPUTE_PGM_RSRC2:SCRATCH_EN: 0
; COMPUTE_PGM_RSRC2:USER_SGPR: 15
; COMPUTE_PGM_RSRC2:TRAP_HANDLER: 0
; COMPUTE_PGM_RSRC2:TGID_X_EN: 1
; COMPUTE_PGM_RSRC2:TGID_Y_EN: 0
; COMPUTE_PGM_RSRC2:TGID_Z_EN: 0
; COMPUTE_PGM_RSRC2:TIDIG_COMP_CNT: 0
	.section	.text._ZN7rocprim17ROCPRIM_400000_NS6detail17trampoline_kernelINS0_14default_configENS1_25partition_config_selectorILNS1_17partition_subalgoE9EyybEEZZNS1_14partition_implILS5_9ELb0ES3_jN6thrust23THRUST_200600_302600_NS6detail15normal_iteratorINS9_10device_ptrIyEEEESE_PNS0_10empty_typeENS0_5tupleIJSE_SF_EEENSH_IJSE_SG_EEENS0_18inequality_wrapperINS9_8equal_toIyEEEEPmJSF_EEE10hipError_tPvRmT3_T4_T5_T6_T7_T9_mT8_P12ihipStream_tbDpT10_ENKUlT_T0_E_clISt17integral_constantIbLb1EES18_EEDaS13_S14_EUlS13_E_NS1_11comp_targetILNS1_3genE8ELNS1_11target_archE1030ELNS1_3gpuE2ELNS1_3repE0EEENS1_30default_config_static_selectorELNS0_4arch9wavefront6targetE0EEEvT1_,"axG",@progbits,_ZN7rocprim17ROCPRIM_400000_NS6detail17trampoline_kernelINS0_14default_configENS1_25partition_config_selectorILNS1_17partition_subalgoE9EyybEEZZNS1_14partition_implILS5_9ELb0ES3_jN6thrust23THRUST_200600_302600_NS6detail15normal_iteratorINS9_10device_ptrIyEEEESE_PNS0_10empty_typeENS0_5tupleIJSE_SF_EEENSH_IJSE_SG_EEENS0_18inequality_wrapperINS9_8equal_toIyEEEEPmJSF_EEE10hipError_tPvRmT3_T4_T5_T6_T7_T9_mT8_P12ihipStream_tbDpT10_ENKUlT_T0_E_clISt17integral_constantIbLb1EES18_EEDaS13_S14_EUlS13_E_NS1_11comp_targetILNS1_3genE8ELNS1_11target_archE1030ELNS1_3gpuE2ELNS1_3repE0EEENS1_30default_config_static_selectorELNS0_4arch9wavefront6targetE0EEEvT1_,comdat
	.protected	_ZN7rocprim17ROCPRIM_400000_NS6detail17trampoline_kernelINS0_14default_configENS1_25partition_config_selectorILNS1_17partition_subalgoE9EyybEEZZNS1_14partition_implILS5_9ELb0ES3_jN6thrust23THRUST_200600_302600_NS6detail15normal_iteratorINS9_10device_ptrIyEEEESE_PNS0_10empty_typeENS0_5tupleIJSE_SF_EEENSH_IJSE_SG_EEENS0_18inequality_wrapperINS9_8equal_toIyEEEEPmJSF_EEE10hipError_tPvRmT3_T4_T5_T6_T7_T9_mT8_P12ihipStream_tbDpT10_ENKUlT_T0_E_clISt17integral_constantIbLb1EES18_EEDaS13_S14_EUlS13_E_NS1_11comp_targetILNS1_3genE8ELNS1_11target_archE1030ELNS1_3gpuE2ELNS1_3repE0EEENS1_30default_config_static_selectorELNS0_4arch9wavefront6targetE0EEEvT1_ ; -- Begin function _ZN7rocprim17ROCPRIM_400000_NS6detail17trampoline_kernelINS0_14default_configENS1_25partition_config_selectorILNS1_17partition_subalgoE9EyybEEZZNS1_14partition_implILS5_9ELb0ES3_jN6thrust23THRUST_200600_302600_NS6detail15normal_iteratorINS9_10device_ptrIyEEEESE_PNS0_10empty_typeENS0_5tupleIJSE_SF_EEENSH_IJSE_SG_EEENS0_18inequality_wrapperINS9_8equal_toIyEEEEPmJSF_EEE10hipError_tPvRmT3_T4_T5_T6_T7_T9_mT8_P12ihipStream_tbDpT10_ENKUlT_T0_E_clISt17integral_constantIbLb1EES18_EEDaS13_S14_EUlS13_E_NS1_11comp_targetILNS1_3genE8ELNS1_11target_archE1030ELNS1_3gpuE2ELNS1_3repE0EEENS1_30default_config_static_selectorELNS0_4arch9wavefront6targetE0EEEvT1_
	.globl	_ZN7rocprim17ROCPRIM_400000_NS6detail17trampoline_kernelINS0_14default_configENS1_25partition_config_selectorILNS1_17partition_subalgoE9EyybEEZZNS1_14partition_implILS5_9ELb0ES3_jN6thrust23THRUST_200600_302600_NS6detail15normal_iteratorINS9_10device_ptrIyEEEESE_PNS0_10empty_typeENS0_5tupleIJSE_SF_EEENSH_IJSE_SG_EEENS0_18inequality_wrapperINS9_8equal_toIyEEEEPmJSF_EEE10hipError_tPvRmT3_T4_T5_T6_T7_T9_mT8_P12ihipStream_tbDpT10_ENKUlT_T0_E_clISt17integral_constantIbLb1EES18_EEDaS13_S14_EUlS13_E_NS1_11comp_targetILNS1_3genE8ELNS1_11target_archE1030ELNS1_3gpuE2ELNS1_3repE0EEENS1_30default_config_static_selectorELNS0_4arch9wavefront6targetE0EEEvT1_
	.p2align	8
	.type	_ZN7rocprim17ROCPRIM_400000_NS6detail17trampoline_kernelINS0_14default_configENS1_25partition_config_selectorILNS1_17partition_subalgoE9EyybEEZZNS1_14partition_implILS5_9ELb0ES3_jN6thrust23THRUST_200600_302600_NS6detail15normal_iteratorINS9_10device_ptrIyEEEESE_PNS0_10empty_typeENS0_5tupleIJSE_SF_EEENSH_IJSE_SG_EEENS0_18inequality_wrapperINS9_8equal_toIyEEEEPmJSF_EEE10hipError_tPvRmT3_T4_T5_T6_T7_T9_mT8_P12ihipStream_tbDpT10_ENKUlT_T0_E_clISt17integral_constantIbLb1EES18_EEDaS13_S14_EUlS13_E_NS1_11comp_targetILNS1_3genE8ELNS1_11target_archE1030ELNS1_3gpuE2ELNS1_3repE0EEENS1_30default_config_static_selectorELNS0_4arch9wavefront6targetE0EEEvT1_,@function
_ZN7rocprim17ROCPRIM_400000_NS6detail17trampoline_kernelINS0_14default_configENS1_25partition_config_selectorILNS1_17partition_subalgoE9EyybEEZZNS1_14partition_implILS5_9ELb0ES3_jN6thrust23THRUST_200600_302600_NS6detail15normal_iteratorINS9_10device_ptrIyEEEESE_PNS0_10empty_typeENS0_5tupleIJSE_SF_EEENSH_IJSE_SG_EEENS0_18inequality_wrapperINS9_8equal_toIyEEEEPmJSF_EEE10hipError_tPvRmT3_T4_T5_T6_T7_T9_mT8_P12ihipStream_tbDpT10_ENKUlT_T0_E_clISt17integral_constantIbLb1EES18_EEDaS13_S14_EUlS13_E_NS1_11comp_targetILNS1_3genE8ELNS1_11target_archE1030ELNS1_3gpuE2ELNS1_3repE0EEENS1_30default_config_static_selectorELNS0_4arch9wavefront6targetE0EEEvT1_: ; @_ZN7rocprim17ROCPRIM_400000_NS6detail17trampoline_kernelINS0_14default_configENS1_25partition_config_selectorILNS1_17partition_subalgoE9EyybEEZZNS1_14partition_implILS5_9ELb0ES3_jN6thrust23THRUST_200600_302600_NS6detail15normal_iteratorINS9_10device_ptrIyEEEESE_PNS0_10empty_typeENS0_5tupleIJSE_SF_EEENSH_IJSE_SG_EEENS0_18inequality_wrapperINS9_8equal_toIyEEEEPmJSF_EEE10hipError_tPvRmT3_T4_T5_T6_T7_T9_mT8_P12ihipStream_tbDpT10_ENKUlT_T0_E_clISt17integral_constantIbLb1EES18_EEDaS13_S14_EUlS13_E_NS1_11comp_targetILNS1_3genE8ELNS1_11target_archE1030ELNS1_3gpuE2ELNS1_3repE0EEENS1_30default_config_static_selectorELNS0_4arch9wavefront6targetE0EEEvT1_
; %bb.0:
	.section	.rodata,"a",@progbits
	.p2align	6, 0x0
	.amdhsa_kernel _ZN7rocprim17ROCPRIM_400000_NS6detail17trampoline_kernelINS0_14default_configENS1_25partition_config_selectorILNS1_17partition_subalgoE9EyybEEZZNS1_14partition_implILS5_9ELb0ES3_jN6thrust23THRUST_200600_302600_NS6detail15normal_iteratorINS9_10device_ptrIyEEEESE_PNS0_10empty_typeENS0_5tupleIJSE_SF_EEENSH_IJSE_SG_EEENS0_18inequality_wrapperINS9_8equal_toIyEEEEPmJSF_EEE10hipError_tPvRmT3_T4_T5_T6_T7_T9_mT8_P12ihipStream_tbDpT10_ENKUlT_T0_E_clISt17integral_constantIbLb1EES18_EEDaS13_S14_EUlS13_E_NS1_11comp_targetILNS1_3genE8ELNS1_11target_archE1030ELNS1_3gpuE2ELNS1_3repE0EEENS1_30default_config_static_selectorELNS0_4arch9wavefront6targetE0EEEvT1_
		.amdhsa_group_segment_fixed_size 0
		.amdhsa_private_segment_fixed_size 0
		.amdhsa_kernarg_size 128
		.amdhsa_user_sgpr_count 15
		.amdhsa_user_sgpr_dispatch_ptr 0
		.amdhsa_user_sgpr_queue_ptr 0
		.amdhsa_user_sgpr_kernarg_segment_ptr 1
		.amdhsa_user_sgpr_dispatch_id 0
		.amdhsa_user_sgpr_private_segment_size 0
		.amdhsa_wavefront_size32 1
		.amdhsa_uses_dynamic_stack 0
		.amdhsa_enable_private_segment 0
		.amdhsa_system_sgpr_workgroup_id_x 1
		.amdhsa_system_sgpr_workgroup_id_y 0
		.amdhsa_system_sgpr_workgroup_id_z 0
		.amdhsa_system_sgpr_workgroup_info 0
		.amdhsa_system_vgpr_workitem_id 0
		.amdhsa_next_free_vgpr 1
		.amdhsa_next_free_sgpr 1
		.amdhsa_reserve_vcc 0
		.amdhsa_float_round_mode_32 0
		.amdhsa_float_round_mode_16_64 0
		.amdhsa_float_denorm_mode_32 3
		.amdhsa_float_denorm_mode_16_64 3
		.amdhsa_dx10_clamp 1
		.amdhsa_ieee_mode 1
		.amdhsa_fp16_overflow 0
		.amdhsa_workgroup_processor_mode 1
		.amdhsa_memory_ordered 1
		.amdhsa_forward_progress 0
		.amdhsa_shared_vgpr_count 0
		.amdhsa_exception_fp_ieee_invalid_op 0
		.amdhsa_exception_fp_denorm_src 0
		.amdhsa_exception_fp_ieee_div_zero 0
		.amdhsa_exception_fp_ieee_overflow 0
		.amdhsa_exception_fp_ieee_underflow 0
		.amdhsa_exception_fp_ieee_inexact 0
		.amdhsa_exception_int_div_zero 0
	.end_amdhsa_kernel
	.section	.text._ZN7rocprim17ROCPRIM_400000_NS6detail17trampoline_kernelINS0_14default_configENS1_25partition_config_selectorILNS1_17partition_subalgoE9EyybEEZZNS1_14partition_implILS5_9ELb0ES3_jN6thrust23THRUST_200600_302600_NS6detail15normal_iteratorINS9_10device_ptrIyEEEESE_PNS0_10empty_typeENS0_5tupleIJSE_SF_EEENSH_IJSE_SG_EEENS0_18inequality_wrapperINS9_8equal_toIyEEEEPmJSF_EEE10hipError_tPvRmT3_T4_T5_T6_T7_T9_mT8_P12ihipStream_tbDpT10_ENKUlT_T0_E_clISt17integral_constantIbLb1EES18_EEDaS13_S14_EUlS13_E_NS1_11comp_targetILNS1_3genE8ELNS1_11target_archE1030ELNS1_3gpuE2ELNS1_3repE0EEENS1_30default_config_static_selectorELNS0_4arch9wavefront6targetE0EEEvT1_,"axG",@progbits,_ZN7rocprim17ROCPRIM_400000_NS6detail17trampoline_kernelINS0_14default_configENS1_25partition_config_selectorILNS1_17partition_subalgoE9EyybEEZZNS1_14partition_implILS5_9ELb0ES3_jN6thrust23THRUST_200600_302600_NS6detail15normal_iteratorINS9_10device_ptrIyEEEESE_PNS0_10empty_typeENS0_5tupleIJSE_SF_EEENSH_IJSE_SG_EEENS0_18inequality_wrapperINS9_8equal_toIyEEEEPmJSF_EEE10hipError_tPvRmT3_T4_T5_T6_T7_T9_mT8_P12ihipStream_tbDpT10_ENKUlT_T0_E_clISt17integral_constantIbLb1EES18_EEDaS13_S14_EUlS13_E_NS1_11comp_targetILNS1_3genE8ELNS1_11target_archE1030ELNS1_3gpuE2ELNS1_3repE0EEENS1_30default_config_static_selectorELNS0_4arch9wavefront6targetE0EEEvT1_,comdat
.Lfunc_end160:
	.size	_ZN7rocprim17ROCPRIM_400000_NS6detail17trampoline_kernelINS0_14default_configENS1_25partition_config_selectorILNS1_17partition_subalgoE9EyybEEZZNS1_14partition_implILS5_9ELb0ES3_jN6thrust23THRUST_200600_302600_NS6detail15normal_iteratorINS9_10device_ptrIyEEEESE_PNS0_10empty_typeENS0_5tupleIJSE_SF_EEENSH_IJSE_SG_EEENS0_18inequality_wrapperINS9_8equal_toIyEEEEPmJSF_EEE10hipError_tPvRmT3_T4_T5_T6_T7_T9_mT8_P12ihipStream_tbDpT10_ENKUlT_T0_E_clISt17integral_constantIbLb1EES18_EEDaS13_S14_EUlS13_E_NS1_11comp_targetILNS1_3genE8ELNS1_11target_archE1030ELNS1_3gpuE2ELNS1_3repE0EEENS1_30default_config_static_selectorELNS0_4arch9wavefront6targetE0EEEvT1_, .Lfunc_end160-_ZN7rocprim17ROCPRIM_400000_NS6detail17trampoline_kernelINS0_14default_configENS1_25partition_config_selectorILNS1_17partition_subalgoE9EyybEEZZNS1_14partition_implILS5_9ELb0ES3_jN6thrust23THRUST_200600_302600_NS6detail15normal_iteratorINS9_10device_ptrIyEEEESE_PNS0_10empty_typeENS0_5tupleIJSE_SF_EEENSH_IJSE_SG_EEENS0_18inequality_wrapperINS9_8equal_toIyEEEEPmJSF_EEE10hipError_tPvRmT3_T4_T5_T6_T7_T9_mT8_P12ihipStream_tbDpT10_ENKUlT_T0_E_clISt17integral_constantIbLb1EES18_EEDaS13_S14_EUlS13_E_NS1_11comp_targetILNS1_3genE8ELNS1_11target_archE1030ELNS1_3gpuE2ELNS1_3repE0EEENS1_30default_config_static_selectorELNS0_4arch9wavefront6targetE0EEEvT1_
                                        ; -- End function
	.section	.AMDGPU.csdata,"",@progbits
; Kernel info:
; codeLenInByte = 0
; NumSgprs: 0
; NumVgprs: 0
; ScratchSize: 0
; MemoryBound: 0
; FloatMode: 240
; IeeeMode: 1
; LDSByteSize: 0 bytes/workgroup (compile time only)
; SGPRBlocks: 0
; VGPRBlocks: 0
; NumSGPRsForWavesPerEU: 1
; NumVGPRsForWavesPerEU: 1
; Occupancy: 16
; WaveLimiterHint : 0
; COMPUTE_PGM_RSRC2:SCRATCH_EN: 0
; COMPUTE_PGM_RSRC2:USER_SGPR: 15
; COMPUTE_PGM_RSRC2:TRAP_HANDLER: 0
; COMPUTE_PGM_RSRC2:TGID_X_EN: 1
; COMPUTE_PGM_RSRC2:TGID_Y_EN: 0
; COMPUTE_PGM_RSRC2:TGID_Z_EN: 0
; COMPUTE_PGM_RSRC2:TIDIG_COMP_CNT: 0
	.section	.text._ZN7rocprim17ROCPRIM_400000_NS6detail17trampoline_kernelINS0_14default_configENS1_25partition_config_selectorILNS1_17partition_subalgoE9EyybEEZZNS1_14partition_implILS5_9ELb0ES3_jN6thrust23THRUST_200600_302600_NS6detail15normal_iteratorINS9_10device_ptrIyEEEESE_PNS0_10empty_typeENS0_5tupleIJSE_SF_EEENSH_IJSE_SG_EEENS0_18inequality_wrapperINS9_8equal_toIyEEEEPmJSF_EEE10hipError_tPvRmT3_T4_T5_T6_T7_T9_mT8_P12ihipStream_tbDpT10_ENKUlT_T0_E_clISt17integral_constantIbLb1EES17_IbLb0EEEEDaS13_S14_EUlS13_E_NS1_11comp_targetILNS1_3genE0ELNS1_11target_archE4294967295ELNS1_3gpuE0ELNS1_3repE0EEENS1_30default_config_static_selectorELNS0_4arch9wavefront6targetE0EEEvT1_,"axG",@progbits,_ZN7rocprim17ROCPRIM_400000_NS6detail17trampoline_kernelINS0_14default_configENS1_25partition_config_selectorILNS1_17partition_subalgoE9EyybEEZZNS1_14partition_implILS5_9ELb0ES3_jN6thrust23THRUST_200600_302600_NS6detail15normal_iteratorINS9_10device_ptrIyEEEESE_PNS0_10empty_typeENS0_5tupleIJSE_SF_EEENSH_IJSE_SG_EEENS0_18inequality_wrapperINS9_8equal_toIyEEEEPmJSF_EEE10hipError_tPvRmT3_T4_T5_T6_T7_T9_mT8_P12ihipStream_tbDpT10_ENKUlT_T0_E_clISt17integral_constantIbLb1EES17_IbLb0EEEEDaS13_S14_EUlS13_E_NS1_11comp_targetILNS1_3genE0ELNS1_11target_archE4294967295ELNS1_3gpuE0ELNS1_3repE0EEENS1_30default_config_static_selectorELNS0_4arch9wavefront6targetE0EEEvT1_,comdat
	.protected	_ZN7rocprim17ROCPRIM_400000_NS6detail17trampoline_kernelINS0_14default_configENS1_25partition_config_selectorILNS1_17partition_subalgoE9EyybEEZZNS1_14partition_implILS5_9ELb0ES3_jN6thrust23THRUST_200600_302600_NS6detail15normal_iteratorINS9_10device_ptrIyEEEESE_PNS0_10empty_typeENS0_5tupleIJSE_SF_EEENSH_IJSE_SG_EEENS0_18inequality_wrapperINS9_8equal_toIyEEEEPmJSF_EEE10hipError_tPvRmT3_T4_T5_T6_T7_T9_mT8_P12ihipStream_tbDpT10_ENKUlT_T0_E_clISt17integral_constantIbLb1EES17_IbLb0EEEEDaS13_S14_EUlS13_E_NS1_11comp_targetILNS1_3genE0ELNS1_11target_archE4294967295ELNS1_3gpuE0ELNS1_3repE0EEENS1_30default_config_static_selectorELNS0_4arch9wavefront6targetE0EEEvT1_ ; -- Begin function _ZN7rocprim17ROCPRIM_400000_NS6detail17trampoline_kernelINS0_14default_configENS1_25partition_config_selectorILNS1_17partition_subalgoE9EyybEEZZNS1_14partition_implILS5_9ELb0ES3_jN6thrust23THRUST_200600_302600_NS6detail15normal_iteratorINS9_10device_ptrIyEEEESE_PNS0_10empty_typeENS0_5tupleIJSE_SF_EEENSH_IJSE_SG_EEENS0_18inequality_wrapperINS9_8equal_toIyEEEEPmJSF_EEE10hipError_tPvRmT3_T4_T5_T6_T7_T9_mT8_P12ihipStream_tbDpT10_ENKUlT_T0_E_clISt17integral_constantIbLb1EES17_IbLb0EEEEDaS13_S14_EUlS13_E_NS1_11comp_targetILNS1_3genE0ELNS1_11target_archE4294967295ELNS1_3gpuE0ELNS1_3repE0EEENS1_30default_config_static_selectorELNS0_4arch9wavefront6targetE0EEEvT1_
	.globl	_ZN7rocprim17ROCPRIM_400000_NS6detail17trampoline_kernelINS0_14default_configENS1_25partition_config_selectorILNS1_17partition_subalgoE9EyybEEZZNS1_14partition_implILS5_9ELb0ES3_jN6thrust23THRUST_200600_302600_NS6detail15normal_iteratorINS9_10device_ptrIyEEEESE_PNS0_10empty_typeENS0_5tupleIJSE_SF_EEENSH_IJSE_SG_EEENS0_18inequality_wrapperINS9_8equal_toIyEEEEPmJSF_EEE10hipError_tPvRmT3_T4_T5_T6_T7_T9_mT8_P12ihipStream_tbDpT10_ENKUlT_T0_E_clISt17integral_constantIbLb1EES17_IbLb0EEEEDaS13_S14_EUlS13_E_NS1_11comp_targetILNS1_3genE0ELNS1_11target_archE4294967295ELNS1_3gpuE0ELNS1_3repE0EEENS1_30default_config_static_selectorELNS0_4arch9wavefront6targetE0EEEvT1_
	.p2align	8
	.type	_ZN7rocprim17ROCPRIM_400000_NS6detail17trampoline_kernelINS0_14default_configENS1_25partition_config_selectorILNS1_17partition_subalgoE9EyybEEZZNS1_14partition_implILS5_9ELb0ES3_jN6thrust23THRUST_200600_302600_NS6detail15normal_iteratorINS9_10device_ptrIyEEEESE_PNS0_10empty_typeENS0_5tupleIJSE_SF_EEENSH_IJSE_SG_EEENS0_18inequality_wrapperINS9_8equal_toIyEEEEPmJSF_EEE10hipError_tPvRmT3_T4_T5_T6_T7_T9_mT8_P12ihipStream_tbDpT10_ENKUlT_T0_E_clISt17integral_constantIbLb1EES17_IbLb0EEEEDaS13_S14_EUlS13_E_NS1_11comp_targetILNS1_3genE0ELNS1_11target_archE4294967295ELNS1_3gpuE0ELNS1_3repE0EEENS1_30default_config_static_selectorELNS0_4arch9wavefront6targetE0EEEvT1_,@function
_ZN7rocprim17ROCPRIM_400000_NS6detail17trampoline_kernelINS0_14default_configENS1_25partition_config_selectorILNS1_17partition_subalgoE9EyybEEZZNS1_14partition_implILS5_9ELb0ES3_jN6thrust23THRUST_200600_302600_NS6detail15normal_iteratorINS9_10device_ptrIyEEEESE_PNS0_10empty_typeENS0_5tupleIJSE_SF_EEENSH_IJSE_SG_EEENS0_18inequality_wrapperINS9_8equal_toIyEEEEPmJSF_EEE10hipError_tPvRmT3_T4_T5_T6_T7_T9_mT8_P12ihipStream_tbDpT10_ENKUlT_T0_E_clISt17integral_constantIbLb1EES17_IbLb0EEEEDaS13_S14_EUlS13_E_NS1_11comp_targetILNS1_3genE0ELNS1_11target_archE4294967295ELNS1_3gpuE0ELNS1_3repE0EEENS1_30default_config_static_selectorELNS0_4arch9wavefront6targetE0EEEvT1_: ; @_ZN7rocprim17ROCPRIM_400000_NS6detail17trampoline_kernelINS0_14default_configENS1_25partition_config_selectorILNS1_17partition_subalgoE9EyybEEZZNS1_14partition_implILS5_9ELb0ES3_jN6thrust23THRUST_200600_302600_NS6detail15normal_iteratorINS9_10device_ptrIyEEEESE_PNS0_10empty_typeENS0_5tupleIJSE_SF_EEENSH_IJSE_SG_EEENS0_18inequality_wrapperINS9_8equal_toIyEEEEPmJSF_EEE10hipError_tPvRmT3_T4_T5_T6_T7_T9_mT8_P12ihipStream_tbDpT10_ENKUlT_T0_E_clISt17integral_constantIbLb1EES17_IbLb0EEEEDaS13_S14_EUlS13_E_NS1_11comp_targetILNS1_3genE0ELNS1_11target_archE4294967295ELNS1_3gpuE0ELNS1_3repE0EEENS1_30default_config_static_selectorELNS0_4arch9wavefront6targetE0EEEvT1_
; %bb.0:
	.section	.rodata,"a",@progbits
	.p2align	6, 0x0
	.amdhsa_kernel _ZN7rocprim17ROCPRIM_400000_NS6detail17trampoline_kernelINS0_14default_configENS1_25partition_config_selectorILNS1_17partition_subalgoE9EyybEEZZNS1_14partition_implILS5_9ELb0ES3_jN6thrust23THRUST_200600_302600_NS6detail15normal_iteratorINS9_10device_ptrIyEEEESE_PNS0_10empty_typeENS0_5tupleIJSE_SF_EEENSH_IJSE_SG_EEENS0_18inequality_wrapperINS9_8equal_toIyEEEEPmJSF_EEE10hipError_tPvRmT3_T4_T5_T6_T7_T9_mT8_P12ihipStream_tbDpT10_ENKUlT_T0_E_clISt17integral_constantIbLb1EES17_IbLb0EEEEDaS13_S14_EUlS13_E_NS1_11comp_targetILNS1_3genE0ELNS1_11target_archE4294967295ELNS1_3gpuE0ELNS1_3repE0EEENS1_30default_config_static_selectorELNS0_4arch9wavefront6targetE0EEEvT1_
		.amdhsa_group_segment_fixed_size 0
		.amdhsa_private_segment_fixed_size 0
		.amdhsa_kernarg_size 112
		.amdhsa_user_sgpr_count 15
		.amdhsa_user_sgpr_dispatch_ptr 0
		.amdhsa_user_sgpr_queue_ptr 0
		.amdhsa_user_sgpr_kernarg_segment_ptr 1
		.amdhsa_user_sgpr_dispatch_id 0
		.amdhsa_user_sgpr_private_segment_size 0
		.amdhsa_wavefront_size32 1
		.amdhsa_uses_dynamic_stack 0
		.amdhsa_enable_private_segment 0
		.amdhsa_system_sgpr_workgroup_id_x 1
		.amdhsa_system_sgpr_workgroup_id_y 0
		.amdhsa_system_sgpr_workgroup_id_z 0
		.amdhsa_system_sgpr_workgroup_info 0
		.amdhsa_system_vgpr_workitem_id 0
		.amdhsa_next_free_vgpr 1
		.amdhsa_next_free_sgpr 1
		.amdhsa_reserve_vcc 0
		.amdhsa_float_round_mode_32 0
		.amdhsa_float_round_mode_16_64 0
		.amdhsa_float_denorm_mode_32 3
		.amdhsa_float_denorm_mode_16_64 3
		.amdhsa_dx10_clamp 1
		.amdhsa_ieee_mode 1
		.amdhsa_fp16_overflow 0
		.amdhsa_workgroup_processor_mode 1
		.amdhsa_memory_ordered 1
		.amdhsa_forward_progress 0
		.amdhsa_shared_vgpr_count 0
		.amdhsa_exception_fp_ieee_invalid_op 0
		.amdhsa_exception_fp_denorm_src 0
		.amdhsa_exception_fp_ieee_div_zero 0
		.amdhsa_exception_fp_ieee_overflow 0
		.amdhsa_exception_fp_ieee_underflow 0
		.amdhsa_exception_fp_ieee_inexact 0
		.amdhsa_exception_int_div_zero 0
	.end_amdhsa_kernel
	.section	.text._ZN7rocprim17ROCPRIM_400000_NS6detail17trampoline_kernelINS0_14default_configENS1_25partition_config_selectorILNS1_17partition_subalgoE9EyybEEZZNS1_14partition_implILS5_9ELb0ES3_jN6thrust23THRUST_200600_302600_NS6detail15normal_iteratorINS9_10device_ptrIyEEEESE_PNS0_10empty_typeENS0_5tupleIJSE_SF_EEENSH_IJSE_SG_EEENS0_18inequality_wrapperINS9_8equal_toIyEEEEPmJSF_EEE10hipError_tPvRmT3_T4_T5_T6_T7_T9_mT8_P12ihipStream_tbDpT10_ENKUlT_T0_E_clISt17integral_constantIbLb1EES17_IbLb0EEEEDaS13_S14_EUlS13_E_NS1_11comp_targetILNS1_3genE0ELNS1_11target_archE4294967295ELNS1_3gpuE0ELNS1_3repE0EEENS1_30default_config_static_selectorELNS0_4arch9wavefront6targetE0EEEvT1_,"axG",@progbits,_ZN7rocprim17ROCPRIM_400000_NS6detail17trampoline_kernelINS0_14default_configENS1_25partition_config_selectorILNS1_17partition_subalgoE9EyybEEZZNS1_14partition_implILS5_9ELb0ES3_jN6thrust23THRUST_200600_302600_NS6detail15normal_iteratorINS9_10device_ptrIyEEEESE_PNS0_10empty_typeENS0_5tupleIJSE_SF_EEENSH_IJSE_SG_EEENS0_18inequality_wrapperINS9_8equal_toIyEEEEPmJSF_EEE10hipError_tPvRmT3_T4_T5_T6_T7_T9_mT8_P12ihipStream_tbDpT10_ENKUlT_T0_E_clISt17integral_constantIbLb1EES17_IbLb0EEEEDaS13_S14_EUlS13_E_NS1_11comp_targetILNS1_3genE0ELNS1_11target_archE4294967295ELNS1_3gpuE0ELNS1_3repE0EEENS1_30default_config_static_selectorELNS0_4arch9wavefront6targetE0EEEvT1_,comdat
.Lfunc_end161:
	.size	_ZN7rocprim17ROCPRIM_400000_NS6detail17trampoline_kernelINS0_14default_configENS1_25partition_config_selectorILNS1_17partition_subalgoE9EyybEEZZNS1_14partition_implILS5_9ELb0ES3_jN6thrust23THRUST_200600_302600_NS6detail15normal_iteratorINS9_10device_ptrIyEEEESE_PNS0_10empty_typeENS0_5tupleIJSE_SF_EEENSH_IJSE_SG_EEENS0_18inequality_wrapperINS9_8equal_toIyEEEEPmJSF_EEE10hipError_tPvRmT3_T4_T5_T6_T7_T9_mT8_P12ihipStream_tbDpT10_ENKUlT_T0_E_clISt17integral_constantIbLb1EES17_IbLb0EEEEDaS13_S14_EUlS13_E_NS1_11comp_targetILNS1_3genE0ELNS1_11target_archE4294967295ELNS1_3gpuE0ELNS1_3repE0EEENS1_30default_config_static_selectorELNS0_4arch9wavefront6targetE0EEEvT1_, .Lfunc_end161-_ZN7rocprim17ROCPRIM_400000_NS6detail17trampoline_kernelINS0_14default_configENS1_25partition_config_selectorILNS1_17partition_subalgoE9EyybEEZZNS1_14partition_implILS5_9ELb0ES3_jN6thrust23THRUST_200600_302600_NS6detail15normal_iteratorINS9_10device_ptrIyEEEESE_PNS0_10empty_typeENS0_5tupleIJSE_SF_EEENSH_IJSE_SG_EEENS0_18inequality_wrapperINS9_8equal_toIyEEEEPmJSF_EEE10hipError_tPvRmT3_T4_T5_T6_T7_T9_mT8_P12ihipStream_tbDpT10_ENKUlT_T0_E_clISt17integral_constantIbLb1EES17_IbLb0EEEEDaS13_S14_EUlS13_E_NS1_11comp_targetILNS1_3genE0ELNS1_11target_archE4294967295ELNS1_3gpuE0ELNS1_3repE0EEENS1_30default_config_static_selectorELNS0_4arch9wavefront6targetE0EEEvT1_
                                        ; -- End function
	.section	.AMDGPU.csdata,"",@progbits
; Kernel info:
; codeLenInByte = 0
; NumSgprs: 0
; NumVgprs: 0
; ScratchSize: 0
; MemoryBound: 0
; FloatMode: 240
; IeeeMode: 1
; LDSByteSize: 0 bytes/workgroup (compile time only)
; SGPRBlocks: 0
; VGPRBlocks: 0
; NumSGPRsForWavesPerEU: 1
; NumVGPRsForWavesPerEU: 1
; Occupancy: 16
; WaveLimiterHint : 0
; COMPUTE_PGM_RSRC2:SCRATCH_EN: 0
; COMPUTE_PGM_RSRC2:USER_SGPR: 15
; COMPUTE_PGM_RSRC2:TRAP_HANDLER: 0
; COMPUTE_PGM_RSRC2:TGID_X_EN: 1
; COMPUTE_PGM_RSRC2:TGID_Y_EN: 0
; COMPUTE_PGM_RSRC2:TGID_Z_EN: 0
; COMPUTE_PGM_RSRC2:TIDIG_COMP_CNT: 0
	.section	.text._ZN7rocprim17ROCPRIM_400000_NS6detail17trampoline_kernelINS0_14default_configENS1_25partition_config_selectorILNS1_17partition_subalgoE9EyybEEZZNS1_14partition_implILS5_9ELb0ES3_jN6thrust23THRUST_200600_302600_NS6detail15normal_iteratorINS9_10device_ptrIyEEEESE_PNS0_10empty_typeENS0_5tupleIJSE_SF_EEENSH_IJSE_SG_EEENS0_18inequality_wrapperINS9_8equal_toIyEEEEPmJSF_EEE10hipError_tPvRmT3_T4_T5_T6_T7_T9_mT8_P12ihipStream_tbDpT10_ENKUlT_T0_E_clISt17integral_constantIbLb1EES17_IbLb0EEEEDaS13_S14_EUlS13_E_NS1_11comp_targetILNS1_3genE5ELNS1_11target_archE942ELNS1_3gpuE9ELNS1_3repE0EEENS1_30default_config_static_selectorELNS0_4arch9wavefront6targetE0EEEvT1_,"axG",@progbits,_ZN7rocprim17ROCPRIM_400000_NS6detail17trampoline_kernelINS0_14default_configENS1_25partition_config_selectorILNS1_17partition_subalgoE9EyybEEZZNS1_14partition_implILS5_9ELb0ES3_jN6thrust23THRUST_200600_302600_NS6detail15normal_iteratorINS9_10device_ptrIyEEEESE_PNS0_10empty_typeENS0_5tupleIJSE_SF_EEENSH_IJSE_SG_EEENS0_18inequality_wrapperINS9_8equal_toIyEEEEPmJSF_EEE10hipError_tPvRmT3_T4_T5_T6_T7_T9_mT8_P12ihipStream_tbDpT10_ENKUlT_T0_E_clISt17integral_constantIbLb1EES17_IbLb0EEEEDaS13_S14_EUlS13_E_NS1_11comp_targetILNS1_3genE5ELNS1_11target_archE942ELNS1_3gpuE9ELNS1_3repE0EEENS1_30default_config_static_selectorELNS0_4arch9wavefront6targetE0EEEvT1_,comdat
	.protected	_ZN7rocprim17ROCPRIM_400000_NS6detail17trampoline_kernelINS0_14default_configENS1_25partition_config_selectorILNS1_17partition_subalgoE9EyybEEZZNS1_14partition_implILS5_9ELb0ES3_jN6thrust23THRUST_200600_302600_NS6detail15normal_iteratorINS9_10device_ptrIyEEEESE_PNS0_10empty_typeENS0_5tupleIJSE_SF_EEENSH_IJSE_SG_EEENS0_18inequality_wrapperINS9_8equal_toIyEEEEPmJSF_EEE10hipError_tPvRmT3_T4_T5_T6_T7_T9_mT8_P12ihipStream_tbDpT10_ENKUlT_T0_E_clISt17integral_constantIbLb1EES17_IbLb0EEEEDaS13_S14_EUlS13_E_NS1_11comp_targetILNS1_3genE5ELNS1_11target_archE942ELNS1_3gpuE9ELNS1_3repE0EEENS1_30default_config_static_selectorELNS0_4arch9wavefront6targetE0EEEvT1_ ; -- Begin function _ZN7rocprim17ROCPRIM_400000_NS6detail17trampoline_kernelINS0_14default_configENS1_25partition_config_selectorILNS1_17partition_subalgoE9EyybEEZZNS1_14partition_implILS5_9ELb0ES3_jN6thrust23THRUST_200600_302600_NS6detail15normal_iteratorINS9_10device_ptrIyEEEESE_PNS0_10empty_typeENS0_5tupleIJSE_SF_EEENSH_IJSE_SG_EEENS0_18inequality_wrapperINS9_8equal_toIyEEEEPmJSF_EEE10hipError_tPvRmT3_T4_T5_T6_T7_T9_mT8_P12ihipStream_tbDpT10_ENKUlT_T0_E_clISt17integral_constantIbLb1EES17_IbLb0EEEEDaS13_S14_EUlS13_E_NS1_11comp_targetILNS1_3genE5ELNS1_11target_archE942ELNS1_3gpuE9ELNS1_3repE0EEENS1_30default_config_static_selectorELNS0_4arch9wavefront6targetE0EEEvT1_
	.globl	_ZN7rocprim17ROCPRIM_400000_NS6detail17trampoline_kernelINS0_14default_configENS1_25partition_config_selectorILNS1_17partition_subalgoE9EyybEEZZNS1_14partition_implILS5_9ELb0ES3_jN6thrust23THRUST_200600_302600_NS6detail15normal_iteratorINS9_10device_ptrIyEEEESE_PNS0_10empty_typeENS0_5tupleIJSE_SF_EEENSH_IJSE_SG_EEENS0_18inequality_wrapperINS9_8equal_toIyEEEEPmJSF_EEE10hipError_tPvRmT3_T4_T5_T6_T7_T9_mT8_P12ihipStream_tbDpT10_ENKUlT_T0_E_clISt17integral_constantIbLb1EES17_IbLb0EEEEDaS13_S14_EUlS13_E_NS1_11comp_targetILNS1_3genE5ELNS1_11target_archE942ELNS1_3gpuE9ELNS1_3repE0EEENS1_30default_config_static_selectorELNS0_4arch9wavefront6targetE0EEEvT1_
	.p2align	8
	.type	_ZN7rocprim17ROCPRIM_400000_NS6detail17trampoline_kernelINS0_14default_configENS1_25partition_config_selectorILNS1_17partition_subalgoE9EyybEEZZNS1_14partition_implILS5_9ELb0ES3_jN6thrust23THRUST_200600_302600_NS6detail15normal_iteratorINS9_10device_ptrIyEEEESE_PNS0_10empty_typeENS0_5tupleIJSE_SF_EEENSH_IJSE_SG_EEENS0_18inequality_wrapperINS9_8equal_toIyEEEEPmJSF_EEE10hipError_tPvRmT3_T4_T5_T6_T7_T9_mT8_P12ihipStream_tbDpT10_ENKUlT_T0_E_clISt17integral_constantIbLb1EES17_IbLb0EEEEDaS13_S14_EUlS13_E_NS1_11comp_targetILNS1_3genE5ELNS1_11target_archE942ELNS1_3gpuE9ELNS1_3repE0EEENS1_30default_config_static_selectorELNS0_4arch9wavefront6targetE0EEEvT1_,@function
_ZN7rocprim17ROCPRIM_400000_NS6detail17trampoline_kernelINS0_14default_configENS1_25partition_config_selectorILNS1_17partition_subalgoE9EyybEEZZNS1_14partition_implILS5_9ELb0ES3_jN6thrust23THRUST_200600_302600_NS6detail15normal_iteratorINS9_10device_ptrIyEEEESE_PNS0_10empty_typeENS0_5tupleIJSE_SF_EEENSH_IJSE_SG_EEENS0_18inequality_wrapperINS9_8equal_toIyEEEEPmJSF_EEE10hipError_tPvRmT3_T4_T5_T6_T7_T9_mT8_P12ihipStream_tbDpT10_ENKUlT_T0_E_clISt17integral_constantIbLb1EES17_IbLb0EEEEDaS13_S14_EUlS13_E_NS1_11comp_targetILNS1_3genE5ELNS1_11target_archE942ELNS1_3gpuE9ELNS1_3repE0EEENS1_30default_config_static_selectorELNS0_4arch9wavefront6targetE0EEEvT1_: ; @_ZN7rocprim17ROCPRIM_400000_NS6detail17trampoline_kernelINS0_14default_configENS1_25partition_config_selectorILNS1_17partition_subalgoE9EyybEEZZNS1_14partition_implILS5_9ELb0ES3_jN6thrust23THRUST_200600_302600_NS6detail15normal_iteratorINS9_10device_ptrIyEEEESE_PNS0_10empty_typeENS0_5tupleIJSE_SF_EEENSH_IJSE_SG_EEENS0_18inequality_wrapperINS9_8equal_toIyEEEEPmJSF_EEE10hipError_tPvRmT3_T4_T5_T6_T7_T9_mT8_P12ihipStream_tbDpT10_ENKUlT_T0_E_clISt17integral_constantIbLb1EES17_IbLb0EEEEDaS13_S14_EUlS13_E_NS1_11comp_targetILNS1_3genE5ELNS1_11target_archE942ELNS1_3gpuE9ELNS1_3repE0EEENS1_30default_config_static_selectorELNS0_4arch9wavefront6targetE0EEEvT1_
; %bb.0:
	.section	.rodata,"a",@progbits
	.p2align	6, 0x0
	.amdhsa_kernel _ZN7rocprim17ROCPRIM_400000_NS6detail17trampoline_kernelINS0_14default_configENS1_25partition_config_selectorILNS1_17partition_subalgoE9EyybEEZZNS1_14partition_implILS5_9ELb0ES3_jN6thrust23THRUST_200600_302600_NS6detail15normal_iteratorINS9_10device_ptrIyEEEESE_PNS0_10empty_typeENS0_5tupleIJSE_SF_EEENSH_IJSE_SG_EEENS0_18inequality_wrapperINS9_8equal_toIyEEEEPmJSF_EEE10hipError_tPvRmT3_T4_T5_T6_T7_T9_mT8_P12ihipStream_tbDpT10_ENKUlT_T0_E_clISt17integral_constantIbLb1EES17_IbLb0EEEEDaS13_S14_EUlS13_E_NS1_11comp_targetILNS1_3genE5ELNS1_11target_archE942ELNS1_3gpuE9ELNS1_3repE0EEENS1_30default_config_static_selectorELNS0_4arch9wavefront6targetE0EEEvT1_
		.amdhsa_group_segment_fixed_size 0
		.amdhsa_private_segment_fixed_size 0
		.amdhsa_kernarg_size 112
		.amdhsa_user_sgpr_count 15
		.amdhsa_user_sgpr_dispatch_ptr 0
		.amdhsa_user_sgpr_queue_ptr 0
		.amdhsa_user_sgpr_kernarg_segment_ptr 1
		.amdhsa_user_sgpr_dispatch_id 0
		.amdhsa_user_sgpr_private_segment_size 0
		.amdhsa_wavefront_size32 1
		.amdhsa_uses_dynamic_stack 0
		.amdhsa_enable_private_segment 0
		.amdhsa_system_sgpr_workgroup_id_x 1
		.amdhsa_system_sgpr_workgroup_id_y 0
		.amdhsa_system_sgpr_workgroup_id_z 0
		.amdhsa_system_sgpr_workgroup_info 0
		.amdhsa_system_vgpr_workitem_id 0
		.amdhsa_next_free_vgpr 1
		.amdhsa_next_free_sgpr 1
		.amdhsa_reserve_vcc 0
		.amdhsa_float_round_mode_32 0
		.amdhsa_float_round_mode_16_64 0
		.amdhsa_float_denorm_mode_32 3
		.amdhsa_float_denorm_mode_16_64 3
		.amdhsa_dx10_clamp 1
		.amdhsa_ieee_mode 1
		.amdhsa_fp16_overflow 0
		.amdhsa_workgroup_processor_mode 1
		.amdhsa_memory_ordered 1
		.amdhsa_forward_progress 0
		.amdhsa_shared_vgpr_count 0
		.amdhsa_exception_fp_ieee_invalid_op 0
		.amdhsa_exception_fp_denorm_src 0
		.amdhsa_exception_fp_ieee_div_zero 0
		.amdhsa_exception_fp_ieee_overflow 0
		.amdhsa_exception_fp_ieee_underflow 0
		.amdhsa_exception_fp_ieee_inexact 0
		.amdhsa_exception_int_div_zero 0
	.end_amdhsa_kernel
	.section	.text._ZN7rocprim17ROCPRIM_400000_NS6detail17trampoline_kernelINS0_14default_configENS1_25partition_config_selectorILNS1_17partition_subalgoE9EyybEEZZNS1_14partition_implILS5_9ELb0ES3_jN6thrust23THRUST_200600_302600_NS6detail15normal_iteratorINS9_10device_ptrIyEEEESE_PNS0_10empty_typeENS0_5tupleIJSE_SF_EEENSH_IJSE_SG_EEENS0_18inequality_wrapperINS9_8equal_toIyEEEEPmJSF_EEE10hipError_tPvRmT3_T4_T5_T6_T7_T9_mT8_P12ihipStream_tbDpT10_ENKUlT_T0_E_clISt17integral_constantIbLb1EES17_IbLb0EEEEDaS13_S14_EUlS13_E_NS1_11comp_targetILNS1_3genE5ELNS1_11target_archE942ELNS1_3gpuE9ELNS1_3repE0EEENS1_30default_config_static_selectorELNS0_4arch9wavefront6targetE0EEEvT1_,"axG",@progbits,_ZN7rocprim17ROCPRIM_400000_NS6detail17trampoline_kernelINS0_14default_configENS1_25partition_config_selectorILNS1_17partition_subalgoE9EyybEEZZNS1_14partition_implILS5_9ELb0ES3_jN6thrust23THRUST_200600_302600_NS6detail15normal_iteratorINS9_10device_ptrIyEEEESE_PNS0_10empty_typeENS0_5tupleIJSE_SF_EEENSH_IJSE_SG_EEENS0_18inequality_wrapperINS9_8equal_toIyEEEEPmJSF_EEE10hipError_tPvRmT3_T4_T5_T6_T7_T9_mT8_P12ihipStream_tbDpT10_ENKUlT_T0_E_clISt17integral_constantIbLb1EES17_IbLb0EEEEDaS13_S14_EUlS13_E_NS1_11comp_targetILNS1_3genE5ELNS1_11target_archE942ELNS1_3gpuE9ELNS1_3repE0EEENS1_30default_config_static_selectorELNS0_4arch9wavefront6targetE0EEEvT1_,comdat
.Lfunc_end162:
	.size	_ZN7rocprim17ROCPRIM_400000_NS6detail17trampoline_kernelINS0_14default_configENS1_25partition_config_selectorILNS1_17partition_subalgoE9EyybEEZZNS1_14partition_implILS5_9ELb0ES3_jN6thrust23THRUST_200600_302600_NS6detail15normal_iteratorINS9_10device_ptrIyEEEESE_PNS0_10empty_typeENS0_5tupleIJSE_SF_EEENSH_IJSE_SG_EEENS0_18inequality_wrapperINS9_8equal_toIyEEEEPmJSF_EEE10hipError_tPvRmT3_T4_T5_T6_T7_T9_mT8_P12ihipStream_tbDpT10_ENKUlT_T0_E_clISt17integral_constantIbLb1EES17_IbLb0EEEEDaS13_S14_EUlS13_E_NS1_11comp_targetILNS1_3genE5ELNS1_11target_archE942ELNS1_3gpuE9ELNS1_3repE0EEENS1_30default_config_static_selectorELNS0_4arch9wavefront6targetE0EEEvT1_, .Lfunc_end162-_ZN7rocprim17ROCPRIM_400000_NS6detail17trampoline_kernelINS0_14default_configENS1_25partition_config_selectorILNS1_17partition_subalgoE9EyybEEZZNS1_14partition_implILS5_9ELb0ES3_jN6thrust23THRUST_200600_302600_NS6detail15normal_iteratorINS9_10device_ptrIyEEEESE_PNS0_10empty_typeENS0_5tupleIJSE_SF_EEENSH_IJSE_SG_EEENS0_18inequality_wrapperINS9_8equal_toIyEEEEPmJSF_EEE10hipError_tPvRmT3_T4_T5_T6_T7_T9_mT8_P12ihipStream_tbDpT10_ENKUlT_T0_E_clISt17integral_constantIbLb1EES17_IbLb0EEEEDaS13_S14_EUlS13_E_NS1_11comp_targetILNS1_3genE5ELNS1_11target_archE942ELNS1_3gpuE9ELNS1_3repE0EEENS1_30default_config_static_selectorELNS0_4arch9wavefront6targetE0EEEvT1_
                                        ; -- End function
	.section	.AMDGPU.csdata,"",@progbits
; Kernel info:
; codeLenInByte = 0
; NumSgprs: 0
; NumVgprs: 0
; ScratchSize: 0
; MemoryBound: 0
; FloatMode: 240
; IeeeMode: 1
; LDSByteSize: 0 bytes/workgroup (compile time only)
; SGPRBlocks: 0
; VGPRBlocks: 0
; NumSGPRsForWavesPerEU: 1
; NumVGPRsForWavesPerEU: 1
; Occupancy: 16
; WaveLimiterHint : 0
; COMPUTE_PGM_RSRC2:SCRATCH_EN: 0
; COMPUTE_PGM_RSRC2:USER_SGPR: 15
; COMPUTE_PGM_RSRC2:TRAP_HANDLER: 0
; COMPUTE_PGM_RSRC2:TGID_X_EN: 1
; COMPUTE_PGM_RSRC2:TGID_Y_EN: 0
; COMPUTE_PGM_RSRC2:TGID_Z_EN: 0
; COMPUTE_PGM_RSRC2:TIDIG_COMP_CNT: 0
	.section	.text._ZN7rocprim17ROCPRIM_400000_NS6detail17trampoline_kernelINS0_14default_configENS1_25partition_config_selectorILNS1_17partition_subalgoE9EyybEEZZNS1_14partition_implILS5_9ELb0ES3_jN6thrust23THRUST_200600_302600_NS6detail15normal_iteratorINS9_10device_ptrIyEEEESE_PNS0_10empty_typeENS0_5tupleIJSE_SF_EEENSH_IJSE_SG_EEENS0_18inequality_wrapperINS9_8equal_toIyEEEEPmJSF_EEE10hipError_tPvRmT3_T4_T5_T6_T7_T9_mT8_P12ihipStream_tbDpT10_ENKUlT_T0_E_clISt17integral_constantIbLb1EES17_IbLb0EEEEDaS13_S14_EUlS13_E_NS1_11comp_targetILNS1_3genE4ELNS1_11target_archE910ELNS1_3gpuE8ELNS1_3repE0EEENS1_30default_config_static_selectorELNS0_4arch9wavefront6targetE0EEEvT1_,"axG",@progbits,_ZN7rocprim17ROCPRIM_400000_NS6detail17trampoline_kernelINS0_14default_configENS1_25partition_config_selectorILNS1_17partition_subalgoE9EyybEEZZNS1_14partition_implILS5_9ELb0ES3_jN6thrust23THRUST_200600_302600_NS6detail15normal_iteratorINS9_10device_ptrIyEEEESE_PNS0_10empty_typeENS0_5tupleIJSE_SF_EEENSH_IJSE_SG_EEENS0_18inequality_wrapperINS9_8equal_toIyEEEEPmJSF_EEE10hipError_tPvRmT3_T4_T5_T6_T7_T9_mT8_P12ihipStream_tbDpT10_ENKUlT_T0_E_clISt17integral_constantIbLb1EES17_IbLb0EEEEDaS13_S14_EUlS13_E_NS1_11comp_targetILNS1_3genE4ELNS1_11target_archE910ELNS1_3gpuE8ELNS1_3repE0EEENS1_30default_config_static_selectorELNS0_4arch9wavefront6targetE0EEEvT1_,comdat
	.protected	_ZN7rocprim17ROCPRIM_400000_NS6detail17trampoline_kernelINS0_14default_configENS1_25partition_config_selectorILNS1_17partition_subalgoE9EyybEEZZNS1_14partition_implILS5_9ELb0ES3_jN6thrust23THRUST_200600_302600_NS6detail15normal_iteratorINS9_10device_ptrIyEEEESE_PNS0_10empty_typeENS0_5tupleIJSE_SF_EEENSH_IJSE_SG_EEENS0_18inequality_wrapperINS9_8equal_toIyEEEEPmJSF_EEE10hipError_tPvRmT3_T4_T5_T6_T7_T9_mT8_P12ihipStream_tbDpT10_ENKUlT_T0_E_clISt17integral_constantIbLb1EES17_IbLb0EEEEDaS13_S14_EUlS13_E_NS1_11comp_targetILNS1_3genE4ELNS1_11target_archE910ELNS1_3gpuE8ELNS1_3repE0EEENS1_30default_config_static_selectorELNS0_4arch9wavefront6targetE0EEEvT1_ ; -- Begin function _ZN7rocprim17ROCPRIM_400000_NS6detail17trampoline_kernelINS0_14default_configENS1_25partition_config_selectorILNS1_17partition_subalgoE9EyybEEZZNS1_14partition_implILS5_9ELb0ES3_jN6thrust23THRUST_200600_302600_NS6detail15normal_iteratorINS9_10device_ptrIyEEEESE_PNS0_10empty_typeENS0_5tupleIJSE_SF_EEENSH_IJSE_SG_EEENS0_18inequality_wrapperINS9_8equal_toIyEEEEPmJSF_EEE10hipError_tPvRmT3_T4_T5_T6_T7_T9_mT8_P12ihipStream_tbDpT10_ENKUlT_T0_E_clISt17integral_constantIbLb1EES17_IbLb0EEEEDaS13_S14_EUlS13_E_NS1_11comp_targetILNS1_3genE4ELNS1_11target_archE910ELNS1_3gpuE8ELNS1_3repE0EEENS1_30default_config_static_selectorELNS0_4arch9wavefront6targetE0EEEvT1_
	.globl	_ZN7rocprim17ROCPRIM_400000_NS6detail17trampoline_kernelINS0_14default_configENS1_25partition_config_selectorILNS1_17partition_subalgoE9EyybEEZZNS1_14partition_implILS5_9ELb0ES3_jN6thrust23THRUST_200600_302600_NS6detail15normal_iteratorINS9_10device_ptrIyEEEESE_PNS0_10empty_typeENS0_5tupleIJSE_SF_EEENSH_IJSE_SG_EEENS0_18inequality_wrapperINS9_8equal_toIyEEEEPmJSF_EEE10hipError_tPvRmT3_T4_T5_T6_T7_T9_mT8_P12ihipStream_tbDpT10_ENKUlT_T0_E_clISt17integral_constantIbLb1EES17_IbLb0EEEEDaS13_S14_EUlS13_E_NS1_11comp_targetILNS1_3genE4ELNS1_11target_archE910ELNS1_3gpuE8ELNS1_3repE0EEENS1_30default_config_static_selectorELNS0_4arch9wavefront6targetE0EEEvT1_
	.p2align	8
	.type	_ZN7rocprim17ROCPRIM_400000_NS6detail17trampoline_kernelINS0_14default_configENS1_25partition_config_selectorILNS1_17partition_subalgoE9EyybEEZZNS1_14partition_implILS5_9ELb0ES3_jN6thrust23THRUST_200600_302600_NS6detail15normal_iteratorINS9_10device_ptrIyEEEESE_PNS0_10empty_typeENS0_5tupleIJSE_SF_EEENSH_IJSE_SG_EEENS0_18inequality_wrapperINS9_8equal_toIyEEEEPmJSF_EEE10hipError_tPvRmT3_T4_T5_T6_T7_T9_mT8_P12ihipStream_tbDpT10_ENKUlT_T0_E_clISt17integral_constantIbLb1EES17_IbLb0EEEEDaS13_S14_EUlS13_E_NS1_11comp_targetILNS1_3genE4ELNS1_11target_archE910ELNS1_3gpuE8ELNS1_3repE0EEENS1_30default_config_static_selectorELNS0_4arch9wavefront6targetE0EEEvT1_,@function
_ZN7rocprim17ROCPRIM_400000_NS6detail17trampoline_kernelINS0_14default_configENS1_25partition_config_selectorILNS1_17partition_subalgoE9EyybEEZZNS1_14partition_implILS5_9ELb0ES3_jN6thrust23THRUST_200600_302600_NS6detail15normal_iteratorINS9_10device_ptrIyEEEESE_PNS0_10empty_typeENS0_5tupleIJSE_SF_EEENSH_IJSE_SG_EEENS0_18inequality_wrapperINS9_8equal_toIyEEEEPmJSF_EEE10hipError_tPvRmT3_T4_T5_T6_T7_T9_mT8_P12ihipStream_tbDpT10_ENKUlT_T0_E_clISt17integral_constantIbLb1EES17_IbLb0EEEEDaS13_S14_EUlS13_E_NS1_11comp_targetILNS1_3genE4ELNS1_11target_archE910ELNS1_3gpuE8ELNS1_3repE0EEENS1_30default_config_static_selectorELNS0_4arch9wavefront6targetE0EEEvT1_: ; @_ZN7rocprim17ROCPRIM_400000_NS6detail17trampoline_kernelINS0_14default_configENS1_25partition_config_selectorILNS1_17partition_subalgoE9EyybEEZZNS1_14partition_implILS5_9ELb0ES3_jN6thrust23THRUST_200600_302600_NS6detail15normal_iteratorINS9_10device_ptrIyEEEESE_PNS0_10empty_typeENS0_5tupleIJSE_SF_EEENSH_IJSE_SG_EEENS0_18inequality_wrapperINS9_8equal_toIyEEEEPmJSF_EEE10hipError_tPvRmT3_T4_T5_T6_T7_T9_mT8_P12ihipStream_tbDpT10_ENKUlT_T0_E_clISt17integral_constantIbLb1EES17_IbLb0EEEEDaS13_S14_EUlS13_E_NS1_11comp_targetILNS1_3genE4ELNS1_11target_archE910ELNS1_3gpuE8ELNS1_3repE0EEENS1_30default_config_static_selectorELNS0_4arch9wavefront6targetE0EEEvT1_
; %bb.0:
	.section	.rodata,"a",@progbits
	.p2align	6, 0x0
	.amdhsa_kernel _ZN7rocprim17ROCPRIM_400000_NS6detail17trampoline_kernelINS0_14default_configENS1_25partition_config_selectorILNS1_17partition_subalgoE9EyybEEZZNS1_14partition_implILS5_9ELb0ES3_jN6thrust23THRUST_200600_302600_NS6detail15normal_iteratorINS9_10device_ptrIyEEEESE_PNS0_10empty_typeENS0_5tupleIJSE_SF_EEENSH_IJSE_SG_EEENS0_18inequality_wrapperINS9_8equal_toIyEEEEPmJSF_EEE10hipError_tPvRmT3_T4_T5_T6_T7_T9_mT8_P12ihipStream_tbDpT10_ENKUlT_T0_E_clISt17integral_constantIbLb1EES17_IbLb0EEEEDaS13_S14_EUlS13_E_NS1_11comp_targetILNS1_3genE4ELNS1_11target_archE910ELNS1_3gpuE8ELNS1_3repE0EEENS1_30default_config_static_selectorELNS0_4arch9wavefront6targetE0EEEvT1_
		.amdhsa_group_segment_fixed_size 0
		.amdhsa_private_segment_fixed_size 0
		.amdhsa_kernarg_size 112
		.amdhsa_user_sgpr_count 15
		.amdhsa_user_sgpr_dispatch_ptr 0
		.amdhsa_user_sgpr_queue_ptr 0
		.amdhsa_user_sgpr_kernarg_segment_ptr 1
		.amdhsa_user_sgpr_dispatch_id 0
		.amdhsa_user_sgpr_private_segment_size 0
		.amdhsa_wavefront_size32 1
		.amdhsa_uses_dynamic_stack 0
		.amdhsa_enable_private_segment 0
		.amdhsa_system_sgpr_workgroup_id_x 1
		.amdhsa_system_sgpr_workgroup_id_y 0
		.amdhsa_system_sgpr_workgroup_id_z 0
		.amdhsa_system_sgpr_workgroup_info 0
		.amdhsa_system_vgpr_workitem_id 0
		.amdhsa_next_free_vgpr 1
		.amdhsa_next_free_sgpr 1
		.amdhsa_reserve_vcc 0
		.amdhsa_float_round_mode_32 0
		.amdhsa_float_round_mode_16_64 0
		.amdhsa_float_denorm_mode_32 3
		.amdhsa_float_denorm_mode_16_64 3
		.amdhsa_dx10_clamp 1
		.amdhsa_ieee_mode 1
		.amdhsa_fp16_overflow 0
		.amdhsa_workgroup_processor_mode 1
		.amdhsa_memory_ordered 1
		.amdhsa_forward_progress 0
		.amdhsa_shared_vgpr_count 0
		.amdhsa_exception_fp_ieee_invalid_op 0
		.amdhsa_exception_fp_denorm_src 0
		.amdhsa_exception_fp_ieee_div_zero 0
		.amdhsa_exception_fp_ieee_overflow 0
		.amdhsa_exception_fp_ieee_underflow 0
		.amdhsa_exception_fp_ieee_inexact 0
		.amdhsa_exception_int_div_zero 0
	.end_amdhsa_kernel
	.section	.text._ZN7rocprim17ROCPRIM_400000_NS6detail17trampoline_kernelINS0_14default_configENS1_25partition_config_selectorILNS1_17partition_subalgoE9EyybEEZZNS1_14partition_implILS5_9ELb0ES3_jN6thrust23THRUST_200600_302600_NS6detail15normal_iteratorINS9_10device_ptrIyEEEESE_PNS0_10empty_typeENS0_5tupleIJSE_SF_EEENSH_IJSE_SG_EEENS0_18inequality_wrapperINS9_8equal_toIyEEEEPmJSF_EEE10hipError_tPvRmT3_T4_T5_T6_T7_T9_mT8_P12ihipStream_tbDpT10_ENKUlT_T0_E_clISt17integral_constantIbLb1EES17_IbLb0EEEEDaS13_S14_EUlS13_E_NS1_11comp_targetILNS1_3genE4ELNS1_11target_archE910ELNS1_3gpuE8ELNS1_3repE0EEENS1_30default_config_static_selectorELNS0_4arch9wavefront6targetE0EEEvT1_,"axG",@progbits,_ZN7rocprim17ROCPRIM_400000_NS6detail17trampoline_kernelINS0_14default_configENS1_25partition_config_selectorILNS1_17partition_subalgoE9EyybEEZZNS1_14partition_implILS5_9ELb0ES3_jN6thrust23THRUST_200600_302600_NS6detail15normal_iteratorINS9_10device_ptrIyEEEESE_PNS0_10empty_typeENS0_5tupleIJSE_SF_EEENSH_IJSE_SG_EEENS0_18inequality_wrapperINS9_8equal_toIyEEEEPmJSF_EEE10hipError_tPvRmT3_T4_T5_T6_T7_T9_mT8_P12ihipStream_tbDpT10_ENKUlT_T0_E_clISt17integral_constantIbLb1EES17_IbLb0EEEEDaS13_S14_EUlS13_E_NS1_11comp_targetILNS1_3genE4ELNS1_11target_archE910ELNS1_3gpuE8ELNS1_3repE0EEENS1_30default_config_static_selectorELNS0_4arch9wavefront6targetE0EEEvT1_,comdat
.Lfunc_end163:
	.size	_ZN7rocprim17ROCPRIM_400000_NS6detail17trampoline_kernelINS0_14default_configENS1_25partition_config_selectorILNS1_17partition_subalgoE9EyybEEZZNS1_14partition_implILS5_9ELb0ES3_jN6thrust23THRUST_200600_302600_NS6detail15normal_iteratorINS9_10device_ptrIyEEEESE_PNS0_10empty_typeENS0_5tupleIJSE_SF_EEENSH_IJSE_SG_EEENS0_18inequality_wrapperINS9_8equal_toIyEEEEPmJSF_EEE10hipError_tPvRmT3_T4_T5_T6_T7_T9_mT8_P12ihipStream_tbDpT10_ENKUlT_T0_E_clISt17integral_constantIbLb1EES17_IbLb0EEEEDaS13_S14_EUlS13_E_NS1_11comp_targetILNS1_3genE4ELNS1_11target_archE910ELNS1_3gpuE8ELNS1_3repE0EEENS1_30default_config_static_selectorELNS0_4arch9wavefront6targetE0EEEvT1_, .Lfunc_end163-_ZN7rocprim17ROCPRIM_400000_NS6detail17trampoline_kernelINS0_14default_configENS1_25partition_config_selectorILNS1_17partition_subalgoE9EyybEEZZNS1_14partition_implILS5_9ELb0ES3_jN6thrust23THRUST_200600_302600_NS6detail15normal_iteratorINS9_10device_ptrIyEEEESE_PNS0_10empty_typeENS0_5tupleIJSE_SF_EEENSH_IJSE_SG_EEENS0_18inequality_wrapperINS9_8equal_toIyEEEEPmJSF_EEE10hipError_tPvRmT3_T4_T5_T6_T7_T9_mT8_P12ihipStream_tbDpT10_ENKUlT_T0_E_clISt17integral_constantIbLb1EES17_IbLb0EEEEDaS13_S14_EUlS13_E_NS1_11comp_targetILNS1_3genE4ELNS1_11target_archE910ELNS1_3gpuE8ELNS1_3repE0EEENS1_30default_config_static_selectorELNS0_4arch9wavefront6targetE0EEEvT1_
                                        ; -- End function
	.section	.AMDGPU.csdata,"",@progbits
; Kernel info:
; codeLenInByte = 0
; NumSgprs: 0
; NumVgprs: 0
; ScratchSize: 0
; MemoryBound: 0
; FloatMode: 240
; IeeeMode: 1
; LDSByteSize: 0 bytes/workgroup (compile time only)
; SGPRBlocks: 0
; VGPRBlocks: 0
; NumSGPRsForWavesPerEU: 1
; NumVGPRsForWavesPerEU: 1
; Occupancy: 16
; WaveLimiterHint : 0
; COMPUTE_PGM_RSRC2:SCRATCH_EN: 0
; COMPUTE_PGM_RSRC2:USER_SGPR: 15
; COMPUTE_PGM_RSRC2:TRAP_HANDLER: 0
; COMPUTE_PGM_RSRC2:TGID_X_EN: 1
; COMPUTE_PGM_RSRC2:TGID_Y_EN: 0
; COMPUTE_PGM_RSRC2:TGID_Z_EN: 0
; COMPUTE_PGM_RSRC2:TIDIG_COMP_CNT: 0
	.section	.text._ZN7rocprim17ROCPRIM_400000_NS6detail17trampoline_kernelINS0_14default_configENS1_25partition_config_selectorILNS1_17partition_subalgoE9EyybEEZZNS1_14partition_implILS5_9ELb0ES3_jN6thrust23THRUST_200600_302600_NS6detail15normal_iteratorINS9_10device_ptrIyEEEESE_PNS0_10empty_typeENS0_5tupleIJSE_SF_EEENSH_IJSE_SG_EEENS0_18inequality_wrapperINS9_8equal_toIyEEEEPmJSF_EEE10hipError_tPvRmT3_T4_T5_T6_T7_T9_mT8_P12ihipStream_tbDpT10_ENKUlT_T0_E_clISt17integral_constantIbLb1EES17_IbLb0EEEEDaS13_S14_EUlS13_E_NS1_11comp_targetILNS1_3genE3ELNS1_11target_archE908ELNS1_3gpuE7ELNS1_3repE0EEENS1_30default_config_static_selectorELNS0_4arch9wavefront6targetE0EEEvT1_,"axG",@progbits,_ZN7rocprim17ROCPRIM_400000_NS6detail17trampoline_kernelINS0_14default_configENS1_25partition_config_selectorILNS1_17partition_subalgoE9EyybEEZZNS1_14partition_implILS5_9ELb0ES3_jN6thrust23THRUST_200600_302600_NS6detail15normal_iteratorINS9_10device_ptrIyEEEESE_PNS0_10empty_typeENS0_5tupleIJSE_SF_EEENSH_IJSE_SG_EEENS0_18inequality_wrapperINS9_8equal_toIyEEEEPmJSF_EEE10hipError_tPvRmT3_T4_T5_T6_T7_T9_mT8_P12ihipStream_tbDpT10_ENKUlT_T0_E_clISt17integral_constantIbLb1EES17_IbLb0EEEEDaS13_S14_EUlS13_E_NS1_11comp_targetILNS1_3genE3ELNS1_11target_archE908ELNS1_3gpuE7ELNS1_3repE0EEENS1_30default_config_static_selectorELNS0_4arch9wavefront6targetE0EEEvT1_,comdat
	.protected	_ZN7rocprim17ROCPRIM_400000_NS6detail17trampoline_kernelINS0_14default_configENS1_25partition_config_selectorILNS1_17partition_subalgoE9EyybEEZZNS1_14partition_implILS5_9ELb0ES3_jN6thrust23THRUST_200600_302600_NS6detail15normal_iteratorINS9_10device_ptrIyEEEESE_PNS0_10empty_typeENS0_5tupleIJSE_SF_EEENSH_IJSE_SG_EEENS0_18inequality_wrapperINS9_8equal_toIyEEEEPmJSF_EEE10hipError_tPvRmT3_T4_T5_T6_T7_T9_mT8_P12ihipStream_tbDpT10_ENKUlT_T0_E_clISt17integral_constantIbLb1EES17_IbLb0EEEEDaS13_S14_EUlS13_E_NS1_11comp_targetILNS1_3genE3ELNS1_11target_archE908ELNS1_3gpuE7ELNS1_3repE0EEENS1_30default_config_static_selectorELNS0_4arch9wavefront6targetE0EEEvT1_ ; -- Begin function _ZN7rocprim17ROCPRIM_400000_NS6detail17trampoline_kernelINS0_14default_configENS1_25partition_config_selectorILNS1_17partition_subalgoE9EyybEEZZNS1_14partition_implILS5_9ELb0ES3_jN6thrust23THRUST_200600_302600_NS6detail15normal_iteratorINS9_10device_ptrIyEEEESE_PNS0_10empty_typeENS0_5tupleIJSE_SF_EEENSH_IJSE_SG_EEENS0_18inequality_wrapperINS9_8equal_toIyEEEEPmJSF_EEE10hipError_tPvRmT3_T4_T5_T6_T7_T9_mT8_P12ihipStream_tbDpT10_ENKUlT_T0_E_clISt17integral_constantIbLb1EES17_IbLb0EEEEDaS13_S14_EUlS13_E_NS1_11comp_targetILNS1_3genE3ELNS1_11target_archE908ELNS1_3gpuE7ELNS1_3repE0EEENS1_30default_config_static_selectorELNS0_4arch9wavefront6targetE0EEEvT1_
	.globl	_ZN7rocprim17ROCPRIM_400000_NS6detail17trampoline_kernelINS0_14default_configENS1_25partition_config_selectorILNS1_17partition_subalgoE9EyybEEZZNS1_14partition_implILS5_9ELb0ES3_jN6thrust23THRUST_200600_302600_NS6detail15normal_iteratorINS9_10device_ptrIyEEEESE_PNS0_10empty_typeENS0_5tupleIJSE_SF_EEENSH_IJSE_SG_EEENS0_18inequality_wrapperINS9_8equal_toIyEEEEPmJSF_EEE10hipError_tPvRmT3_T4_T5_T6_T7_T9_mT8_P12ihipStream_tbDpT10_ENKUlT_T0_E_clISt17integral_constantIbLb1EES17_IbLb0EEEEDaS13_S14_EUlS13_E_NS1_11comp_targetILNS1_3genE3ELNS1_11target_archE908ELNS1_3gpuE7ELNS1_3repE0EEENS1_30default_config_static_selectorELNS0_4arch9wavefront6targetE0EEEvT1_
	.p2align	8
	.type	_ZN7rocprim17ROCPRIM_400000_NS6detail17trampoline_kernelINS0_14default_configENS1_25partition_config_selectorILNS1_17partition_subalgoE9EyybEEZZNS1_14partition_implILS5_9ELb0ES3_jN6thrust23THRUST_200600_302600_NS6detail15normal_iteratorINS9_10device_ptrIyEEEESE_PNS0_10empty_typeENS0_5tupleIJSE_SF_EEENSH_IJSE_SG_EEENS0_18inequality_wrapperINS9_8equal_toIyEEEEPmJSF_EEE10hipError_tPvRmT3_T4_T5_T6_T7_T9_mT8_P12ihipStream_tbDpT10_ENKUlT_T0_E_clISt17integral_constantIbLb1EES17_IbLb0EEEEDaS13_S14_EUlS13_E_NS1_11comp_targetILNS1_3genE3ELNS1_11target_archE908ELNS1_3gpuE7ELNS1_3repE0EEENS1_30default_config_static_selectorELNS0_4arch9wavefront6targetE0EEEvT1_,@function
_ZN7rocprim17ROCPRIM_400000_NS6detail17trampoline_kernelINS0_14default_configENS1_25partition_config_selectorILNS1_17partition_subalgoE9EyybEEZZNS1_14partition_implILS5_9ELb0ES3_jN6thrust23THRUST_200600_302600_NS6detail15normal_iteratorINS9_10device_ptrIyEEEESE_PNS0_10empty_typeENS0_5tupleIJSE_SF_EEENSH_IJSE_SG_EEENS0_18inequality_wrapperINS9_8equal_toIyEEEEPmJSF_EEE10hipError_tPvRmT3_T4_T5_T6_T7_T9_mT8_P12ihipStream_tbDpT10_ENKUlT_T0_E_clISt17integral_constantIbLb1EES17_IbLb0EEEEDaS13_S14_EUlS13_E_NS1_11comp_targetILNS1_3genE3ELNS1_11target_archE908ELNS1_3gpuE7ELNS1_3repE0EEENS1_30default_config_static_selectorELNS0_4arch9wavefront6targetE0EEEvT1_: ; @_ZN7rocprim17ROCPRIM_400000_NS6detail17trampoline_kernelINS0_14default_configENS1_25partition_config_selectorILNS1_17partition_subalgoE9EyybEEZZNS1_14partition_implILS5_9ELb0ES3_jN6thrust23THRUST_200600_302600_NS6detail15normal_iteratorINS9_10device_ptrIyEEEESE_PNS0_10empty_typeENS0_5tupleIJSE_SF_EEENSH_IJSE_SG_EEENS0_18inequality_wrapperINS9_8equal_toIyEEEEPmJSF_EEE10hipError_tPvRmT3_T4_T5_T6_T7_T9_mT8_P12ihipStream_tbDpT10_ENKUlT_T0_E_clISt17integral_constantIbLb1EES17_IbLb0EEEEDaS13_S14_EUlS13_E_NS1_11comp_targetILNS1_3genE3ELNS1_11target_archE908ELNS1_3gpuE7ELNS1_3repE0EEENS1_30default_config_static_selectorELNS0_4arch9wavefront6targetE0EEEvT1_
; %bb.0:
	.section	.rodata,"a",@progbits
	.p2align	6, 0x0
	.amdhsa_kernel _ZN7rocprim17ROCPRIM_400000_NS6detail17trampoline_kernelINS0_14default_configENS1_25partition_config_selectorILNS1_17partition_subalgoE9EyybEEZZNS1_14partition_implILS5_9ELb0ES3_jN6thrust23THRUST_200600_302600_NS6detail15normal_iteratorINS9_10device_ptrIyEEEESE_PNS0_10empty_typeENS0_5tupleIJSE_SF_EEENSH_IJSE_SG_EEENS0_18inequality_wrapperINS9_8equal_toIyEEEEPmJSF_EEE10hipError_tPvRmT3_T4_T5_T6_T7_T9_mT8_P12ihipStream_tbDpT10_ENKUlT_T0_E_clISt17integral_constantIbLb1EES17_IbLb0EEEEDaS13_S14_EUlS13_E_NS1_11comp_targetILNS1_3genE3ELNS1_11target_archE908ELNS1_3gpuE7ELNS1_3repE0EEENS1_30default_config_static_selectorELNS0_4arch9wavefront6targetE0EEEvT1_
		.amdhsa_group_segment_fixed_size 0
		.amdhsa_private_segment_fixed_size 0
		.amdhsa_kernarg_size 112
		.amdhsa_user_sgpr_count 15
		.amdhsa_user_sgpr_dispatch_ptr 0
		.amdhsa_user_sgpr_queue_ptr 0
		.amdhsa_user_sgpr_kernarg_segment_ptr 1
		.amdhsa_user_sgpr_dispatch_id 0
		.amdhsa_user_sgpr_private_segment_size 0
		.amdhsa_wavefront_size32 1
		.amdhsa_uses_dynamic_stack 0
		.amdhsa_enable_private_segment 0
		.amdhsa_system_sgpr_workgroup_id_x 1
		.amdhsa_system_sgpr_workgroup_id_y 0
		.amdhsa_system_sgpr_workgroup_id_z 0
		.amdhsa_system_sgpr_workgroup_info 0
		.amdhsa_system_vgpr_workitem_id 0
		.amdhsa_next_free_vgpr 1
		.amdhsa_next_free_sgpr 1
		.amdhsa_reserve_vcc 0
		.amdhsa_float_round_mode_32 0
		.amdhsa_float_round_mode_16_64 0
		.amdhsa_float_denorm_mode_32 3
		.amdhsa_float_denorm_mode_16_64 3
		.amdhsa_dx10_clamp 1
		.amdhsa_ieee_mode 1
		.amdhsa_fp16_overflow 0
		.amdhsa_workgroup_processor_mode 1
		.amdhsa_memory_ordered 1
		.amdhsa_forward_progress 0
		.amdhsa_shared_vgpr_count 0
		.amdhsa_exception_fp_ieee_invalid_op 0
		.amdhsa_exception_fp_denorm_src 0
		.amdhsa_exception_fp_ieee_div_zero 0
		.amdhsa_exception_fp_ieee_overflow 0
		.amdhsa_exception_fp_ieee_underflow 0
		.amdhsa_exception_fp_ieee_inexact 0
		.amdhsa_exception_int_div_zero 0
	.end_amdhsa_kernel
	.section	.text._ZN7rocprim17ROCPRIM_400000_NS6detail17trampoline_kernelINS0_14default_configENS1_25partition_config_selectorILNS1_17partition_subalgoE9EyybEEZZNS1_14partition_implILS5_9ELb0ES3_jN6thrust23THRUST_200600_302600_NS6detail15normal_iteratorINS9_10device_ptrIyEEEESE_PNS0_10empty_typeENS0_5tupleIJSE_SF_EEENSH_IJSE_SG_EEENS0_18inequality_wrapperINS9_8equal_toIyEEEEPmJSF_EEE10hipError_tPvRmT3_T4_T5_T6_T7_T9_mT8_P12ihipStream_tbDpT10_ENKUlT_T0_E_clISt17integral_constantIbLb1EES17_IbLb0EEEEDaS13_S14_EUlS13_E_NS1_11comp_targetILNS1_3genE3ELNS1_11target_archE908ELNS1_3gpuE7ELNS1_3repE0EEENS1_30default_config_static_selectorELNS0_4arch9wavefront6targetE0EEEvT1_,"axG",@progbits,_ZN7rocprim17ROCPRIM_400000_NS6detail17trampoline_kernelINS0_14default_configENS1_25partition_config_selectorILNS1_17partition_subalgoE9EyybEEZZNS1_14partition_implILS5_9ELb0ES3_jN6thrust23THRUST_200600_302600_NS6detail15normal_iteratorINS9_10device_ptrIyEEEESE_PNS0_10empty_typeENS0_5tupleIJSE_SF_EEENSH_IJSE_SG_EEENS0_18inequality_wrapperINS9_8equal_toIyEEEEPmJSF_EEE10hipError_tPvRmT3_T4_T5_T6_T7_T9_mT8_P12ihipStream_tbDpT10_ENKUlT_T0_E_clISt17integral_constantIbLb1EES17_IbLb0EEEEDaS13_S14_EUlS13_E_NS1_11comp_targetILNS1_3genE3ELNS1_11target_archE908ELNS1_3gpuE7ELNS1_3repE0EEENS1_30default_config_static_selectorELNS0_4arch9wavefront6targetE0EEEvT1_,comdat
.Lfunc_end164:
	.size	_ZN7rocprim17ROCPRIM_400000_NS6detail17trampoline_kernelINS0_14default_configENS1_25partition_config_selectorILNS1_17partition_subalgoE9EyybEEZZNS1_14partition_implILS5_9ELb0ES3_jN6thrust23THRUST_200600_302600_NS6detail15normal_iteratorINS9_10device_ptrIyEEEESE_PNS0_10empty_typeENS0_5tupleIJSE_SF_EEENSH_IJSE_SG_EEENS0_18inequality_wrapperINS9_8equal_toIyEEEEPmJSF_EEE10hipError_tPvRmT3_T4_T5_T6_T7_T9_mT8_P12ihipStream_tbDpT10_ENKUlT_T0_E_clISt17integral_constantIbLb1EES17_IbLb0EEEEDaS13_S14_EUlS13_E_NS1_11comp_targetILNS1_3genE3ELNS1_11target_archE908ELNS1_3gpuE7ELNS1_3repE0EEENS1_30default_config_static_selectorELNS0_4arch9wavefront6targetE0EEEvT1_, .Lfunc_end164-_ZN7rocprim17ROCPRIM_400000_NS6detail17trampoline_kernelINS0_14default_configENS1_25partition_config_selectorILNS1_17partition_subalgoE9EyybEEZZNS1_14partition_implILS5_9ELb0ES3_jN6thrust23THRUST_200600_302600_NS6detail15normal_iteratorINS9_10device_ptrIyEEEESE_PNS0_10empty_typeENS0_5tupleIJSE_SF_EEENSH_IJSE_SG_EEENS0_18inequality_wrapperINS9_8equal_toIyEEEEPmJSF_EEE10hipError_tPvRmT3_T4_T5_T6_T7_T9_mT8_P12ihipStream_tbDpT10_ENKUlT_T0_E_clISt17integral_constantIbLb1EES17_IbLb0EEEEDaS13_S14_EUlS13_E_NS1_11comp_targetILNS1_3genE3ELNS1_11target_archE908ELNS1_3gpuE7ELNS1_3repE0EEENS1_30default_config_static_selectorELNS0_4arch9wavefront6targetE0EEEvT1_
                                        ; -- End function
	.section	.AMDGPU.csdata,"",@progbits
; Kernel info:
; codeLenInByte = 0
; NumSgprs: 0
; NumVgprs: 0
; ScratchSize: 0
; MemoryBound: 0
; FloatMode: 240
; IeeeMode: 1
; LDSByteSize: 0 bytes/workgroup (compile time only)
; SGPRBlocks: 0
; VGPRBlocks: 0
; NumSGPRsForWavesPerEU: 1
; NumVGPRsForWavesPerEU: 1
; Occupancy: 16
; WaveLimiterHint : 0
; COMPUTE_PGM_RSRC2:SCRATCH_EN: 0
; COMPUTE_PGM_RSRC2:USER_SGPR: 15
; COMPUTE_PGM_RSRC2:TRAP_HANDLER: 0
; COMPUTE_PGM_RSRC2:TGID_X_EN: 1
; COMPUTE_PGM_RSRC2:TGID_Y_EN: 0
; COMPUTE_PGM_RSRC2:TGID_Z_EN: 0
; COMPUTE_PGM_RSRC2:TIDIG_COMP_CNT: 0
	.section	.text._ZN7rocprim17ROCPRIM_400000_NS6detail17trampoline_kernelINS0_14default_configENS1_25partition_config_selectorILNS1_17partition_subalgoE9EyybEEZZNS1_14partition_implILS5_9ELb0ES3_jN6thrust23THRUST_200600_302600_NS6detail15normal_iteratorINS9_10device_ptrIyEEEESE_PNS0_10empty_typeENS0_5tupleIJSE_SF_EEENSH_IJSE_SG_EEENS0_18inequality_wrapperINS9_8equal_toIyEEEEPmJSF_EEE10hipError_tPvRmT3_T4_T5_T6_T7_T9_mT8_P12ihipStream_tbDpT10_ENKUlT_T0_E_clISt17integral_constantIbLb1EES17_IbLb0EEEEDaS13_S14_EUlS13_E_NS1_11comp_targetILNS1_3genE2ELNS1_11target_archE906ELNS1_3gpuE6ELNS1_3repE0EEENS1_30default_config_static_selectorELNS0_4arch9wavefront6targetE0EEEvT1_,"axG",@progbits,_ZN7rocprim17ROCPRIM_400000_NS6detail17trampoline_kernelINS0_14default_configENS1_25partition_config_selectorILNS1_17partition_subalgoE9EyybEEZZNS1_14partition_implILS5_9ELb0ES3_jN6thrust23THRUST_200600_302600_NS6detail15normal_iteratorINS9_10device_ptrIyEEEESE_PNS0_10empty_typeENS0_5tupleIJSE_SF_EEENSH_IJSE_SG_EEENS0_18inequality_wrapperINS9_8equal_toIyEEEEPmJSF_EEE10hipError_tPvRmT3_T4_T5_T6_T7_T9_mT8_P12ihipStream_tbDpT10_ENKUlT_T0_E_clISt17integral_constantIbLb1EES17_IbLb0EEEEDaS13_S14_EUlS13_E_NS1_11comp_targetILNS1_3genE2ELNS1_11target_archE906ELNS1_3gpuE6ELNS1_3repE0EEENS1_30default_config_static_selectorELNS0_4arch9wavefront6targetE0EEEvT1_,comdat
	.protected	_ZN7rocprim17ROCPRIM_400000_NS6detail17trampoline_kernelINS0_14default_configENS1_25partition_config_selectorILNS1_17partition_subalgoE9EyybEEZZNS1_14partition_implILS5_9ELb0ES3_jN6thrust23THRUST_200600_302600_NS6detail15normal_iteratorINS9_10device_ptrIyEEEESE_PNS0_10empty_typeENS0_5tupleIJSE_SF_EEENSH_IJSE_SG_EEENS0_18inequality_wrapperINS9_8equal_toIyEEEEPmJSF_EEE10hipError_tPvRmT3_T4_T5_T6_T7_T9_mT8_P12ihipStream_tbDpT10_ENKUlT_T0_E_clISt17integral_constantIbLb1EES17_IbLb0EEEEDaS13_S14_EUlS13_E_NS1_11comp_targetILNS1_3genE2ELNS1_11target_archE906ELNS1_3gpuE6ELNS1_3repE0EEENS1_30default_config_static_selectorELNS0_4arch9wavefront6targetE0EEEvT1_ ; -- Begin function _ZN7rocprim17ROCPRIM_400000_NS6detail17trampoline_kernelINS0_14default_configENS1_25partition_config_selectorILNS1_17partition_subalgoE9EyybEEZZNS1_14partition_implILS5_9ELb0ES3_jN6thrust23THRUST_200600_302600_NS6detail15normal_iteratorINS9_10device_ptrIyEEEESE_PNS0_10empty_typeENS0_5tupleIJSE_SF_EEENSH_IJSE_SG_EEENS0_18inequality_wrapperINS9_8equal_toIyEEEEPmJSF_EEE10hipError_tPvRmT3_T4_T5_T6_T7_T9_mT8_P12ihipStream_tbDpT10_ENKUlT_T0_E_clISt17integral_constantIbLb1EES17_IbLb0EEEEDaS13_S14_EUlS13_E_NS1_11comp_targetILNS1_3genE2ELNS1_11target_archE906ELNS1_3gpuE6ELNS1_3repE0EEENS1_30default_config_static_selectorELNS0_4arch9wavefront6targetE0EEEvT1_
	.globl	_ZN7rocprim17ROCPRIM_400000_NS6detail17trampoline_kernelINS0_14default_configENS1_25partition_config_selectorILNS1_17partition_subalgoE9EyybEEZZNS1_14partition_implILS5_9ELb0ES3_jN6thrust23THRUST_200600_302600_NS6detail15normal_iteratorINS9_10device_ptrIyEEEESE_PNS0_10empty_typeENS0_5tupleIJSE_SF_EEENSH_IJSE_SG_EEENS0_18inequality_wrapperINS9_8equal_toIyEEEEPmJSF_EEE10hipError_tPvRmT3_T4_T5_T6_T7_T9_mT8_P12ihipStream_tbDpT10_ENKUlT_T0_E_clISt17integral_constantIbLb1EES17_IbLb0EEEEDaS13_S14_EUlS13_E_NS1_11comp_targetILNS1_3genE2ELNS1_11target_archE906ELNS1_3gpuE6ELNS1_3repE0EEENS1_30default_config_static_selectorELNS0_4arch9wavefront6targetE0EEEvT1_
	.p2align	8
	.type	_ZN7rocprim17ROCPRIM_400000_NS6detail17trampoline_kernelINS0_14default_configENS1_25partition_config_selectorILNS1_17partition_subalgoE9EyybEEZZNS1_14partition_implILS5_9ELb0ES3_jN6thrust23THRUST_200600_302600_NS6detail15normal_iteratorINS9_10device_ptrIyEEEESE_PNS0_10empty_typeENS0_5tupleIJSE_SF_EEENSH_IJSE_SG_EEENS0_18inequality_wrapperINS9_8equal_toIyEEEEPmJSF_EEE10hipError_tPvRmT3_T4_T5_T6_T7_T9_mT8_P12ihipStream_tbDpT10_ENKUlT_T0_E_clISt17integral_constantIbLb1EES17_IbLb0EEEEDaS13_S14_EUlS13_E_NS1_11comp_targetILNS1_3genE2ELNS1_11target_archE906ELNS1_3gpuE6ELNS1_3repE0EEENS1_30default_config_static_selectorELNS0_4arch9wavefront6targetE0EEEvT1_,@function
_ZN7rocprim17ROCPRIM_400000_NS6detail17trampoline_kernelINS0_14default_configENS1_25partition_config_selectorILNS1_17partition_subalgoE9EyybEEZZNS1_14partition_implILS5_9ELb0ES3_jN6thrust23THRUST_200600_302600_NS6detail15normal_iteratorINS9_10device_ptrIyEEEESE_PNS0_10empty_typeENS0_5tupleIJSE_SF_EEENSH_IJSE_SG_EEENS0_18inequality_wrapperINS9_8equal_toIyEEEEPmJSF_EEE10hipError_tPvRmT3_T4_T5_T6_T7_T9_mT8_P12ihipStream_tbDpT10_ENKUlT_T0_E_clISt17integral_constantIbLb1EES17_IbLb0EEEEDaS13_S14_EUlS13_E_NS1_11comp_targetILNS1_3genE2ELNS1_11target_archE906ELNS1_3gpuE6ELNS1_3repE0EEENS1_30default_config_static_selectorELNS0_4arch9wavefront6targetE0EEEvT1_: ; @_ZN7rocprim17ROCPRIM_400000_NS6detail17trampoline_kernelINS0_14default_configENS1_25partition_config_selectorILNS1_17partition_subalgoE9EyybEEZZNS1_14partition_implILS5_9ELb0ES3_jN6thrust23THRUST_200600_302600_NS6detail15normal_iteratorINS9_10device_ptrIyEEEESE_PNS0_10empty_typeENS0_5tupleIJSE_SF_EEENSH_IJSE_SG_EEENS0_18inequality_wrapperINS9_8equal_toIyEEEEPmJSF_EEE10hipError_tPvRmT3_T4_T5_T6_T7_T9_mT8_P12ihipStream_tbDpT10_ENKUlT_T0_E_clISt17integral_constantIbLb1EES17_IbLb0EEEEDaS13_S14_EUlS13_E_NS1_11comp_targetILNS1_3genE2ELNS1_11target_archE906ELNS1_3gpuE6ELNS1_3repE0EEENS1_30default_config_static_selectorELNS0_4arch9wavefront6targetE0EEEvT1_
; %bb.0:
	.section	.rodata,"a",@progbits
	.p2align	6, 0x0
	.amdhsa_kernel _ZN7rocprim17ROCPRIM_400000_NS6detail17trampoline_kernelINS0_14default_configENS1_25partition_config_selectorILNS1_17partition_subalgoE9EyybEEZZNS1_14partition_implILS5_9ELb0ES3_jN6thrust23THRUST_200600_302600_NS6detail15normal_iteratorINS9_10device_ptrIyEEEESE_PNS0_10empty_typeENS0_5tupleIJSE_SF_EEENSH_IJSE_SG_EEENS0_18inequality_wrapperINS9_8equal_toIyEEEEPmJSF_EEE10hipError_tPvRmT3_T4_T5_T6_T7_T9_mT8_P12ihipStream_tbDpT10_ENKUlT_T0_E_clISt17integral_constantIbLb1EES17_IbLb0EEEEDaS13_S14_EUlS13_E_NS1_11comp_targetILNS1_3genE2ELNS1_11target_archE906ELNS1_3gpuE6ELNS1_3repE0EEENS1_30default_config_static_selectorELNS0_4arch9wavefront6targetE0EEEvT1_
		.amdhsa_group_segment_fixed_size 0
		.amdhsa_private_segment_fixed_size 0
		.amdhsa_kernarg_size 112
		.amdhsa_user_sgpr_count 15
		.amdhsa_user_sgpr_dispatch_ptr 0
		.amdhsa_user_sgpr_queue_ptr 0
		.amdhsa_user_sgpr_kernarg_segment_ptr 1
		.amdhsa_user_sgpr_dispatch_id 0
		.amdhsa_user_sgpr_private_segment_size 0
		.amdhsa_wavefront_size32 1
		.amdhsa_uses_dynamic_stack 0
		.amdhsa_enable_private_segment 0
		.amdhsa_system_sgpr_workgroup_id_x 1
		.amdhsa_system_sgpr_workgroup_id_y 0
		.amdhsa_system_sgpr_workgroup_id_z 0
		.amdhsa_system_sgpr_workgroup_info 0
		.amdhsa_system_vgpr_workitem_id 0
		.amdhsa_next_free_vgpr 1
		.amdhsa_next_free_sgpr 1
		.amdhsa_reserve_vcc 0
		.amdhsa_float_round_mode_32 0
		.amdhsa_float_round_mode_16_64 0
		.amdhsa_float_denorm_mode_32 3
		.amdhsa_float_denorm_mode_16_64 3
		.amdhsa_dx10_clamp 1
		.amdhsa_ieee_mode 1
		.amdhsa_fp16_overflow 0
		.amdhsa_workgroup_processor_mode 1
		.amdhsa_memory_ordered 1
		.amdhsa_forward_progress 0
		.amdhsa_shared_vgpr_count 0
		.amdhsa_exception_fp_ieee_invalid_op 0
		.amdhsa_exception_fp_denorm_src 0
		.amdhsa_exception_fp_ieee_div_zero 0
		.amdhsa_exception_fp_ieee_overflow 0
		.amdhsa_exception_fp_ieee_underflow 0
		.amdhsa_exception_fp_ieee_inexact 0
		.amdhsa_exception_int_div_zero 0
	.end_amdhsa_kernel
	.section	.text._ZN7rocprim17ROCPRIM_400000_NS6detail17trampoline_kernelINS0_14default_configENS1_25partition_config_selectorILNS1_17partition_subalgoE9EyybEEZZNS1_14partition_implILS5_9ELb0ES3_jN6thrust23THRUST_200600_302600_NS6detail15normal_iteratorINS9_10device_ptrIyEEEESE_PNS0_10empty_typeENS0_5tupleIJSE_SF_EEENSH_IJSE_SG_EEENS0_18inequality_wrapperINS9_8equal_toIyEEEEPmJSF_EEE10hipError_tPvRmT3_T4_T5_T6_T7_T9_mT8_P12ihipStream_tbDpT10_ENKUlT_T0_E_clISt17integral_constantIbLb1EES17_IbLb0EEEEDaS13_S14_EUlS13_E_NS1_11comp_targetILNS1_3genE2ELNS1_11target_archE906ELNS1_3gpuE6ELNS1_3repE0EEENS1_30default_config_static_selectorELNS0_4arch9wavefront6targetE0EEEvT1_,"axG",@progbits,_ZN7rocprim17ROCPRIM_400000_NS6detail17trampoline_kernelINS0_14default_configENS1_25partition_config_selectorILNS1_17partition_subalgoE9EyybEEZZNS1_14partition_implILS5_9ELb0ES3_jN6thrust23THRUST_200600_302600_NS6detail15normal_iteratorINS9_10device_ptrIyEEEESE_PNS0_10empty_typeENS0_5tupleIJSE_SF_EEENSH_IJSE_SG_EEENS0_18inequality_wrapperINS9_8equal_toIyEEEEPmJSF_EEE10hipError_tPvRmT3_T4_T5_T6_T7_T9_mT8_P12ihipStream_tbDpT10_ENKUlT_T0_E_clISt17integral_constantIbLb1EES17_IbLb0EEEEDaS13_S14_EUlS13_E_NS1_11comp_targetILNS1_3genE2ELNS1_11target_archE906ELNS1_3gpuE6ELNS1_3repE0EEENS1_30default_config_static_selectorELNS0_4arch9wavefront6targetE0EEEvT1_,comdat
.Lfunc_end165:
	.size	_ZN7rocprim17ROCPRIM_400000_NS6detail17trampoline_kernelINS0_14default_configENS1_25partition_config_selectorILNS1_17partition_subalgoE9EyybEEZZNS1_14partition_implILS5_9ELb0ES3_jN6thrust23THRUST_200600_302600_NS6detail15normal_iteratorINS9_10device_ptrIyEEEESE_PNS0_10empty_typeENS0_5tupleIJSE_SF_EEENSH_IJSE_SG_EEENS0_18inequality_wrapperINS9_8equal_toIyEEEEPmJSF_EEE10hipError_tPvRmT3_T4_T5_T6_T7_T9_mT8_P12ihipStream_tbDpT10_ENKUlT_T0_E_clISt17integral_constantIbLb1EES17_IbLb0EEEEDaS13_S14_EUlS13_E_NS1_11comp_targetILNS1_3genE2ELNS1_11target_archE906ELNS1_3gpuE6ELNS1_3repE0EEENS1_30default_config_static_selectorELNS0_4arch9wavefront6targetE0EEEvT1_, .Lfunc_end165-_ZN7rocprim17ROCPRIM_400000_NS6detail17trampoline_kernelINS0_14default_configENS1_25partition_config_selectorILNS1_17partition_subalgoE9EyybEEZZNS1_14partition_implILS5_9ELb0ES3_jN6thrust23THRUST_200600_302600_NS6detail15normal_iteratorINS9_10device_ptrIyEEEESE_PNS0_10empty_typeENS0_5tupleIJSE_SF_EEENSH_IJSE_SG_EEENS0_18inequality_wrapperINS9_8equal_toIyEEEEPmJSF_EEE10hipError_tPvRmT3_T4_T5_T6_T7_T9_mT8_P12ihipStream_tbDpT10_ENKUlT_T0_E_clISt17integral_constantIbLb1EES17_IbLb0EEEEDaS13_S14_EUlS13_E_NS1_11comp_targetILNS1_3genE2ELNS1_11target_archE906ELNS1_3gpuE6ELNS1_3repE0EEENS1_30default_config_static_selectorELNS0_4arch9wavefront6targetE0EEEvT1_
                                        ; -- End function
	.section	.AMDGPU.csdata,"",@progbits
; Kernel info:
; codeLenInByte = 0
; NumSgprs: 0
; NumVgprs: 0
; ScratchSize: 0
; MemoryBound: 0
; FloatMode: 240
; IeeeMode: 1
; LDSByteSize: 0 bytes/workgroup (compile time only)
; SGPRBlocks: 0
; VGPRBlocks: 0
; NumSGPRsForWavesPerEU: 1
; NumVGPRsForWavesPerEU: 1
; Occupancy: 15
; WaveLimiterHint : 0
; COMPUTE_PGM_RSRC2:SCRATCH_EN: 0
; COMPUTE_PGM_RSRC2:USER_SGPR: 15
; COMPUTE_PGM_RSRC2:TRAP_HANDLER: 0
; COMPUTE_PGM_RSRC2:TGID_X_EN: 1
; COMPUTE_PGM_RSRC2:TGID_Y_EN: 0
; COMPUTE_PGM_RSRC2:TGID_Z_EN: 0
; COMPUTE_PGM_RSRC2:TIDIG_COMP_CNT: 0
	.section	.text._ZN7rocprim17ROCPRIM_400000_NS6detail17trampoline_kernelINS0_14default_configENS1_25partition_config_selectorILNS1_17partition_subalgoE9EyybEEZZNS1_14partition_implILS5_9ELb0ES3_jN6thrust23THRUST_200600_302600_NS6detail15normal_iteratorINS9_10device_ptrIyEEEESE_PNS0_10empty_typeENS0_5tupleIJSE_SF_EEENSH_IJSE_SG_EEENS0_18inequality_wrapperINS9_8equal_toIyEEEEPmJSF_EEE10hipError_tPvRmT3_T4_T5_T6_T7_T9_mT8_P12ihipStream_tbDpT10_ENKUlT_T0_E_clISt17integral_constantIbLb1EES17_IbLb0EEEEDaS13_S14_EUlS13_E_NS1_11comp_targetILNS1_3genE10ELNS1_11target_archE1200ELNS1_3gpuE4ELNS1_3repE0EEENS1_30default_config_static_selectorELNS0_4arch9wavefront6targetE0EEEvT1_,"axG",@progbits,_ZN7rocprim17ROCPRIM_400000_NS6detail17trampoline_kernelINS0_14default_configENS1_25partition_config_selectorILNS1_17partition_subalgoE9EyybEEZZNS1_14partition_implILS5_9ELb0ES3_jN6thrust23THRUST_200600_302600_NS6detail15normal_iteratorINS9_10device_ptrIyEEEESE_PNS0_10empty_typeENS0_5tupleIJSE_SF_EEENSH_IJSE_SG_EEENS0_18inequality_wrapperINS9_8equal_toIyEEEEPmJSF_EEE10hipError_tPvRmT3_T4_T5_T6_T7_T9_mT8_P12ihipStream_tbDpT10_ENKUlT_T0_E_clISt17integral_constantIbLb1EES17_IbLb0EEEEDaS13_S14_EUlS13_E_NS1_11comp_targetILNS1_3genE10ELNS1_11target_archE1200ELNS1_3gpuE4ELNS1_3repE0EEENS1_30default_config_static_selectorELNS0_4arch9wavefront6targetE0EEEvT1_,comdat
	.protected	_ZN7rocprim17ROCPRIM_400000_NS6detail17trampoline_kernelINS0_14default_configENS1_25partition_config_selectorILNS1_17partition_subalgoE9EyybEEZZNS1_14partition_implILS5_9ELb0ES3_jN6thrust23THRUST_200600_302600_NS6detail15normal_iteratorINS9_10device_ptrIyEEEESE_PNS0_10empty_typeENS0_5tupleIJSE_SF_EEENSH_IJSE_SG_EEENS0_18inequality_wrapperINS9_8equal_toIyEEEEPmJSF_EEE10hipError_tPvRmT3_T4_T5_T6_T7_T9_mT8_P12ihipStream_tbDpT10_ENKUlT_T0_E_clISt17integral_constantIbLb1EES17_IbLb0EEEEDaS13_S14_EUlS13_E_NS1_11comp_targetILNS1_3genE10ELNS1_11target_archE1200ELNS1_3gpuE4ELNS1_3repE0EEENS1_30default_config_static_selectorELNS0_4arch9wavefront6targetE0EEEvT1_ ; -- Begin function _ZN7rocprim17ROCPRIM_400000_NS6detail17trampoline_kernelINS0_14default_configENS1_25partition_config_selectorILNS1_17partition_subalgoE9EyybEEZZNS1_14partition_implILS5_9ELb0ES3_jN6thrust23THRUST_200600_302600_NS6detail15normal_iteratorINS9_10device_ptrIyEEEESE_PNS0_10empty_typeENS0_5tupleIJSE_SF_EEENSH_IJSE_SG_EEENS0_18inequality_wrapperINS9_8equal_toIyEEEEPmJSF_EEE10hipError_tPvRmT3_T4_T5_T6_T7_T9_mT8_P12ihipStream_tbDpT10_ENKUlT_T0_E_clISt17integral_constantIbLb1EES17_IbLb0EEEEDaS13_S14_EUlS13_E_NS1_11comp_targetILNS1_3genE10ELNS1_11target_archE1200ELNS1_3gpuE4ELNS1_3repE0EEENS1_30default_config_static_selectorELNS0_4arch9wavefront6targetE0EEEvT1_
	.globl	_ZN7rocprim17ROCPRIM_400000_NS6detail17trampoline_kernelINS0_14default_configENS1_25partition_config_selectorILNS1_17partition_subalgoE9EyybEEZZNS1_14partition_implILS5_9ELb0ES3_jN6thrust23THRUST_200600_302600_NS6detail15normal_iteratorINS9_10device_ptrIyEEEESE_PNS0_10empty_typeENS0_5tupleIJSE_SF_EEENSH_IJSE_SG_EEENS0_18inequality_wrapperINS9_8equal_toIyEEEEPmJSF_EEE10hipError_tPvRmT3_T4_T5_T6_T7_T9_mT8_P12ihipStream_tbDpT10_ENKUlT_T0_E_clISt17integral_constantIbLb1EES17_IbLb0EEEEDaS13_S14_EUlS13_E_NS1_11comp_targetILNS1_3genE10ELNS1_11target_archE1200ELNS1_3gpuE4ELNS1_3repE0EEENS1_30default_config_static_selectorELNS0_4arch9wavefront6targetE0EEEvT1_
	.p2align	8
	.type	_ZN7rocprim17ROCPRIM_400000_NS6detail17trampoline_kernelINS0_14default_configENS1_25partition_config_selectorILNS1_17partition_subalgoE9EyybEEZZNS1_14partition_implILS5_9ELb0ES3_jN6thrust23THRUST_200600_302600_NS6detail15normal_iteratorINS9_10device_ptrIyEEEESE_PNS0_10empty_typeENS0_5tupleIJSE_SF_EEENSH_IJSE_SG_EEENS0_18inequality_wrapperINS9_8equal_toIyEEEEPmJSF_EEE10hipError_tPvRmT3_T4_T5_T6_T7_T9_mT8_P12ihipStream_tbDpT10_ENKUlT_T0_E_clISt17integral_constantIbLb1EES17_IbLb0EEEEDaS13_S14_EUlS13_E_NS1_11comp_targetILNS1_3genE10ELNS1_11target_archE1200ELNS1_3gpuE4ELNS1_3repE0EEENS1_30default_config_static_selectorELNS0_4arch9wavefront6targetE0EEEvT1_,@function
_ZN7rocprim17ROCPRIM_400000_NS6detail17trampoline_kernelINS0_14default_configENS1_25partition_config_selectorILNS1_17partition_subalgoE9EyybEEZZNS1_14partition_implILS5_9ELb0ES3_jN6thrust23THRUST_200600_302600_NS6detail15normal_iteratorINS9_10device_ptrIyEEEESE_PNS0_10empty_typeENS0_5tupleIJSE_SF_EEENSH_IJSE_SG_EEENS0_18inequality_wrapperINS9_8equal_toIyEEEEPmJSF_EEE10hipError_tPvRmT3_T4_T5_T6_T7_T9_mT8_P12ihipStream_tbDpT10_ENKUlT_T0_E_clISt17integral_constantIbLb1EES17_IbLb0EEEEDaS13_S14_EUlS13_E_NS1_11comp_targetILNS1_3genE10ELNS1_11target_archE1200ELNS1_3gpuE4ELNS1_3repE0EEENS1_30default_config_static_selectorELNS0_4arch9wavefront6targetE0EEEvT1_: ; @_ZN7rocprim17ROCPRIM_400000_NS6detail17trampoline_kernelINS0_14default_configENS1_25partition_config_selectorILNS1_17partition_subalgoE9EyybEEZZNS1_14partition_implILS5_9ELb0ES3_jN6thrust23THRUST_200600_302600_NS6detail15normal_iteratorINS9_10device_ptrIyEEEESE_PNS0_10empty_typeENS0_5tupleIJSE_SF_EEENSH_IJSE_SG_EEENS0_18inequality_wrapperINS9_8equal_toIyEEEEPmJSF_EEE10hipError_tPvRmT3_T4_T5_T6_T7_T9_mT8_P12ihipStream_tbDpT10_ENKUlT_T0_E_clISt17integral_constantIbLb1EES17_IbLb0EEEEDaS13_S14_EUlS13_E_NS1_11comp_targetILNS1_3genE10ELNS1_11target_archE1200ELNS1_3gpuE4ELNS1_3repE0EEENS1_30default_config_static_selectorELNS0_4arch9wavefront6targetE0EEEvT1_
; %bb.0:
	.section	.rodata,"a",@progbits
	.p2align	6, 0x0
	.amdhsa_kernel _ZN7rocprim17ROCPRIM_400000_NS6detail17trampoline_kernelINS0_14default_configENS1_25partition_config_selectorILNS1_17partition_subalgoE9EyybEEZZNS1_14partition_implILS5_9ELb0ES3_jN6thrust23THRUST_200600_302600_NS6detail15normal_iteratorINS9_10device_ptrIyEEEESE_PNS0_10empty_typeENS0_5tupleIJSE_SF_EEENSH_IJSE_SG_EEENS0_18inequality_wrapperINS9_8equal_toIyEEEEPmJSF_EEE10hipError_tPvRmT3_T4_T5_T6_T7_T9_mT8_P12ihipStream_tbDpT10_ENKUlT_T0_E_clISt17integral_constantIbLb1EES17_IbLb0EEEEDaS13_S14_EUlS13_E_NS1_11comp_targetILNS1_3genE10ELNS1_11target_archE1200ELNS1_3gpuE4ELNS1_3repE0EEENS1_30default_config_static_selectorELNS0_4arch9wavefront6targetE0EEEvT1_
		.amdhsa_group_segment_fixed_size 0
		.amdhsa_private_segment_fixed_size 0
		.amdhsa_kernarg_size 112
		.amdhsa_user_sgpr_count 15
		.amdhsa_user_sgpr_dispatch_ptr 0
		.amdhsa_user_sgpr_queue_ptr 0
		.amdhsa_user_sgpr_kernarg_segment_ptr 1
		.amdhsa_user_sgpr_dispatch_id 0
		.amdhsa_user_sgpr_private_segment_size 0
		.amdhsa_wavefront_size32 1
		.amdhsa_uses_dynamic_stack 0
		.amdhsa_enable_private_segment 0
		.amdhsa_system_sgpr_workgroup_id_x 1
		.amdhsa_system_sgpr_workgroup_id_y 0
		.amdhsa_system_sgpr_workgroup_id_z 0
		.amdhsa_system_sgpr_workgroup_info 0
		.amdhsa_system_vgpr_workitem_id 0
		.amdhsa_next_free_vgpr 1
		.amdhsa_next_free_sgpr 1
		.amdhsa_reserve_vcc 0
		.amdhsa_float_round_mode_32 0
		.amdhsa_float_round_mode_16_64 0
		.amdhsa_float_denorm_mode_32 3
		.amdhsa_float_denorm_mode_16_64 3
		.amdhsa_dx10_clamp 1
		.amdhsa_ieee_mode 1
		.amdhsa_fp16_overflow 0
		.amdhsa_workgroup_processor_mode 1
		.amdhsa_memory_ordered 1
		.amdhsa_forward_progress 0
		.amdhsa_shared_vgpr_count 0
		.amdhsa_exception_fp_ieee_invalid_op 0
		.amdhsa_exception_fp_denorm_src 0
		.amdhsa_exception_fp_ieee_div_zero 0
		.amdhsa_exception_fp_ieee_overflow 0
		.amdhsa_exception_fp_ieee_underflow 0
		.amdhsa_exception_fp_ieee_inexact 0
		.amdhsa_exception_int_div_zero 0
	.end_amdhsa_kernel
	.section	.text._ZN7rocprim17ROCPRIM_400000_NS6detail17trampoline_kernelINS0_14default_configENS1_25partition_config_selectorILNS1_17partition_subalgoE9EyybEEZZNS1_14partition_implILS5_9ELb0ES3_jN6thrust23THRUST_200600_302600_NS6detail15normal_iteratorINS9_10device_ptrIyEEEESE_PNS0_10empty_typeENS0_5tupleIJSE_SF_EEENSH_IJSE_SG_EEENS0_18inequality_wrapperINS9_8equal_toIyEEEEPmJSF_EEE10hipError_tPvRmT3_T4_T5_T6_T7_T9_mT8_P12ihipStream_tbDpT10_ENKUlT_T0_E_clISt17integral_constantIbLb1EES17_IbLb0EEEEDaS13_S14_EUlS13_E_NS1_11comp_targetILNS1_3genE10ELNS1_11target_archE1200ELNS1_3gpuE4ELNS1_3repE0EEENS1_30default_config_static_selectorELNS0_4arch9wavefront6targetE0EEEvT1_,"axG",@progbits,_ZN7rocprim17ROCPRIM_400000_NS6detail17trampoline_kernelINS0_14default_configENS1_25partition_config_selectorILNS1_17partition_subalgoE9EyybEEZZNS1_14partition_implILS5_9ELb0ES3_jN6thrust23THRUST_200600_302600_NS6detail15normal_iteratorINS9_10device_ptrIyEEEESE_PNS0_10empty_typeENS0_5tupleIJSE_SF_EEENSH_IJSE_SG_EEENS0_18inequality_wrapperINS9_8equal_toIyEEEEPmJSF_EEE10hipError_tPvRmT3_T4_T5_T6_T7_T9_mT8_P12ihipStream_tbDpT10_ENKUlT_T0_E_clISt17integral_constantIbLb1EES17_IbLb0EEEEDaS13_S14_EUlS13_E_NS1_11comp_targetILNS1_3genE10ELNS1_11target_archE1200ELNS1_3gpuE4ELNS1_3repE0EEENS1_30default_config_static_selectorELNS0_4arch9wavefront6targetE0EEEvT1_,comdat
.Lfunc_end166:
	.size	_ZN7rocprim17ROCPRIM_400000_NS6detail17trampoline_kernelINS0_14default_configENS1_25partition_config_selectorILNS1_17partition_subalgoE9EyybEEZZNS1_14partition_implILS5_9ELb0ES3_jN6thrust23THRUST_200600_302600_NS6detail15normal_iteratorINS9_10device_ptrIyEEEESE_PNS0_10empty_typeENS0_5tupleIJSE_SF_EEENSH_IJSE_SG_EEENS0_18inequality_wrapperINS9_8equal_toIyEEEEPmJSF_EEE10hipError_tPvRmT3_T4_T5_T6_T7_T9_mT8_P12ihipStream_tbDpT10_ENKUlT_T0_E_clISt17integral_constantIbLb1EES17_IbLb0EEEEDaS13_S14_EUlS13_E_NS1_11comp_targetILNS1_3genE10ELNS1_11target_archE1200ELNS1_3gpuE4ELNS1_3repE0EEENS1_30default_config_static_selectorELNS0_4arch9wavefront6targetE0EEEvT1_, .Lfunc_end166-_ZN7rocprim17ROCPRIM_400000_NS6detail17trampoline_kernelINS0_14default_configENS1_25partition_config_selectorILNS1_17partition_subalgoE9EyybEEZZNS1_14partition_implILS5_9ELb0ES3_jN6thrust23THRUST_200600_302600_NS6detail15normal_iteratorINS9_10device_ptrIyEEEESE_PNS0_10empty_typeENS0_5tupleIJSE_SF_EEENSH_IJSE_SG_EEENS0_18inequality_wrapperINS9_8equal_toIyEEEEPmJSF_EEE10hipError_tPvRmT3_T4_T5_T6_T7_T9_mT8_P12ihipStream_tbDpT10_ENKUlT_T0_E_clISt17integral_constantIbLb1EES17_IbLb0EEEEDaS13_S14_EUlS13_E_NS1_11comp_targetILNS1_3genE10ELNS1_11target_archE1200ELNS1_3gpuE4ELNS1_3repE0EEENS1_30default_config_static_selectorELNS0_4arch9wavefront6targetE0EEEvT1_
                                        ; -- End function
	.section	.AMDGPU.csdata,"",@progbits
; Kernel info:
; codeLenInByte = 0
; NumSgprs: 0
; NumVgprs: 0
; ScratchSize: 0
; MemoryBound: 0
; FloatMode: 240
; IeeeMode: 1
; LDSByteSize: 0 bytes/workgroup (compile time only)
; SGPRBlocks: 0
; VGPRBlocks: 0
; NumSGPRsForWavesPerEU: 1
; NumVGPRsForWavesPerEU: 1
; Occupancy: 15
; WaveLimiterHint : 0
; COMPUTE_PGM_RSRC2:SCRATCH_EN: 0
; COMPUTE_PGM_RSRC2:USER_SGPR: 15
; COMPUTE_PGM_RSRC2:TRAP_HANDLER: 0
; COMPUTE_PGM_RSRC2:TGID_X_EN: 1
; COMPUTE_PGM_RSRC2:TGID_Y_EN: 0
; COMPUTE_PGM_RSRC2:TGID_Z_EN: 0
; COMPUTE_PGM_RSRC2:TIDIG_COMP_CNT: 0
	.section	.text._ZN7rocprim17ROCPRIM_400000_NS6detail17trampoline_kernelINS0_14default_configENS1_25partition_config_selectorILNS1_17partition_subalgoE9EyybEEZZNS1_14partition_implILS5_9ELb0ES3_jN6thrust23THRUST_200600_302600_NS6detail15normal_iteratorINS9_10device_ptrIyEEEESE_PNS0_10empty_typeENS0_5tupleIJSE_SF_EEENSH_IJSE_SG_EEENS0_18inequality_wrapperINS9_8equal_toIyEEEEPmJSF_EEE10hipError_tPvRmT3_T4_T5_T6_T7_T9_mT8_P12ihipStream_tbDpT10_ENKUlT_T0_E_clISt17integral_constantIbLb1EES17_IbLb0EEEEDaS13_S14_EUlS13_E_NS1_11comp_targetILNS1_3genE9ELNS1_11target_archE1100ELNS1_3gpuE3ELNS1_3repE0EEENS1_30default_config_static_selectorELNS0_4arch9wavefront6targetE0EEEvT1_,"axG",@progbits,_ZN7rocprim17ROCPRIM_400000_NS6detail17trampoline_kernelINS0_14default_configENS1_25partition_config_selectorILNS1_17partition_subalgoE9EyybEEZZNS1_14partition_implILS5_9ELb0ES3_jN6thrust23THRUST_200600_302600_NS6detail15normal_iteratorINS9_10device_ptrIyEEEESE_PNS0_10empty_typeENS0_5tupleIJSE_SF_EEENSH_IJSE_SG_EEENS0_18inequality_wrapperINS9_8equal_toIyEEEEPmJSF_EEE10hipError_tPvRmT3_T4_T5_T6_T7_T9_mT8_P12ihipStream_tbDpT10_ENKUlT_T0_E_clISt17integral_constantIbLb1EES17_IbLb0EEEEDaS13_S14_EUlS13_E_NS1_11comp_targetILNS1_3genE9ELNS1_11target_archE1100ELNS1_3gpuE3ELNS1_3repE0EEENS1_30default_config_static_selectorELNS0_4arch9wavefront6targetE0EEEvT1_,comdat
	.protected	_ZN7rocprim17ROCPRIM_400000_NS6detail17trampoline_kernelINS0_14default_configENS1_25partition_config_selectorILNS1_17partition_subalgoE9EyybEEZZNS1_14partition_implILS5_9ELb0ES3_jN6thrust23THRUST_200600_302600_NS6detail15normal_iteratorINS9_10device_ptrIyEEEESE_PNS0_10empty_typeENS0_5tupleIJSE_SF_EEENSH_IJSE_SG_EEENS0_18inequality_wrapperINS9_8equal_toIyEEEEPmJSF_EEE10hipError_tPvRmT3_T4_T5_T6_T7_T9_mT8_P12ihipStream_tbDpT10_ENKUlT_T0_E_clISt17integral_constantIbLb1EES17_IbLb0EEEEDaS13_S14_EUlS13_E_NS1_11comp_targetILNS1_3genE9ELNS1_11target_archE1100ELNS1_3gpuE3ELNS1_3repE0EEENS1_30default_config_static_selectorELNS0_4arch9wavefront6targetE0EEEvT1_ ; -- Begin function _ZN7rocprim17ROCPRIM_400000_NS6detail17trampoline_kernelINS0_14default_configENS1_25partition_config_selectorILNS1_17partition_subalgoE9EyybEEZZNS1_14partition_implILS5_9ELb0ES3_jN6thrust23THRUST_200600_302600_NS6detail15normal_iteratorINS9_10device_ptrIyEEEESE_PNS0_10empty_typeENS0_5tupleIJSE_SF_EEENSH_IJSE_SG_EEENS0_18inequality_wrapperINS9_8equal_toIyEEEEPmJSF_EEE10hipError_tPvRmT3_T4_T5_T6_T7_T9_mT8_P12ihipStream_tbDpT10_ENKUlT_T0_E_clISt17integral_constantIbLb1EES17_IbLb0EEEEDaS13_S14_EUlS13_E_NS1_11comp_targetILNS1_3genE9ELNS1_11target_archE1100ELNS1_3gpuE3ELNS1_3repE0EEENS1_30default_config_static_selectorELNS0_4arch9wavefront6targetE0EEEvT1_
	.globl	_ZN7rocprim17ROCPRIM_400000_NS6detail17trampoline_kernelINS0_14default_configENS1_25partition_config_selectorILNS1_17partition_subalgoE9EyybEEZZNS1_14partition_implILS5_9ELb0ES3_jN6thrust23THRUST_200600_302600_NS6detail15normal_iteratorINS9_10device_ptrIyEEEESE_PNS0_10empty_typeENS0_5tupleIJSE_SF_EEENSH_IJSE_SG_EEENS0_18inequality_wrapperINS9_8equal_toIyEEEEPmJSF_EEE10hipError_tPvRmT3_T4_T5_T6_T7_T9_mT8_P12ihipStream_tbDpT10_ENKUlT_T0_E_clISt17integral_constantIbLb1EES17_IbLb0EEEEDaS13_S14_EUlS13_E_NS1_11comp_targetILNS1_3genE9ELNS1_11target_archE1100ELNS1_3gpuE3ELNS1_3repE0EEENS1_30default_config_static_selectorELNS0_4arch9wavefront6targetE0EEEvT1_
	.p2align	8
	.type	_ZN7rocprim17ROCPRIM_400000_NS6detail17trampoline_kernelINS0_14default_configENS1_25partition_config_selectorILNS1_17partition_subalgoE9EyybEEZZNS1_14partition_implILS5_9ELb0ES3_jN6thrust23THRUST_200600_302600_NS6detail15normal_iteratorINS9_10device_ptrIyEEEESE_PNS0_10empty_typeENS0_5tupleIJSE_SF_EEENSH_IJSE_SG_EEENS0_18inequality_wrapperINS9_8equal_toIyEEEEPmJSF_EEE10hipError_tPvRmT3_T4_T5_T6_T7_T9_mT8_P12ihipStream_tbDpT10_ENKUlT_T0_E_clISt17integral_constantIbLb1EES17_IbLb0EEEEDaS13_S14_EUlS13_E_NS1_11comp_targetILNS1_3genE9ELNS1_11target_archE1100ELNS1_3gpuE3ELNS1_3repE0EEENS1_30default_config_static_selectorELNS0_4arch9wavefront6targetE0EEEvT1_,@function
_ZN7rocprim17ROCPRIM_400000_NS6detail17trampoline_kernelINS0_14default_configENS1_25partition_config_selectorILNS1_17partition_subalgoE9EyybEEZZNS1_14partition_implILS5_9ELb0ES3_jN6thrust23THRUST_200600_302600_NS6detail15normal_iteratorINS9_10device_ptrIyEEEESE_PNS0_10empty_typeENS0_5tupleIJSE_SF_EEENSH_IJSE_SG_EEENS0_18inequality_wrapperINS9_8equal_toIyEEEEPmJSF_EEE10hipError_tPvRmT3_T4_T5_T6_T7_T9_mT8_P12ihipStream_tbDpT10_ENKUlT_T0_E_clISt17integral_constantIbLb1EES17_IbLb0EEEEDaS13_S14_EUlS13_E_NS1_11comp_targetILNS1_3genE9ELNS1_11target_archE1100ELNS1_3gpuE3ELNS1_3repE0EEENS1_30default_config_static_selectorELNS0_4arch9wavefront6targetE0EEEvT1_: ; @_ZN7rocprim17ROCPRIM_400000_NS6detail17trampoline_kernelINS0_14default_configENS1_25partition_config_selectorILNS1_17partition_subalgoE9EyybEEZZNS1_14partition_implILS5_9ELb0ES3_jN6thrust23THRUST_200600_302600_NS6detail15normal_iteratorINS9_10device_ptrIyEEEESE_PNS0_10empty_typeENS0_5tupleIJSE_SF_EEENSH_IJSE_SG_EEENS0_18inequality_wrapperINS9_8equal_toIyEEEEPmJSF_EEE10hipError_tPvRmT3_T4_T5_T6_T7_T9_mT8_P12ihipStream_tbDpT10_ENKUlT_T0_E_clISt17integral_constantIbLb1EES17_IbLb0EEEEDaS13_S14_EUlS13_E_NS1_11comp_targetILNS1_3genE9ELNS1_11target_archE1100ELNS1_3gpuE3ELNS1_3repE0EEENS1_30default_config_static_selectorELNS0_4arch9wavefront6targetE0EEEvT1_
; %bb.0:
	s_clause 0x4
	s_load_b128 s[4:7], s[0:1], 0x8
	s_load_b32 s14, s[0:1], 0x68
	s_load_b128 s[16:19], s[0:1], 0x40
	s_load_b64 s[2:3], s[0:1], 0x50
	s_load_b64 s[8:9], s[0:1], 0x18
	s_mov_b32 s23, 0
	v_lshlrev_b32_e32 v55, 3, v0
	v_lshrrev_b32_e32 v33, 2, v0
	v_or_b32_e32 v38, 0x200, v0
	v_or_b32_e32 v36, 0x400, v0
	;; [unrolled: 1-line block ×7, first 2 shown]
	s_waitcnt lgkmcnt(0)
	s_lshl_b64 s[12:13], s[6:7], 3
	s_delay_alu instid0(SALU_CYCLE_1)
	s_add_u32 s21, s4, s12
	s_addc_u32 s24, s5, s13
	s_add_i32 s20, s14, -1
	s_load_b64 s[10:11], s[18:19], 0x0
	s_lshl_b32 s4, s20, 12
	s_lshl_b32 s5, s14, 12
	s_add_i32 s4, s6, s4
	s_lshl_b32 s22, s15, 12
	s_sub_i32 s19, s2, s4
	s_add_u32 s4, s6, s5
	s_addc_u32 s5, s7, 0
	s_cmp_eq_u32 s15, s20
	v_cmp_ge_u64_e64 s2, s[4:5], s[2:3]
	s_cselect_b32 s14, -1, 0
	s_lshl_b64 s[4:5], s[22:23], 3
	s_mov_b32 s22, -1
	s_delay_alu instid0(VALU_DEP_1) | instskip(NEXT) | instid1(SALU_CYCLE_1)
	s_and_b32 s20, s14, s2
	s_xor_b32 s18, s20, -1
	s_add_u32 s21, s21, s4
	s_addc_u32 s3, s24, s5
	s_and_b32 vcc_lo, exec_lo, s18
	s_cbranch_vccz .LBB167_2
; %bb.1:
	v_add_co_u32 v1, s2, s21, v55
	s_delay_alu instid0(VALU_DEP_1) | instskip(SKIP_1) | instid1(VALU_DEP_3)
	v_add_co_ci_u32_e64 v2, null, s3, 0, s2
	v_lshrrev_b32_e32 v18, 2, v38
	v_add_co_u32 v3, vcc_lo, 0x1000, v1
	s_delay_alu instid0(VALU_DEP_3)
	v_add_co_ci_u32_e32 v4, vcc_lo, 0, v2, vcc_lo
	v_add_co_u32 v5, vcc_lo, 0x2000, v1
	v_add_co_ci_u32_e32 v6, vcc_lo, 0, v2, vcc_lo
	v_add_co_u32 v7, vcc_lo, 0x3000, v1
	;; [unrolled: 2-line block ×6, first 2 shown]
	v_add_co_ci_u32_e32 v16, vcc_lo, 0, v2, vcc_lo
	s_clause 0x7
	flat_load_b64 v[1:2], v[1:2]
	flat_load_b64 v[3:4], v[3:4]
	;; [unrolled: 1-line block ×8, first 2 shown]
	v_lshrrev_b32_e32 v19, 2, v36
	v_lshrrev_b32_e32 v20, 2, v40
	;; [unrolled: 1-line block ×3, first 2 shown]
	v_and_b32_e32 v17, 0x78, v33
	v_lshrrev_b32_e32 v22, 2, v37
	v_lshrrev_b32_e32 v23, 2, v34
	;; [unrolled: 1-line block ×3, first 2 shown]
	v_and_b32_e32 v18, 0xf8, v18
	v_and_b32_e32 v19, 0x178, v19
	;; [unrolled: 1-line block ×4, first 2 shown]
	v_add_nc_u32_e32 v17, v17, v55
	v_and_b32_e32 v22, 0x2f8, v22
	v_and_b32_e32 v23, 0x378, v23
	v_and_b32_e32 v24, 0x3f8, v24
	v_add_nc_u32_e32 v18, v18, v55
	v_add_nc_u32_e32 v19, v19, v55
	;; [unrolled: 1-line block ×4, first 2 shown]
	s_mov_b32 s22, 0
	v_add_nc_u32_e32 v22, v22, v55
	v_add_nc_u32_e32 v23, v23, v55
	;; [unrolled: 1-line block ×3, first 2 shown]
	s_waitcnt vmcnt(7) lgkmcnt(0)
	ds_store_b64 v17, v[1:2]
	s_waitcnt vmcnt(6)
	ds_store_b64 v18, v[3:4] offset:4096
	s_waitcnt vmcnt(5)
	ds_store_b64 v19, v[5:6] offset:8192
	;; [unrolled: 2-line block ×7, first 2 shown]
	s_waitcnt lgkmcnt(0)
	s_barrier
.LBB167_2:
	v_cmp_gt_u32_e64 s2, s19, v0
	s_and_not1_b32 vcc_lo, exec_lo, s22
	s_cbranch_vccnz .LBB167_20
; %bb.3:
                                        ; implicit-def: $vgpr1_vgpr2_vgpr3_vgpr4_vgpr5_vgpr6_vgpr7_vgpr8_vgpr9_vgpr10_vgpr11_vgpr12_vgpr13_vgpr14_vgpr15_vgpr16
	s_delay_alu instid0(VALU_DEP_1)
	s_and_saveexec_b32 s22, s2
	s_cbranch_execz .LBB167_11
; %bb.4:
	v_add_co_u32 v1, s2, s21, v55
	s_delay_alu instid0(VALU_DEP_1) | instskip(SKIP_2) | instid1(SALU_CYCLE_1)
	v_add_co_ci_u32_e64 v2, null, s3, 0, s2
	flat_load_b64 v[1:2], v[1:2]
	s_or_b32 exec_lo, exec_lo, s22
	s_mov_b32 s2, exec_lo
	v_cmpx_gt_u32_e64 s19, v38
	s_cbranch_execnz .LBB167_12
.LBB167_5:
	s_or_b32 exec_lo, exec_lo, s2
	s_delay_alu instid0(SALU_CYCLE_1)
	s_mov_b32 s2, exec_lo
	v_cmpx_gt_u32_e64 s19, v36
	s_cbranch_execz .LBB167_13
.LBB167_6:
	v_lshlrev_b32_e32 v5, 3, v36
	s_delay_alu instid0(VALU_DEP_1) | instskip(NEXT) | instid1(VALU_DEP_1)
	v_add_co_u32 v5, s22, s21, v5
	v_add_co_ci_u32_e64 v6, null, s3, 0, s22
	flat_load_b64 v[5:6], v[5:6]
	s_or_b32 exec_lo, exec_lo, s2
	s_delay_alu instid0(SALU_CYCLE_1)
	s_mov_b32 s2, exec_lo
	v_cmpx_gt_u32_e64 s19, v40
	s_cbranch_execnz .LBB167_14
.LBB167_7:
	s_or_b32 exec_lo, exec_lo, s2
	s_delay_alu instid0(SALU_CYCLE_1)
	s_mov_b32 s2, exec_lo
	v_cmpx_gt_u32_e64 s19, v39
	s_cbranch_execz .LBB167_15
.LBB167_8:
	v_lshlrev_b32_e32 v9, 3, v39
	s_delay_alu instid0(VALU_DEP_1) | instskip(NEXT) | instid1(VALU_DEP_1)
	v_add_co_u32 v9, s22, s21, v9
	v_add_co_ci_u32_e64 v10, null, s3, 0, s22
	flat_load_b64 v[9:10], v[9:10]
	s_or_b32 exec_lo, exec_lo, s2
	s_delay_alu instid0(SALU_CYCLE_1)
	s_mov_b32 s2, exec_lo
	v_cmpx_gt_u32_e64 s19, v37
	s_cbranch_execnz .LBB167_16
.LBB167_9:
	s_or_b32 exec_lo, exec_lo, s2
	s_delay_alu instid0(SALU_CYCLE_1)
	s_mov_b32 s2, exec_lo
	v_cmpx_gt_u32_e64 s19, v34
	s_cbranch_execz .LBB167_17
.LBB167_10:
	v_lshlrev_b32_e32 v13, 3, v34
	s_delay_alu instid0(VALU_DEP_1) | instskip(NEXT) | instid1(VALU_DEP_1)
	v_add_co_u32 v13, s22, s21, v13
	v_add_co_ci_u32_e64 v14, null, s3, 0, s22
	flat_load_b64 v[13:14], v[13:14]
	s_or_b32 exec_lo, exec_lo, s2
	s_delay_alu instid0(SALU_CYCLE_1)
	s_mov_b32 s2, exec_lo
	v_cmpx_gt_u32_e64 s19, v35
	s_cbranch_execnz .LBB167_18
	s_branch .LBB167_19
.LBB167_11:
	s_or_b32 exec_lo, exec_lo, s22
	s_delay_alu instid0(SALU_CYCLE_1)
	s_mov_b32 s2, exec_lo
	v_cmpx_gt_u32_e64 s19, v38
	s_cbranch_execz .LBB167_5
.LBB167_12:
	v_lshlrev_b32_e32 v3, 3, v38
	s_delay_alu instid0(VALU_DEP_1) | instskip(NEXT) | instid1(VALU_DEP_1)
	v_add_co_u32 v3, s22, s21, v3
	v_add_co_ci_u32_e64 v4, null, s3, 0, s22
	flat_load_b64 v[3:4], v[3:4]
	s_or_b32 exec_lo, exec_lo, s2
	s_delay_alu instid0(SALU_CYCLE_1)
	s_mov_b32 s2, exec_lo
	v_cmpx_gt_u32_e64 s19, v36
	s_cbranch_execnz .LBB167_6
.LBB167_13:
	s_or_b32 exec_lo, exec_lo, s2
	s_delay_alu instid0(SALU_CYCLE_1)
	s_mov_b32 s2, exec_lo
	v_cmpx_gt_u32_e64 s19, v40
	s_cbranch_execz .LBB167_7
.LBB167_14:
	v_lshlrev_b32_e32 v7, 3, v40
	s_delay_alu instid0(VALU_DEP_1) | instskip(NEXT) | instid1(VALU_DEP_1)
	v_add_co_u32 v7, s22, s21, v7
	v_add_co_ci_u32_e64 v8, null, s3, 0, s22
	flat_load_b64 v[7:8], v[7:8]
	s_or_b32 exec_lo, exec_lo, s2
	s_delay_alu instid0(SALU_CYCLE_1)
	s_mov_b32 s2, exec_lo
	v_cmpx_gt_u32_e64 s19, v39
	s_cbranch_execnz .LBB167_8
.LBB167_15:
	s_or_b32 exec_lo, exec_lo, s2
	s_delay_alu instid0(SALU_CYCLE_1)
	s_mov_b32 s2, exec_lo
	v_cmpx_gt_u32_e64 s19, v37
	s_cbranch_execz .LBB167_9
.LBB167_16:
	v_lshlrev_b32_e32 v11, 3, v37
	s_delay_alu instid0(VALU_DEP_1) | instskip(NEXT) | instid1(VALU_DEP_1)
	v_add_co_u32 v11, s22, s21, v11
	v_add_co_ci_u32_e64 v12, null, s3, 0, s22
	flat_load_b64 v[11:12], v[11:12]
	s_or_b32 exec_lo, exec_lo, s2
	s_delay_alu instid0(SALU_CYCLE_1)
	s_mov_b32 s2, exec_lo
	v_cmpx_gt_u32_e64 s19, v34
	s_cbranch_execnz .LBB167_10
.LBB167_17:
	s_or_b32 exec_lo, exec_lo, s2
	s_delay_alu instid0(SALU_CYCLE_1)
	s_mov_b32 s2, exec_lo
	v_cmpx_gt_u32_e64 s19, v35
	s_cbranch_execz .LBB167_19
.LBB167_18:
	v_lshlrev_b32_e32 v15, 3, v35
	s_delay_alu instid0(VALU_DEP_1) | instskip(NEXT) | instid1(VALU_DEP_1)
	v_add_co_u32 v15, s22, s21, v15
	v_add_co_ci_u32_e64 v16, null, s3, 0, s22
	flat_load_b64 v[15:16], v[15:16]
.LBB167_19:
	s_or_b32 exec_lo, exec_lo, s2
	v_lshrrev_b32_e32 v17, 2, v38
	v_lshrrev_b32_e32 v18, 2, v36
	;; [unrolled: 1-line block ×4, first 2 shown]
	v_and_b32_e32 v19, 0x78, v33
	v_lshrrev_b32_e32 v22, 2, v37
	v_lshrrev_b32_e32 v23, 2, v34
	;; [unrolled: 1-line block ×3, first 2 shown]
	v_and_b32_e32 v17, 0xf8, v17
	v_and_b32_e32 v18, 0x1f8, v18
	;; [unrolled: 1-line block ×4, first 2 shown]
	v_add_nc_u32_e32 v19, v19, v55
	v_and_b32_e32 v22, 0x3f8, v22
	v_and_b32_e32 v23, 0x3f8, v23
	;; [unrolled: 1-line block ×3, first 2 shown]
	v_add_nc_u32_e32 v17, v17, v55
	v_add_nc_u32_e32 v18, v18, v55
	;; [unrolled: 1-line block ×7, first 2 shown]
	s_waitcnt vmcnt(0) lgkmcnt(0)
	ds_store_b64 v19, v[1:2]
	ds_store_b64 v17, v[3:4] offset:4096
	ds_store_b64 v18, v[5:6] offset:8192
	;; [unrolled: 1-line block ×7, first 2 shown]
	s_waitcnt lgkmcnt(0)
	s_barrier
.LBB167_20:
	v_add_lshl_u32 v41, v33, v55, 3
	s_waitcnt lgkmcnt(0)
	buffer_gl0_inv
	s_add_u32 s2, s8, s12
	s_addc_u32 s8, s9, s13
	s_add_u32 s2, s2, s4
	ds_load_2addr_b64 v[29:32], v41 offset1:1
	ds_load_2addr_b64 v[25:28], v41 offset0:2 offset1:3
	ds_load_2addr_b64 v[21:24], v41 offset0:4 offset1:5
	;; [unrolled: 1-line block ×3, first 2 shown]
	s_addc_u32 s4, s8, s5
	s_and_b32 vcc_lo, exec_lo, s18
	s_mov_b32 s5, -1
	s_waitcnt lgkmcnt(0)
	s_barrier
	buffer_gl0_inv
	s_cbranch_vccz .LBB167_22
; %bb.21:
	v_add_co_u32 v1, s5, s2, v55
	s_delay_alu instid0(VALU_DEP_1) | instskip(SKIP_1) | instid1(VALU_DEP_3)
	v_add_co_ci_u32_e64 v2, null, s4, 0, s5
	v_lshrrev_b32_e32 v43, 2, v38
	v_add_co_u32 v3, vcc_lo, 0x1000, v1
	s_delay_alu instid0(VALU_DEP_3)
	v_add_co_ci_u32_e32 v4, vcc_lo, 0, v2, vcc_lo
	v_add_co_u32 v5, vcc_lo, 0x2000, v1
	v_add_co_ci_u32_e32 v6, vcc_lo, 0, v2, vcc_lo
	v_add_co_u32 v7, vcc_lo, 0x3000, v1
	;; [unrolled: 2-line block ×6, first 2 shown]
	v_add_co_ci_u32_e32 v16, vcc_lo, 0, v2, vcc_lo
	s_clause 0x7
	flat_load_b64 v[1:2], v[1:2]
	flat_load_b64 v[3:4], v[3:4]
	;; [unrolled: 1-line block ×8, first 2 shown]
	v_lshrrev_b32_e32 v44, 2, v36
	v_lshrrev_b32_e32 v45, 2, v40
	;; [unrolled: 1-line block ×3, first 2 shown]
	v_and_b32_e32 v42, 0x78, v33
	v_lshrrev_b32_e32 v47, 2, v37
	v_lshrrev_b32_e32 v48, 2, v34
	;; [unrolled: 1-line block ×3, first 2 shown]
	v_and_b32_e32 v43, 0xf8, v43
	v_and_b32_e32 v44, 0x178, v44
	;; [unrolled: 1-line block ×4, first 2 shown]
	v_add_nc_u32_e32 v42, v42, v55
	v_and_b32_e32 v47, 0x2f8, v47
	v_and_b32_e32 v48, 0x378, v48
	;; [unrolled: 1-line block ×3, first 2 shown]
	v_add_nc_u32_e32 v43, v43, v55
	v_add_nc_u32_e32 v44, v44, v55
	;; [unrolled: 1-line block ×4, first 2 shown]
	s_mov_b32 s5, 0
	v_add_nc_u32_e32 v47, v47, v55
	v_add_nc_u32_e32 v48, v48, v55
	;; [unrolled: 1-line block ×3, first 2 shown]
	s_waitcnt vmcnt(7) lgkmcnt(7)
	ds_store_b64 v42, v[1:2]
	s_waitcnt vmcnt(6) lgkmcnt(7)
	ds_store_b64 v43, v[3:4] offset:4096
	s_waitcnt vmcnt(5) lgkmcnt(7)
	ds_store_b64 v44, v[5:6] offset:8192
	;; [unrolled: 2-line block ×7, first 2 shown]
	s_waitcnt lgkmcnt(0)
	s_barrier
.LBB167_22:
	s_and_not1_b32 vcc_lo, exec_lo, s5
	s_cbranch_vccnz .LBB167_40
; %bb.23:
	s_mov_b32 s5, exec_lo
                                        ; implicit-def: $vgpr1_vgpr2
	v_cmpx_gt_u32_e64 s19, v0
	s_cbranch_execz .LBB167_25
; %bb.24:
	v_add_co_u32 v1, s8, s2, v55
	s_delay_alu instid0(VALU_DEP_1)
	v_add_co_ci_u32_e64 v2, null, s4, 0, s8
	flat_load_b64 v[1:2], v[1:2]
.LBB167_25:
	s_or_b32 exec_lo, exec_lo, s5
	s_delay_alu instid0(SALU_CYCLE_1)
	s_mov_b32 s5, exec_lo
                                        ; implicit-def: $vgpr3_vgpr4
	v_cmpx_gt_u32_e64 s19, v38
	s_cbranch_execz .LBB167_27
; %bb.26:
	v_lshlrev_b32_e32 v3, 3, v38
	s_delay_alu instid0(VALU_DEP_1) | instskip(NEXT) | instid1(VALU_DEP_1)
	v_add_co_u32 v3, s8, s2, v3
	v_add_co_ci_u32_e64 v4, null, s4, 0, s8
	flat_load_b64 v[3:4], v[3:4]
.LBB167_27:
	s_or_b32 exec_lo, exec_lo, s5
	s_delay_alu instid0(SALU_CYCLE_1)
	s_mov_b32 s5, exec_lo
                                        ; implicit-def: $vgpr5_vgpr6
	v_cmpx_gt_u32_e64 s19, v36
	s_cbranch_execz .LBB167_29
; %bb.28:
	v_lshlrev_b32_e32 v5, 3, v36
	s_delay_alu instid0(VALU_DEP_1) | instskip(NEXT) | instid1(VALU_DEP_1)
	v_add_co_u32 v5, s8, s2, v5
	v_add_co_ci_u32_e64 v6, null, s4, 0, s8
	flat_load_b64 v[5:6], v[5:6]
.LBB167_29:
	s_or_b32 exec_lo, exec_lo, s5
	s_delay_alu instid0(SALU_CYCLE_1)
	s_mov_b32 s5, exec_lo
                                        ; implicit-def: $vgpr7_vgpr8
	v_cmpx_gt_u32_e64 s19, v40
	s_cbranch_execz .LBB167_31
; %bb.30:
	v_lshlrev_b32_e32 v7, 3, v40
	s_delay_alu instid0(VALU_DEP_1) | instskip(NEXT) | instid1(VALU_DEP_1)
	v_add_co_u32 v7, s8, s2, v7
	v_add_co_ci_u32_e64 v8, null, s4, 0, s8
	flat_load_b64 v[7:8], v[7:8]
.LBB167_31:
	s_or_b32 exec_lo, exec_lo, s5
	s_delay_alu instid0(SALU_CYCLE_1)
	s_mov_b32 s5, exec_lo
                                        ; implicit-def: $vgpr9_vgpr10
	v_cmpx_gt_u32_e64 s19, v39
	s_cbranch_execz .LBB167_33
; %bb.32:
	v_lshlrev_b32_e32 v9, 3, v39
	s_delay_alu instid0(VALU_DEP_1) | instskip(NEXT) | instid1(VALU_DEP_1)
	v_add_co_u32 v9, s8, s2, v9
	v_add_co_ci_u32_e64 v10, null, s4, 0, s8
	flat_load_b64 v[9:10], v[9:10]
.LBB167_33:
	s_or_b32 exec_lo, exec_lo, s5
	s_delay_alu instid0(SALU_CYCLE_1)
	s_mov_b32 s5, exec_lo
                                        ; implicit-def: $vgpr11_vgpr12
	v_cmpx_gt_u32_e64 s19, v37
	s_cbranch_execz .LBB167_35
; %bb.34:
	v_lshlrev_b32_e32 v11, 3, v37
	s_delay_alu instid0(VALU_DEP_1) | instskip(NEXT) | instid1(VALU_DEP_1)
	v_add_co_u32 v11, s8, s2, v11
	v_add_co_ci_u32_e64 v12, null, s4, 0, s8
	flat_load_b64 v[11:12], v[11:12]
.LBB167_35:
	s_or_b32 exec_lo, exec_lo, s5
	s_delay_alu instid0(SALU_CYCLE_1)
	s_mov_b32 s5, exec_lo
                                        ; implicit-def: $vgpr13_vgpr14
	v_cmpx_gt_u32_e64 s19, v34
	s_cbranch_execz .LBB167_37
; %bb.36:
	v_lshlrev_b32_e32 v13, 3, v34
	s_delay_alu instid0(VALU_DEP_1) | instskip(NEXT) | instid1(VALU_DEP_1)
	v_add_co_u32 v13, s8, s2, v13
	v_add_co_ci_u32_e64 v14, null, s4, 0, s8
	flat_load_b64 v[13:14], v[13:14]
.LBB167_37:
	s_or_b32 exec_lo, exec_lo, s5
	s_delay_alu instid0(SALU_CYCLE_1)
	s_mov_b32 s5, exec_lo
                                        ; implicit-def: $vgpr15_vgpr16
	v_cmpx_gt_u32_e64 s19, v35
	s_cbranch_execz .LBB167_39
; %bb.38:
	v_lshlrev_b32_e32 v15, 3, v35
	s_delay_alu instid0(VALU_DEP_1) | instskip(NEXT) | instid1(VALU_DEP_1)
	v_add_co_u32 v15, s2, s2, v15
	v_add_co_ci_u32_e64 v16, null, s4, 0, s2
	flat_load_b64 v[15:16], v[15:16]
.LBB167_39:
	s_or_b32 exec_lo, exec_lo, s5
	v_lshrrev_b32_e32 v38, 2, v38
	v_lshrrev_b32_e32 v36, 2, v36
	;; [unrolled: 1-line block ×4, first 2 shown]
	v_and_b32_e32 v33, 0x78, v33
	v_lshrrev_b32_e32 v37, 2, v37
	v_lshrrev_b32_e32 v34, 2, v34
	;; [unrolled: 1-line block ×3, first 2 shown]
	v_and_b32_e32 v38, 0xf8, v38
	v_and_b32_e32 v36, 0x1f8, v36
	;; [unrolled: 1-line block ×4, first 2 shown]
	v_add_nc_u32_e32 v33, v33, v55
	v_and_b32_e32 v37, 0x3f8, v37
	v_and_b32_e32 v34, 0x3f8, v34
	;; [unrolled: 1-line block ×3, first 2 shown]
	v_add_nc_u32_e32 v38, v38, v55
	v_add_nc_u32_e32 v36, v36, v55
	;; [unrolled: 1-line block ×7, first 2 shown]
	s_waitcnt vmcnt(0) lgkmcnt(0)
	ds_store_b64 v33, v[1:2]
	ds_store_b64 v38, v[3:4] offset:4096
	ds_store_b64 v36, v[5:6] offset:8192
	;; [unrolled: 1-line block ×7, first 2 shown]
	s_waitcnt lgkmcnt(0)
	s_barrier
.LBB167_40:
	buffer_gl0_inv
	ds_load_2addr_b64 v[13:16], v41 offset1:1
	ds_load_2addr_b64 v[9:12], v41 offset0:2 offset1:3
	ds_load_2addr_b64 v[5:8], v41 offset0:4 offset1:5
	;; [unrolled: 1-line block ×3, first 2 shown]
	s_cmp_lg_u32 s15, 0
	s_mov_b32 s12, 0
	s_cselect_b32 s9, -1, 0
	s_cmp_lg_u64 s[6:7], 0
	s_waitcnt lgkmcnt(0)
	s_cselect_b32 s2, -1, 0
	s_barrier
	s_or_b32 s2, s9, s2
	buffer_gl0_inv
	s_and_b32 vcc_lo, exec_lo, s2
	s_cbranch_vccz .LBB167_45
; %bb.41:
	v_add_co_u32 v33, s2, -8, s21
	s_delay_alu instid0(VALU_DEP_1)
	v_add_co_ci_u32_e64 v34, null, -1, s3, s2
	s_mov_b32 s3, -1
	s_and_b32 vcc_lo, exec_lo, s18
	flat_load_b64 v[35:36], v[33:34]
	ds_store_b64 v55, v[19:20]
	s_cbranch_vccz .LBB167_46
; %bb.42:
	s_waitcnt vmcnt(0) lgkmcnt(1)
	v_dual_mov_b32 v33, v35 :: v_dual_mov_b32 v34, v36
	s_mov_b32 s3, 0
	s_mov_b32 s2, exec_lo
	s_waitcnt lgkmcnt(0)
	s_barrier
	buffer_gl0_inv
	v_cmpx_ne_u32_e32 0, v0
	s_cbranch_execz .LBB167_44
; %bb.43:
	v_add_nc_u32_e32 v33, -8, v55
	ds_load_b64 v[33:34], v33
.LBB167_44:
	s_or_b32 exec_lo, exec_lo, s2
	v_cmp_ne_u64_e32 vcc_lo, v[17:18], v[19:20]
	s_waitcnt lgkmcnt(0)
	v_cmp_ne_u64_e64 s2, v[33:34], v[29:30]
	v_cndmask_b32_e64 v37, 0, 1, vcc_lo
	v_cmp_ne_u64_e32 vcc_lo, v[23:24], v[17:18]
	s_delay_alu instid0(VALU_DEP_2) | instskip(SKIP_2) | instid1(VALU_DEP_2)
	v_lshlrev_b16 v37, 8, v37
	v_cndmask_b32_e64 v38, 0, 1, vcc_lo
	v_cmp_ne_u64_e32 vcc_lo, v[21:22], v[23:24]
	v_or_b32_e32 v37, v38, v37
	v_cndmask_b32_e64 v39, 0, 1, vcc_lo
	v_cmp_ne_u64_e32 vcc_lo, v[25:26], v[27:28]
	s_delay_alu instid0(VALU_DEP_3) | instskip(NEXT) | instid1(VALU_DEP_3)
	v_lshlrev_b32_e32 v37, 16, v37
	v_lshlrev_b16 v39, 8, v39
	v_cndmask_b32_e64 v40, 0, 1, vcc_lo
	v_cmp_ne_u64_e32 vcc_lo, v[27:28], v[21:22]
	s_delay_alu instid0(VALU_DEP_2) | instskip(SKIP_2) | instid1(VALU_DEP_2)
	v_lshlrev_b16 v40, 8, v40
	v_cndmask_b32_e64 v41, 0, 1, vcc_lo
	v_cmp_ne_u64_e32 vcc_lo, v[31:32], v[25:26]
	v_or_b32_e32 v39, v41, v39
	v_cndmask_b32_e64 v42, 0, 1, vcc_lo
	v_cmp_ne_u64_e32 vcc_lo, v[29:30], v[31:32]
	s_delay_alu instid0(VALU_DEP_3) | instskip(NEXT) | instid1(VALU_DEP_3)
	v_and_b32_e32 v39, 0xffff, v39
	v_or_b32_e32 v40, v42, v40
	v_cndmask_b32_e64 v43, 0, 1, vcc_lo
	s_delay_alu instid0(VALU_DEP_3) | instskip(NEXT) | instid1(VALU_DEP_3)
	v_or_b32_e32 v34, v39, v37
	v_lshlrev_b32_e32 v38, 16, v40
	s_delay_alu instid0(VALU_DEP_3) | instskip(NEXT) | instid1(VALU_DEP_1)
	v_lshlrev_b16 v42, 8, v43
	v_and_b32_e32 v40, 0xffff, v42
	s_delay_alu instid0(VALU_DEP_1)
	v_or_b32_e32 v33, v40, v38
	s_and_b32 vcc_lo, exec_lo, s3
	s_cbranch_vccnz .LBB167_47
	s_branch .LBB167_50
.LBB167_45:
                                        ; implicit-def: $sgpr2
                                        ; implicit-def: $vgpr34
	s_branch .LBB167_51
.LBB167_46:
                                        ; implicit-def: $sgpr2
                                        ; implicit-def: $vgpr34
	s_and_b32 vcc_lo, exec_lo, s3
	s_cbranch_vccz .LBB167_50
.LBB167_47:
	s_mov_b32 s2, exec_lo
	s_waitcnt vmcnt(0) lgkmcnt(0)
	s_barrier
	buffer_gl0_inv
	v_cmpx_ne_u32_e32 0, v0
	s_cbranch_execz .LBB167_49
; %bb.48:
	v_add_nc_u32_e32 v33, -8, v55
	ds_load_b64 v[35:36], v33
.LBB167_49:
	s_or_b32 exec_lo, exec_lo, s2
	v_or_b32_e32 v33, 7, v55
	v_or_b32_e32 v34, 6, v55
	v_cmp_ne_u64_e32 vcc_lo, v[17:18], v[19:20]
	v_or_b32_e32 v37, 5, v55
	v_cmp_ne_u64_e64 s3, v[23:24], v[17:18]
	v_cmp_gt_u32_e64 s2, s19, v33
	v_cmp_gt_u32_e64 s4, s19, v34
	v_cmp_ne_u64_e64 s5, v[21:22], v[23:24]
	v_cmp_gt_u32_e64 s6, s19, v37
	v_or_b32_e32 v37, 3, v55
	s_and_b32 s2, s2, vcc_lo
	v_or_b32_e32 v38, 4, v55
	v_cndmask_b32_e64 v33, 0, 1, s2
	s_and_b32 s2, s4, s3
	v_cmp_ne_u64_e32 vcc_lo, v[25:26], v[27:28]
	v_cndmask_b32_e64 v34, 0, 1, s2
	s_and_b32 s2, s6, s5
	v_cmp_gt_u32_e64 s3, s19, v38
	v_cndmask_b32_e64 v39, 0, 1, s2
	v_cmp_gt_u32_e64 s2, s19, v37
	v_or_b32_e32 v37, 2, v55
	v_or_b32_e32 v38, 1, v55
	v_cmp_ne_u64_e64 s4, v[27:28], v[21:22]
	v_cmp_ne_u64_e64 s6, v[29:30], v[31:32]
	s_and_b32 s2, s2, vcc_lo
	v_cmp_ne_u64_e32 vcc_lo, v[31:32], v[25:26]
	v_cndmask_b32_e64 v40, 0, 1, s2
	v_cmp_gt_u32_e64 s2, s19, v37
	v_cmp_gt_u32_e64 s5, s19, v38
	s_and_b32 s3, s3, s4
	v_lshlrev_b16 v39, 8, v39
	v_cndmask_b32_e64 v37, 0, 1, s3
	s_and_b32 s2, s2, vcc_lo
	v_lshlrev_b16 v40, 8, v40
	v_cndmask_b32_e64 v38, 0, 1, s2
	s_and_b32 s2, s5, s6
	v_lshlrev_b16 v33, 8, v33
	v_cndmask_b32_e64 v41, 0, 1, s2
	v_or_b32_e32 v37, v37, v39
	v_or_b32_e32 v38, v38, v40
	s_waitcnt lgkmcnt(0)
	v_cmp_ne_u64_e32 vcc_lo, v[35:36], v[29:30]
	v_or_b32_e32 v33, v34, v33
	v_lshlrev_b16 v40, 8, v41
	v_and_b32_e32 v37, 0xffff, v37
	v_lshlrev_b32_e32 v34, 16, v38
	v_cmp_gt_u32_e64 s2, s19, v55
	v_lshlrev_b32_e32 v39, 16, v33
	v_and_b32_e32 v38, 0xffff, v40
	s_delay_alu instid0(VALU_DEP_3) | instskip(NEXT) | instid1(VALU_DEP_1)
	s_and_b32 s2, s2, vcc_lo
	v_or_b32_e32 v33, v38, v34
	s_delay_alu instid0(VALU_DEP_3)
	v_or_b32_e32 v34, v37, v39
.LBB167_50:
	s_mov_b32 s12, -1
	s_cbranch_execnz .LBB167_59
.LBB167_51:
	v_cmp_ne_u64_e64 s3, v[17:18], v[19:20]
	v_cmp_ne_u64_e64 s4, v[23:24], v[17:18]
	;; [unrolled: 1-line block ×7, first 2 shown]
	s_and_b32 vcc_lo, exec_lo, s18
	ds_store_b64 v55, v[19:20]
	s_cbranch_vccz .LBB167_55
; %bb.52:
	v_cndmask_b32_e64 v33, 0, 1, s3
	s_waitcnt vmcnt(0) lgkmcnt(2)
	v_cndmask_b32_e64 v35, 0, 1, s5
	v_cndmask_b32_e64 v37, 0, 1, s7
	;; [unrolled: 1-line block ×6, first 2 shown]
	v_lshlrev_b16 v35, 8, v35
	v_lshlrev_b16 v33, 8, v33
	;; [unrolled: 1-line block ×4, first 2 shown]
	s_mov_b32 s3, 0
	v_or_b32_e32 v35, v36, v35
	v_or_b32_e32 v33, v34, v33
	;; [unrolled: 1-line block ×4, first 2 shown]
	s_mov_b32 s4, exec_lo
	v_and_b32_e32 v35, 0xffff, v35
	v_lshlrev_b32_e32 v33, 16, v33
	v_lshlrev_b32_e32 v37, 16, v34
	v_and_b32_e32 v36, 0xffff, v36
	s_waitcnt lgkmcnt(0)
	s_barrier
	v_or_b32_e32 v34, v35, v33
	buffer_gl0_inv
	v_or_b32_e32 v33, v36, v37
                                        ; implicit-def: $sgpr2
	v_cmpx_ne_u32_e32 0, v0
	s_xor_b32 s4, exec_lo, s4
	s_cbranch_execz .LBB167_54
; %bb.53:
	v_add_nc_u32_e32 v35, -8, v55
	s_or_b32 s12, s12, exec_lo
	ds_load_b64 v[35:36], v35
	s_waitcnt lgkmcnt(0)
	v_cmp_ne_u64_e32 vcc_lo, v[35:36], v[29:30]
	s_and_b32 s2, vcc_lo, exec_lo
.LBB167_54:
	s_or_b32 exec_lo, exec_lo, s4
	s_delay_alu instid0(SALU_CYCLE_1)
	s_and_b32 vcc_lo, exec_lo, s3
	s_cbranch_vccnz .LBB167_56
	s_branch .LBB167_59
.LBB167_55:
                                        ; implicit-def: $sgpr2
                                        ; implicit-def: $vgpr34
	s_cbranch_execz .LBB167_59
.LBB167_56:
	v_or_b32_e32 v33, 7, v55
	v_or_b32_e32 v34, 6, v55
	v_cmp_ne_u64_e32 vcc_lo, v[17:18], v[19:20]
	v_cmp_ne_u64_e64 s2, v[23:24], v[17:18]
	s_waitcnt vmcnt(0) lgkmcnt(2)
	v_or_b32_e32 v35, 4, v55
	v_cmp_gt_u32_e64 s3, s19, v33
	v_or_b32_e32 v33, 5, v55
	v_cmp_gt_u32_e64 s5, s19, v34
	v_cmp_ne_u64_e64 s4, v[21:22], v[23:24]
	v_cmp_ne_u64_e64 s6, v[27:28], v[21:22]
	s_and_b32 s3, s3, vcc_lo
	v_cmp_gt_u32_e32 vcc_lo, s19, v33
	v_cndmask_b32_e64 v34, 0, 1, s3
	v_cmp_gt_u32_e64 s3, s19, v35
	s_and_b32 s2, s5, s2
	v_or_b32_e32 v36, 3, v55
	v_cndmask_b32_e64 v33, 0, 1, s2
	s_and_b32 s2, vcc_lo, s4
	v_or_b32_e32 v38, 1, v55
	v_cndmask_b32_e64 v35, 0, 1, s2
	s_and_b32 s2, s3, s6
	v_cmp_ne_u64_e32 vcc_lo, v[25:26], v[27:28]
	v_cndmask_b32_e64 v37, 0, 1, s2
	v_cmp_gt_u32_e64 s2, s19, v36
	v_cmp_ne_u64_e64 s3, v[29:30], v[31:32]
	v_or_b32_e32 v39, 2, v55
	v_cmp_gt_u32_e64 s4, s19, v38
	v_cmp_ne_u64_e64 s5, v[31:32], v[25:26]
	s_and_b32 s2, s2, vcc_lo
	v_lshlrev_b16 v35, 8, v35
	v_cmp_gt_u32_e64 s6, s19, v39
	v_cndmask_b32_e64 v36, 0, 1, s2
	s_and_b32 s2, s4, s3
	v_lshlrev_b16 v34, 8, v34
	v_cndmask_b32_e64 v38, 0, 1, s2
	s_and_b32 s2, s6, s5
	v_lshlrev_b16 v36, 8, v36
	v_cndmask_b32_e64 v39, 0, 1, s2
	v_or_b32_e32 v35, v37, v35
	v_lshlrev_b16 v38, 8, v38
	v_or_b32_e32 v33, v33, v34
	s_mov_b32 s3, exec_lo
	v_or_b32_e32 v34, v39, v36
	v_and_b32_e32 v35, 0xffff, v35
	v_or_b32_e32 v36, 1, v38
	v_lshlrev_b32_e32 v33, 16, v33
	s_waitcnt lgkmcnt(0)
	v_lshlrev_b32_e32 v37, 16, v34
	s_barrier
	v_and_b32_e32 v36, 0xffff, v36
	v_or_b32_e32 v34, v35, v33
	buffer_gl0_inv
                                        ; implicit-def: $sgpr2
	v_or_b32_e32 v33, v36, v37
	v_cmpx_ne_u32_e32 0, v0
	s_cbranch_execz .LBB167_58
; %bb.57:
	v_add_nc_u32_e32 v35, -8, v55
	v_cmp_gt_u32_e64 s2, s19, v55
	s_or_b32 s12, s12, exec_lo
	ds_load_b64 v[35:36], v35
	s_waitcnt lgkmcnt(0)
	v_cmp_ne_u64_e32 vcc_lo, v[35:36], v[29:30]
	s_and_b32 s2, s2, vcc_lo
	s_delay_alu instid0(SALU_CYCLE_1)
	s_and_b32 s2, s2, exec_lo
.LBB167_58:
	s_or_b32 exec_lo, exec_lo, s3
.LBB167_59:
	s_and_saveexec_b32 s3, s12
	s_cbranch_execz .LBB167_61
; %bb.60:
	s_waitcnt vmcnt(0) lgkmcnt(1)
	v_and_b32_e32 v35, 0xffffff00, v33
	v_cndmask_b32_e64 v36, 0, 1, s2
	s_delay_alu instid0(VALU_DEP_1) | instskip(NEXT) | instid1(VALU_DEP_1)
	v_or_b32_e32 v35, v36, v35
	v_and_b32_e32 v35, 0xffff, v35
	s_delay_alu instid0(VALU_DEP_1)
	v_and_or_b32 v33, 0xffff0000, v33, v35
.LBB167_61:
	s_or_b32 exec_lo, exec_lo, s3
	s_load_b64 s[12:13], s[0:1], 0x60
	s_and_not1_b32 vcc_lo, exec_lo, s20
	s_cbranch_vccnz .LBB167_63
; %bb.62:
	v_cmp_gt_u32_e32 vcc_lo, s19, v55
	s_waitcnt vmcnt(0) lgkmcnt(0)
	v_or_b32_e32 v36, 1, v55
	v_and_b32_e32 v37, 0xffffff00, v34
	v_or_b32_e32 v38, 2, v55
	v_cndmask_b32_e32 v35, 0, v33, vcc_lo
	s_delay_alu instid0(VALU_DEP_4) | instskip(SKIP_1) | instid1(VALU_DEP_4)
	v_cmp_gt_u32_e32 vcc_lo, s19, v36
	v_or_b32_e32 v36, 4, v55
	v_cmp_gt_u32_e64 s2, s19, v38
	v_or_b32_e32 v38, 3, v55
	v_and_b32_e32 v35, 0xff, v35
	s_delay_alu instid0(VALU_DEP_2) | instskip(NEXT) | instid1(VALU_DEP_2)
	v_cmp_gt_u32_e64 s3, s19, v38
	v_cndmask_b32_e32 v35, v35, v33, vcc_lo
	v_cmp_gt_u32_e32 vcc_lo, s19, v36
	v_cndmask_b32_e32 v36, v37, v34, vcc_lo
	v_or_b32_e32 v37, 5, v55
	s_delay_alu instid0(VALU_DEP_2) | instskip(SKIP_1) | instid1(VALU_DEP_1)
	v_and_b32_e32 v36, 0xffff00ff, v36
	v_and_b32_e32 v35, 0xffff, v35
	v_cndmask_b32_e64 v35, v35, v33, s2
	s_delay_alu instid0(VALU_DEP_4) | instskip(SKIP_1) | instid1(VALU_DEP_3)
	v_cmp_gt_u32_e64 s2, s19, v37
	v_or_b32_e32 v37, 6, v55
	v_and_b32_e32 v35, 0xffffff, v35
	s_delay_alu instid0(VALU_DEP_3) | instskip(NEXT) | instid1(VALU_DEP_2)
	v_cndmask_b32_e64 v36, v36, v34, s2
	v_cndmask_b32_e64 v35, v35, v33, s3
	s_delay_alu instid0(VALU_DEP_1) | instskip(SKIP_2) | instid1(VALU_DEP_3)
	v_dual_cndmask_b32 v35, v35, v33 :: v_dual_and_b32 v36, 0xff00ffff, v36
	v_cmp_gt_u32_e32 vcc_lo, s19, v37
	v_or_b32_e32 v37, 7, v55
	v_cndmask_b32_e64 v35, v35, v33, s2
	s_delay_alu instid0(VALU_DEP_1) | instskip(NEXT) | instid1(VALU_DEP_1)
	v_dual_cndmask_b32 v36, v36, v34 :: v_dual_cndmask_b32 v35, v35, v33
	v_and_b32_e32 v36, 0xffffff, v36
	s_delay_alu instid0(VALU_DEP_4) | instskip(NEXT) | instid1(VALU_DEP_2)
	v_cmp_gt_u32_e32 vcc_lo, s19, v37
	v_dual_cndmask_b32 v34, v36, v34 :: v_dual_cndmask_b32 v33, v35, v33
.LBB167_63:
	s_delay_alu instid0(VALU_DEP_1) | instskip(SKIP_1) | instid1(VALU_DEP_2)
	v_and_b32_e32 v44, 0xff, v33
	s_waitcnt vmcnt(0) lgkmcnt(0)
	v_alignbit_b32 v35, v34, v33, 24
	v_bfe_u32 v46, v33, 8, 8
	v_bfe_u32 v48, v33, 16, 8
	v_and_b32_e32 v52, 0xff, v34
	v_bfe_u32 v54, v34, 8, 8
	v_and_b32_e32 v50, 0xff, v35
	v_add_nc_u32_e32 v35, v46, v44
	v_mbcnt_lo_u32_b32 v58, -1, 0
	v_bfe_u32 v57, v34, 16, 8
	v_lshrrev_b32_e32 v56, 24, v34
	v_lshrrev_b32_e32 v59, 5, v0
	v_add3_u32 v35, v35, v48, v50
	v_and_b32_e32 v36, 15, v58
	v_and_b32_e32 v37, 16, v58
	s_and_b32 vcc_lo, exec_lo, s9
	s_mov_b32 s9, -1
	v_add3_u32 v35, v35, v52, v54
	v_cmp_eq_u32_e64 s4, 0, v36
	v_cmp_lt_u32_e64 s2, 1, v36
	v_cmp_lt_u32_e64 s5, 3, v36
	;; [unrolled: 1-line block ×3, first 2 shown]
	v_add3_u32 v60, v35, v57, v56
	v_or_b32_e32 v35, 31, v0
	v_cmp_eq_u32_e64 s7, 0, v37
	s_barrier
	buffer_gl0_inv
	v_cmp_eq_u32_e64 s6, v35, v0
	s_cbranch_vccz .LBB167_94
; %bb.64:
	v_mov_b32_dpp v35, v60 row_shr:1 row_mask:0xf bank_mask:0xf
	s_delay_alu instid0(VALU_DEP_1) | instskip(NEXT) | instid1(VALU_DEP_1)
	v_cndmask_b32_e64 v35, v35, 0, s4
	v_add_nc_u32_e32 v35, v35, v60
	s_delay_alu instid0(VALU_DEP_1) | instskip(NEXT) | instid1(VALU_DEP_1)
	v_mov_b32_dpp v36, v35 row_shr:2 row_mask:0xf bank_mask:0xf
	v_cndmask_b32_e64 v36, 0, v36, s2
	s_delay_alu instid0(VALU_DEP_1) | instskip(NEXT) | instid1(VALU_DEP_1)
	v_add_nc_u32_e32 v35, v35, v36
	v_mov_b32_dpp v36, v35 row_shr:4 row_mask:0xf bank_mask:0xf
	s_delay_alu instid0(VALU_DEP_1) | instskip(NEXT) | instid1(VALU_DEP_1)
	v_cndmask_b32_e64 v36, 0, v36, s5
	v_add_nc_u32_e32 v35, v35, v36
	s_delay_alu instid0(VALU_DEP_1) | instskip(NEXT) | instid1(VALU_DEP_1)
	v_mov_b32_dpp v36, v35 row_shr:8 row_mask:0xf bank_mask:0xf
	v_cndmask_b32_e64 v36, 0, v36, s3
	s_delay_alu instid0(VALU_DEP_1) | instskip(SKIP_3) | instid1(VALU_DEP_1)
	v_add_nc_u32_e32 v35, v35, v36
	ds_swizzle_b32 v36, v35 offset:swizzle(BROADCAST,32,15)
	s_waitcnt lgkmcnt(0)
	v_cndmask_b32_e64 v36, v36, 0, s7
	v_add_nc_u32_e32 v35, v35, v36
	s_and_saveexec_b32 s8, s6
	s_cbranch_execz .LBB167_66
; %bb.65:
	v_lshlrev_b32_e32 v36, 2, v59
	ds_store_b32 v36, v35
.LBB167_66:
	s_or_b32 exec_lo, exec_lo, s8
	s_delay_alu instid0(SALU_CYCLE_1)
	s_mov_b32 s8, exec_lo
	s_waitcnt lgkmcnt(0)
	s_barrier
	buffer_gl0_inv
	v_cmpx_gt_u32_e32 16, v0
	s_cbranch_execz .LBB167_68
; %bb.67:
	v_lshlrev_b32_e32 v36, 2, v0
	ds_load_b32 v37, v36
	s_waitcnt lgkmcnt(0)
	v_mov_b32_dpp v38, v37 row_shr:1 row_mask:0xf bank_mask:0xf
	s_delay_alu instid0(VALU_DEP_1) | instskip(NEXT) | instid1(VALU_DEP_1)
	v_cndmask_b32_e64 v38, v38, 0, s4
	v_add_nc_u32_e32 v37, v38, v37
	s_delay_alu instid0(VALU_DEP_1) | instskip(NEXT) | instid1(VALU_DEP_1)
	v_mov_b32_dpp v38, v37 row_shr:2 row_mask:0xf bank_mask:0xf
	v_cndmask_b32_e64 v38, 0, v38, s2
	s_delay_alu instid0(VALU_DEP_1) | instskip(NEXT) | instid1(VALU_DEP_1)
	v_add_nc_u32_e32 v37, v37, v38
	v_mov_b32_dpp v38, v37 row_shr:4 row_mask:0xf bank_mask:0xf
	s_delay_alu instid0(VALU_DEP_1) | instskip(NEXT) | instid1(VALU_DEP_1)
	v_cndmask_b32_e64 v38, 0, v38, s5
	v_add_nc_u32_e32 v37, v37, v38
	s_delay_alu instid0(VALU_DEP_1) | instskip(NEXT) | instid1(VALU_DEP_1)
	v_mov_b32_dpp v38, v37 row_shr:8 row_mask:0xf bank_mask:0xf
	v_cndmask_b32_e64 v38, 0, v38, s3
	s_delay_alu instid0(VALU_DEP_1)
	v_add_nc_u32_e32 v37, v37, v38
	ds_store_b32 v36, v37
.LBB167_68:
	s_or_b32 exec_lo, exec_lo, s8
	v_cmp_gt_u32_e32 vcc_lo, 32, v0
	s_mov_b32 s9, exec_lo
	s_waitcnt lgkmcnt(0)
	s_barrier
	buffer_gl0_inv
                                        ; implicit-def: $vgpr43
	v_cmpx_lt_u32_e32 31, v0
	s_cbranch_execz .LBB167_70
; %bb.69:
	v_lshl_add_u32 v36, v59, 2, -4
	ds_load_b32 v43, v36
	s_waitcnt lgkmcnt(0)
	v_add_nc_u32_e32 v35, v43, v35
.LBB167_70:
	s_or_b32 exec_lo, exec_lo, s9
	v_add_nc_u32_e32 v36, -1, v58
	s_delay_alu instid0(VALU_DEP_1) | instskip(NEXT) | instid1(VALU_DEP_1)
	v_cmp_gt_i32_e64 s8, 0, v36
	v_cndmask_b32_e64 v36, v36, v58, s8
	v_cmp_eq_u32_e64 s8, 0, v58
	s_delay_alu instid0(VALU_DEP_2)
	v_lshlrev_b32_e32 v36, 2, v36
	ds_bpermute_b32 v45, v36, v35
	s_and_saveexec_b32 s9, vcc_lo
	s_cbranch_execz .LBB167_93
; %bb.71:
	v_mov_b32_e32 v39, 0
	ds_load_b32 v35, v39 offset:60
	s_and_saveexec_b32 s19, s8
	s_cbranch_execz .LBB167_73
; %bb.72:
	s_add_i32 s20, s15, 32
	s_mov_b32 s21, 0
	v_mov_b32_e32 v36, 1
	s_lshl_b64 s[20:21], s[20:21], 3
	s_delay_alu instid0(SALU_CYCLE_1)
	s_add_u32 s20, s12, s20
	s_addc_u32 s21, s13, s21
	s_waitcnt lgkmcnt(0)
	global_store_b64 v39, v[35:36], s[20:21]
.LBB167_73:
	s_or_b32 exec_lo, exec_lo, s19
	v_xad_u32 v37, v58, -1, s15
	s_mov_b32 s20, 0
	s_mov_b32 s19, exec_lo
	s_delay_alu instid0(VALU_DEP_1) | instskip(NEXT) | instid1(VALU_DEP_1)
	v_add_nc_u32_e32 v38, 32, v37
	v_lshlrev_b64 v[38:39], 3, v[38:39]
	s_delay_alu instid0(VALU_DEP_1) | instskip(NEXT) | instid1(VALU_DEP_2)
	v_add_co_u32 v41, vcc_lo, s12, v38
	v_add_co_ci_u32_e32 v42, vcc_lo, s13, v39, vcc_lo
	global_load_b64 v[39:40], v[41:42], off glc
	s_waitcnt vmcnt(0)
	v_and_b32_e32 v36, 0xff, v40
	s_delay_alu instid0(VALU_DEP_1)
	v_cmpx_eq_u16_e32 0, v36
	s_cbranch_execz .LBB167_79
; %bb.74:
	s_mov_b32 s21, 1
	.p2align	6
.LBB167_75:                             ; =>This Loop Header: Depth=1
                                        ;     Child Loop BB167_76 Depth 2
	s_delay_alu instid0(SALU_CYCLE_1)
	s_max_u32 s22, s21, 1
.LBB167_76:                             ;   Parent Loop BB167_75 Depth=1
                                        ; =>  This Inner Loop Header: Depth=2
	s_delay_alu instid0(SALU_CYCLE_1)
	s_add_i32 s22, s22, -1
	s_sleep 1
	s_cmp_eq_u32 s22, 0
	s_cbranch_scc0 .LBB167_76
; %bb.77:                               ;   in Loop: Header=BB167_75 Depth=1
	global_load_b64 v[39:40], v[41:42], off glc
	s_cmp_lt_u32 s21, 32
	s_cselect_b32 s22, -1, 0
	s_delay_alu instid0(SALU_CYCLE_1) | instskip(SKIP_3) | instid1(VALU_DEP_1)
	s_cmp_lg_u32 s22, 0
	s_addc_u32 s21, s21, 0
	s_waitcnt vmcnt(0)
	v_and_b32_e32 v36, 0xff, v40
	v_cmp_ne_u16_e32 vcc_lo, 0, v36
	s_or_b32 s20, vcc_lo, s20
	s_delay_alu instid0(SALU_CYCLE_1)
	s_and_not1_b32 exec_lo, exec_lo, s20
	s_cbranch_execnz .LBB167_75
; %bb.78:
	s_or_b32 exec_lo, exec_lo, s20
.LBB167_79:
	s_delay_alu instid0(SALU_CYCLE_1)
	s_or_b32 exec_lo, exec_lo, s19
	v_cmp_ne_u32_e32 vcc_lo, 31, v58
	v_lshlrev_b32_e64 v49, v58, -1
	v_add_nc_u32_e32 v53, 2, v58
	v_add_nc_u32_e32 v66, 16, v58
	v_add_co_ci_u32_e32 v36, vcc_lo, 0, v58, vcc_lo
	s_delay_alu instid0(VALU_DEP_1)
	v_lshlrev_b32_e32 v47, 2, v36
	v_and_b32_e32 v36, 0xff, v40
	ds_bpermute_b32 v38, v47, v39
	v_cmp_eq_u16_e32 vcc_lo, 2, v36
	v_and_or_b32 v36, vcc_lo, v49, 0x80000000
	v_cmp_gt_u32_e32 vcc_lo, 30, v58
	s_delay_alu instid0(VALU_DEP_2) | instskip(SKIP_1) | instid1(VALU_DEP_2)
	v_ctz_i32_b32_e32 v36, v36
	v_cndmask_b32_e64 v41, 0, 1, vcc_lo
	v_cmp_lt_u32_e32 vcc_lo, v58, v36
	s_waitcnt lgkmcnt(0)
	s_delay_alu instid0(VALU_DEP_2) | instskip(NEXT) | instid1(VALU_DEP_1)
	v_dual_cndmask_b32 v38, 0, v38 :: v_dual_lshlrev_b32 v41, 1, v41
	v_add_lshl_u32 v51, v41, v58, 2
	v_cmp_gt_u32_e32 vcc_lo, 28, v58
	s_delay_alu instid0(VALU_DEP_3) | instskip(SKIP_4) | instid1(VALU_DEP_1)
	v_add_nc_u32_e32 v38, v38, v39
	v_cndmask_b32_e64 v41, 0, 1, vcc_lo
	v_cmp_le_u32_e32 vcc_lo, v53, v36
	ds_bpermute_b32 v39, v51, v38
	v_lshlrev_b32_e32 v41, 2, v41
	v_add_lshl_u32 v61, v41, v58, 2
	s_waitcnt lgkmcnt(0)
	v_cndmask_b32_e32 v39, 0, v39, vcc_lo
	v_cmp_gt_u32_e32 vcc_lo, 24, v58
	s_delay_alu instid0(VALU_DEP_2) | instskip(SKIP_4) | instid1(VALU_DEP_2)
	v_add_nc_u32_e32 v38, v38, v39
	v_cndmask_b32_e64 v41, 0, 1, vcc_lo
	ds_bpermute_b32 v39, v61, v38
	v_add_nc_u32_e32 v62, 4, v58
	v_lshlrev_b32_e32 v41, 3, v41
	v_cmp_le_u32_e32 vcc_lo, v62, v36
	s_delay_alu instid0(VALU_DEP_2) | instskip(SKIP_3) | instid1(VALU_DEP_2)
	v_add_lshl_u32 v63, v41, v58, 2
	s_waitcnt lgkmcnt(0)
	v_cndmask_b32_e32 v39, 0, v39, vcc_lo
	v_cmp_gt_u32_e32 vcc_lo, 16, v58
	v_add_nc_u32_e32 v38, v38, v39
	v_cndmask_b32_e64 v41, 0, 1, vcc_lo
	ds_bpermute_b32 v39, v63, v38
	v_add_nc_u32_e32 v64, 8, v58
	v_lshlrev_b32_e32 v41, 4, v41
	s_delay_alu instid0(VALU_DEP_2) | instskip(NEXT) | instid1(VALU_DEP_2)
	v_cmp_le_u32_e32 vcc_lo, v64, v36
	v_add_lshl_u32 v65, v41, v58, 2
	s_waitcnt lgkmcnt(0)
	v_cndmask_b32_e32 v39, 0, v39, vcc_lo
	v_cmp_le_u32_e32 vcc_lo, v66, v36
	s_delay_alu instid0(VALU_DEP_2) | instskip(SKIP_3) | instid1(VALU_DEP_1)
	v_add_nc_u32_e32 v38, v38, v39
	ds_bpermute_b32 v39, v65, v38
	s_waitcnt lgkmcnt(0)
	v_cndmask_b32_e32 v36, 0, v39, vcc_lo
	v_dual_mov_b32 v38, 0 :: v_dual_add_nc_u32 v39, v38, v36
	s_branch .LBB167_81
.LBB167_80:                             ;   in Loop: Header=BB167_81 Depth=1
	s_or_b32 exec_lo, exec_lo, s19
	ds_bpermute_b32 v42, v47, v39
	v_and_b32_e32 v41, 0xff, v40
	v_subrev_nc_u32_e32 v37, 32, v37
	s_delay_alu instid0(VALU_DEP_2) | instskip(SKIP_1) | instid1(VALU_DEP_1)
	v_cmp_eq_u16_e32 vcc_lo, 2, v41
	v_and_or_b32 v41, vcc_lo, v49, 0x80000000
	v_ctz_i32_b32_e32 v41, v41
	s_delay_alu instid0(VALU_DEP_1) | instskip(SKIP_3) | instid1(VALU_DEP_2)
	v_cmp_lt_u32_e32 vcc_lo, v58, v41
	s_waitcnt lgkmcnt(0)
	v_cndmask_b32_e32 v42, 0, v42, vcc_lo
	v_cmp_le_u32_e32 vcc_lo, v53, v41
	v_add_nc_u32_e32 v39, v42, v39
	ds_bpermute_b32 v42, v51, v39
	s_waitcnt lgkmcnt(0)
	v_cndmask_b32_e32 v42, 0, v42, vcc_lo
	v_cmp_le_u32_e32 vcc_lo, v62, v41
	s_delay_alu instid0(VALU_DEP_2) | instskip(SKIP_4) | instid1(VALU_DEP_2)
	v_add_nc_u32_e32 v39, v39, v42
	ds_bpermute_b32 v42, v61, v39
	s_waitcnt lgkmcnt(0)
	v_cndmask_b32_e32 v42, 0, v42, vcc_lo
	v_cmp_le_u32_e32 vcc_lo, v64, v41
	v_add_nc_u32_e32 v39, v39, v42
	ds_bpermute_b32 v42, v63, v39
	s_waitcnt lgkmcnt(0)
	v_cndmask_b32_e32 v42, 0, v42, vcc_lo
	v_cmp_le_u32_e32 vcc_lo, v66, v41
	s_delay_alu instid0(VALU_DEP_2) | instskip(SKIP_3) | instid1(VALU_DEP_1)
	v_add_nc_u32_e32 v39, v39, v42
	ds_bpermute_b32 v42, v65, v39
	s_waitcnt lgkmcnt(0)
	v_cndmask_b32_e32 v41, 0, v42, vcc_lo
	v_add3_u32 v39, v41, v36, v39
.LBB167_81:                             ; =>This Loop Header: Depth=1
                                        ;     Child Loop BB167_84 Depth 2
                                        ;       Child Loop BB167_85 Depth 3
	v_and_b32_e32 v36, 0xff, v40
	s_delay_alu instid0(VALU_DEP_1) | instskip(SKIP_2) | instid1(VALU_DEP_1)
	v_cmp_ne_u16_e32 vcc_lo, 2, v36
	v_cndmask_b32_e64 v36, 0, 1, vcc_lo
	;;#ASMSTART
	;;#ASMEND
	v_cmp_ne_u32_e32 vcc_lo, 0, v36
	v_mov_b32_e32 v36, v39
	s_cmp_lg_u32 vcc_lo, exec_lo
	s_cbranch_scc1 .LBB167_88
; %bb.82:                               ;   in Loop: Header=BB167_81 Depth=1
	v_lshlrev_b64 v[39:40], 3, v[37:38]
	s_mov_b32 s19, exec_lo
	s_delay_alu instid0(VALU_DEP_1) | instskip(NEXT) | instid1(VALU_DEP_2)
	v_add_co_u32 v41, vcc_lo, s12, v39
	v_add_co_ci_u32_e32 v42, vcc_lo, s13, v40, vcc_lo
	global_load_b64 v[39:40], v[41:42], off glc
	s_waitcnt vmcnt(0)
	v_and_b32_e32 v67, 0xff, v40
	s_delay_alu instid0(VALU_DEP_1)
	v_cmpx_eq_u16_e32 0, v67
	s_cbranch_execz .LBB167_80
; %bb.83:                               ;   in Loop: Header=BB167_81 Depth=1
	s_mov_b32 s21, 1
	s_mov_b32 s20, 0
	.p2align	6
.LBB167_84:                             ;   Parent Loop BB167_81 Depth=1
                                        ; =>  This Loop Header: Depth=2
                                        ;       Child Loop BB167_85 Depth 3
	s_max_u32 s22, s21, 1
.LBB167_85:                             ;   Parent Loop BB167_81 Depth=1
                                        ;     Parent Loop BB167_84 Depth=2
                                        ; =>    This Inner Loop Header: Depth=3
	s_delay_alu instid0(SALU_CYCLE_1)
	s_add_i32 s22, s22, -1
	s_sleep 1
	s_cmp_eq_u32 s22, 0
	s_cbranch_scc0 .LBB167_85
; %bb.86:                               ;   in Loop: Header=BB167_84 Depth=2
	global_load_b64 v[39:40], v[41:42], off glc
	s_cmp_lt_u32 s21, 32
	s_cselect_b32 s22, -1, 0
	s_delay_alu instid0(SALU_CYCLE_1) | instskip(SKIP_3) | instid1(VALU_DEP_1)
	s_cmp_lg_u32 s22, 0
	s_addc_u32 s21, s21, 0
	s_waitcnt vmcnt(0)
	v_and_b32_e32 v67, 0xff, v40
	v_cmp_ne_u16_e32 vcc_lo, 0, v67
	s_or_b32 s20, vcc_lo, s20
	s_delay_alu instid0(SALU_CYCLE_1)
	s_and_not1_b32 exec_lo, exec_lo, s20
	s_cbranch_execnz .LBB167_84
; %bb.87:                               ;   in Loop: Header=BB167_81 Depth=1
	s_or_b32 exec_lo, exec_lo, s20
	s_branch .LBB167_80
.LBB167_88:                             ;   in Loop: Header=BB167_81 Depth=1
                                        ; implicit-def: $vgpr39
                                        ; implicit-def: $vgpr40
	s_cbranch_execz .LBB167_81
; %bb.89:
	s_and_saveexec_b32 s19, s8
	s_cbranch_execz .LBB167_91
; %bb.90:
	s_add_i32 s20, s15, 32
	s_mov_b32 s21, 0
	v_dual_mov_b32 v38, 2 :: v_dual_add_nc_u32 v37, v36, v35
	s_lshl_b64 s[20:21], s[20:21], 3
	v_mov_b32_e32 v39, 0
	s_add_u32 s20, s12, s20
	s_addc_u32 s21, s13, s21
	global_store_b64 v39, v[37:38], s[20:21]
	ds_store_b64 v39, v[35:36] offset:33792
.LBB167_91:
	s_or_b32 exec_lo, exec_lo, s19
	v_cmp_eq_u32_e32 vcc_lo, 0, v0
	s_and_b32 exec_lo, exec_lo, vcc_lo
	s_cbranch_execz .LBB167_93
; %bb.92:
	v_mov_b32_e32 v35, 0
	ds_store_b32 v35, v36 offset:60
.LBB167_93:
	s_or_b32 exec_lo, exec_lo, s9
	v_mov_b32_e32 v35, 0
	s_waitcnt lgkmcnt(0)
	s_waitcnt_vscnt null, 0x0
	s_barrier
	buffer_gl0_inv
	v_cndmask_b32_e64 v37, v45, v43, s8
	ds_load_b32 v36, v35 offset:60
	v_cmp_ne_u32_e32 vcc_lo, 0, v0
	s_waitcnt lgkmcnt(0)
	s_barrier
	buffer_gl0_inv
	v_cndmask_b32_e32 v37, 0, v37, vcc_lo
	s_delay_alu instid0(VALU_DEP_1) | instskip(SKIP_2) | instid1(VALU_DEP_1)
	v_add_nc_u32_e32 v53, v36, v37
	ds_load_b64 v[35:36], v35 offset:33792
	v_add_nc_u32_e32 v51, v53, v44
	v_add_nc_u32_e32 v49, v51, v46
	s_delay_alu instid0(VALU_DEP_1) | instskip(NEXT) | instid1(VALU_DEP_1)
	v_add_nc_u32_e32 v47, v49, v48
	v_add_nc_u32_e32 v45, v47, v50
	s_waitcnt lgkmcnt(0)
	v_readfirstlane_b32 s8, v36
	s_delay_alu instid0(VALU_DEP_2) | instskip(NEXT) | instid1(VALU_DEP_1)
	v_add_nc_u32_e32 v43, v45, v52
	v_add_nc_u32_e32 v41, v43, v54
	s_delay_alu instid0(VALU_DEP_1)
	v_add_nc_u32_e32 v39, v41, v57
	v_lshrrev_b64 v[37:38], 24, v[33:34]
	s_branch .LBB167_104
.LBB167_94:
                                        ; implicit-def: $vgpr39
                                        ; implicit-def: $vgpr41
                                        ; implicit-def: $vgpr43
                                        ; implicit-def: $vgpr45
                                        ; implicit-def: $vgpr47
                                        ; implicit-def: $vgpr49
                                        ; implicit-def: $vgpr51
                                        ; implicit-def: $vgpr53
                                        ; implicit-def: $sgpr8
                                        ; implicit-def: $vgpr35
	v_lshrrev_b64 v[37:38], 24, v[33:34]
	s_and_b32 vcc_lo, exec_lo, s9
	s_cbranch_vccz .LBB167_104
; %bb.95:
	v_mov_b32_dpp v35, v60 row_shr:1 row_mask:0xf bank_mask:0xf
	s_delay_alu instid0(VALU_DEP_1) | instskip(NEXT) | instid1(VALU_DEP_1)
	v_cndmask_b32_e64 v35, v35, 0, s4
	v_add_nc_u32_e32 v35, v35, v60
	s_delay_alu instid0(VALU_DEP_1) | instskip(NEXT) | instid1(VALU_DEP_1)
	v_mov_b32_dpp v36, v35 row_shr:2 row_mask:0xf bank_mask:0xf
	v_cndmask_b32_e64 v36, 0, v36, s2
	s_delay_alu instid0(VALU_DEP_1) | instskip(NEXT) | instid1(VALU_DEP_1)
	v_add_nc_u32_e32 v35, v35, v36
	v_mov_b32_dpp v36, v35 row_shr:4 row_mask:0xf bank_mask:0xf
	s_delay_alu instid0(VALU_DEP_1) | instskip(NEXT) | instid1(VALU_DEP_1)
	v_cndmask_b32_e64 v36, 0, v36, s5
	v_add_nc_u32_e32 v35, v35, v36
	s_delay_alu instid0(VALU_DEP_1) | instskip(NEXT) | instid1(VALU_DEP_1)
	v_mov_b32_dpp v36, v35 row_shr:8 row_mask:0xf bank_mask:0xf
	v_cndmask_b32_e64 v36, 0, v36, s3
	s_delay_alu instid0(VALU_DEP_1) | instskip(SKIP_3) | instid1(VALU_DEP_1)
	v_add_nc_u32_e32 v35, v35, v36
	ds_swizzle_b32 v36, v35 offset:swizzle(BROADCAST,32,15)
	s_waitcnt lgkmcnt(0)
	v_cndmask_b32_e64 v36, v36, 0, s7
	v_add_nc_u32_e32 v35, v35, v36
	s_and_saveexec_b32 s7, s6
	s_cbranch_execz .LBB167_97
; %bb.96:
	v_lshlrev_b32_e32 v36, 2, v59
	ds_store_b32 v36, v35
.LBB167_97:
	s_or_b32 exec_lo, exec_lo, s7
	s_delay_alu instid0(SALU_CYCLE_1)
	s_mov_b32 s6, exec_lo
	s_waitcnt lgkmcnt(0)
	s_barrier
	buffer_gl0_inv
	v_cmpx_gt_u32_e32 16, v0
	s_cbranch_execz .LBB167_99
; %bb.98:
	v_lshlrev_b32_e32 v36, 2, v0
	ds_load_b32 v38, v36
	s_waitcnt lgkmcnt(0)
	v_mov_b32_dpp v39, v38 row_shr:1 row_mask:0xf bank_mask:0xf
	s_delay_alu instid0(VALU_DEP_1) | instskip(NEXT) | instid1(VALU_DEP_1)
	v_cndmask_b32_e64 v39, v39, 0, s4
	v_add_nc_u32_e32 v38, v39, v38
	s_delay_alu instid0(VALU_DEP_1) | instskip(NEXT) | instid1(VALU_DEP_1)
	v_mov_b32_dpp v39, v38 row_shr:2 row_mask:0xf bank_mask:0xf
	v_cndmask_b32_e64 v39, 0, v39, s2
	s_delay_alu instid0(VALU_DEP_1) | instskip(NEXT) | instid1(VALU_DEP_1)
	v_add_nc_u32_e32 v38, v38, v39
	v_mov_b32_dpp v39, v38 row_shr:4 row_mask:0xf bank_mask:0xf
	s_delay_alu instid0(VALU_DEP_1) | instskip(NEXT) | instid1(VALU_DEP_1)
	v_cndmask_b32_e64 v39, 0, v39, s5
	v_add_nc_u32_e32 v38, v38, v39
	s_delay_alu instid0(VALU_DEP_1) | instskip(NEXT) | instid1(VALU_DEP_1)
	v_mov_b32_dpp v39, v38 row_shr:8 row_mask:0xf bank_mask:0xf
	v_cndmask_b32_e64 v39, 0, v39, s3
	s_delay_alu instid0(VALU_DEP_1)
	v_add_nc_u32_e32 v38, v38, v39
	ds_store_b32 v36, v38
.LBB167_99:
	s_or_b32 exec_lo, exec_lo, s6
	v_mov_b32_e32 v36, 0
	v_mov_b32_e32 v38, 0
	s_mov_b32 s2, exec_lo
	s_waitcnt lgkmcnt(0)
	s_barrier
	buffer_gl0_inv
	v_cmpx_lt_u32_e32 31, v0
	s_cbranch_execz .LBB167_101
; %bb.100:
	v_lshl_add_u32 v38, v59, 2, -4
	ds_load_b32 v38, v38
.LBB167_101:
	s_or_b32 exec_lo, exec_lo, s2
	v_add_nc_u32_e32 v39, -1, v58
	s_waitcnt lgkmcnt(0)
	v_add_nc_u32_e32 v35, v38, v35
	s_mov_b32 s8, 0
	s_delay_alu instid0(VALU_DEP_2) | instskip(SKIP_2) | instid1(VALU_DEP_2)
	v_cmp_gt_i32_e32 vcc_lo, 0, v39
	v_cndmask_b32_e32 v39, v39, v58, vcc_lo
	v_cmp_eq_u32_e32 vcc_lo, 0, v0
	v_lshlrev_b32_e32 v39, 2, v39
	ds_bpermute_b32 v39, v39, v35
	ds_load_b32 v35, v36 offset:60
	s_and_saveexec_b32 s2, vcc_lo
	s_cbranch_execz .LBB167_103
; %bb.102:
	v_mov_b32_e32 v40, 0
	v_mov_b32_e32 v36, 2
	s_waitcnt lgkmcnt(0)
	global_store_b64 v40, v[35:36], s[12:13] offset:256
.LBB167_103:
	s_or_b32 exec_lo, exec_lo, s2
	v_cmp_eq_u32_e64 s2, 0, v58
	s_waitcnt lgkmcnt(0)
	s_waitcnt_vscnt null, 0x0
	s_barrier
	buffer_gl0_inv
	v_cndmask_b32_e64 v36, v39, v38, s2
	s_delay_alu instid0(VALU_DEP_1) | instskip(NEXT) | instid1(VALU_DEP_1)
	v_cndmask_b32_e64 v53, v36, 0, vcc_lo
	v_add_nc_u32_e32 v51, v53, v44
	s_delay_alu instid0(VALU_DEP_1) | instskip(NEXT) | instid1(VALU_DEP_1)
	v_add_nc_u32_e32 v49, v51, v46
	v_add_nc_u32_e32 v47, v49, v48
	s_delay_alu instid0(VALU_DEP_1) | instskip(NEXT) | instid1(VALU_DEP_1)
	v_add_nc_u32_e32 v45, v47, v50
	v_add_nc_u32_e32 v43, v45, v52
	s_delay_alu instid0(VALU_DEP_1) | instskip(NEXT) | instid1(VALU_DEP_1)
	v_add_nc_u32_e32 v41, v43, v54
	v_add_nc_u32_e32 v39, v41, v57
.LBB167_104:
	s_load_b128 s[4:7], s[0:1], 0x28
	v_add_nc_u32_e32 v59, s8, v35
	v_cmp_gt_u32_e64 s0, 0x201, v35
	v_lshrrev_b32_e32 v58, 8, v33
	v_lshrrev_b32_e32 v57, 16, v33
	;; [unrolled: 1-line block ×4, first 2 shown]
	v_cmp_lt_u32_e64 s1, v53, v59
	s_and_b32 vcc_lo, exec_lo, s0
	s_mov_b32 s2, -1
	s_cbranch_vccz .LBB167_130
; %bb.105:
	s_lshl_b64 s[2:3], s[10:11], 3
	s_waitcnt lgkmcnt(0)
	s_add_u32 s2, s4, s2
	s_addc_u32 s3, s5, s3
	s_or_b32 s9, s18, s1
	s_delay_alu instid0(SALU_CYCLE_1)
	s_and_saveexec_b32 s1, s9
	s_cbranch_execz .LBB167_108
; %bb.106:
	v_and_b32_e32 v40, 1, v33
	s_delay_alu instid0(VALU_DEP_1)
	v_cmp_eq_u32_e32 vcc_lo, 1, v40
	s_and_b32 exec_lo, exec_lo, vcc_lo
	s_cbranch_execz .LBB167_108
; %bb.107:
	v_mov_b32_e32 v54, 0
	s_delay_alu instid0(VALU_DEP_1) | instskip(NEXT) | instid1(VALU_DEP_1)
	v_lshlrev_b64 v[60:61], 3, v[53:54]
	v_add_co_u32 v60, vcc_lo, s2, v60
	s_delay_alu instid0(VALU_DEP_2)
	v_add_co_ci_u32_e32 v61, vcc_lo, s3, v61, vcc_lo
	global_store_b64 v[60:61], v[29:30], off
.LBB167_108:
	s_or_b32 exec_lo, exec_lo, s1
	v_cmp_lt_u32_e32 vcc_lo, v51, v59
	s_or_b32 s9, s18, vcc_lo
	s_delay_alu instid0(SALU_CYCLE_1)
	s_and_saveexec_b32 s1, s9
	s_cbranch_execz .LBB167_111
; %bb.109:
	v_and_b32_e32 v40, 1, v58
	s_delay_alu instid0(VALU_DEP_1)
	v_cmp_eq_u32_e32 vcc_lo, 1, v40
	s_and_b32 exec_lo, exec_lo, vcc_lo
	s_cbranch_execz .LBB167_111
; %bb.110:
	v_mov_b32_e32 v52, 0
	s_delay_alu instid0(VALU_DEP_1) | instskip(NEXT) | instid1(VALU_DEP_1)
	v_lshlrev_b64 v[60:61], 3, v[51:52]
	v_add_co_u32 v60, vcc_lo, s2, v60
	s_delay_alu instid0(VALU_DEP_2)
	v_add_co_ci_u32_e32 v61, vcc_lo, s3, v61, vcc_lo
	global_store_b64 v[60:61], v[31:32], off
.LBB167_111:
	s_or_b32 exec_lo, exec_lo, s1
	v_cmp_lt_u32_e32 vcc_lo, v49, v59
	s_or_b32 s9, s18, vcc_lo
	;; [unrolled: 21-line block ×7, first 2 shown]
	s_delay_alu instid0(SALU_CYCLE_1)
	s_and_saveexec_b32 s1, s9
	s_cbranch_execz .LBB167_129
; %bb.127:
	v_and_b32_e32 v40, 1, v56
	s_delay_alu instid0(VALU_DEP_1)
	v_cmp_eq_u32_e32 vcc_lo, 1, v40
	s_and_b32 exec_lo, exec_lo, vcc_lo
	s_cbranch_execz .LBB167_129
; %bb.128:
	v_mov_b32_e32 v40, 0
	s_delay_alu instid0(VALU_DEP_1) | instskip(NEXT) | instid1(VALU_DEP_1)
	v_lshlrev_b64 v[60:61], 3, v[39:40]
	v_add_co_u32 v60, vcc_lo, s2, v60
	s_delay_alu instid0(VALU_DEP_2)
	v_add_co_ci_u32_e32 v61, vcc_lo, s3, v61, vcc_lo
	global_store_b64 v[60:61], v[19:20], off
.LBB167_129:
	s_or_b32 exec_lo, exec_lo, s1
	s_mov_b32 s2, 0
.LBB167_130:
	v_and_b32_e32 v33, 1, v33
	s_and_b32 vcc_lo, exec_lo, s2
	s_delay_alu instid0(VALU_DEP_1)
	v_cmp_eq_u32_e64 s1, 1, v33
	s_cbranch_vccz .LBB167_151
; %bb.131:
	s_delay_alu instid0(VALU_DEP_1)
	s_and_saveexec_b32 s2, s1
	s_cbranch_execz .LBB167_133
; %bb.132:
	v_subrev_nc_u32_e32 v40, s8, v53
	s_delay_alu instid0(VALU_DEP_1)
	v_lshlrev_b32_e32 v40, 3, v40
	ds_store_b64 v40, v[29:30]
.LBB167_133:
	s_or_b32 exec_lo, exec_lo, s2
	v_and_b32_e32 v29, 1, v58
	s_mov_b32 s1, exec_lo
	s_delay_alu instid0(VALU_DEP_1)
	v_cmpx_eq_u32_e32 1, v29
	s_cbranch_execz .LBB167_135
; %bb.134:
	v_subrev_nc_u32_e32 v29, s8, v51
	s_delay_alu instid0(VALU_DEP_1)
	v_lshlrev_b32_e32 v29, 3, v29
	ds_store_b64 v29, v[31:32]
.LBB167_135:
	s_or_b32 exec_lo, exec_lo, s1
	v_and_b32_e32 v29, 1, v57
	s_mov_b32 s1, exec_lo
	s_delay_alu instid0(VALU_DEP_1)
	v_cmpx_eq_u32_e32 1, v29
	;; [unrolled: 12-line block ×7, first 2 shown]
	s_cbranch_execz .LBB167_147
; %bb.146:
	v_subrev_nc_u32_e32 v17, s8, v39
	s_delay_alu instid0(VALU_DEP_1)
	v_lshlrev_b32_e32 v17, 3, v17
	ds_store_b64 v17, v[19:20]
.LBB167_147:
	s_or_b32 exec_lo, exec_lo, s1
	s_delay_alu instid0(SALU_CYCLE_1)
	s_mov_b32 s2, exec_lo
	s_waitcnt lgkmcnt(0)
	s_waitcnt_vscnt null, 0x0
	s_barrier
	buffer_gl0_inv
	v_cmpx_lt_u32_e64 v0, v35
	s_cbranch_execz .LBB167_150
; %bb.148:
	s_mov_b32 s9, 0
	s_lshl_b64 s[12:13], s[10:11], 3
	s_lshl_b64 s[20:21], s[8:9], 3
	v_dual_mov_b32 v19, v55 :: v_dual_mov_b32 v20, v0
	s_add_u32 s1, s12, s20
	s_addc_u32 s3, s13, s21
	s_add_u32 s1, s4, s1
	s_addc_u32 s3, s5, s3
	v_add_co_u32 v17, s1, s1, v55
	s_delay_alu instid0(VALU_DEP_1)
	v_add_co_ci_u32_e64 v18, null, s3, 0, s1
	.p2align	6
.LBB167_149:                            ; =>This Inner Loop Header: Depth=1
	ds_load_b64 v[21:22], v19
	v_add_nc_u32_e32 v20, 0x200, v20
	v_add_nc_u32_e32 v19, 0x1000, v19
	s_delay_alu instid0(VALU_DEP_2) | instskip(SKIP_4) | instid1(VALU_DEP_1)
	v_cmp_ge_u32_e32 vcc_lo, v20, v35
	s_or_b32 s9, vcc_lo, s9
	s_waitcnt lgkmcnt(0)
	global_store_b64 v[17:18], v[21:22], off
	v_add_co_u32 v17, s1, 0x1000, v17
	v_add_co_ci_u32_e64 v18, s1, 0, v18, s1
	s_and_not1_b32 exec_lo, exec_lo, s9
	s_cbranch_execnz .LBB167_149
.LBB167_150:
	s_or_b32 exec_lo, exec_lo, s2
.LBB167_151:
	s_delay_alu instid0(SALU_CYCLE_1)
	s_and_b32 vcc_lo, exec_lo, s0
	s_mov_b32 s0, -1
	s_waitcnt lgkmcnt(0)
	s_waitcnt_vscnt null, 0x0
	s_barrier
	buffer_gl0_inv
	s_cbranch_vccz .LBB167_179
; %bb.152:
	v_cmp_lt_u32_e32 vcc_lo, v53, v59
	s_lshl_b64 s[0:1], s[10:11], 3
	s_delay_alu instid0(SALU_CYCLE_1) | instskip(SKIP_2) | instid1(SALU_CYCLE_1)
	s_add_u32 s0, s6, s0
	s_addc_u32 s1, s7, s1
	s_or_b32 s3, s18, vcc_lo
	s_and_saveexec_b32 s2, s3
	s_cbranch_execz .LBB167_155
; %bb.153:
	v_cmp_eq_u32_e32 vcc_lo, 1, v33
	s_and_b32 exec_lo, exec_lo, vcc_lo
	s_cbranch_execz .LBB167_155
; %bb.154:
	v_mov_b32_e32 v54, 0
	s_delay_alu instid0(VALU_DEP_1) | instskip(NEXT) | instid1(VALU_DEP_1)
	v_lshlrev_b64 v[17:18], 3, v[53:54]
	v_add_co_u32 v17, vcc_lo, s0, v17
	s_delay_alu instid0(VALU_DEP_2)
	v_add_co_ci_u32_e32 v18, vcc_lo, s1, v18, vcc_lo
	global_store_b64 v[17:18], v[13:14], off
.LBB167_155:
	s_or_b32 exec_lo, exec_lo, s2
	v_cmp_lt_u32_e32 vcc_lo, v51, v59
	s_or_b32 s3, s18, vcc_lo
	s_delay_alu instid0(SALU_CYCLE_1)
	s_and_saveexec_b32 s2, s3
	s_cbranch_execz .LBB167_158
; %bb.156:
	v_and_b32_e32 v17, 1, v58
	s_delay_alu instid0(VALU_DEP_1)
	v_cmp_eq_u32_e32 vcc_lo, 1, v17
	s_and_b32 exec_lo, exec_lo, vcc_lo
	s_cbranch_execz .LBB167_158
; %bb.157:
	v_mov_b32_e32 v52, 0
	s_delay_alu instid0(VALU_DEP_1) | instskip(NEXT) | instid1(VALU_DEP_1)
	v_lshlrev_b64 v[17:18], 3, v[51:52]
	v_add_co_u32 v17, vcc_lo, s0, v17
	s_delay_alu instid0(VALU_DEP_2)
	v_add_co_ci_u32_e32 v18, vcc_lo, s1, v18, vcc_lo
	global_store_b64 v[17:18], v[15:16], off
.LBB167_158:
	s_or_b32 exec_lo, exec_lo, s2
	v_cmp_lt_u32_e32 vcc_lo, v49, v59
	s_or_b32 s3, s18, vcc_lo
	s_delay_alu instid0(SALU_CYCLE_1)
	s_and_saveexec_b32 s2, s3
	s_cbranch_execz .LBB167_161
; %bb.159:
	v_and_b32_e32 v17, 1, v57
	s_delay_alu instid0(VALU_DEP_1)
	v_cmp_eq_u32_e32 vcc_lo, 1, v17
	s_and_b32 exec_lo, exec_lo, vcc_lo
	s_cbranch_execz .LBB167_161
; %bb.160:
	v_mov_b32_e32 v50, 0
	s_delay_alu instid0(VALU_DEP_1) | instskip(NEXT) | instid1(VALU_DEP_1)
	v_lshlrev_b64 v[17:18], 3, v[49:50]
	v_add_co_u32 v17, vcc_lo, s0, v17
	s_delay_alu instid0(VALU_DEP_2)
	v_add_co_ci_u32_e32 v18, vcc_lo, s1, v18, vcc_lo
	global_store_b64 v[17:18], v[9:10], off
.LBB167_161:
	;; [unrolled: 21-line block ×7, first 2 shown]
	s_or_b32 exec_lo, exec_lo, s2
.LBB167_177:
	v_cmp_eq_u32_e32 vcc_lo, 0, v0
	s_and_b32 s0, vcc_lo, s14
	s_delay_alu instid0(SALU_CYCLE_1)
	s_and_saveexec_b32 s1, s0
	s_cbranch_execz .LBB167_200
.LBB167_178:
	v_add_co_u32 v0, s0, s10, v35
	s_delay_alu instid0(VALU_DEP_1) | instskip(SKIP_1) | instid1(VALU_DEP_3)
	v_add_co_ci_u32_e64 v1, null, s11, 0, s0
	v_mov_b32_e32 v2, 0
	v_add_co_u32 v0, vcc_lo, v0, s8
	s_delay_alu instid0(VALU_DEP_3)
	v_add_co_ci_u32_e32 v1, vcc_lo, 0, v1, vcc_lo
	global_store_b64 v2, v[0:1], s[16:17]
	s_nop 0
	s_sendmsg sendmsg(MSG_DEALLOC_VGPRS)
	s_endpgm
.LBB167_179:
	s_and_b32 vcc_lo, exec_lo, s0
	s_cbranch_vccz .LBB167_177
; %bb.180:
	s_mov_b32 s0, exec_lo
	v_cmpx_eq_u32_e32 1, v33
	s_cbranch_execz .LBB167_182
; %bb.181:
	v_subrev_nc_u32_e32 v17, s8, v53
	s_delay_alu instid0(VALU_DEP_1)
	v_lshlrev_b32_e32 v17, 3, v17
	ds_store_b64 v17, v[13:14]
.LBB167_182:
	s_or_b32 exec_lo, exec_lo, s0
	v_and_b32_e32 v13, 1, v58
	s_mov_b32 s0, exec_lo
	s_delay_alu instid0(VALU_DEP_1)
	v_cmpx_eq_u32_e32 1, v13
	s_cbranch_execz .LBB167_184
; %bb.183:
	v_subrev_nc_u32_e32 v13, s8, v51
	s_delay_alu instid0(VALU_DEP_1)
	v_lshlrev_b32_e32 v13, 3, v13
	ds_store_b64 v13, v[15:16]
.LBB167_184:
	s_or_b32 exec_lo, exec_lo, s0
	v_and_b32_e32 v13, 1, v57
	s_mov_b32 s0, exec_lo
	s_delay_alu instid0(VALU_DEP_1)
	;; [unrolled: 12-line block ×7, first 2 shown]
	v_cmpx_eq_u32_e32 1, v1
	s_cbranch_execz .LBB167_196
; %bb.195:
	v_subrev_nc_u32_e32 v1, s8, v39
	s_delay_alu instid0(VALU_DEP_1)
	v_lshlrev_b32_e32 v1, 3, v1
	ds_store_b64 v1, v[3:4]
.LBB167_196:
	s_or_b32 exec_lo, exec_lo, s0
	s_delay_alu instid0(SALU_CYCLE_1)
	s_mov_b32 s1, exec_lo
	s_waitcnt lgkmcnt(0)
	s_waitcnt_vscnt null, 0x0
	s_barrier
	buffer_gl0_inv
	v_cmpx_lt_u32_e64 v0, v35
	s_cbranch_execz .LBB167_199
; %bb.197:
	s_mov_b32 s9, 0
	s_lshl_b64 s[2:3], s[10:11], 3
	s_lshl_b64 s[4:5], s[8:9], 3
	v_mov_b32_e32 v3, v0
	s_add_u32 s0, s2, s4
	s_addc_u32 s2, s3, s5
	s_add_u32 s0, s6, s0
	s_addc_u32 s2, s7, s2
	v_add_co_u32 v1, s0, s0, v55
	s_delay_alu instid0(VALU_DEP_1)
	v_add_co_ci_u32_e64 v2, null, s2, 0, s0
	.p2align	6
.LBB167_198:                            ; =>This Inner Loop Header: Depth=1
	ds_load_b64 v[4:5], v55
	v_add_nc_u32_e32 v3, 0x200, v3
	v_add_nc_u32_e32 v55, 0x1000, v55
	s_delay_alu instid0(VALU_DEP_2) | instskip(SKIP_4) | instid1(VALU_DEP_1)
	v_cmp_ge_u32_e32 vcc_lo, v3, v35
	s_or_b32 s9, vcc_lo, s9
	s_waitcnt lgkmcnt(0)
	global_store_b64 v[1:2], v[4:5], off
	v_add_co_u32 v1, s0, 0x1000, v1
	v_add_co_ci_u32_e64 v2, s0, 0, v2, s0
	s_and_not1_b32 exec_lo, exec_lo, s9
	s_cbranch_execnz .LBB167_198
.LBB167_199:
	s_or_b32 exec_lo, exec_lo, s1
	v_cmp_eq_u32_e32 vcc_lo, 0, v0
	s_and_b32 s0, vcc_lo, s14
	s_delay_alu instid0(SALU_CYCLE_1)
	s_and_saveexec_b32 s1, s0
	s_cbranch_execnz .LBB167_178
.LBB167_200:
	s_nop 0
	s_sendmsg sendmsg(MSG_DEALLOC_VGPRS)
	s_endpgm
	.section	.rodata,"a",@progbits
	.p2align	6, 0x0
	.amdhsa_kernel _ZN7rocprim17ROCPRIM_400000_NS6detail17trampoline_kernelINS0_14default_configENS1_25partition_config_selectorILNS1_17partition_subalgoE9EyybEEZZNS1_14partition_implILS5_9ELb0ES3_jN6thrust23THRUST_200600_302600_NS6detail15normal_iteratorINS9_10device_ptrIyEEEESE_PNS0_10empty_typeENS0_5tupleIJSE_SF_EEENSH_IJSE_SG_EEENS0_18inequality_wrapperINS9_8equal_toIyEEEEPmJSF_EEE10hipError_tPvRmT3_T4_T5_T6_T7_T9_mT8_P12ihipStream_tbDpT10_ENKUlT_T0_E_clISt17integral_constantIbLb1EES17_IbLb0EEEEDaS13_S14_EUlS13_E_NS1_11comp_targetILNS1_3genE9ELNS1_11target_archE1100ELNS1_3gpuE3ELNS1_3repE0EEENS1_30default_config_static_selectorELNS0_4arch9wavefront6targetE0EEEvT1_
		.amdhsa_group_segment_fixed_size 33800
		.amdhsa_private_segment_fixed_size 0
		.amdhsa_kernarg_size 112
		.amdhsa_user_sgpr_count 15
		.amdhsa_user_sgpr_dispatch_ptr 0
		.amdhsa_user_sgpr_queue_ptr 0
		.amdhsa_user_sgpr_kernarg_segment_ptr 1
		.amdhsa_user_sgpr_dispatch_id 0
		.amdhsa_user_sgpr_private_segment_size 0
		.amdhsa_wavefront_size32 1
		.amdhsa_uses_dynamic_stack 0
		.amdhsa_enable_private_segment 0
		.amdhsa_system_sgpr_workgroup_id_x 1
		.amdhsa_system_sgpr_workgroup_id_y 0
		.amdhsa_system_sgpr_workgroup_id_z 0
		.amdhsa_system_sgpr_workgroup_info 0
		.amdhsa_system_vgpr_workitem_id 0
		.amdhsa_next_free_vgpr 68
		.amdhsa_next_free_sgpr 25
		.amdhsa_reserve_vcc 1
		.amdhsa_float_round_mode_32 0
		.amdhsa_float_round_mode_16_64 0
		.amdhsa_float_denorm_mode_32 3
		.amdhsa_float_denorm_mode_16_64 3
		.amdhsa_dx10_clamp 1
		.amdhsa_ieee_mode 1
		.amdhsa_fp16_overflow 0
		.amdhsa_workgroup_processor_mode 1
		.amdhsa_memory_ordered 1
		.amdhsa_forward_progress 0
		.amdhsa_shared_vgpr_count 0
		.amdhsa_exception_fp_ieee_invalid_op 0
		.amdhsa_exception_fp_denorm_src 0
		.amdhsa_exception_fp_ieee_div_zero 0
		.amdhsa_exception_fp_ieee_overflow 0
		.amdhsa_exception_fp_ieee_underflow 0
		.amdhsa_exception_fp_ieee_inexact 0
		.amdhsa_exception_int_div_zero 0
	.end_amdhsa_kernel
	.section	.text._ZN7rocprim17ROCPRIM_400000_NS6detail17trampoline_kernelINS0_14default_configENS1_25partition_config_selectorILNS1_17partition_subalgoE9EyybEEZZNS1_14partition_implILS5_9ELb0ES3_jN6thrust23THRUST_200600_302600_NS6detail15normal_iteratorINS9_10device_ptrIyEEEESE_PNS0_10empty_typeENS0_5tupleIJSE_SF_EEENSH_IJSE_SG_EEENS0_18inequality_wrapperINS9_8equal_toIyEEEEPmJSF_EEE10hipError_tPvRmT3_T4_T5_T6_T7_T9_mT8_P12ihipStream_tbDpT10_ENKUlT_T0_E_clISt17integral_constantIbLb1EES17_IbLb0EEEEDaS13_S14_EUlS13_E_NS1_11comp_targetILNS1_3genE9ELNS1_11target_archE1100ELNS1_3gpuE3ELNS1_3repE0EEENS1_30default_config_static_selectorELNS0_4arch9wavefront6targetE0EEEvT1_,"axG",@progbits,_ZN7rocprim17ROCPRIM_400000_NS6detail17trampoline_kernelINS0_14default_configENS1_25partition_config_selectorILNS1_17partition_subalgoE9EyybEEZZNS1_14partition_implILS5_9ELb0ES3_jN6thrust23THRUST_200600_302600_NS6detail15normal_iteratorINS9_10device_ptrIyEEEESE_PNS0_10empty_typeENS0_5tupleIJSE_SF_EEENSH_IJSE_SG_EEENS0_18inequality_wrapperINS9_8equal_toIyEEEEPmJSF_EEE10hipError_tPvRmT3_T4_T5_T6_T7_T9_mT8_P12ihipStream_tbDpT10_ENKUlT_T0_E_clISt17integral_constantIbLb1EES17_IbLb0EEEEDaS13_S14_EUlS13_E_NS1_11comp_targetILNS1_3genE9ELNS1_11target_archE1100ELNS1_3gpuE3ELNS1_3repE0EEENS1_30default_config_static_selectorELNS0_4arch9wavefront6targetE0EEEvT1_,comdat
.Lfunc_end167:
	.size	_ZN7rocprim17ROCPRIM_400000_NS6detail17trampoline_kernelINS0_14default_configENS1_25partition_config_selectorILNS1_17partition_subalgoE9EyybEEZZNS1_14partition_implILS5_9ELb0ES3_jN6thrust23THRUST_200600_302600_NS6detail15normal_iteratorINS9_10device_ptrIyEEEESE_PNS0_10empty_typeENS0_5tupleIJSE_SF_EEENSH_IJSE_SG_EEENS0_18inequality_wrapperINS9_8equal_toIyEEEEPmJSF_EEE10hipError_tPvRmT3_T4_T5_T6_T7_T9_mT8_P12ihipStream_tbDpT10_ENKUlT_T0_E_clISt17integral_constantIbLb1EES17_IbLb0EEEEDaS13_S14_EUlS13_E_NS1_11comp_targetILNS1_3genE9ELNS1_11target_archE1100ELNS1_3gpuE3ELNS1_3repE0EEENS1_30default_config_static_selectorELNS0_4arch9wavefront6targetE0EEEvT1_, .Lfunc_end167-_ZN7rocprim17ROCPRIM_400000_NS6detail17trampoline_kernelINS0_14default_configENS1_25partition_config_selectorILNS1_17partition_subalgoE9EyybEEZZNS1_14partition_implILS5_9ELb0ES3_jN6thrust23THRUST_200600_302600_NS6detail15normal_iteratorINS9_10device_ptrIyEEEESE_PNS0_10empty_typeENS0_5tupleIJSE_SF_EEENSH_IJSE_SG_EEENS0_18inequality_wrapperINS9_8equal_toIyEEEEPmJSF_EEE10hipError_tPvRmT3_T4_T5_T6_T7_T9_mT8_P12ihipStream_tbDpT10_ENKUlT_T0_E_clISt17integral_constantIbLb1EES17_IbLb0EEEEDaS13_S14_EUlS13_E_NS1_11comp_targetILNS1_3genE9ELNS1_11target_archE1100ELNS1_3gpuE3ELNS1_3repE0EEENS1_30default_config_static_selectorELNS0_4arch9wavefront6targetE0EEEvT1_
                                        ; -- End function
	.section	.AMDGPU.csdata,"",@progbits
; Kernel info:
; codeLenInByte = 9436
; NumSgprs: 27
; NumVgprs: 68
; ScratchSize: 0
; MemoryBound: 0
; FloatMode: 240
; IeeeMode: 1
; LDSByteSize: 33800 bytes/workgroup (compile time only)
; SGPRBlocks: 3
; VGPRBlocks: 8
; NumSGPRsForWavesPerEU: 27
; NumVGPRsForWavesPerEU: 68
; Occupancy: 12
; WaveLimiterHint : 1
; COMPUTE_PGM_RSRC2:SCRATCH_EN: 0
; COMPUTE_PGM_RSRC2:USER_SGPR: 15
; COMPUTE_PGM_RSRC2:TRAP_HANDLER: 0
; COMPUTE_PGM_RSRC2:TGID_X_EN: 1
; COMPUTE_PGM_RSRC2:TGID_Y_EN: 0
; COMPUTE_PGM_RSRC2:TGID_Z_EN: 0
; COMPUTE_PGM_RSRC2:TIDIG_COMP_CNT: 0
	.section	.text._ZN7rocprim17ROCPRIM_400000_NS6detail17trampoline_kernelINS0_14default_configENS1_25partition_config_selectorILNS1_17partition_subalgoE9EyybEEZZNS1_14partition_implILS5_9ELb0ES3_jN6thrust23THRUST_200600_302600_NS6detail15normal_iteratorINS9_10device_ptrIyEEEESE_PNS0_10empty_typeENS0_5tupleIJSE_SF_EEENSH_IJSE_SG_EEENS0_18inequality_wrapperINS9_8equal_toIyEEEEPmJSF_EEE10hipError_tPvRmT3_T4_T5_T6_T7_T9_mT8_P12ihipStream_tbDpT10_ENKUlT_T0_E_clISt17integral_constantIbLb1EES17_IbLb0EEEEDaS13_S14_EUlS13_E_NS1_11comp_targetILNS1_3genE8ELNS1_11target_archE1030ELNS1_3gpuE2ELNS1_3repE0EEENS1_30default_config_static_selectorELNS0_4arch9wavefront6targetE0EEEvT1_,"axG",@progbits,_ZN7rocprim17ROCPRIM_400000_NS6detail17trampoline_kernelINS0_14default_configENS1_25partition_config_selectorILNS1_17partition_subalgoE9EyybEEZZNS1_14partition_implILS5_9ELb0ES3_jN6thrust23THRUST_200600_302600_NS6detail15normal_iteratorINS9_10device_ptrIyEEEESE_PNS0_10empty_typeENS0_5tupleIJSE_SF_EEENSH_IJSE_SG_EEENS0_18inequality_wrapperINS9_8equal_toIyEEEEPmJSF_EEE10hipError_tPvRmT3_T4_T5_T6_T7_T9_mT8_P12ihipStream_tbDpT10_ENKUlT_T0_E_clISt17integral_constantIbLb1EES17_IbLb0EEEEDaS13_S14_EUlS13_E_NS1_11comp_targetILNS1_3genE8ELNS1_11target_archE1030ELNS1_3gpuE2ELNS1_3repE0EEENS1_30default_config_static_selectorELNS0_4arch9wavefront6targetE0EEEvT1_,comdat
	.protected	_ZN7rocprim17ROCPRIM_400000_NS6detail17trampoline_kernelINS0_14default_configENS1_25partition_config_selectorILNS1_17partition_subalgoE9EyybEEZZNS1_14partition_implILS5_9ELb0ES3_jN6thrust23THRUST_200600_302600_NS6detail15normal_iteratorINS9_10device_ptrIyEEEESE_PNS0_10empty_typeENS0_5tupleIJSE_SF_EEENSH_IJSE_SG_EEENS0_18inequality_wrapperINS9_8equal_toIyEEEEPmJSF_EEE10hipError_tPvRmT3_T4_T5_T6_T7_T9_mT8_P12ihipStream_tbDpT10_ENKUlT_T0_E_clISt17integral_constantIbLb1EES17_IbLb0EEEEDaS13_S14_EUlS13_E_NS1_11comp_targetILNS1_3genE8ELNS1_11target_archE1030ELNS1_3gpuE2ELNS1_3repE0EEENS1_30default_config_static_selectorELNS0_4arch9wavefront6targetE0EEEvT1_ ; -- Begin function _ZN7rocprim17ROCPRIM_400000_NS6detail17trampoline_kernelINS0_14default_configENS1_25partition_config_selectorILNS1_17partition_subalgoE9EyybEEZZNS1_14partition_implILS5_9ELb0ES3_jN6thrust23THRUST_200600_302600_NS6detail15normal_iteratorINS9_10device_ptrIyEEEESE_PNS0_10empty_typeENS0_5tupleIJSE_SF_EEENSH_IJSE_SG_EEENS0_18inequality_wrapperINS9_8equal_toIyEEEEPmJSF_EEE10hipError_tPvRmT3_T4_T5_T6_T7_T9_mT8_P12ihipStream_tbDpT10_ENKUlT_T0_E_clISt17integral_constantIbLb1EES17_IbLb0EEEEDaS13_S14_EUlS13_E_NS1_11comp_targetILNS1_3genE8ELNS1_11target_archE1030ELNS1_3gpuE2ELNS1_3repE0EEENS1_30default_config_static_selectorELNS0_4arch9wavefront6targetE0EEEvT1_
	.globl	_ZN7rocprim17ROCPRIM_400000_NS6detail17trampoline_kernelINS0_14default_configENS1_25partition_config_selectorILNS1_17partition_subalgoE9EyybEEZZNS1_14partition_implILS5_9ELb0ES3_jN6thrust23THRUST_200600_302600_NS6detail15normal_iteratorINS9_10device_ptrIyEEEESE_PNS0_10empty_typeENS0_5tupleIJSE_SF_EEENSH_IJSE_SG_EEENS0_18inequality_wrapperINS9_8equal_toIyEEEEPmJSF_EEE10hipError_tPvRmT3_T4_T5_T6_T7_T9_mT8_P12ihipStream_tbDpT10_ENKUlT_T0_E_clISt17integral_constantIbLb1EES17_IbLb0EEEEDaS13_S14_EUlS13_E_NS1_11comp_targetILNS1_3genE8ELNS1_11target_archE1030ELNS1_3gpuE2ELNS1_3repE0EEENS1_30default_config_static_selectorELNS0_4arch9wavefront6targetE0EEEvT1_
	.p2align	8
	.type	_ZN7rocprim17ROCPRIM_400000_NS6detail17trampoline_kernelINS0_14default_configENS1_25partition_config_selectorILNS1_17partition_subalgoE9EyybEEZZNS1_14partition_implILS5_9ELb0ES3_jN6thrust23THRUST_200600_302600_NS6detail15normal_iteratorINS9_10device_ptrIyEEEESE_PNS0_10empty_typeENS0_5tupleIJSE_SF_EEENSH_IJSE_SG_EEENS0_18inequality_wrapperINS9_8equal_toIyEEEEPmJSF_EEE10hipError_tPvRmT3_T4_T5_T6_T7_T9_mT8_P12ihipStream_tbDpT10_ENKUlT_T0_E_clISt17integral_constantIbLb1EES17_IbLb0EEEEDaS13_S14_EUlS13_E_NS1_11comp_targetILNS1_3genE8ELNS1_11target_archE1030ELNS1_3gpuE2ELNS1_3repE0EEENS1_30default_config_static_selectorELNS0_4arch9wavefront6targetE0EEEvT1_,@function
_ZN7rocprim17ROCPRIM_400000_NS6detail17trampoline_kernelINS0_14default_configENS1_25partition_config_selectorILNS1_17partition_subalgoE9EyybEEZZNS1_14partition_implILS5_9ELb0ES3_jN6thrust23THRUST_200600_302600_NS6detail15normal_iteratorINS9_10device_ptrIyEEEESE_PNS0_10empty_typeENS0_5tupleIJSE_SF_EEENSH_IJSE_SG_EEENS0_18inequality_wrapperINS9_8equal_toIyEEEEPmJSF_EEE10hipError_tPvRmT3_T4_T5_T6_T7_T9_mT8_P12ihipStream_tbDpT10_ENKUlT_T0_E_clISt17integral_constantIbLb1EES17_IbLb0EEEEDaS13_S14_EUlS13_E_NS1_11comp_targetILNS1_3genE8ELNS1_11target_archE1030ELNS1_3gpuE2ELNS1_3repE0EEENS1_30default_config_static_selectorELNS0_4arch9wavefront6targetE0EEEvT1_: ; @_ZN7rocprim17ROCPRIM_400000_NS6detail17trampoline_kernelINS0_14default_configENS1_25partition_config_selectorILNS1_17partition_subalgoE9EyybEEZZNS1_14partition_implILS5_9ELb0ES3_jN6thrust23THRUST_200600_302600_NS6detail15normal_iteratorINS9_10device_ptrIyEEEESE_PNS0_10empty_typeENS0_5tupleIJSE_SF_EEENSH_IJSE_SG_EEENS0_18inequality_wrapperINS9_8equal_toIyEEEEPmJSF_EEE10hipError_tPvRmT3_T4_T5_T6_T7_T9_mT8_P12ihipStream_tbDpT10_ENKUlT_T0_E_clISt17integral_constantIbLb1EES17_IbLb0EEEEDaS13_S14_EUlS13_E_NS1_11comp_targetILNS1_3genE8ELNS1_11target_archE1030ELNS1_3gpuE2ELNS1_3repE0EEENS1_30default_config_static_selectorELNS0_4arch9wavefront6targetE0EEEvT1_
; %bb.0:
	.section	.rodata,"a",@progbits
	.p2align	6, 0x0
	.amdhsa_kernel _ZN7rocprim17ROCPRIM_400000_NS6detail17trampoline_kernelINS0_14default_configENS1_25partition_config_selectorILNS1_17partition_subalgoE9EyybEEZZNS1_14partition_implILS5_9ELb0ES3_jN6thrust23THRUST_200600_302600_NS6detail15normal_iteratorINS9_10device_ptrIyEEEESE_PNS0_10empty_typeENS0_5tupleIJSE_SF_EEENSH_IJSE_SG_EEENS0_18inequality_wrapperINS9_8equal_toIyEEEEPmJSF_EEE10hipError_tPvRmT3_T4_T5_T6_T7_T9_mT8_P12ihipStream_tbDpT10_ENKUlT_T0_E_clISt17integral_constantIbLb1EES17_IbLb0EEEEDaS13_S14_EUlS13_E_NS1_11comp_targetILNS1_3genE8ELNS1_11target_archE1030ELNS1_3gpuE2ELNS1_3repE0EEENS1_30default_config_static_selectorELNS0_4arch9wavefront6targetE0EEEvT1_
		.amdhsa_group_segment_fixed_size 0
		.amdhsa_private_segment_fixed_size 0
		.amdhsa_kernarg_size 112
		.amdhsa_user_sgpr_count 15
		.amdhsa_user_sgpr_dispatch_ptr 0
		.amdhsa_user_sgpr_queue_ptr 0
		.amdhsa_user_sgpr_kernarg_segment_ptr 1
		.amdhsa_user_sgpr_dispatch_id 0
		.amdhsa_user_sgpr_private_segment_size 0
		.amdhsa_wavefront_size32 1
		.amdhsa_uses_dynamic_stack 0
		.amdhsa_enable_private_segment 0
		.amdhsa_system_sgpr_workgroup_id_x 1
		.amdhsa_system_sgpr_workgroup_id_y 0
		.amdhsa_system_sgpr_workgroup_id_z 0
		.amdhsa_system_sgpr_workgroup_info 0
		.amdhsa_system_vgpr_workitem_id 0
		.amdhsa_next_free_vgpr 1
		.amdhsa_next_free_sgpr 1
		.amdhsa_reserve_vcc 0
		.amdhsa_float_round_mode_32 0
		.amdhsa_float_round_mode_16_64 0
		.amdhsa_float_denorm_mode_32 3
		.amdhsa_float_denorm_mode_16_64 3
		.amdhsa_dx10_clamp 1
		.amdhsa_ieee_mode 1
		.amdhsa_fp16_overflow 0
		.amdhsa_workgroup_processor_mode 1
		.amdhsa_memory_ordered 1
		.amdhsa_forward_progress 0
		.amdhsa_shared_vgpr_count 0
		.amdhsa_exception_fp_ieee_invalid_op 0
		.amdhsa_exception_fp_denorm_src 0
		.amdhsa_exception_fp_ieee_div_zero 0
		.amdhsa_exception_fp_ieee_overflow 0
		.amdhsa_exception_fp_ieee_underflow 0
		.amdhsa_exception_fp_ieee_inexact 0
		.amdhsa_exception_int_div_zero 0
	.end_amdhsa_kernel
	.section	.text._ZN7rocprim17ROCPRIM_400000_NS6detail17trampoline_kernelINS0_14default_configENS1_25partition_config_selectorILNS1_17partition_subalgoE9EyybEEZZNS1_14partition_implILS5_9ELb0ES3_jN6thrust23THRUST_200600_302600_NS6detail15normal_iteratorINS9_10device_ptrIyEEEESE_PNS0_10empty_typeENS0_5tupleIJSE_SF_EEENSH_IJSE_SG_EEENS0_18inequality_wrapperINS9_8equal_toIyEEEEPmJSF_EEE10hipError_tPvRmT3_T4_T5_T6_T7_T9_mT8_P12ihipStream_tbDpT10_ENKUlT_T0_E_clISt17integral_constantIbLb1EES17_IbLb0EEEEDaS13_S14_EUlS13_E_NS1_11comp_targetILNS1_3genE8ELNS1_11target_archE1030ELNS1_3gpuE2ELNS1_3repE0EEENS1_30default_config_static_selectorELNS0_4arch9wavefront6targetE0EEEvT1_,"axG",@progbits,_ZN7rocprim17ROCPRIM_400000_NS6detail17trampoline_kernelINS0_14default_configENS1_25partition_config_selectorILNS1_17partition_subalgoE9EyybEEZZNS1_14partition_implILS5_9ELb0ES3_jN6thrust23THRUST_200600_302600_NS6detail15normal_iteratorINS9_10device_ptrIyEEEESE_PNS0_10empty_typeENS0_5tupleIJSE_SF_EEENSH_IJSE_SG_EEENS0_18inequality_wrapperINS9_8equal_toIyEEEEPmJSF_EEE10hipError_tPvRmT3_T4_T5_T6_T7_T9_mT8_P12ihipStream_tbDpT10_ENKUlT_T0_E_clISt17integral_constantIbLb1EES17_IbLb0EEEEDaS13_S14_EUlS13_E_NS1_11comp_targetILNS1_3genE8ELNS1_11target_archE1030ELNS1_3gpuE2ELNS1_3repE0EEENS1_30default_config_static_selectorELNS0_4arch9wavefront6targetE0EEEvT1_,comdat
.Lfunc_end168:
	.size	_ZN7rocprim17ROCPRIM_400000_NS6detail17trampoline_kernelINS0_14default_configENS1_25partition_config_selectorILNS1_17partition_subalgoE9EyybEEZZNS1_14partition_implILS5_9ELb0ES3_jN6thrust23THRUST_200600_302600_NS6detail15normal_iteratorINS9_10device_ptrIyEEEESE_PNS0_10empty_typeENS0_5tupleIJSE_SF_EEENSH_IJSE_SG_EEENS0_18inequality_wrapperINS9_8equal_toIyEEEEPmJSF_EEE10hipError_tPvRmT3_T4_T5_T6_T7_T9_mT8_P12ihipStream_tbDpT10_ENKUlT_T0_E_clISt17integral_constantIbLb1EES17_IbLb0EEEEDaS13_S14_EUlS13_E_NS1_11comp_targetILNS1_3genE8ELNS1_11target_archE1030ELNS1_3gpuE2ELNS1_3repE0EEENS1_30default_config_static_selectorELNS0_4arch9wavefront6targetE0EEEvT1_, .Lfunc_end168-_ZN7rocprim17ROCPRIM_400000_NS6detail17trampoline_kernelINS0_14default_configENS1_25partition_config_selectorILNS1_17partition_subalgoE9EyybEEZZNS1_14partition_implILS5_9ELb0ES3_jN6thrust23THRUST_200600_302600_NS6detail15normal_iteratorINS9_10device_ptrIyEEEESE_PNS0_10empty_typeENS0_5tupleIJSE_SF_EEENSH_IJSE_SG_EEENS0_18inequality_wrapperINS9_8equal_toIyEEEEPmJSF_EEE10hipError_tPvRmT3_T4_T5_T6_T7_T9_mT8_P12ihipStream_tbDpT10_ENKUlT_T0_E_clISt17integral_constantIbLb1EES17_IbLb0EEEEDaS13_S14_EUlS13_E_NS1_11comp_targetILNS1_3genE8ELNS1_11target_archE1030ELNS1_3gpuE2ELNS1_3repE0EEENS1_30default_config_static_selectorELNS0_4arch9wavefront6targetE0EEEvT1_
                                        ; -- End function
	.section	.AMDGPU.csdata,"",@progbits
; Kernel info:
; codeLenInByte = 0
; NumSgprs: 0
; NumVgprs: 0
; ScratchSize: 0
; MemoryBound: 0
; FloatMode: 240
; IeeeMode: 1
; LDSByteSize: 0 bytes/workgroup (compile time only)
; SGPRBlocks: 0
; VGPRBlocks: 0
; NumSGPRsForWavesPerEU: 1
; NumVGPRsForWavesPerEU: 1
; Occupancy: 16
; WaveLimiterHint : 0
; COMPUTE_PGM_RSRC2:SCRATCH_EN: 0
; COMPUTE_PGM_RSRC2:USER_SGPR: 15
; COMPUTE_PGM_RSRC2:TRAP_HANDLER: 0
; COMPUTE_PGM_RSRC2:TGID_X_EN: 1
; COMPUTE_PGM_RSRC2:TGID_Y_EN: 0
; COMPUTE_PGM_RSRC2:TGID_Z_EN: 0
; COMPUTE_PGM_RSRC2:TIDIG_COMP_CNT: 0
	.section	.text._ZN7rocprim17ROCPRIM_400000_NS6detail17trampoline_kernelINS0_14default_configENS1_25partition_config_selectorILNS1_17partition_subalgoE9EyybEEZZNS1_14partition_implILS5_9ELb0ES3_jN6thrust23THRUST_200600_302600_NS6detail15normal_iteratorINS9_10device_ptrIyEEEESE_PNS0_10empty_typeENS0_5tupleIJSE_SF_EEENSH_IJSE_SG_EEENS0_18inequality_wrapperINS9_8equal_toIyEEEEPmJSF_EEE10hipError_tPvRmT3_T4_T5_T6_T7_T9_mT8_P12ihipStream_tbDpT10_ENKUlT_T0_E_clISt17integral_constantIbLb0EES17_IbLb1EEEEDaS13_S14_EUlS13_E_NS1_11comp_targetILNS1_3genE0ELNS1_11target_archE4294967295ELNS1_3gpuE0ELNS1_3repE0EEENS1_30default_config_static_selectorELNS0_4arch9wavefront6targetE0EEEvT1_,"axG",@progbits,_ZN7rocprim17ROCPRIM_400000_NS6detail17trampoline_kernelINS0_14default_configENS1_25partition_config_selectorILNS1_17partition_subalgoE9EyybEEZZNS1_14partition_implILS5_9ELb0ES3_jN6thrust23THRUST_200600_302600_NS6detail15normal_iteratorINS9_10device_ptrIyEEEESE_PNS0_10empty_typeENS0_5tupleIJSE_SF_EEENSH_IJSE_SG_EEENS0_18inequality_wrapperINS9_8equal_toIyEEEEPmJSF_EEE10hipError_tPvRmT3_T4_T5_T6_T7_T9_mT8_P12ihipStream_tbDpT10_ENKUlT_T0_E_clISt17integral_constantIbLb0EES17_IbLb1EEEEDaS13_S14_EUlS13_E_NS1_11comp_targetILNS1_3genE0ELNS1_11target_archE4294967295ELNS1_3gpuE0ELNS1_3repE0EEENS1_30default_config_static_selectorELNS0_4arch9wavefront6targetE0EEEvT1_,comdat
	.protected	_ZN7rocprim17ROCPRIM_400000_NS6detail17trampoline_kernelINS0_14default_configENS1_25partition_config_selectorILNS1_17partition_subalgoE9EyybEEZZNS1_14partition_implILS5_9ELb0ES3_jN6thrust23THRUST_200600_302600_NS6detail15normal_iteratorINS9_10device_ptrIyEEEESE_PNS0_10empty_typeENS0_5tupleIJSE_SF_EEENSH_IJSE_SG_EEENS0_18inequality_wrapperINS9_8equal_toIyEEEEPmJSF_EEE10hipError_tPvRmT3_T4_T5_T6_T7_T9_mT8_P12ihipStream_tbDpT10_ENKUlT_T0_E_clISt17integral_constantIbLb0EES17_IbLb1EEEEDaS13_S14_EUlS13_E_NS1_11comp_targetILNS1_3genE0ELNS1_11target_archE4294967295ELNS1_3gpuE0ELNS1_3repE0EEENS1_30default_config_static_selectorELNS0_4arch9wavefront6targetE0EEEvT1_ ; -- Begin function _ZN7rocprim17ROCPRIM_400000_NS6detail17trampoline_kernelINS0_14default_configENS1_25partition_config_selectorILNS1_17partition_subalgoE9EyybEEZZNS1_14partition_implILS5_9ELb0ES3_jN6thrust23THRUST_200600_302600_NS6detail15normal_iteratorINS9_10device_ptrIyEEEESE_PNS0_10empty_typeENS0_5tupleIJSE_SF_EEENSH_IJSE_SG_EEENS0_18inequality_wrapperINS9_8equal_toIyEEEEPmJSF_EEE10hipError_tPvRmT3_T4_T5_T6_T7_T9_mT8_P12ihipStream_tbDpT10_ENKUlT_T0_E_clISt17integral_constantIbLb0EES17_IbLb1EEEEDaS13_S14_EUlS13_E_NS1_11comp_targetILNS1_3genE0ELNS1_11target_archE4294967295ELNS1_3gpuE0ELNS1_3repE0EEENS1_30default_config_static_selectorELNS0_4arch9wavefront6targetE0EEEvT1_
	.globl	_ZN7rocprim17ROCPRIM_400000_NS6detail17trampoline_kernelINS0_14default_configENS1_25partition_config_selectorILNS1_17partition_subalgoE9EyybEEZZNS1_14partition_implILS5_9ELb0ES3_jN6thrust23THRUST_200600_302600_NS6detail15normal_iteratorINS9_10device_ptrIyEEEESE_PNS0_10empty_typeENS0_5tupleIJSE_SF_EEENSH_IJSE_SG_EEENS0_18inequality_wrapperINS9_8equal_toIyEEEEPmJSF_EEE10hipError_tPvRmT3_T4_T5_T6_T7_T9_mT8_P12ihipStream_tbDpT10_ENKUlT_T0_E_clISt17integral_constantIbLb0EES17_IbLb1EEEEDaS13_S14_EUlS13_E_NS1_11comp_targetILNS1_3genE0ELNS1_11target_archE4294967295ELNS1_3gpuE0ELNS1_3repE0EEENS1_30default_config_static_selectorELNS0_4arch9wavefront6targetE0EEEvT1_
	.p2align	8
	.type	_ZN7rocprim17ROCPRIM_400000_NS6detail17trampoline_kernelINS0_14default_configENS1_25partition_config_selectorILNS1_17partition_subalgoE9EyybEEZZNS1_14partition_implILS5_9ELb0ES3_jN6thrust23THRUST_200600_302600_NS6detail15normal_iteratorINS9_10device_ptrIyEEEESE_PNS0_10empty_typeENS0_5tupleIJSE_SF_EEENSH_IJSE_SG_EEENS0_18inequality_wrapperINS9_8equal_toIyEEEEPmJSF_EEE10hipError_tPvRmT3_T4_T5_T6_T7_T9_mT8_P12ihipStream_tbDpT10_ENKUlT_T0_E_clISt17integral_constantIbLb0EES17_IbLb1EEEEDaS13_S14_EUlS13_E_NS1_11comp_targetILNS1_3genE0ELNS1_11target_archE4294967295ELNS1_3gpuE0ELNS1_3repE0EEENS1_30default_config_static_selectorELNS0_4arch9wavefront6targetE0EEEvT1_,@function
_ZN7rocprim17ROCPRIM_400000_NS6detail17trampoline_kernelINS0_14default_configENS1_25partition_config_selectorILNS1_17partition_subalgoE9EyybEEZZNS1_14partition_implILS5_9ELb0ES3_jN6thrust23THRUST_200600_302600_NS6detail15normal_iteratorINS9_10device_ptrIyEEEESE_PNS0_10empty_typeENS0_5tupleIJSE_SF_EEENSH_IJSE_SG_EEENS0_18inequality_wrapperINS9_8equal_toIyEEEEPmJSF_EEE10hipError_tPvRmT3_T4_T5_T6_T7_T9_mT8_P12ihipStream_tbDpT10_ENKUlT_T0_E_clISt17integral_constantIbLb0EES17_IbLb1EEEEDaS13_S14_EUlS13_E_NS1_11comp_targetILNS1_3genE0ELNS1_11target_archE4294967295ELNS1_3gpuE0ELNS1_3repE0EEENS1_30default_config_static_selectorELNS0_4arch9wavefront6targetE0EEEvT1_: ; @_ZN7rocprim17ROCPRIM_400000_NS6detail17trampoline_kernelINS0_14default_configENS1_25partition_config_selectorILNS1_17partition_subalgoE9EyybEEZZNS1_14partition_implILS5_9ELb0ES3_jN6thrust23THRUST_200600_302600_NS6detail15normal_iteratorINS9_10device_ptrIyEEEESE_PNS0_10empty_typeENS0_5tupleIJSE_SF_EEENSH_IJSE_SG_EEENS0_18inequality_wrapperINS9_8equal_toIyEEEEPmJSF_EEE10hipError_tPvRmT3_T4_T5_T6_T7_T9_mT8_P12ihipStream_tbDpT10_ENKUlT_T0_E_clISt17integral_constantIbLb0EES17_IbLb1EEEEDaS13_S14_EUlS13_E_NS1_11comp_targetILNS1_3genE0ELNS1_11target_archE4294967295ELNS1_3gpuE0ELNS1_3repE0EEENS1_30default_config_static_selectorELNS0_4arch9wavefront6targetE0EEEvT1_
; %bb.0:
	.section	.rodata,"a",@progbits
	.p2align	6, 0x0
	.amdhsa_kernel _ZN7rocprim17ROCPRIM_400000_NS6detail17trampoline_kernelINS0_14default_configENS1_25partition_config_selectorILNS1_17partition_subalgoE9EyybEEZZNS1_14partition_implILS5_9ELb0ES3_jN6thrust23THRUST_200600_302600_NS6detail15normal_iteratorINS9_10device_ptrIyEEEESE_PNS0_10empty_typeENS0_5tupleIJSE_SF_EEENSH_IJSE_SG_EEENS0_18inequality_wrapperINS9_8equal_toIyEEEEPmJSF_EEE10hipError_tPvRmT3_T4_T5_T6_T7_T9_mT8_P12ihipStream_tbDpT10_ENKUlT_T0_E_clISt17integral_constantIbLb0EES17_IbLb1EEEEDaS13_S14_EUlS13_E_NS1_11comp_targetILNS1_3genE0ELNS1_11target_archE4294967295ELNS1_3gpuE0ELNS1_3repE0EEENS1_30default_config_static_selectorELNS0_4arch9wavefront6targetE0EEEvT1_
		.amdhsa_group_segment_fixed_size 0
		.amdhsa_private_segment_fixed_size 0
		.amdhsa_kernarg_size 128
		.amdhsa_user_sgpr_count 15
		.amdhsa_user_sgpr_dispatch_ptr 0
		.amdhsa_user_sgpr_queue_ptr 0
		.amdhsa_user_sgpr_kernarg_segment_ptr 1
		.amdhsa_user_sgpr_dispatch_id 0
		.amdhsa_user_sgpr_private_segment_size 0
		.amdhsa_wavefront_size32 1
		.amdhsa_uses_dynamic_stack 0
		.amdhsa_enable_private_segment 0
		.amdhsa_system_sgpr_workgroup_id_x 1
		.amdhsa_system_sgpr_workgroup_id_y 0
		.amdhsa_system_sgpr_workgroup_id_z 0
		.amdhsa_system_sgpr_workgroup_info 0
		.amdhsa_system_vgpr_workitem_id 0
		.amdhsa_next_free_vgpr 1
		.amdhsa_next_free_sgpr 1
		.amdhsa_reserve_vcc 0
		.amdhsa_float_round_mode_32 0
		.amdhsa_float_round_mode_16_64 0
		.amdhsa_float_denorm_mode_32 3
		.amdhsa_float_denorm_mode_16_64 3
		.amdhsa_dx10_clamp 1
		.amdhsa_ieee_mode 1
		.amdhsa_fp16_overflow 0
		.amdhsa_workgroup_processor_mode 1
		.amdhsa_memory_ordered 1
		.amdhsa_forward_progress 0
		.amdhsa_shared_vgpr_count 0
		.amdhsa_exception_fp_ieee_invalid_op 0
		.amdhsa_exception_fp_denorm_src 0
		.amdhsa_exception_fp_ieee_div_zero 0
		.amdhsa_exception_fp_ieee_overflow 0
		.amdhsa_exception_fp_ieee_underflow 0
		.amdhsa_exception_fp_ieee_inexact 0
		.amdhsa_exception_int_div_zero 0
	.end_amdhsa_kernel
	.section	.text._ZN7rocprim17ROCPRIM_400000_NS6detail17trampoline_kernelINS0_14default_configENS1_25partition_config_selectorILNS1_17partition_subalgoE9EyybEEZZNS1_14partition_implILS5_9ELb0ES3_jN6thrust23THRUST_200600_302600_NS6detail15normal_iteratorINS9_10device_ptrIyEEEESE_PNS0_10empty_typeENS0_5tupleIJSE_SF_EEENSH_IJSE_SG_EEENS0_18inequality_wrapperINS9_8equal_toIyEEEEPmJSF_EEE10hipError_tPvRmT3_T4_T5_T6_T7_T9_mT8_P12ihipStream_tbDpT10_ENKUlT_T0_E_clISt17integral_constantIbLb0EES17_IbLb1EEEEDaS13_S14_EUlS13_E_NS1_11comp_targetILNS1_3genE0ELNS1_11target_archE4294967295ELNS1_3gpuE0ELNS1_3repE0EEENS1_30default_config_static_selectorELNS0_4arch9wavefront6targetE0EEEvT1_,"axG",@progbits,_ZN7rocprim17ROCPRIM_400000_NS6detail17trampoline_kernelINS0_14default_configENS1_25partition_config_selectorILNS1_17partition_subalgoE9EyybEEZZNS1_14partition_implILS5_9ELb0ES3_jN6thrust23THRUST_200600_302600_NS6detail15normal_iteratorINS9_10device_ptrIyEEEESE_PNS0_10empty_typeENS0_5tupleIJSE_SF_EEENSH_IJSE_SG_EEENS0_18inequality_wrapperINS9_8equal_toIyEEEEPmJSF_EEE10hipError_tPvRmT3_T4_T5_T6_T7_T9_mT8_P12ihipStream_tbDpT10_ENKUlT_T0_E_clISt17integral_constantIbLb0EES17_IbLb1EEEEDaS13_S14_EUlS13_E_NS1_11comp_targetILNS1_3genE0ELNS1_11target_archE4294967295ELNS1_3gpuE0ELNS1_3repE0EEENS1_30default_config_static_selectorELNS0_4arch9wavefront6targetE0EEEvT1_,comdat
.Lfunc_end169:
	.size	_ZN7rocprim17ROCPRIM_400000_NS6detail17trampoline_kernelINS0_14default_configENS1_25partition_config_selectorILNS1_17partition_subalgoE9EyybEEZZNS1_14partition_implILS5_9ELb0ES3_jN6thrust23THRUST_200600_302600_NS6detail15normal_iteratorINS9_10device_ptrIyEEEESE_PNS0_10empty_typeENS0_5tupleIJSE_SF_EEENSH_IJSE_SG_EEENS0_18inequality_wrapperINS9_8equal_toIyEEEEPmJSF_EEE10hipError_tPvRmT3_T4_T5_T6_T7_T9_mT8_P12ihipStream_tbDpT10_ENKUlT_T0_E_clISt17integral_constantIbLb0EES17_IbLb1EEEEDaS13_S14_EUlS13_E_NS1_11comp_targetILNS1_3genE0ELNS1_11target_archE4294967295ELNS1_3gpuE0ELNS1_3repE0EEENS1_30default_config_static_selectorELNS0_4arch9wavefront6targetE0EEEvT1_, .Lfunc_end169-_ZN7rocprim17ROCPRIM_400000_NS6detail17trampoline_kernelINS0_14default_configENS1_25partition_config_selectorILNS1_17partition_subalgoE9EyybEEZZNS1_14partition_implILS5_9ELb0ES3_jN6thrust23THRUST_200600_302600_NS6detail15normal_iteratorINS9_10device_ptrIyEEEESE_PNS0_10empty_typeENS0_5tupleIJSE_SF_EEENSH_IJSE_SG_EEENS0_18inequality_wrapperINS9_8equal_toIyEEEEPmJSF_EEE10hipError_tPvRmT3_T4_T5_T6_T7_T9_mT8_P12ihipStream_tbDpT10_ENKUlT_T0_E_clISt17integral_constantIbLb0EES17_IbLb1EEEEDaS13_S14_EUlS13_E_NS1_11comp_targetILNS1_3genE0ELNS1_11target_archE4294967295ELNS1_3gpuE0ELNS1_3repE0EEENS1_30default_config_static_selectorELNS0_4arch9wavefront6targetE0EEEvT1_
                                        ; -- End function
	.section	.AMDGPU.csdata,"",@progbits
; Kernel info:
; codeLenInByte = 0
; NumSgprs: 0
; NumVgprs: 0
; ScratchSize: 0
; MemoryBound: 0
; FloatMode: 240
; IeeeMode: 1
; LDSByteSize: 0 bytes/workgroup (compile time only)
; SGPRBlocks: 0
; VGPRBlocks: 0
; NumSGPRsForWavesPerEU: 1
; NumVGPRsForWavesPerEU: 1
; Occupancy: 16
; WaveLimiterHint : 0
; COMPUTE_PGM_RSRC2:SCRATCH_EN: 0
; COMPUTE_PGM_RSRC2:USER_SGPR: 15
; COMPUTE_PGM_RSRC2:TRAP_HANDLER: 0
; COMPUTE_PGM_RSRC2:TGID_X_EN: 1
; COMPUTE_PGM_RSRC2:TGID_Y_EN: 0
; COMPUTE_PGM_RSRC2:TGID_Z_EN: 0
; COMPUTE_PGM_RSRC2:TIDIG_COMP_CNT: 0
	.section	.text._ZN7rocprim17ROCPRIM_400000_NS6detail17trampoline_kernelINS0_14default_configENS1_25partition_config_selectorILNS1_17partition_subalgoE9EyybEEZZNS1_14partition_implILS5_9ELb0ES3_jN6thrust23THRUST_200600_302600_NS6detail15normal_iteratorINS9_10device_ptrIyEEEESE_PNS0_10empty_typeENS0_5tupleIJSE_SF_EEENSH_IJSE_SG_EEENS0_18inequality_wrapperINS9_8equal_toIyEEEEPmJSF_EEE10hipError_tPvRmT3_T4_T5_T6_T7_T9_mT8_P12ihipStream_tbDpT10_ENKUlT_T0_E_clISt17integral_constantIbLb0EES17_IbLb1EEEEDaS13_S14_EUlS13_E_NS1_11comp_targetILNS1_3genE5ELNS1_11target_archE942ELNS1_3gpuE9ELNS1_3repE0EEENS1_30default_config_static_selectorELNS0_4arch9wavefront6targetE0EEEvT1_,"axG",@progbits,_ZN7rocprim17ROCPRIM_400000_NS6detail17trampoline_kernelINS0_14default_configENS1_25partition_config_selectorILNS1_17partition_subalgoE9EyybEEZZNS1_14partition_implILS5_9ELb0ES3_jN6thrust23THRUST_200600_302600_NS6detail15normal_iteratorINS9_10device_ptrIyEEEESE_PNS0_10empty_typeENS0_5tupleIJSE_SF_EEENSH_IJSE_SG_EEENS0_18inequality_wrapperINS9_8equal_toIyEEEEPmJSF_EEE10hipError_tPvRmT3_T4_T5_T6_T7_T9_mT8_P12ihipStream_tbDpT10_ENKUlT_T0_E_clISt17integral_constantIbLb0EES17_IbLb1EEEEDaS13_S14_EUlS13_E_NS1_11comp_targetILNS1_3genE5ELNS1_11target_archE942ELNS1_3gpuE9ELNS1_3repE0EEENS1_30default_config_static_selectorELNS0_4arch9wavefront6targetE0EEEvT1_,comdat
	.protected	_ZN7rocprim17ROCPRIM_400000_NS6detail17trampoline_kernelINS0_14default_configENS1_25partition_config_selectorILNS1_17partition_subalgoE9EyybEEZZNS1_14partition_implILS5_9ELb0ES3_jN6thrust23THRUST_200600_302600_NS6detail15normal_iteratorINS9_10device_ptrIyEEEESE_PNS0_10empty_typeENS0_5tupleIJSE_SF_EEENSH_IJSE_SG_EEENS0_18inequality_wrapperINS9_8equal_toIyEEEEPmJSF_EEE10hipError_tPvRmT3_T4_T5_T6_T7_T9_mT8_P12ihipStream_tbDpT10_ENKUlT_T0_E_clISt17integral_constantIbLb0EES17_IbLb1EEEEDaS13_S14_EUlS13_E_NS1_11comp_targetILNS1_3genE5ELNS1_11target_archE942ELNS1_3gpuE9ELNS1_3repE0EEENS1_30default_config_static_selectorELNS0_4arch9wavefront6targetE0EEEvT1_ ; -- Begin function _ZN7rocprim17ROCPRIM_400000_NS6detail17trampoline_kernelINS0_14default_configENS1_25partition_config_selectorILNS1_17partition_subalgoE9EyybEEZZNS1_14partition_implILS5_9ELb0ES3_jN6thrust23THRUST_200600_302600_NS6detail15normal_iteratorINS9_10device_ptrIyEEEESE_PNS0_10empty_typeENS0_5tupleIJSE_SF_EEENSH_IJSE_SG_EEENS0_18inequality_wrapperINS9_8equal_toIyEEEEPmJSF_EEE10hipError_tPvRmT3_T4_T5_T6_T7_T9_mT8_P12ihipStream_tbDpT10_ENKUlT_T0_E_clISt17integral_constantIbLb0EES17_IbLb1EEEEDaS13_S14_EUlS13_E_NS1_11comp_targetILNS1_3genE5ELNS1_11target_archE942ELNS1_3gpuE9ELNS1_3repE0EEENS1_30default_config_static_selectorELNS0_4arch9wavefront6targetE0EEEvT1_
	.globl	_ZN7rocprim17ROCPRIM_400000_NS6detail17trampoline_kernelINS0_14default_configENS1_25partition_config_selectorILNS1_17partition_subalgoE9EyybEEZZNS1_14partition_implILS5_9ELb0ES3_jN6thrust23THRUST_200600_302600_NS6detail15normal_iteratorINS9_10device_ptrIyEEEESE_PNS0_10empty_typeENS0_5tupleIJSE_SF_EEENSH_IJSE_SG_EEENS0_18inequality_wrapperINS9_8equal_toIyEEEEPmJSF_EEE10hipError_tPvRmT3_T4_T5_T6_T7_T9_mT8_P12ihipStream_tbDpT10_ENKUlT_T0_E_clISt17integral_constantIbLb0EES17_IbLb1EEEEDaS13_S14_EUlS13_E_NS1_11comp_targetILNS1_3genE5ELNS1_11target_archE942ELNS1_3gpuE9ELNS1_3repE0EEENS1_30default_config_static_selectorELNS0_4arch9wavefront6targetE0EEEvT1_
	.p2align	8
	.type	_ZN7rocprim17ROCPRIM_400000_NS6detail17trampoline_kernelINS0_14default_configENS1_25partition_config_selectorILNS1_17partition_subalgoE9EyybEEZZNS1_14partition_implILS5_9ELb0ES3_jN6thrust23THRUST_200600_302600_NS6detail15normal_iteratorINS9_10device_ptrIyEEEESE_PNS0_10empty_typeENS0_5tupleIJSE_SF_EEENSH_IJSE_SG_EEENS0_18inequality_wrapperINS9_8equal_toIyEEEEPmJSF_EEE10hipError_tPvRmT3_T4_T5_T6_T7_T9_mT8_P12ihipStream_tbDpT10_ENKUlT_T0_E_clISt17integral_constantIbLb0EES17_IbLb1EEEEDaS13_S14_EUlS13_E_NS1_11comp_targetILNS1_3genE5ELNS1_11target_archE942ELNS1_3gpuE9ELNS1_3repE0EEENS1_30default_config_static_selectorELNS0_4arch9wavefront6targetE0EEEvT1_,@function
_ZN7rocprim17ROCPRIM_400000_NS6detail17trampoline_kernelINS0_14default_configENS1_25partition_config_selectorILNS1_17partition_subalgoE9EyybEEZZNS1_14partition_implILS5_9ELb0ES3_jN6thrust23THRUST_200600_302600_NS6detail15normal_iteratorINS9_10device_ptrIyEEEESE_PNS0_10empty_typeENS0_5tupleIJSE_SF_EEENSH_IJSE_SG_EEENS0_18inequality_wrapperINS9_8equal_toIyEEEEPmJSF_EEE10hipError_tPvRmT3_T4_T5_T6_T7_T9_mT8_P12ihipStream_tbDpT10_ENKUlT_T0_E_clISt17integral_constantIbLb0EES17_IbLb1EEEEDaS13_S14_EUlS13_E_NS1_11comp_targetILNS1_3genE5ELNS1_11target_archE942ELNS1_3gpuE9ELNS1_3repE0EEENS1_30default_config_static_selectorELNS0_4arch9wavefront6targetE0EEEvT1_: ; @_ZN7rocprim17ROCPRIM_400000_NS6detail17trampoline_kernelINS0_14default_configENS1_25partition_config_selectorILNS1_17partition_subalgoE9EyybEEZZNS1_14partition_implILS5_9ELb0ES3_jN6thrust23THRUST_200600_302600_NS6detail15normal_iteratorINS9_10device_ptrIyEEEESE_PNS0_10empty_typeENS0_5tupleIJSE_SF_EEENSH_IJSE_SG_EEENS0_18inequality_wrapperINS9_8equal_toIyEEEEPmJSF_EEE10hipError_tPvRmT3_T4_T5_T6_T7_T9_mT8_P12ihipStream_tbDpT10_ENKUlT_T0_E_clISt17integral_constantIbLb0EES17_IbLb1EEEEDaS13_S14_EUlS13_E_NS1_11comp_targetILNS1_3genE5ELNS1_11target_archE942ELNS1_3gpuE9ELNS1_3repE0EEENS1_30default_config_static_selectorELNS0_4arch9wavefront6targetE0EEEvT1_
; %bb.0:
	.section	.rodata,"a",@progbits
	.p2align	6, 0x0
	.amdhsa_kernel _ZN7rocprim17ROCPRIM_400000_NS6detail17trampoline_kernelINS0_14default_configENS1_25partition_config_selectorILNS1_17partition_subalgoE9EyybEEZZNS1_14partition_implILS5_9ELb0ES3_jN6thrust23THRUST_200600_302600_NS6detail15normal_iteratorINS9_10device_ptrIyEEEESE_PNS0_10empty_typeENS0_5tupleIJSE_SF_EEENSH_IJSE_SG_EEENS0_18inequality_wrapperINS9_8equal_toIyEEEEPmJSF_EEE10hipError_tPvRmT3_T4_T5_T6_T7_T9_mT8_P12ihipStream_tbDpT10_ENKUlT_T0_E_clISt17integral_constantIbLb0EES17_IbLb1EEEEDaS13_S14_EUlS13_E_NS1_11comp_targetILNS1_3genE5ELNS1_11target_archE942ELNS1_3gpuE9ELNS1_3repE0EEENS1_30default_config_static_selectorELNS0_4arch9wavefront6targetE0EEEvT1_
		.amdhsa_group_segment_fixed_size 0
		.amdhsa_private_segment_fixed_size 0
		.amdhsa_kernarg_size 128
		.amdhsa_user_sgpr_count 15
		.amdhsa_user_sgpr_dispatch_ptr 0
		.amdhsa_user_sgpr_queue_ptr 0
		.amdhsa_user_sgpr_kernarg_segment_ptr 1
		.amdhsa_user_sgpr_dispatch_id 0
		.amdhsa_user_sgpr_private_segment_size 0
		.amdhsa_wavefront_size32 1
		.amdhsa_uses_dynamic_stack 0
		.amdhsa_enable_private_segment 0
		.amdhsa_system_sgpr_workgroup_id_x 1
		.amdhsa_system_sgpr_workgroup_id_y 0
		.amdhsa_system_sgpr_workgroup_id_z 0
		.amdhsa_system_sgpr_workgroup_info 0
		.amdhsa_system_vgpr_workitem_id 0
		.amdhsa_next_free_vgpr 1
		.amdhsa_next_free_sgpr 1
		.amdhsa_reserve_vcc 0
		.amdhsa_float_round_mode_32 0
		.amdhsa_float_round_mode_16_64 0
		.amdhsa_float_denorm_mode_32 3
		.amdhsa_float_denorm_mode_16_64 3
		.amdhsa_dx10_clamp 1
		.amdhsa_ieee_mode 1
		.amdhsa_fp16_overflow 0
		.amdhsa_workgroup_processor_mode 1
		.amdhsa_memory_ordered 1
		.amdhsa_forward_progress 0
		.amdhsa_shared_vgpr_count 0
		.amdhsa_exception_fp_ieee_invalid_op 0
		.amdhsa_exception_fp_denorm_src 0
		.amdhsa_exception_fp_ieee_div_zero 0
		.amdhsa_exception_fp_ieee_overflow 0
		.amdhsa_exception_fp_ieee_underflow 0
		.amdhsa_exception_fp_ieee_inexact 0
		.amdhsa_exception_int_div_zero 0
	.end_amdhsa_kernel
	.section	.text._ZN7rocprim17ROCPRIM_400000_NS6detail17trampoline_kernelINS0_14default_configENS1_25partition_config_selectorILNS1_17partition_subalgoE9EyybEEZZNS1_14partition_implILS5_9ELb0ES3_jN6thrust23THRUST_200600_302600_NS6detail15normal_iteratorINS9_10device_ptrIyEEEESE_PNS0_10empty_typeENS0_5tupleIJSE_SF_EEENSH_IJSE_SG_EEENS0_18inequality_wrapperINS9_8equal_toIyEEEEPmJSF_EEE10hipError_tPvRmT3_T4_T5_T6_T7_T9_mT8_P12ihipStream_tbDpT10_ENKUlT_T0_E_clISt17integral_constantIbLb0EES17_IbLb1EEEEDaS13_S14_EUlS13_E_NS1_11comp_targetILNS1_3genE5ELNS1_11target_archE942ELNS1_3gpuE9ELNS1_3repE0EEENS1_30default_config_static_selectorELNS0_4arch9wavefront6targetE0EEEvT1_,"axG",@progbits,_ZN7rocprim17ROCPRIM_400000_NS6detail17trampoline_kernelINS0_14default_configENS1_25partition_config_selectorILNS1_17partition_subalgoE9EyybEEZZNS1_14partition_implILS5_9ELb0ES3_jN6thrust23THRUST_200600_302600_NS6detail15normal_iteratorINS9_10device_ptrIyEEEESE_PNS0_10empty_typeENS0_5tupleIJSE_SF_EEENSH_IJSE_SG_EEENS0_18inequality_wrapperINS9_8equal_toIyEEEEPmJSF_EEE10hipError_tPvRmT3_T4_T5_T6_T7_T9_mT8_P12ihipStream_tbDpT10_ENKUlT_T0_E_clISt17integral_constantIbLb0EES17_IbLb1EEEEDaS13_S14_EUlS13_E_NS1_11comp_targetILNS1_3genE5ELNS1_11target_archE942ELNS1_3gpuE9ELNS1_3repE0EEENS1_30default_config_static_selectorELNS0_4arch9wavefront6targetE0EEEvT1_,comdat
.Lfunc_end170:
	.size	_ZN7rocprim17ROCPRIM_400000_NS6detail17trampoline_kernelINS0_14default_configENS1_25partition_config_selectorILNS1_17partition_subalgoE9EyybEEZZNS1_14partition_implILS5_9ELb0ES3_jN6thrust23THRUST_200600_302600_NS6detail15normal_iteratorINS9_10device_ptrIyEEEESE_PNS0_10empty_typeENS0_5tupleIJSE_SF_EEENSH_IJSE_SG_EEENS0_18inequality_wrapperINS9_8equal_toIyEEEEPmJSF_EEE10hipError_tPvRmT3_T4_T5_T6_T7_T9_mT8_P12ihipStream_tbDpT10_ENKUlT_T0_E_clISt17integral_constantIbLb0EES17_IbLb1EEEEDaS13_S14_EUlS13_E_NS1_11comp_targetILNS1_3genE5ELNS1_11target_archE942ELNS1_3gpuE9ELNS1_3repE0EEENS1_30default_config_static_selectorELNS0_4arch9wavefront6targetE0EEEvT1_, .Lfunc_end170-_ZN7rocprim17ROCPRIM_400000_NS6detail17trampoline_kernelINS0_14default_configENS1_25partition_config_selectorILNS1_17partition_subalgoE9EyybEEZZNS1_14partition_implILS5_9ELb0ES3_jN6thrust23THRUST_200600_302600_NS6detail15normal_iteratorINS9_10device_ptrIyEEEESE_PNS0_10empty_typeENS0_5tupleIJSE_SF_EEENSH_IJSE_SG_EEENS0_18inequality_wrapperINS9_8equal_toIyEEEEPmJSF_EEE10hipError_tPvRmT3_T4_T5_T6_T7_T9_mT8_P12ihipStream_tbDpT10_ENKUlT_T0_E_clISt17integral_constantIbLb0EES17_IbLb1EEEEDaS13_S14_EUlS13_E_NS1_11comp_targetILNS1_3genE5ELNS1_11target_archE942ELNS1_3gpuE9ELNS1_3repE0EEENS1_30default_config_static_selectorELNS0_4arch9wavefront6targetE0EEEvT1_
                                        ; -- End function
	.section	.AMDGPU.csdata,"",@progbits
; Kernel info:
; codeLenInByte = 0
; NumSgprs: 0
; NumVgprs: 0
; ScratchSize: 0
; MemoryBound: 0
; FloatMode: 240
; IeeeMode: 1
; LDSByteSize: 0 bytes/workgroup (compile time only)
; SGPRBlocks: 0
; VGPRBlocks: 0
; NumSGPRsForWavesPerEU: 1
; NumVGPRsForWavesPerEU: 1
; Occupancy: 16
; WaveLimiterHint : 0
; COMPUTE_PGM_RSRC2:SCRATCH_EN: 0
; COMPUTE_PGM_RSRC2:USER_SGPR: 15
; COMPUTE_PGM_RSRC2:TRAP_HANDLER: 0
; COMPUTE_PGM_RSRC2:TGID_X_EN: 1
; COMPUTE_PGM_RSRC2:TGID_Y_EN: 0
; COMPUTE_PGM_RSRC2:TGID_Z_EN: 0
; COMPUTE_PGM_RSRC2:TIDIG_COMP_CNT: 0
	.section	.text._ZN7rocprim17ROCPRIM_400000_NS6detail17trampoline_kernelINS0_14default_configENS1_25partition_config_selectorILNS1_17partition_subalgoE9EyybEEZZNS1_14partition_implILS5_9ELb0ES3_jN6thrust23THRUST_200600_302600_NS6detail15normal_iteratorINS9_10device_ptrIyEEEESE_PNS0_10empty_typeENS0_5tupleIJSE_SF_EEENSH_IJSE_SG_EEENS0_18inequality_wrapperINS9_8equal_toIyEEEEPmJSF_EEE10hipError_tPvRmT3_T4_T5_T6_T7_T9_mT8_P12ihipStream_tbDpT10_ENKUlT_T0_E_clISt17integral_constantIbLb0EES17_IbLb1EEEEDaS13_S14_EUlS13_E_NS1_11comp_targetILNS1_3genE4ELNS1_11target_archE910ELNS1_3gpuE8ELNS1_3repE0EEENS1_30default_config_static_selectorELNS0_4arch9wavefront6targetE0EEEvT1_,"axG",@progbits,_ZN7rocprim17ROCPRIM_400000_NS6detail17trampoline_kernelINS0_14default_configENS1_25partition_config_selectorILNS1_17partition_subalgoE9EyybEEZZNS1_14partition_implILS5_9ELb0ES3_jN6thrust23THRUST_200600_302600_NS6detail15normal_iteratorINS9_10device_ptrIyEEEESE_PNS0_10empty_typeENS0_5tupleIJSE_SF_EEENSH_IJSE_SG_EEENS0_18inequality_wrapperINS9_8equal_toIyEEEEPmJSF_EEE10hipError_tPvRmT3_T4_T5_T6_T7_T9_mT8_P12ihipStream_tbDpT10_ENKUlT_T0_E_clISt17integral_constantIbLb0EES17_IbLb1EEEEDaS13_S14_EUlS13_E_NS1_11comp_targetILNS1_3genE4ELNS1_11target_archE910ELNS1_3gpuE8ELNS1_3repE0EEENS1_30default_config_static_selectorELNS0_4arch9wavefront6targetE0EEEvT1_,comdat
	.protected	_ZN7rocprim17ROCPRIM_400000_NS6detail17trampoline_kernelINS0_14default_configENS1_25partition_config_selectorILNS1_17partition_subalgoE9EyybEEZZNS1_14partition_implILS5_9ELb0ES3_jN6thrust23THRUST_200600_302600_NS6detail15normal_iteratorINS9_10device_ptrIyEEEESE_PNS0_10empty_typeENS0_5tupleIJSE_SF_EEENSH_IJSE_SG_EEENS0_18inequality_wrapperINS9_8equal_toIyEEEEPmJSF_EEE10hipError_tPvRmT3_T4_T5_T6_T7_T9_mT8_P12ihipStream_tbDpT10_ENKUlT_T0_E_clISt17integral_constantIbLb0EES17_IbLb1EEEEDaS13_S14_EUlS13_E_NS1_11comp_targetILNS1_3genE4ELNS1_11target_archE910ELNS1_3gpuE8ELNS1_3repE0EEENS1_30default_config_static_selectorELNS0_4arch9wavefront6targetE0EEEvT1_ ; -- Begin function _ZN7rocprim17ROCPRIM_400000_NS6detail17trampoline_kernelINS0_14default_configENS1_25partition_config_selectorILNS1_17partition_subalgoE9EyybEEZZNS1_14partition_implILS5_9ELb0ES3_jN6thrust23THRUST_200600_302600_NS6detail15normal_iteratorINS9_10device_ptrIyEEEESE_PNS0_10empty_typeENS0_5tupleIJSE_SF_EEENSH_IJSE_SG_EEENS0_18inequality_wrapperINS9_8equal_toIyEEEEPmJSF_EEE10hipError_tPvRmT3_T4_T5_T6_T7_T9_mT8_P12ihipStream_tbDpT10_ENKUlT_T0_E_clISt17integral_constantIbLb0EES17_IbLb1EEEEDaS13_S14_EUlS13_E_NS1_11comp_targetILNS1_3genE4ELNS1_11target_archE910ELNS1_3gpuE8ELNS1_3repE0EEENS1_30default_config_static_selectorELNS0_4arch9wavefront6targetE0EEEvT1_
	.globl	_ZN7rocprim17ROCPRIM_400000_NS6detail17trampoline_kernelINS0_14default_configENS1_25partition_config_selectorILNS1_17partition_subalgoE9EyybEEZZNS1_14partition_implILS5_9ELb0ES3_jN6thrust23THRUST_200600_302600_NS6detail15normal_iteratorINS9_10device_ptrIyEEEESE_PNS0_10empty_typeENS0_5tupleIJSE_SF_EEENSH_IJSE_SG_EEENS0_18inequality_wrapperINS9_8equal_toIyEEEEPmJSF_EEE10hipError_tPvRmT3_T4_T5_T6_T7_T9_mT8_P12ihipStream_tbDpT10_ENKUlT_T0_E_clISt17integral_constantIbLb0EES17_IbLb1EEEEDaS13_S14_EUlS13_E_NS1_11comp_targetILNS1_3genE4ELNS1_11target_archE910ELNS1_3gpuE8ELNS1_3repE0EEENS1_30default_config_static_selectorELNS0_4arch9wavefront6targetE0EEEvT1_
	.p2align	8
	.type	_ZN7rocprim17ROCPRIM_400000_NS6detail17trampoline_kernelINS0_14default_configENS1_25partition_config_selectorILNS1_17partition_subalgoE9EyybEEZZNS1_14partition_implILS5_9ELb0ES3_jN6thrust23THRUST_200600_302600_NS6detail15normal_iteratorINS9_10device_ptrIyEEEESE_PNS0_10empty_typeENS0_5tupleIJSE_SF_EEENSH_IJSE_SG_EEENS0_18inequality_wrapperINS9_8equal_toIyEEEEPmJSF_EEE10hipError_tPvRmT3_T4_T5_T6_T7_T9_mT8_P12ihipStream_tbDpT10_ENKUlT_T0_E_clISt17integral_constantIbLb0EES17_IbLb1EEEEDaS13_S14_EUlS13_E_NS1_11comp_targetILNS1_3genE4ELNS1_11target_archE910ELNS1_3gpuE8ELNS1_3repE0EEENS1_30default_config_static_selectorELNS0_4arch9wavefront6targetE0EEEvT1_,@function
_ZN7rocprim17ROCPRIM_400000_NS6detail17trampoline_kernelINS0_14default_configENS1_25partition_config_selectorILNS1_17partition_subalgoE9EyybEEZZNS1_14partition_implILS5_9ELb0ES3_jN6thrust23THRUST_200600_302600_NS6detail15normal_iteratorINS9_10device_ptrIyEEEESE_PNS0_10empty_typeENS0_5tupleIJSE_SF_EEENSH_IJSE_SG_EEENS0_18inequality_wrapperINS9_8equal_toIyEEEEPmJSF_EEE10hipError_tPvRmT3_T4_T5_T6_T7_T9_mT8_P12ihipStream_tbDpT10_ENKUlT_T0_E_clISt17integral_constantIbLb0EES17_IbLb1EEEEDaS13_S14_EUlS13_E_NS1_11comp_targetILNS1_3genE4ELNS1_11target_archE910ELNS1_3gpuE8ELNS1_3repE0EEENS1_30default_config_static_selectorELNS0_4arch9wavefront6targetE0EEEvT1_: ; @_ZN7rocprim17ROCPRIM_400000_NS6detail17trampoline_kernelINS0_14default_configENS1_25partition_config_selectorILNS1_17partition_subalgoE9EyybEEZZNS1_14partition_implILS5_9ELb0ES3_jN6thrust23THRUST_200600_302600_NS6detail15normal_iteratorINS9_10device_ptrIyEEEESE_PNS0_10empty_typeENS0_5tupleIJSE_SF_EEENSH_IJSE_SG_EEENS0_18inequality_wrapperINS9_8equal_toIyEEEEPmJSF_EEE10hipError_tPvRmT3_T4_T5_T6_T7_T9_mT8_P12ihipStream_tbDpT10_ENKUlT_T0_E_clISt17integral_constantIbLb0EES17_IbLb1EEEEDaS13_S14_EUlS13_E_NS1_11comp_targetILNS1_3genE4ELNS1_11target_archE910ELNS1_3gpuE8ELNS1_3repE0EEENS1_30default_config_static_selectorELNS0_4arch9wavefront6targetE0EEEvT1_
; %bb.0:
	.section	.rodata,"a",@progbits
	.p2align	6, 0x0
	.amdhsa_kernel _ZN7rocprim17ROCPRIM_400000_NS6detail17trampoline_kernelINS0_14default_configENS1_25partition_config_selectorILNS1_17partition_subalgoE9EyybEEZZNS1_14partition_implILS5_9ELb0ES3_jN6thrust23THRUST_200600_302600_NS6detail15normal_iteratorINS9_10device_ptrIyEEEESE_PNS0_10empty_typeENS0_5tupleIJSE_SF_EEENSH_IJSE_SG_EEENS0_18inequality_wrapperINS9_8equal_toIyEEEEPmJSF_EEE10hipError_tPvRmT3_T4_T5_T6_T7_T9_mT8_P12ihipStream_tbDpT10_ENKUlT_T0_E_clISt17integral_constantIbLb0EES17_IbLb1EEEEDaS13_S14_EUlS13_E_NS1_11comp_targetILNS1_3genE4ELNS1_11target_archE910ELNS1_3gpuE8ELNS1_3repE0EEENS1_30default_config_static_selectorELNS0_4arch9wavefront6targetE0EEEvT1_
		.amdhsa_group_segment_fixed_size 0
		.amdhsa_private_segment_fixed_size 0
		.amdhsa_kernarg_size 128
		.amdhsa_user_sgpr_count 15
		.amdhsa_user_sgpr_dispatch_ptr 0
		.amdhsa_user_sgpr_queue_ptr 0
		.amdhsa_user_sgpr_kernarg_segment_ptr 1
		.amdhsa_user_sgpr_dispatch_id 0
		.amdhsa_user_sgpr_private_segment_size 0
		.amdhsa_wavefront_size32 1
		.amdhsa_uses_dynamic_stack 0
		.amdhsa_enable_private_segment 0
		.amdhsa_system_sgpr_workgroup_id_x 1
		.amdhsa_system_sgpr_workgroup_id_y 0
		.amdhsa_system_sgpr_workgroup_id_z 0
		.amdhsa_system_sgpr_workgroup_info 0
		.amdhsa_system_vgpr_workitem_id 0
		.amdhsa_next_free_vgpr 1
		.amdhsa_next_free_sgpr 1
		.amdhsa_reserve_vcc 0
		.amdhsa_float_round_mode_32 0
		.amdhsa_float_round_mode_16_64 0
		.amdhsa_float_denorm_mode_32 3
		.amdhsa_float_denorm_mode_16_64 3
		.amdhsa_dx10_clamp 1
		.amdhsa_ieee_mode 1
		.amdhsa_fp16_overflow 0
		.amdhsa_workgroup_processor_mode 1
		.amdhsa_memory_ordered 1
		.amdhsa_forward_progress 0
		.amdhsa_shared_vgpr_count 0
		.amdhsa_exception_fp_ieee_invalid_op 0
		.amdhsa_exception_fp_denorm_src 0
		.amdhsa_exception_fp_ieee_div_zero 0
		.amdhsa_exception_fp_ieee_overflow 0
		.amdhsa_exception_fp_ieee_underflow 0
		.amdhsa_exception_fp_ieee_inexact 0
		.amdhsa_exception_int_div_zero 0
	.end_amdhsa_kernel
	.section	.text._ZN7rocprim17ROCPRIM_400000_NS6detail17trampoline_kernelINS0_14default_configENS1_25partition_config_selectorILNS1_17partition_subalgoE9EyybEEZZNS1_14partition_implILS5_9ELb0ES3_jN6thrust23THRUST_200600_302600_NS6detail15normal_iteratorINS9_10device_ptrIyEEEESE_PNS0_10empty_typeENS0_5tupleIJSE_SF_EEENSH_IJSE_SG_EEENS0_18inequality_wrapperINS9_8equal_toIyEEEEPmJSF_EEE10hipError_tPvRmT3_T4_T5_T6_T7_T9_mT8_P12ihipStream_tbDpT10_ENKUlT_T0_E_clISt17integral_constantIbLb0EES17_IbLb1EEEEDaS13_S14_EUlS13_E_NS1_11comp_targetILNS1_3genE4ELNS1_11target_archE910ELNS1_3gpuE8ELNS1_3repE0EEENS1_30default_config_static_selectorELNS0_4arch9wavefront6targetE0EEEvT1_,"axG",@progbits,_ZN7rocprim17ROCPRIM_400000_NS6detail17trampoline_kernelINS0_14default_configENS1_25partition_config_selectorILNS1_17partition_subalgoE9EyybEEZZNS1_14partition_implILS5_9ELb0ES3_jN6thrust23THRUST_200600_302600_NS6detail15normal_iteratorINS9_10device_ptrIyEEEESE_PNS0_10empty_typeENS0_5tupleIJSE_SF_EEENSH_IJSE_SG_EEENS0_18inequality_wrapperINS9_8equal_toIyEEEEPmJSF_EEE10hipError_tPvRmT3_T4_T5_T6_T7_T9_mT8_P12ihipStream_tbDpT10_ENKUlT_T0_E_clISt17integral_constantIbLb0EES17_IbLb1EEEEDaS13_S14_EUlS13_E_NS1_11comp_targetILNS1_3genE4ELNS1_11target_archE910ELNS1_3gpuE8ELNS1_3repE0EEENS1_30default_config_static_selectorELNS0_4arch9wavefront6targetE0EEEvT1_,comdat
.Lfunc_end171:
	.size	_ZN7rocprim17ROCPRIM_400000_NS6detail17trampoline_kernelINS0_14default_configENS1_25partition_config_selectorILNS1_17partition_subalgoE9EyybEEZZNS1_14partition_implILS5_9ELb0ES3_jN6thrust23THRUST_200600_302600_NS6detail15normal_iteratorINS9_10device_ptrIyEEEESE_PNS0_10empty_typeENS0_5tupleIJSE_SF_EEENSH_IJSE_SG_EEENS0_18inequality_wrapperINS9_8equal_toIyEEEEPmJSF_EEE10hipError_tPvRmT3_T4_T5_T6_T7_T9_mT8_P12ihipStream_tbDpT10_ENKUlT_T0_E_clISt17integral_constantIbLb0EES17_IbLb1EEEEDaS13_S14_EUlS13_E_NS1_11comp_targetILNS1_3genE4ELNS1_11target_archE910ELNS1_3gpuE8ELNS1_3repE0EEENS1_30default_config_static_selectorELNS0_4arch9wavefront6targetE0EEEvT1_, .Lfunc_end171-_ZN7rocprim17ROCPRIM_400000_NS6detail17trampoline_kernelINS0_14default_configENS1_25partition_config_selectorILNS1_17partition_subalgoE9EyybEEZZNS1_14partition_implILS5_9ELb0ES3_jN6thrust23THRUST_200600_302600_NS6detail15normal_iteratorINS9_10device_ptrIyEEEESE_PNS0_10empty_typeENS0_5tupleIJSE_SF_EEENSH_IJSE_SG_EEENS0_18inequality_wrapperINS9_8equal_toIyEEEEPmJSF_EEE10hipError_tPvRmT3_T4_T5_T6_T7_T9_mT8_P12ihipStream_tbDpT10_ENKUlT_T0_E_clISt17integral_constantIbLb0EES17_IbLb1EEEEDaS13_S14_EUlS13_E_NS1_11comp_targetILNS1_3genE4ELNS1_11target_archE910ELNS1_3gpuE8ELNS1_3repE0EEENS1_30default_config_static_selectorELNS0_4arch9wavefront6targetE0EEEvT1_
                                        ; -- End function
	.section	.AMDGPU.csdata,"",@progbits
; Kernel info:
; codeLenInByte = 0
; NumSgprs: 0
; NumVgprs: 0
; ScratchSize: 0
; MemoryBound: 0
; FloatMode: 240
; IeeeMode: 1
; LDSByteSize: 0 bytes/workgroup (compile time only)
; SGPRBlocks: 0
; VGPRBlocks: 0
; NumSGPRsForWavesPerEU: 1
; NumVGPRsForWavesPerEU: 1
; Occupancy: 16
; WaveLimiterHint : 0
; COMPUTE_PGM_RSRC2:SCRATCH_EN: 0
; COMPUTE_PGM_RSRC2:USER_SGPR: 15
; COMPUTE_PGM_RSRC2:TRAP_HANDLER: 0
; COMPUTE_PGM_RSRC2:TGID_X_EN: 1
; COMPUTE_PGM_RSRC2:TGID_Y_EN: 0
; COMPUTE_PGM_RSRC2:TGID_Z_EN: 0
; COMPUTE_PGM_RSRC2:TIDIG_COMP_CNT: 0
	.section	.text._ZN7rocprim17ROCPRIM_400000_NS6detail17trampoline_kernelINS0_14default_configENS1_25partition_config_selectorILNS1_17partition_subalgoE9EyybEEZZNS1_14partition_implILS5_9ELb0ES3_jN6thrust23THRUST_200600_302600_NS6detail15normal_iteratorINS9_10device_ptrIyEEEESE_PNS0_10empty_typeENS0_5tupleIJSE_SF_EEENSH_IJSE_SG_EEENS0_18inequality_wrapperINS9_8equal_toIyEEEEPmJSF_EEE10hipError_tPvRmT3_T4_T5_T6_T7_T9_mT8_P12ihipStream_tbDpT10_ENKUlT_T0_E_clISt17integral_constantIbLb0EES17_IbLb1EEEEDaS13_S14_EUlS13_E_NS1_11comp_targetILNS1_3genE3ELNS1_11target_archE908ELNS1_3gpuE7ELNS1_3repE0EEENS1_30default_config_static_selectorELNS0_4arch9wavefront6targetE0EEEvT1_,"axG",@progbits,_ZN7rocprim17ROCPRIM_400000_NS6detail17trampoline_kernelINS0_14default_configENS1_25partition_config_selectorILNS1_17partition_subalgoE9EyybEEZZNS1_14partition_implILS5_9ELb0ES3_jN6thrust23THRUST_200600_302600_NS6detail15normal_iteratorINS9_10device_ptrIyEEEESE_PNS0_10empty_typeENS0_5tupleIJSE_SF_EEENSH_IJSE_SG_EEENS0_18inequality_wrapperINS9_8equal_toIyEEEEPmJSF_EEE10hipError_tPvRmT3_T4_T5_T6_T7_T9_mT8_P12ihipStream_tbDpT10_ENKUlT_T0_E_clISt17integral_constantIbLb0EES17_IbLb1EEEEDaS13_S14_EUlS13_E_NS1_11comp_targetILNS1_3genE3ELNS1_11target_archE908ELNS1_3gpuE7ELNS1_3repE0EEENS1_30default_config_static_selectorELNS0_4arch9wavefront6targetE0EEEvT1_,comdat
	.protected	_ZN7rocprim17ROCPRIM_400000_NS6detail17trampoline_kernelINS0_14default_configENS1_25partition_config_selectorILNS1_17partition_subalgoE9EyybEEZZNS1_14partition_implILS5_9ELb0ES3_jN6thrust23THRUST_200600_302600_NS6detail15normal_iteratorINS9_10device_ptrIyEEEESE_PNS0_10empty_typeENS0_5tupleIJSE_SF_EEENSH_IJSE_SG_EEENS0_18inequality_wrapperINS9_8equal_toIyEEEEPmJSF_EEE10hipError_tPvRmT3_T4_T5_T6_T7_T9_mT8_P12ihipStream_tbDpT10_ENKUlT_T0_E_clISt17integral_constantIbLb0EES17_IbLb1EEEEDaS13_S14_EUlS13_E_NS1_11comp_targetILNS1_3genE3ELNS1_11target_archE908ELNS1_3gpuE7ELNS1_3repE0EEENS1_30default_config_static_selectorELNS0_4arch9wavefront6targetE0EEEvT1_ ; -- Begin function _ZN7rocprim17ROCPRIM_400000_NS6detail17trampoline_kernelINS0_14default_configENS1_25partition_config_selectorILNS1_17partition_subalgoE9EyybEEZZNS1_14partition_implILS5_9ELb0ES3_jN6thrust23THRUST_200600_302600_NS6detail15normal_iteratorINS9_10device_ptrIyEEEESE_PNS0_10empty_typeENS0_5tupleIJSE_SF_EEENSH_IJSE_SG_EEENS0_18inequality_wrapperINS9_8equal_toIyEEEEPmJSF_EEE10hipError_tPvRmT3_T4_T5_T6_T7_T9_mT8_P12ihipStream_tbDpT10_ENKUlT_T0_E_clISt17integral_constantIbLb0EES17_IbLb1EEEEDaS13_S14_EUlS13_E_NS1_11comp_targetILNS1_3genE3ELNS1_11target_archE908ELNS1_3gpuE7ELNS1_3repE0EEENS1_30default_config_static_selectorELNS0_4arch9wavefront6targetE0EEEvT1_
	.globl	_ZN7rocprim17ROCPRIM_400000_NS6detail17trampoline_kernelINS0_14default_configENS1_25partition_config_selectorILNS1_17partition_subalgoE9EyybEEZZNS1_14partition_implILS5_9ELb0ES3_jN6thrust23THRUST_200600_302600_NS6detail15normal_iteratorINS9_10device_ptrIyEEEESE_PNS0_10empty_typeENS0_5tupleIJSE_SF_EEENSH_IJSE_SG_EEENS0_18inequality_wrapperINS9_8equal_toIyEEEEPmJSF_EEE10hipError_tPvRmT3_T4_T5_T6_T7_T9_mT8_P12ihipStream_tbDpT10_ENKUlT_T0_E_clISt17integral_constantIbLb0EES17_IbLb1EEEEDaS13_S14_EUlS13_E_NS1_11comp_targetILNS1_3genE3ELNS1_11target_archE908ELNS1_3gpuE7ELNS1_3repE0EEENS1_30default_config_static_selectorELNS0_4arch9wavefront6targetE0EEEvT1_
	.p2align	8
	.type	_ZN7rocprim17ROCPRIM_400000_NS6detail17trampoline_kernelINS0_14default_configENS1_25partition_config_selectorILNS1_17partition_subalgoE9EyybEEZZNS1_14partition_implILS5_9ELb0ES3_jN6thrust23THRUST_200600_302600_NS6detail15normal_iteratorINS9_10device_ptrIyEEEESE_PNS0_10empty_typeENS0_5tupleIJSE_SF_EEENSH_IJSE_SG_EEENS0_18inequality_wrapperINS9_8equal_toIyEEEEPmJSF_EEE10hipError_tPvRmT3_T4_T5_T6_T7_T9_mT8_P12ihipStream_tbDpT10_ENKUlT_T0_E_clISt17integral_constantIbLb0EES17_IbLb1EEEEDaS13_S14_EUlS13_E_NS1_11comp_targetILNS1_3genE3ELNS1_11target_archE908ELNS1_3gpuE7ELNS1_3repE0EEENS1_30default_config_static_selectorELNS0_4arch9wavefront6targetE0EEEvT1_,@function
_ZN7rocprim17ROCPRIM_400000_NS6detail17trampoline_kernelINS0_14default_configENS1_25partition_config_selectorILNS1_17partition_subalgoE9EyybEEZZNS1_14partition_implILS5_9ELb0ES3_jN6thrust23THRUST_200600_302600_NS6detail15normal_iteratorINS9_10device_ptrIyEEEESE_PNS0_10empty_typeENS0_5tupleIJSE_SF_EEENSH_IJSE_SG_EEENS0_18inequality_wrapperINS9_8equal_toIyEEEEPmJSF_EEE10hipError_tPvRmT3_T4_T5_T6_T7_T9_mT8_P12ihipStream_tbDpT10_ENKUlT_T0_E_clISt17integral_constantIbLb0EES17_IbLb1EEEEDaS13_S14_EUlS13_E_NS1_11comp_targetILNS1_3genE3ELNS1_11target_archE908ELNS1_3gpuE7ELNS1_3repE0EEENS1_30default_config_static_selectorELNS0_4arch9wavefront6targetE0EEEvT1_: ; @_ZN7rocprim17ROCPRIM_400000_NS6detail17trampoline_kernelINS0_14default_configENS1_25partition_config_selectorILNS1_17partition_subalgoE9EyybEEZZNS1_14partition_implILS5_9ELb0ES3_jN6thrust23THRUST_200600_302600_NS6detail15normal_iteratorINS9_10device_ptrIyEEEESE_PNS0_10empty_typeENS0_5tupleIJSE_SF_EEENSH_IJSE_SG_EEENS0_18inequality_wrapperINS9_8equal_toIyEEEEPmJSF_EEE10hipError_tPvRmT3_T4_T5_T6_T7_T9_mT8_P12ihipStream_tbDpT10_ENKUlT_T0_E_clISt17integral_constantIbLb0EES17_IbLb1EEEEDaS13_S14_EUlS13_E_NS1_11comp_targetILNS1_3genE3ELNS1_11target_archE908ELNS1_3gpuE7ELNS1_3repE0EEENS1_30default_config_static_selectorELNS0_4arch9wavefront6targetE0EEEvT1_
; %bb.0:
	.section	.rodata,"a",@progbits
	.p2align	6, 0x0
	.amdhsa_kernel _ZN7rocprim17ROCPRIM_400000_NS6detail17trampoline_kernelINS0_14default_configENS1_25partition_config_selectorILNS1_17partition_subalgoE9EyybEEZZNS1_14partition_implILS5_9ELb0ES3_jN6thrust23THRUST_200600_302600_NS6detail15normal_iteratorINS9_10device_ptrIyEEEESE_PNS0_10empty_typeENS0_5tupleIJSE_SF_EEENSH_IJSE_SG_EEENS0_18inequality_wrapperINS9_8equal_toIyEEEEPmJSF_EEE10hipError_tPvRmT3_T4_T5_T6_T7_T9_mT8_P12ihipStream_tbDpT10_ENKUlT_T0_E_clISt17integral_constantIbLb0EES17_IbLb1EEEEDaS13_S14_EUlS13_E_NS1_11comp_targetILNS1_3genE3ELNS1_11target_archE908ELNS1_3gpuE7ELNS1_3repE0EEENS1_30default_config_static_selectorELNS0_4arch9wavefront6targetE0EEEvT1_
		.amdhsa_group_segment_fixed_size 0
		.amdhsa_private_segment_fixed_size 0
		.amdhsa_kernarg_size 128
		.amdhsa_user_sgpr_count 15
		.amdhsa_user_sgpr_dispatch_ptr 0
		.amdhsa_user_sgpr_queue_ptr 0
		.amdhsa_user_sgpr_kernarg_segment_ptr 1
		.amdhsa_user_sgpr_dispatch_id 0
		.amdhsa_user_sgpr_private_segment_size 0
		.amdhsa_wavefront_size32 1
		.amdhsa_uses_dynamic_stack 0
		.amdhsa_enable_private_segment 0
		.amdhsa_system_sgpr_workgroup_id_x 1
		.amdhsa_system_sgpr_workgroup_id_y 0
		.amdhsa_system_sgpr_workgroup_id_z 0
		.amdhsa_system_sgpr_workgroup_info 0
		.amdhsa_system_vgpr_workitem_id 0
		.amdhsa_next_free_vgpr 1
		.amdhsa_next_free_sgpr 1
		.amdhsa_reserve_vcc 0
		.amdhsa_float_round_mode_32 0
		.amdhsa_float_round_mode_16_64 0
		.amdhsa_float_denorm_mode_32 3
		.amdhsa_float_denorm_mode_16_64 3
		.amdhsa_dx10_clamp 1
		.amdhsa_ieee_mode 1
		.amdhsa_fp16_overflow 0
		.amdhsa_workgroup_processor_mode 1
		.amdhsa_memory_ordered 1
		.amdhsa_forward_progress 0
		.amdhsa_shared_vgpr_count 0
		.amdhsa_exception_fp_ieee_invalid_op 0
		.amdhsa_exception_fp_denorm_src 0
		.amdhsa_exception_fp_ieee_div_zero 0
		.amdhsa_exception_fp_ieee_overflow 0
		.amdhsa_exception_fp_ieee_underflow 0
		.amdhsa_exception_fp_ieee_inexact 0
		.amdhsa_exception_int_div_zero 0
	.end_amdhsa_kernel
	.section	.text._ZN7rocprim17ROCPRIM_400000_NS6detail17trampoline_kernelINS0_14default_configENS1_25partition_config_selectorILNS1_17partition_subalgoE9EyybEEZZNS1_14partition_implILS5_9ELb0ES3_jN6thrust23THRUST_200600_302600_NS6detail15normal_iteratorINS9_10device_ptrIyEEEESE_PNS0_10empty_typeENS0_5tupleIJSE_SF_EEENSH_IJSE_SG_EEENS0_18inequality_wrapperINS9_8equal_toIyEEEEPmJSF_EEE10hipError_tPvRmT3_T4_T5_T6_T7_T9_mT8_P12ihipStream_tbDpT10_ENKUlT_T0_E_clISt17integral_constantIbLb0EES17_IbLb1EEEEDaS13_S14_EUlS13_E_NS1_11comp_targetILNS1_3genE3ELNS1_11target_archE908ELNS1_3gpuE7ELNS1_3repE0EEENS1_30default_config_static_selectorELNS0_4arch9wavefront6targetE0EEEvT1_,"axG",@progbits,_ZN7rocprim17ROCPRIM_400000_NS6detail17trampoline_kernelINS0_14default_configENS1_25partition_config_selectorILNS1_17partition_subalgoE9EyybEEZZNS1_14partition_implILS5_9ELb0ES3_jN6thrust23THRUST_200600_302600_NS6detail15normal_iteratorINS9_10device_ptrIyEEEESE_PNS0_10empty_typeENS0_5tupleIJSE_SF_EEENSH_IJSE_SG_EEENS0_18inequality_wrapperINS9_8equal_toIyEEEEPmJSF_EEE10hipError_tPvRmT3_T4_T5_T6_T7_T9_mT8_P12ihipStream_tbDpT10_ENKUlT_T0_E_clISt17integral_constantIbLb0EES17_IbLb1EEEEDaS13_S14_EUlS13_E_NS1_11comp_targetILNS1_3genE3ELNS1_11target_archE908ELNS1_3gpuE7ELNS1_3repE0EEENS1_30default_config_static_selectorELNS0_4arch9wavefront6targetE0EEEvT1_,comdat
.Lfunc_end172:
	.size	_ZN7rocprim17ROCPRIM_400000_NS6detail17trampoline_kernelINS0_14default_configENS1_25partition_config_selectorILNS1_17partition_subalgoE9EyybEEZZNS1_14partition_implILS5_9ELb0ES3_jN6thrust23THRUST_200600_302600_NS6detail15normal_iteratorINS9_10device_ptrIyEEEESE_PNS0_10empty_typeENS0_5tupleIJSE_SF_EEENSH_IJSE_SG_EEENS0_18inequality_wrapperINS9_8equal_toIyEEEEPmJSF_EEE10hipError_tPvRmT3_T4_T5_T6_T7_T9_mT8_P12ihipStream_tbDpT10_ENKUlT_T0_E_clISt17integral_constantIbLb0EES17_IbLb1EEEEDaS13_S14_EUlS13_E_NS1_11comp_targetILNS1_3genE3ELNS1_11target_archE908ELNS1_3gpuE7ELNS1_3repE0EEENS1_30default_config_static_selectorELNS0_4arch9wavefront6targetE0EEEvT1_, .Lfunc_end172-_ZN7rocprim17ROCPRIM_400000_NS6detail17trampoline_kernelINS0_14default_configENS1_25partition_config_selectorILNS1_17partition_subalgoE9EyybEEZZNS1_14partition_implILS5_9ELb0ES3_jN6thrust23THRUST_200600_302600_NS6detail15normal_iteratorINS9_10device_ptrIyEEEESE_PNS0_10empty_typeENS0_5tupleIJSE_SF_EEENSH_IJSE_SG_EEENS0_18inequality_wrapperINS9_8equal_toIyEEEEPmJSF_EEE10hipError_tPvRmT3_T4_T5_T6_T7_T9_mT8_P12ihipStream_tbDpT10_ENKUlT_T0_E_clISt17integral_constantIbLb0EES17_IbLb1EEEEDaS13_S14_EUlS13_E_NS1_11comp_targetILNS1_3genE3ELNS1_11target_archE908ELNS1_3gpuE7ELNS1_3repE0EEENS1_30default_config_static_selectorELNS0_4arch9wavefront6targetE0EEEvT1_
                                        ; -- End function
	.section	.AMDGPU.csdata,"",@progbits
; Kernel info:
; codeLenInByte = 0
; NumSgprs: 0
; NumVgprs: 0
; ScratchSize: 0
; MemoryBound: 0
; FloatMode: 240
; IeeeMode: 1
; LDSByteSize: 0 bytes/workgroup (compile time only)
; SGPRBlocks: 0
; VGPRBlocks: 0
; NumSGPRsForWavesPerEU: 1
; NumVGPRsForWavesPerEU: 1
; Occupancy: 16
; WaveLimiterHint : 0
; COMPUTE_PGM_RSRC2:SCRATCH_EN: 0
; COMPUTE_PGM_RSRC2:USER_SGPR: 15
; COMPUTE_PGM_RSRC2:TRAP_HANDLER: 0
; COMPUTE_PGM_RSRC2:TGID_X_EN: 1
; COMPUTE_PGM_RSRC2:TGID_Y_EN: 0
; COMPUTE_PGM_RSRC2:TGID_Z_EN: 0
; COMPUTE_PGM_RSRC2:TIDIG_COMP_CNT: 0
	.section	.text._ZN7rocprim17ROCPRIM_400000_NS6detail17trampoline_kernelINS0_14default_configENS1_25partition_config_selectorILNS1_17partition_subalgoE9EyybEEZZNS1_14partition_implILS5_9ELb0ES3_jN6thrust23THRUST_200600_302600_NS6detail15normal_iteratorINS9_10device_ptrIyEEEESE_PNS0_10empty_typeENS0_5tupleIJSE_SF_EEENSH_IJSE_SG_EEENS0_18inequality_wrapperINS9_8equal_toIyEEEEPmJSF_EEE10hipError_tPvRmT3_T4_T5_T6_T7_T9_mT8_P12ihipStream_tbDpT10_ENKUlT_T0_E_clISt17integral_constantIbLb0EES17_IbLb1EEEEDaS13_S14_EUlS13_E_NS1_11comp_targetILNS1_3genE2ELNS1_11target_archE906ELNS1_3gpuE6ELNS1_3repE0EEENS1_30default_config_static_selectorELNS0_4arch9wavefront6targetE0EEEvT1_,"axG",@progbits,_ZN7rocprim17ROCPRIM_400000_NS6detail17trampoline_kernelINS0_14default_configENS1_25partition_config_selectorILNS1_17partition_subalgoE9EyybEEZZNS1_14partition_implILS5_9ELb0ES3_jN6thrust23THRUST_200600_302600_NS6detail15normal_iteratorINS9_10device_ptrIyEEEESE_PNS0_10empty_typeENS0_5tupleIJSE_SF_EEENSH_IJSE_SG_EEENS0_18inequality_wrapperINS9_8equal_toIyEEEEPmJSF_EEE10hipError_tPvRmT3_T4_T5_T6_T7_T9_mT8_P12ihipStream_tbDpT10_ENKUlT_T0_E_clISt17integral_constantIbLb0EES17_IbLb1EEEEDaS13_S14_EUlS13_E_NS1_11comp_targetILNS1_3genE2ELNS1_11target_archE906ELNS1_3gpuE6ELNS1_3repE0EEENS1_30default_config_static_selectorELNS0_4arch9wavefront6targetE0EEEvT1_,comdat
	.protected	_ZN7rocprim17ROCPRIM_400000_NS6detail17trampoline_kernelINS0_14default_configENS1_25partition_config_selectorILNS1_17partition_subalgoE9EyybEEZZNS1_14partition_implILS5_9ELb0ES3_jN6thrust23THRUST_200600_302600_NS6detail15normal_iteratorINS9_10device_ptrIyEEEESE_PNS0_10empty_typeENS0_5tupleIJSE_SF_EEENSH_IJSE_SG_EEENS0_18inequality_wrapperINS9_8equal_toIyEEEEPmJSF_EEE10hipError_tPvRmT3_T4_T5_T6_T7_T9_mT8_P12ihipStream_tbDpT10_ENKUlT_T0_E_clISt17integral_constantIbLb0EES17_IbLb1EEEEDaS13_S14_EUlS13_E_NS1_11comp_targetILNS1_3genE2ELNS1_11target_archE906ELNS1_3gpuE6ELNS1_3repE0EEENS1_30default_config_static_selectorELNS0_4arch9wavefront6targetE0EEEvT1_ ; -- Begin function _ZN7rocprim17ROCPRIM_400000_NS6detail17trampoline_kernelINS0_14default_configENS1_25partition_config_selectorILNS1_17partition_subalgoE9EyybEEZZNS1_14partition_implILS5_9ELb0ES3_jN6thrust23THRUST_200600_302600_NS6detail15normal_iteratorINS9_10device_ptrIyEEEESE_PNS0_10empty_typeENS0_5tupleIJSE_SF_EEENSH_IJSE_SG_EEENS0_18inequality_wrapperINS9_8equal_toIyEEEEPmJSF_EEE10hipError_tPvRmT3_T4_T5_T6_T7_T9_mT8_P12ihipStream_tbDpT10_ENKUlT_T0_E_clISt17integral_constantIbLb0EES17_IbLb1EEEEDaS13_S14_EUlS13_E_NS1_11comp_targetILNS1_3genE2ELNS1_11target_archE906ELNS1_3gpuE6ELNS1_3repE0EEENS1_30default_config_static_selectorELNS0_4arch9wavefront6targetE0EEEvT1_
	.globl	_ZN7rocprim17ROCPRIM_400000_NS6detail17trampoline_kernelINS0_14default_configENS1_25partition_config_selectorILNS1_17partition_subalgoE9EyybEEZZNS1_14partition_implILS5_9ELb0ES3_jN6thrust23THRUST_200600_302600_NS6detail15normal_iteratorINS9_10device_ptrIyEEEESE_PNS0_10empty_typeENS0_5tupleIJSE_SF_EEENSH_IJSE_SG_EEENS0_18inequality_wrapperINS9_8equal_toIyEEEEPmJSF_EEE10hipError_tPvRmT3_T4_T5_T6_T7_T9_mT8_P12ihipStream_tbDpT10_ENKUlT_T0_E_clISt17integral_constantIbLb0EES17_IbLb1EEEEDaS13_S14_EUlS13_E_NS1_11comp_targetILNS1_3genE2ELNS1_11target_archE906ELNS1_3gpuE6ELNS1_3repE0EEENS1_30default_config_static_selectorELNS0_4arch9wavefront6targetE0EEEvT1_
	.p2align	8
	.type	_ZN7rocprim17ROCPRIM_400000_NS6detail17trampoline_kernelINS0_14default_configENS1_25partition_config_selectorILNS1_17partition_subalgoE9EyybEEZZNS1_14partition_implILS5_9ELb0ES3_jN6thrust23THRUST_200600_302600_NS6detail15normal_iteratorINS9_10device_ptrIyEEEESE_PNS0_10empty_typeENS0_5tupleIJSE_SF_EEENSH_IJSE_SG_EEENS0_18inequality_wrapperINS9_8equal_toIyEEEEPmJSF_EEE10hipError_tPvRmT3_T4_T5_T6_T7_T9_mT8_P12ihipStream_tbDpT10_ENKUlT_T0_E_clISt17integral_constantIbLb0EES17_IbLb1EEEEDaS13_S14_EUlS13_E_NS1_11comp_targetILNS1_3genE2ELNS1_11target_archE906ELNS1_3gpuE6ELNS1_3repE0EEENS1_30default_config_static_selectorELNS0_4arch9wavefront6targetE0EEEvT1_,@function
_ZN7rocprim17ROCPRIM_400000_NS6detail17trampoline_kernelINS0_14default_configENS1_25partition_config_selectorILNS1_17partition_subalgoE9EyybEEZZNS1_14partition_implILS5_9ELb0ES3_jN6thrust23THRUST_200600_302600_NS6detail15normal_iteratorINS9_10device_ptrIyEEEESE_PNS0_10empty_typeENS0_5tupleIJSE_SF_EEENSH_IJSE_SG_EEENS0_18inequality_wrapperINS9_8equal_toIyEEEEPmJSF_EEE10hipError_tPvRmT3_T4_T5_T6_T7_T9_mT8_P12ihipStream_tbDpT10_ENKUlT_T0_E_clISt17integral_constantIbLb0EES17_IbLb1EEEEDaS13_S14_EUlS13_E_NS1_11comp_targetILNS1_3genE2ELNS1_11target_archE906ELNS1_3gpuE6ELNS1_3repE0EEENS1_30default_config_static_selectorELNS0_4arch9wavefront6targetE0EEEvT1_: ; @_ZN7rocprim17ROCPRIM_400000_NS6detail17trampoline_kernelINS0_14default_configENS1_25partition_config_selectorILNS1_17partition_subalgoE9EyybEEZZNS1_14partition_implILS5_9ELb0ES3_jN6thrust23THRUST_200600_302600_NS6detail15normal_iteratorINS9_10device_ptrIyEEEESE_PNS0_10empty_typeENS0_5tupleIJSE_SF_EEENSH_IJSE_SG_EEENS0_18inequality_wrapperINS9_8equal_toIyEEEEPmJSF_EEE10hipError_tPvRmT3_T4_T5_T6_T7_T9_mT8_P12ihipStream_tbDpT10_ENKUlT_T0_E_clISt17integral_constantIbLb0EES17_IbLb1EEEEDaS13_S14_EUlS13_E_NS1_11comp_targetILNS1_3genE2ELNS1_11target_archE906ELNS1_3gpuE6ELNS1_3repE0EEENS1_30default_config_static_selectorELNS0_4arch9wavefront6targetE0EEEvT1_
; %bb.0:
	.section	.rodata,"a",@progbits
	.p2align	6, 0x0
	.amdhsa_kernel _ZN7rocprim17ROCPRIM_400000_NS6detail17trampoline_kernelINS0_14default_configENS1_25partition_config_selectorILNS1_17partition_subalgoE9EyybEEZZNS1_14partition_implILS5_9ELb0ES3_jN6thrust23THRUST_200600_302600_NS6detail15normal_iteratorINS9_10device_ptrIyEEEESE_PNS0_10empty_typeENS0_5tupleIJSE_SF_EEENSH_IJSE_SG_EEENS0_18inequality_wrapperINS9_8equal_toIyEEEEPmJSF_EEE10hipError_tPvRmT3_T4_T5_T6_T7_T9_mT8_P12ihipStream_tbDpT10_ENKUlT_T0_E_clISt17integral_constantIbLb0EES17_IbLb1EEEEDaS13_S14_EUlS13_E_NS1_11comp_targetILNS1_3genE2ELNS1_11target_archE906ELNS1_3gpuE6ELNS1_3repE0EEENS1_30default_config_static_selectorELNS0_4arch9wavefront6targetE0EEEvT1_
		.amdhsa_group_segment_fixed_size 0
		.amdhsa_private_segment_fixed_size 0
		.amdhsa_kernarg_size 128
		.amdhsa_user_sgpr_count 15
		.amdhsa_user_sgpr_dispatch_ptr 0
		.amdhsa_user_sgpr_queue_ptr 0
		.amdhsa_user_sgpr_kernarg_segment_ptr 1
		.amdhsa_user_sgpr_dispatch_id 0
		.amdhsa_user_sgpr_private_segment_size 0
		.amdhsa_wavefront_size32 1
		.amdhsa_uses_dynamic_stack 0
		.amdhsa_enable_private_segment 0
		.amdhsa_system_sgpr_workgroup_id_x 1
		.amdhsa_system_sgpr_workgroup_id_y 0
		.amdhsa_system_sgpr_workgroup_id_z 0
		.amdhsa_system_sgpr_workgroup_info 0
		.amdhsa_system_vgpr_workitem_id 0
		.amdhsa_next_free_vgpr 1
		.amdhsa_next_free_sgpr 1
		.amdhsa_reserve_vcc 0
		.amdhsa_float_round_mode_32 0
		.amdhsa_float_round_mode_16_64 0
		.amdhsa_float_denorm_mode_32 3
		.amdhsa_float_denorm_mode_16_64 3
		.amdhsa_dx10_clamp 1
		.amdhsa_ieee_mode 1
		.amdhsa_fp16_overflow 0
		.amdhsa_workgroup_processor_mode 1
		.amdhsa_memory_ordered 1
		.amdhsa_forward_progress 0
		.amdhsa_shared_vgpr_count 0
		.amdhsa_exception_fp_ieee_invalid_op 0
		.amdhsa_exception_fp_denorm_src 0
		.amdhsa_exception_fp_ieee_div_zero 0
		.amdhsa_exception_fp_ieee_overflow 0
		.amdhsa_exception_fp_ieee_underflow 0
		.amdhsa_exception_fp_ieee_inexact 0
		.amdhsa_exception_int_div_zero 0
	.end_amdhsa_kernel
	.section	.text._ZN7rocprim17ROCPRIM_400000_NS6detail17trampoline_kernelINS0_14default_configENS1_25partition_config_selectorILNS1_17partition_subalgoE9EyybEEZZNS1_14partition_implILS5_9ELb0ES3_jN6thrust23THRUST_200600_302600_NS6detail15normal_iteratorINS9_10device_ptrIyEEEESE_PNS0_10empty_typeENS0_5tupleIJSE_SF_EEENSH_IJSE_SG_EEENS0_18inequality_wrapperINS9_8equal_toIyEEEEPmJSF_EEE10hipError_tPvRmT3_T4_T5_T6_T7_T9_mT8_P12ihipStream_tbDpT10_ENKUlT_T0_E_clISt17integral_constantIbLb0EES17_IbLb1EEEEDaS13_S14_EUlS13_E_NS1_11comp_targetILNS1_3genE2ELNS1_11target_archE906ELNS1_3gpuE6ELNS1_3repE0EEENS1_30default_config_static_selectorELNS0_4arch9wavefront6targetE0EEEvT1_,"axG",@progbits,_ZN7rocprim17ROCPRIM_400000_NS6detail17trampoline_kernelINS0_14default_configENS1_25partition_config_selectorILNS1_17partition_subalgoE9EyybEEZZNS1_14partition_implILS5_9ELb0ES3_jN6thrust23THRUST_200600_302600_NS6detail15normal_iteratorINS9_10device_ptrIyEEEESE_PNS0_10empty_typeENS0_5tupleIJSE_SF_EEENSH_IJSE_SG_EEENS0_18inequality_wrapperINS9_8equal_toIyEEEEPmJSF_EEE10hipError_tPvRmT3_T4_T5_T6_T7_T9_mT8_P12ihipStream_tbDpT10_ENKUlT_T0_E_clISt17integral_constantIbLb0EES17_IbLb1EEEEDaS13_S14_EUlS13_E_NS1_11comp_targetILNS1_3genE2ELNS1_11target_archE906ELNS1_3gpuE6ELNS1_3repE0EEENS1_30default_config_static_selectorELNS0_4arch9wavefront6targetE0EEEvT1_,comdat
.Lfunc_end173:
	.size	_ZN7rocprim17ROCPRIM_400000_NS6detail17trampoline_kernelINS0_14default_configENS1_25partition_config_selectorILNS1_17partition_subalgoE9EyybEEZZNS1_14partition_implILS5_9ELb0ES3_jN6thrust23THRUST_200600_302600_NS6detail15normal_iteratorINS9_10device_ptrIyEEEESE_PNS0_10empty_typeENS0_5tupleIJSE_SF_EEENSH_IJSE_SG_EEENS0_18inequality_wrapperINS9_8equal_toIyEEEEPmJSF_EEE10hipError_tPvRmT3_T4_T5_T6_T7_T9_mT8_P12ihipStream_tbDpT10_ENKUlT_T0_E_clISt17integral_constantIbLb0EES17_IbLb1EEEEDaS13_S14_EUlS13_E_NS1_11comp_targetILNS1_3genE2ELNS1_11target_archE906ELNS1_3gpuE6ELNS1_3repE0EEENS1_30default_config_static_selectorELNS0_4arch9wavefront6targetE0EEEvT1_, .Lfunc_end173-_ZN7rocprim17ROCPRIM_400000_NS6detail17trampoline_kernelINS0_14default_configENS1_25partition_config_selectorILNS1_17partition_subalgoE9EyybEEZZNS1_14partition_implILS5_9ELb0ES3_jN6thrust23THRUST_200600_302600_NS6detail15normal_iteratorINS9_10device_ptrIyEEEESE_PNS0_10empty_typeENS0_5tupleIJSE_SF_EEENSH_IJSE_SG_EEENS0_18inequality_wrapperINS9_8equal_toIyEEEEPmJSF_EEE10hipError_tPvRmT3_T4_T5_T6_T7_T9_mT8_P12ihipStream_tbDpT10_ENKUlT_T0_E_clISt17integral_constantIbLb0EES17_IbLb1EEEEDaS13_S14_EUlS13_E_NS1_11comp_targetILNS1_3genE2ELNS1_11target_archE906ELNS1_3gpuE6ELNS1_3repE0EEENS1_30default_config_static_selectorELNS0_4arch9wavefront6targetE0EEEvT1_
                                        ; -- End function
	.section	.AMDGPU.csdata,"",@progbits
; Kernel info:
; codeLenInByte = 0
; NumSgprs: 0
; NumVgprs: 0
; ScratchSize: 0
; MemoryBound: 0
; FloatMode: 240
; IeeeMode: 1
; LDSByteSize: 0 bytes/workgroup (compile time only)
; SGPRBlocks: 0
; VGPRBlocks: 0
; NumSGPRsForWavesPerEU: 1
; NumVGPRsForWavesPerEU: 1
; Occupancy: 15
; WaveLimiterHint : 0
; COMPUTE_PGM_RSRC2:SCRATCH_EN: 0
; COMPUTE_PGM_RSRC2:USER_SGPR: 15
; COMPUTE_PGM_RSRC2:TRAP_HANDLER: 0
; COMPUTE_PGM_RSRC2:TGID_X_EN: 1
; COMPUTE_PGM_RSRC2:TGID_Y_EN: 0
; COMPUTE_PGM_RSRC2:TGID_Z_EN: 0
; COMPUTE_PGM_RSRC2:TIDIG_COMP_CNT: 0
	.section	.text._ZN7rocprim17ROCPRIM_400000_NS6detail17trampoline_kernelINS0_14default_configENS1_25partition_config_selectorILNS1_17partition_subalgoE9EyybEEZZNS1_14partition_implILS5_9ELb0ES3_jN6thrust23THRUST_200600_302600_NS6detail15normal_iteratorINS9_10device_ptrIyEEEESE_PNS0_10empty_typeENS0_5tupleIJSE_SF_EEENSH_IJSE_SG_EEENS0_18inequality_wrapperINS9_8equal_toIyEEEEPmJSF_EEE10hipError_tPvRmT3_T4_T5_T6_T7_T9_mT8_P12ihipStream_tbDpT10_ENKUlT_T0_E_clISt17integral_constantIbLb0EES17_IbLb1EEEEDaS13_S14_EUlS13_E_NS1_11comp_targetILNS1_3genE10ELNS1_11target_archE1200ELNS1_3gpuE4ELNS1_3repE0EEENS1_30default_config_static_selectorELNS0_4arch9wavefront6targetE0EEEvT1_,"axG",@progbits,_ZN7rocprim17ROCPRIM_400000_NS6detail17trampoline_kernelINS0_14default_configENS1_25partition_config_selectorILNS1_17partition_subalgoE9EyybEEZZNS1_14partition_implILS5_9ELb0ES3_jN6thrust23THRUST_200600_302600_NS6detail15normal_iteratorINS9_10device_ptrIyEEEESE_PNS0_10empty_typeENS0_5tupleIJSE_SF_EEENSH_IJSE_SG_EEENS0_18inequality_wrapperINS9_8equal_toIyEEEEPmJSF_EEE10hipError_tPvRmT3_T4_T5_T6_T7_T9_mT8_P12ihipStream_tbDpT10_ENKUlT_T0_E_clISt17integral_constantIbLb0EES17_IbLb1EEEEDaS13_S14_EUlS13_E_NS1_11comp_targetILNS1_3genE10ELNS1_11target_archE1200ELNS1_3gpuE4ELNS1_3repE0EEENS1_30default_config_static_selectorELNS0_4arch9wavefront6targetE0EEEvT1_,comdat
	.protected	_ZN7rocprim17ROCPRIM_400000_NS6detail17trampoline_kernelINS0_14default_configENS1_25partition_config_selectorILNS1_17partition_subalgoE9EyybEEZZNS1_14partition_implILS5_9ELb0ES3_jN6thrust23THRUST_200600_302600_NS6detail15normal_iteratorINS9_10device_ptrIyEEEESE_PNS0_10empty_typeENS0_5tupleIJSE_SF_EEENSH_IJSE_SG_EEENS0_18inequality_wrapperINS9_8equal_toIyEEEEPmJSF_EEE10hipError_tPvRmT3_T4_T5_T6_T7_T9_mT8_P12ihipStream_tbDpT10_ENKUlT_T0_E_clISt17integral_constantIbLb0EES17_IbLb1EEEEDaS13_S14_EUlS13_E_NS1_11comp_targetILNS1_3genE10ELNS1_11target_archE1200ELNS1_3gpuE4ELNS1_3repE0EEENS1_30default_config_static_selectorELNS0_4arch9wavefront6targetE0EEEvT1_ ; -- Begin function _ZN7rocprim17ROCPRIM_400000_NS6detail17trampoline_kernelINS0_14default_configENS1_25partition_config_selectorILNS1_17partition_subalgoE9EyybEEZZNS1_14partition_implILS5_9ELb0ES3_jN6thrust23THRUST_200600_302600_NS6detail15normal_iteratorINS9_10device_ptrIyEEEESE_PNS0_10empty_typeENS0_5tupleIJSE_SF_EEENSH_IJSE_SG_EEENS0_18inequality_wrapperINS9_8equal_toIyEEEEPmJSF_EEE10hipError_tPvRmT3_T4_T5_T6_T7_T9_mT8_P12ihipStream_tbDpT10_ENKUlT_T0_E_clISt17integral_constantIbLb0EES17_IbLb1EEEEDaS13_S14_EUlS13_E_NS1_11comp_targetILNS1_3genE10ELNS1_11target_archE1200ELNS1_3gpuE4ELNS1_3repE0EEENS1_30default_config_static_selectorELNS0_4arch9wavefront6targetE0EEEvT1_
	.globl	_ZN7rocprim17ROCPRIM_400000_NS6detail17trampoline_kernelINS0_14default_configENS1_25partition_config_selectorILNS1_17partition_subalgoE9EyybEEZZNS1_14partition_implILS5_9ELb0ES3_jN6thrust23THRUST_200600_302600_NS6detail15normal_iteratorINS9_10device_ptrIyEEEESE_PNS0_10empty_typeENS0_5tupleIJSE_SF_EEENSH_IJSE_SG_EEENS0_18inequality_wrapperINS9_8equal_toIyEEEEPmJSF_EEE10hipError_tPvRmT3_T4_T5_T6_T7_T9_mT8_P12ihipStream_tbDpT10_ENKUlT_T0_E_clISt17integral_constantIbLb0EES17_IbLb1EEEEDaS13_S14_EUlS13_E_NS1_11comp_targetILNS1_3genE10ELNS1_11target_archE1200ELNS1_3gpuE4ELNS1_3repE0EEENS1_30default_config_static_selectorELNS0_4arch9wavefront6targetE0EEEvT1_
	.p2align	8
	.type	_ZN7rocprim17ROCPRIM_400000_NS6detail17trampoline_kernelINS0_14default_configENS1_25partition_config_selectorILNS1_17partition_subalgoE9EyybEEZZNS1_14partition_implILS5_9ELb0ES3_jN6thrust23THRUST_200600_302600_NS6detail15normal_iteratorINS9_10device_ptrIyEEEESE_PNS0_10empty_typeENS0_5tupleIJSE_SF_EEENSH_IJSE_SG_EEENS0_18inequality_wrapperINS9_8equal_toIyEEEEPmJSF_EEE10hipError_tPvRmT3_T4_T5_T6_T7_T9_mT8_P12ihipStream_tbDpT10_ENKUlT_T0_E_clISt17integral_constantIbLb0EES17_IbLb1EEEEDaS13_S14_EUlS13_E_NS1_11comp_targetILNS1_3genE10ELNS1_11target_archE1200ELNS1_3gpuE4ELNS1_3repE0EEENS1_30default_config_static_selectorELNS0_4arch9wavefront6targetE0EEEvT1_,@function
_ZN7rocprim17ROCPRIM_400000_NS6detail17trampoline_kernelINS0_14default_configENS1_25partition_config_selectorILNS1_17partition_subalgoE9EyybEEZZNS1_14partition_implILS5_9ELb0ES3_jN6thrust23THRUST_200600_302600_NS6detail15normal_iteratorINS9_10device_ptrIyEEEESE_PNS0_10empty_typeENS0_5tupleIJSE_SF_EEENSH_IJSE_SG_EEENS0_18inequality_wrapperINS9_8equal_toIyEEEEPmJSF_EEE10hipError_tPvRmT3_T4_T5_T6_T7_T9_mT8_P12ihipStream_tbDpT10_ENKUlT_T0_E_clISt17integral_constantIbLb0EES17_IbLb1EEEEDaS13_S14_EUlS13_E_NS1_11comp_targetILNS1_3genE10ELNS1_11target_archE1200ELNS1_3gpuE4ELNS1_3repE0EEENS1_30default_config_static_selectorELNS0_4arch9wavefront6targetE0EEEvT1_: ; @_ZN7rocprim17ROCPRIM_400000_NS6detail17trampoline_kernelINS0_14default_configENS1_25partition_config_selectorILNS1_17partition_subalgoE9EyybEEZZNS1_14partition_implILS5_9ELb0ES3_jN6thrust23THRUST_200600_302600_NS6detail15normal_iteratorINS9_10device_ptrIyEEEESE_PNS0_10empty_typeENS0_5tupleIJSE_SF_EEENSH_IJSE_SG_EEENS0_18inequality_wrapperINS9_8equal_toIyEEEEPmJSF_EEE10hipError_tPvRmT3_T4_T5_T6_T7_T9_mT8_P12ihipStream_tbDpT10_ENKUlT_T0_E_clISt17integral_constantIbLb0EES17_IbLb1EEEEDaS13_S14_EUlS13_E_NS1_11comp_targetILNS1_3genE10ELNS1_11target_archE1200ELNS1_3gpuE4ELNS1_3repE0EEENS1_30default_config_static_selectorELNS0_4arch9wavefront6targetE0EEEvT1_
; %bb.0:
	.section	.rodata,"a",@progbits
	.p2align	6, 0x0
	.amdhsa_kernel _ZN7rocprim17ROCPRIM_400000_NS6detail17trampoline_kernelINS0_14default_configENS1_25partition_config_selectorILNS1_17partition_subalgoE9EyybEEZZNS1_14partition_implILS5_9ELb0ES3_jN6thrust23THRUST_200600_302600_NS6detail15normal_iteratorINS9_10device_ptrIyEEEESE_PNS0_10empty_typeENS0_5tupleIJSE_SF_EEENSH_IJSE_SG_EEENS0_18inequality_wrapperINS9_8equal_toIyEEEEPmJSF_EEE10hipError_tPvRmT3_T4_T5_T6_T7_T9_mT8_P12ihipStream_tbDpT10_ENKUlT_T0_E_clISt17integral_constantIbLb0EES17_IbLb1EEEEDaS13_S14_EUlS13_E_NS1_11comp_targetILNS1_3genE10ELNS1_11target_archE1200ELNS1_3gpuE4ELNS1_3repE0EEENS1_30default_config_static_selectorELNS0_4arch9wavefront6targetE0EEEvT1_
		.amdhsa_group_segment_fixed_size 0
		.amdhsa_private_segment_fixed_size 0
		.amdhsa_kernarg_size 128
		.amdhsa_user_sgpr_count 15
		.amdhsa_user_sgpr_dispatch_ptr 0
		.amdhsa_user_sgpr_queue_ptr 0
		.amdhsa_user_sgpr_kernarg_segment_ptr 1
		.amdhsa_user_sgpr_dispatch_id 0
		.amdhsa_user_sgpr_private_segment_size 0
		.amdhsa_wavefront_size32 1
		.amdhsa_uses_dynamic_stack 0
		.amdhsa_enable_private_segment 0
		.amdhsa_system_sgpr_workgroup_id_x 1
		.amdhsa_system_sgpr_workgroup_id_y 0
		.amdhsa_system_sgpr_workgroup_id_z 0
		.amdhsa_system_sgpr_workgroup_info 0
		.amdhsa_system_vgpr_workitem_id 0
		.amdhsa_next_free_vgpr 1
		.amdhsa_next_free_sgpr 1
		.amdhsa_reserve_vcc 0
		.amdhsa_float_round_mode_32 0
		.amdhsa_float_round_mode_16_64 0
		.amdhsa_float_denorm_mode_32 3
		.amdhsa_float_denorm_mode_16_64 3
		.amdhsa_dx10_clamp 1
		.amdhsa_ieee_mode 1
		.amdhsa_fp16_overflow 0
		.amdhsa_workgroup_processor_mode 1
		.amdhsa_memory_ordered 1
		.amdhsa_forward_progress 0
		.amdhsa_shared_vgpr_count 0
		.amdhsa_exception_fp_ieee_invalid_op 0
		.amdhsa_exception_fp_denorm_src 0
		.amdhsa_exception_fp_ieee_div_zero 0
		.amdhsa_exception_fp_ieee_overflow 0
		.amdhsa_exception_fp_ieee_underflow 0
		.amdhsa_exception_fp_ieee_inexact 0
		.amdhsa_exception_int_div_zero 0
	.end_amdhsa_kernel
	.section	.text._ZN7rocprim17ROCPRIM_400000_NS6detail17trampoline_kernelINS0_14default_configENS1_25partition_config_selectorILNS1_17partition_subalgoE9EyybEEZZNS1_14partition_implILS5_9ELb0ES3_jN6thrust23THRUST_200600_302600_NS6detail15normal_iteratorINS9_10device_ptrIyEEEESE_PNS0_10empty_typeENS0_5tupleIJSE_SF_EEENSH_IJSE_SG_EEENS0_18inequality_wrapperINS9_8equal_toIyEEEEPmJSF_EEE10hipError_tPvRmT3_T4_T5_T6_T7_T9_mT8_P12ihipStream_tbDpT10_ENKUlT_T0_E_clISt17integral_constantIbLb0EES17_IbLb1EEEEDaS13_S14_EUlS13_E_NS1_11comp_targetILNS1_3genE10ELNS1_11target_archE1200ELNS1_3gpuE4ELNS1_3repE0EEENS1_30default_config_static_selectorELNS0_4arch9wavefront6targetE0EEEvT1_,"axG",@progbits,_ZN7rocprim17ROCPRIM_400000_NS6detail17trampoline_kernelINS0_14default_configENS1_25partition_config_selectorILNS1_17partition_subalgoE9EyybEEZZNS1_14partition_implILS5_9ELb0ES3_jN6thrust23THRUST_200600_302600_NS6detail15normal_iteratorINS9_10device_ptrIyEEEESE_PNS0_10empty_typeENS0_5tupleIJSE_SF_EEENSH_IJSE_SG_EEENS0_18inequality_wrapperINS9_8equal_toIyEEEEPmJSF_EEE10hipError_tPvRmT3_T4_T5_T6_T7_T9_mT8_P12ihipStream_tbDpT10_ENKUlT_T0_E_clISt17integral_constantIbLb0EES17_IbLb1EEEEDaS13_S14_EUlS13_E_NS1_11comp_targetILNS1_3genE10ELNS1_11target_archE1200ELNS1_3gpuE4ELNS1_3repE0EEENS1_30default_config_static_selectorELNS0_4arch9wavefront6targetE0EEEvT1_,comdat
.Lfunc_end174:
	.size	_ZN7rocprim17ROCPRIM_400000_NS6detail17trampoline_kernelINS0_14default_configENS1_25partition_config_selectorILNS1_17partition_subalgoE9EyybEEZZNS1_14partition_implILS5_9ELb0ES3_jN6thrust23THRUST_200600_302600_NS6detail15normal_iteratorINS9_10device_ptrIyEEEESE_PNS0_10empty_typeENS0_5tupleIJSE_SF_EEENSH_IJSE_SG_EEENS0_18inequality_wrapperINS9_8equal_toIyEEEEPmJSF_EEE10hipError_tPvRmT3_T4_T5_T6_T7_T9_mT8_P12ihipStream_tbDpT10_ENKUlT_T0_E_clISt17integral_constantIbLb0EES17_IbLb1EEEEDaS13_S14_EUlS13_E_NS1_11comp_targetILNS1_3genE10ELNS1_11target_archE1200ELNS1_3gpuE4ELNS1_3repE0EEENS1_30default_config_static_selectorELNS0_4arch9wavefront6targetE0EEEvT1_, .Lfunc_end174-_ZN7rocprim17ROCPRIM_400000_NS6detail17trampoline_kernelINS0_14default_configENS1_25partition_config_selectorILNS1_17partition_subalgoE9EyybEEZZNS1_14partition_implILS5_9ELb0ES3_jN6thrust23THRUST_200600_302600_NS6detail15normal_iteratorINS9_10device_ptrIyEEEESE_PNS0_10empty_typeENS0_5tupleIJSE_SF_EEENSH_IJSE_SG_EEENS0_18inequality_wrapperINS9_8equal_toIyEEEEPmJSF_EEE10hipError_tPvRmT3_T4_T5_T6_T7_T9_mT8_P12ihipStream_tbDpT10_ENKUlT_T0_E_clISt17integral_constantIbLb0EES17_IbLb1EEEEDaS13_S14_EUlS13_E_NS1_11comp_targetILNS1_3genE10ELNS1_11target_archE1200ELNS1_3gpuE4ELNS1_3repE0EEENS1_30default_config_static_selectorELNS0_4arch9wavefront6targetE0EEEvT1_
                                        ; -- End function
	.section	.AMDGPU.csdata,"",@progbits
; Kernel info:
; codeLenInByte = 0
; NumSgprs: 0
; NumVgprs: 0
; ScratchSize: 0
; MemoryBound: 0
; FloatMode: 240
; IeeeMode: 1
; LDSByteSize: 0 bytes/workgroup (compile time only)
; SGPRBlocks: 0
; VGPRBlocks: 0
; NumSGPRsForWavesPerEU: 1
; NumVGPRsForWavesPerEU: 1
; Occupancy: 15
; WaveLimiterHint : 0
; COMPUTE_PGM_RSRC2:SCRATCH_EN: 0
; COMPUTE_PGM_RSRC2:USER_SGPR: 15
; COMPUTE_PGM_RSRC2:TRAP_HANDLER: 0
; COMPUTE_PGM_RSRC2:TGID_X_EN: 1
; COMPUTE_PGM_RSRC2:TGID_Y_EN: 0
; COMPUTE_PGM_RSRC2:TGID_Z_EN: 0
; COMPUTE_PGM_RSRC2:TIDIG_COMP_CNT: 0
	.section	.text._ZN7rocprim17ROCPRIM_400000_NS6detail17trampoline_kernelINS0_14default_configENS1_25partition_config_selectorILNS1_17partition_subalgoE9EyybEEZZNS1_14partition_implILS5_9ELb0ES3_jN6thrust23THRUST_200600_302600_NS6detail15normal_iteratorINS9_10device_ptrIyEEEESE_PNS0_10empty_typeENS0_5tupleIJSE_SF_EEENSH_IJSE_SG_EEENS0_18inequality_wrapperINS9_8equal_toIyEEEEPmJSF_EEE10hipError_tPvRmT3_T4_T5_T6_T7_T9_mT8_P12ihipStream_tbDpT10_ENKUlT_T0_E_clISt17integral_constantIbLb0EES17_IbLb1EEEEDaS13_S14_EUlS13_E_NS1_11comp_targetILNS1_3genE9ELNS1_11target_archE1100ELNS1_3gpuE3ELNS1_3repE0EEENS1_30default_config_static_selectorELNS0_4arch9wavefront6targetE0EEEvT1_,"axG",@progbits,_ZN7rocprim17ROCPRIM_400000_NS6detail17trampoline_kernelINS0_14default_configENS1_25partition_config_selectorILNS1_17partition_subalgoE9EyybEEZZNS1_14partition_implILS5_9ELb0ES3_jN6thrust23THRUST_200600_302600_NS6detail15normal_iteratorINS9_10device_ptrIyEEEESE_PNS0_10empty_typeENS0_5tupleIJSE_SF_EEENSH_IJSE_SG_EEENS0_18inequality_wrapperINS9_8equal_toIyEEEEPmJSF_EEE10hipError_tPvRmT3_T4_T5_T6_T7_T9_mT8_P12ihipStream_tbDpT10_ENKUlT_T0_E_clISt17integral_constantIbLb0EES17_IbLb1EEEEDaS13_S14_EUlS13_E_NS1_11comp_targetILNS1_3genE9ELNS1_11target_archE1100ELNS1_3gpuE3ELNS1_3repE0EEENS1_30default_config_static_selectorELNS0_4arch9wavefront6targetE0EEEvT1_,comdat
	.protected	_ZN7rocprim17ROCPRIM_400000_NS6detail17trampoline_kernelINS0_14default_configENS1_25partition_config_selectorILNS1_17partition_subalgoE9EyybEEZZNS1_14partition_implILS5_9ELb0ES3_jN6thrust23THRUST_200600_302600_NS6detail15normal_iteratorINS9_10device_ptrIyEEEESE_PNS0_10empty_typeENS0_5tupleIJSE_SF_EEENSH_IJSE_SG_EEENS0_18inequality_wrapperINS9_8equal_toIyEEEEPmJSF_EEE10hipError_tPvRmT3_T4_T5_T6_T7_T9_mT8_P12ihipStream_tbDpT10_ENKUlT_T0_E_clISt17integral_constantIbLb0EES17_IbLb1EEEEDaS13_S14_EUlS13_E_NS1_11comp_targetILNS1_3genE9ELNS1_11target_archE1100ELNS1_3gpuE3ELNS1_3repE0EEENS1_30default_config_static_selectorELNS0_4arch9wavefront6targetE0EEEvT1_ ; -- Begin function _ZN7rocprim17ROCPRIM_400000_NS6detail17trampoline_kernelINS0_14default_configENS1_25partition_config_selectorILNS1_17partition_subalgoE9EyybEEZZNS1_14partition_implILS5_9ELb0ES3_jN6thrust23THRUST_200600_302600_NS6detail15normal_iteratorINS9_10device_ptrIyEEEESE_PNS0_10empty_typeENS0_5tupleIJSE_SF_EEENSH_IJSE_SG_EEENS0_18inequality_wrapperINS9_8equal_toIyEEEEPmJSF_EEE10hipError_tPvRmT3_T4_T5_T6_T7_T9_mT8_P12ihipStream_tbDpT10_ENKUlT_T0_E_clISt17integral_constantIbLb0EES17_IbLb1EEEEDaS13_S14_EUlS13_E_NS1_11comp_targetILNS1_3genE9ELNS1_11target_archE1100ELNS1_3gpuE3ELNS1_3repE0EEENS1_30default_config_static_selectorELNS0_4arch9wavefront6targetE0EEEvT1_
	.globl	_ZN7rocprim17ROCPRIM_400000_NS6detail17trampoline_kernelINS0_14default_configENS1_25partition_config_selectorILNS1_17partition_subalgoE9EyybEEZZNS1_14partition_implILS5_9ELb0ES3_jN6thrust23THRUST_200600_302600_NS6detail15normal_iteratorINS9_10device_ptrIyEEEESE_PNS0_10empty_typeENS0_5tupleIJSE_SF_EEENSH_IJSE_SG_EEENS0_18inequality_wrapperINS9_8equal_toIyEEEEPmJSF_EEE10hipError_tPvRmT3_T4_T5_T6_T7_T9_mT8_P12ihipStream_tbDpT10_ENKUlT_T0_E_clISt17integral_constantIbLb0EES17_IbLb1EEEEDaS13_S14_EUlS13_E_NS1_11comp_targetILNS1_3genE9ELNS1_11target_archE1100ELNS1_3gpuE3ELNS1_3repE0EEENS1_30default_config_static_selectorELNS0_4arch9wavefront6targetE0EEEvT1_
	.p2align	8
	.type	_ZN7rocprim17ROCPRIM_400000_NS6detail17trampoline_kernelINS0_14default_configENS1_25partition_config_selectorILNS1_17partition_subalgoE9EyybEEZZNS1_14partition_implILS5_9ELb0ES3_jN6thrust23THRUST_200600_302600_NS6detail15normal_iteratorINS9_10device_ptrIyEEEESE_PNS0_10empty_typeENS0_5tupleIJSE_SF_EEENSH_IJSE_SG_EEENS0_18inequality_wrapperINS9_8equal_toIyEEEEPmJSF_EEE10hipError_tPvRmT3_T4_T5_T6_T7_T9_mT8_P12ihipStream_tbDpT10_ENKUlT_T0_E_clISt17integral_constantIbLb0EES17_IbLb1EEEEDaS13_S14_EUlS13_E_NS1_11comp_targetILNS1_3genE9ELNS1_11target_archE1100ELNS1_3gpuE3ELNS1_3repE0EEENS1_30default_config_static_selectorELNS0_4arch9wavefront6targetE0EEEvT1_,@function
_ZN7rocprim17ROCPRIM_400000_NS6detail17trampoline_kernelINS0_14default_configENS1_25partition_config_selectorILNS1_17partition_subalgoE9EyybEEZZNS1_14partition_implILS5_9ELb0ES3_jN6thrust23THRUST_200600_302600_NS6detail15normal_iteratorINS9_10device_ptrIyEEEESE_PNS0_10empty_typeENS0_5tupleIJSE_SF_EEENSH_IJSE_SG_EEENS0_18inequality_wrapperINS9_8equal_toIyEEEEPmJSF_EEE10hipError_tPvRmT3_T4_T5_T6_T7_T9_mT8_P12ihipStream_tbDpT10_ENKUlT_T0_E_clISt17integral_constantIbLb0EES17_IbLb1EEEEDaS13_S14_EUlS13_E_NS1_11comp_targetILNS1_3genE9ELNS1_11target_archE1100ELNS1_3gpuE3ELNS1_3repE0EEENS1_30default_config_static_selectorELNS0_4arch9wavefront6targetE0EEEvT1_: ; @_ZN7rocprim17ROCPRIM_400000_NS6detail17trampoline_kernelINS0_14default_configENS1_25partition_config_selectorILNS1_17partition_subalgoE9EyybEEZZNS1_14partition_implILS5_9ELb0ES3_jN6thrust23THRUST_200600_302600_NS6detail15normal_iteratorINS9_10device_ptrIyEEEESE_PNS0_10empty_typeENS0_5tupleIJSE_SF_EEENSH_IJSE_SG_EEENS0_18inequality_wrapperINS9_8equal_toIyEEEEPmJSF_EEE10hipError_tPvRmT3_T4_T5_T6_T7_T9_mT8_P12ihipStream_tbDpT10_ENKUlT_T0_E_clISt17integral_constantIbLb0EES17_IbLb1EEEEDaS13_S14_EUlS13_E_NS1_11comp_targetILNS1_3genE9ELNS1_11target_archE1100ELNS1_3gpuE3ELNS1_3repE0EEENS1_30default_config_static_selectorELNS0_4arch9wavefront6targetE0EEEvT1_
; %bb.0:
	s_clause 0x4
	s_load_b128 s[4:7], s[0:1], 0x8
	s_load_b64 s[8:9], s[0:1], 0x18
	s_load_b128 s[12:15], s[0:1], 0x40
	s_load_b64 s[10:11], s[0:1], 0x50
	s_load_b64 s[20:21], s[0:1], 0x60
	v_cmp_ne_u32_e64 s3, 0, v0
	v_cmp_eq_u32_e64 s2, 0, v0
	s_delay_alu instid0(VALU_DEP_1)
	s_and_saveexec_b32 s16, s2
	s_cbranch_execz .LBB175_4
; %bb.1:
	s_mov_b32 s18, exec_lo
	s_mov_b32 s17, exec_lo
	v_mbcnt_lo_u32_b32 v1, s18, 0
                                        ; implicit-def: $vgpr2
	s_delay_alu instid0(VALU_DEP_1)
	v_cmpx_eq_u32_e32 0, v1
	s_cbranch_execz .LBB175_3
; %bb.2:
	s_load_b64 s[22:23], s[0:1], 0x70
	s_bcnt1_i32_b32 s18, s18
	s_delay_alu instid0(SALU_CYCLE_1)
	v_dual_mov_b32 v2, 0 :: v_dual_mov_b32 v3, s18
	s_waitcnt lgkmcnt(0)
	global_atomic_add_u32 v2, v2, v3, s[22:23] glc
.LBB175_3:
	s_or_b32 exec_lo, exec_lo, s17
	s_waitcnt vmcnt(0)
	v_readfirstlane_b32 s17, v2
	s_delay_alu instid0(VALU_DEP_1)
	v_dual_mov_b32 v2, 0 :: v_dual_add_nc_u32 v1, s17, v1
	ds_store_b32 v2, v1
.LBB175_4:
	s_or_b32 exec_lo, exec_lo, s16
	v_mov_b32_e32 v1, 0
	s_clause 0x1
	s_load_b128 s[16:19], s[0:1], 0x28
	s_load_b32 s0, s[0:1], 0x68
	s_waitcnt lgkmcnt(0)
	s_barrier
	buffer_gl0_inv
	ds_load_b32 v3, v1
	s_waitcnt lgkmcnt(0)
	s_barrier
	buffer_gl0_inv
	global_load_b64 v[1:2], v1, s[14:15]
	s_lshl_b64 s[14:15], s[6:7], 3
	s_mov_b32 s1, 0
	s_add_u32 s27, s4, s14
	s_addc_u32 s28, s5, s15
	v_lshlrev_b32_e32 v55, 3, v0
	v_lshrrev_b32_e32 v34, 2, v0
	v_or_b32_e32 v39, 0x200, v0
	v_or_b32_e32 v38, 0x400, v0
	;; [unrolled: 1-line block ×5, first 2 shown]
	s_add_i32 s22, s0, -1
	s_lshl_b32 s5, s0, 12
	s_lshl_b32 s4, s22, 12
	v_or_b32_e32 v33, 0xc00, v0
	v_readfirstlane_b32 s24, v3
	s_add_i32 s4, s6, s4
	v_or_b32_e32 v36, 0xe00, v0
	s_sub_i32 s25, s10, s4
	s_delay_alu instid0(VALU_DEP_2)
	s_lshl_b32 s0, s24, 12
	s_add_u32 s4, s6, s5
	s_addc_u32 s5, s7, 0
	s_cmp_eq_u32 s24, s22
	v_cmp_ge_u64_e64 s4, s[4:5], s[10:11]
	s_cselect_b32 s22, -1, 0
	s_delay_alu instid0(VALU_DEP_1) | instid1(SALU_CYCLE_1)
	s_and_b32 s26, s4, s22
	s_lshl_b64 s[4:5], s[0:1], 3
	s_xor_b32 s23, s26, -1
	s_add_u32 s27, s27, s4
	s_addc_u32 s1, s28, s5
	s_and_b32 vcc_lo, exec_lo, s23
	s_mov_b32 s28, -1
	s_waitcnt vmcnt(0)
	v_readfirstlane_b32 s10, v1
	v_readfirstlane_b32 s11, v2
	s_cbranch_vccz .LBB175_6
; %bb.5:
	v_add_co_u32 v1, s0, s27, v55
	s_delay_alu instid0(VALU_DEP_1) | instskip(SKIP_1) | instid1(VALU_DEP_3)
	v_add_co_ci_u32_e64 v2, null, s1, 0, s0
	v_lshrrev_b32_e32 v18, 2, v39
	v_add_co_u32 v3, vcc_lo, 0x1000, v1
	s_delay_alu instid0(VALU_DEP_3)
	v_add_co_ci_u32_e32 v4, vcc_lo, 0, v2, vcc_lo
	v_add_co_u32 v5, vcc_lo, 0x2000, v1
	v_add_co_ci_u32_e32 v6, vcc_lo, 0, v2, vcc_lo
	v_add_co_u32 v7, vcc_lo, 0x3000, v1
	;; [unrolled: 2-line block ×6, first 2 shown]
	v_add_co_ci_u32_e32 v16, vcc_lo, 0, v2, vcc_lo
	s_clause 0x7
	flat_load_b64 v[1:2], v[1:2]
	flat_load_b64 v[3:4], v[3:4]
	;; [unrolled: 1-line block ×8, first 2 shown]
	v_lshrrev_b32_e32 v19, 2, v38
	v_lshrrev_b32_e32 v20, 2, v40
	;; [unrolled: 1-line block ×3, first 2 shown]
	v_and_b32_e32 v17, 0x78, v34
	v_lshrrev_b32_e32 v22, 2, v35
	v_lshrrev_b32_e32 v23, 2, v33
	;; [unrolled: 1-line block ×3, first 2 shown]
	v_and_b32_e32 v18, 0xf8, v18
	v_and_b32_e32 v19, 0x178, v19
	;; [unrolled: 1-line block ×4, first 2 shown]
	v_add_nc_u32_e32 v17, v17, v55
	v_and_b32_e32 v22, 0x2f8, v22
	v_and_b32_e32 v23, 0x378, v23
	;; [unrolled: 1-line block ×3, first 2 shown]
	v_add_nc_u32_e32 v18, v18, v55
	v_add_nc_u32_e32 v19, v19, v55
	;; [unrolled: 1-line block ×4, first 2 shown]
	s_mov_b32 s28, 0
	v_add_nc_u32_e32 v22, v22, v55
	v_add_nc_u32_e32 v23, v23, v55
	;; [unrolled: 1-line block ×3, first 2 shown]
	s_waitcnt vmcnt(7) lgkmcnt(7)
	ds_store_b64 v17, v[1:2]
	s_waitcnt vmcnt(6) lgkmcnt(7)
	ds_store_b64 v18, v[3:4] offset:4096
	s_waitcnt vmcnt(5) lgkmcnt(7)
	ds_store_b64 v19, v[5:6] offset:8192
	;; [unrolled: 2-line block ×7, first 2 shown]
	s_waitcnt lgkmcnt(0)
	s_barrier
.LBB175_6:
	v_cmp_gt_u32_e64 s0, s25, v0
	s_and_not1_b32 vcc_lo, exec_lo, s28
	s_cbranch_vccnz .LBB175_24
; %bb.7:
                                        ; implicit-def: $vgpr1_vgpr2_vgpr3_vgpr4_vgpr5_vgpr6_vgpr7_vgpr8_vgpr9_vgpr10_vgpr11_vgpr12_vgpr13_vgpr14_vgpr15_vgpr16
	s_delay_alu instid0(VALU_DEP_1)
	s_and_saveexec_b32 s28, s0
	s_cbranch_execz .LBB175_15
; %bb.8:
	v_add_co_u32 v1, s0, s27, v55
	s_delay_alu instid0(VALU_DEP_1) | instskip(SKIP_2) | instid1(SALU_CYCLE_1)
	v_add_co_ci_u32_e64 v2, null, s1, 0, s0
	flat_load_b64 v[1:2], v[1:2]
	s_or_b32 exec_lo, exec_lo, s28
	s_mov_b32 s0, exec_lo
	v_cmpx_gt_u32_e64 s25, v39
	s_cbranch_execnz .LBB175_16
.LBB175_9:
	s_or_b32 exec_lo, exec_lo, s0
	s_delay_alu instid0(SALU_CYCLE_1)
	s_mov_b32 s0, exec_lo
	v_cmpx_gt_u32_e64 s25, v38
	s_cbranch_execz .LBB175_17
.LBB175_10:
	v_lshlrev_b32_e32 v5, 3, v38
	s_delay_alu instid0(VALU_DEP_1) | instskip(NEXT) | instid1(VALU_DEP_1)
	v_add_co_u32 v5, s28, s27, v5
	v_add_co_ci_u32_e64 v6, null, s1, 0, s28
	flat_load_b64 v[5:6], v[5:6]
	s_or_b32 exec_lo, exec_lo, s0
	s_delay_alu instid0(SALU_CYCLE_1)
	s_mov_b32 s0, exec_lo
	v_cmpx_gt_u32_e64 s25, v40
	s_cbranch_execnz .LBB175_18
.LBB175_11:
	s_or_b32 exec_lo, exec_lo, s0
	s_delay_alu instid0(SALU_CYCLE_1)
	s_mov_b32 s0, exec_lo
	v_cmpx_gt_u32_e64 s25, v37
	s_cbranch_execz .LBB175_19
.LBB175_12:
	v_lshlrev_b32_e32 v9, 3, v37
	s_delay_alu instid0(VALU_DEP_1) | instskip(NEXT) | instid1(VALU_DEP_1)
	v_add_co_u32 v9, s28, s27, v9
	v_add_co_ci_u32_e64 v10, null, s1, 0, s28
	flat_load_b64 v[9:10], v[9:10]
	s_or_b32 exec_lo, exec_lo, s0
	s_delay_alu instid0(SALU_CYCLE_1)
	s_mov_b32 s0, exec_lo
	v_cmpx_gt_u32_e64 s25, v35
	s_cbranch_execnz .LBB175_20
.LBB175_13:
	s_or_b32 exec_lo, exec_lo, s0
	s_delay_alu instid0(SALU_CYCLE_1)
	s_mov_b32 s0, exec_lo
	v_cmpx_gt_u32_e64 s25, v33
	s_cbranch_execz .LBB175_21
.LBB175_14:
	v_lshlrev_b32_e32 v13, 3, v33
	s_delay_alu instid0(VALU_DEP_1) | instskip(NEXT) | instid1(VALU_DEP_1)
	v_add_co_u32 v13, s28, s27, v13
	v_add_co_ci_u32_e64 v14, null, s1, 0, s28
	flat_load_b64 v[13:14], v[13:14]
	s_or_b32 exec_lo, exec_lo, s0
	s_delay_alu instid0(SALU_CYCLE_1)
	s_mov_b32 s0, exec_lo
	v_cmpx_gt_u32_e64 s25, v36
	s_cbranch_execnz .LBB175_22
	s_branch .LBB175_23
.LBB175_15:
	s_or_b32 exec_lo, exec_lo, s28
	s_delay_alu instid0(SALU_CYCLE_1)
	s_mov_b32 s0, exec_lo
	v_cmpx_gt_u32_e64 s25, v39
	s_cbranch_execz .LBB175_9
.LBB175_16:
	v_lshlrev_b32_e32 v3, 3, v39
	s_delay_alu instid0(VALU_DEP_1) | instskip(NEXT) | instid1(VALU_DEP_1)
	v_add_co_u32 v3, s28, s27, v3
	v_add_co_ci_u32_e64 v4, null, s1, 0, s28
	flat_load_b64 v[3:4], v[3:4]
	s_or_b32 exec_lo, exec_lo, s0
	s_delay_alu instid0(SALU_CYCLE_1)
	s_mov_b32 s0, exec_lo
	v_cmpx_gt_u32_e64 s25, v38
	s_cbranch_execnz .LBB175_10
.LBB175_17:
	s_or_b32 exec_lo, exec_lo, s0
	s_delay_alu instid0(SALU_CYCLE_1)
	s_mov_b32 s0, exec_lo
	v_cmpx_gt_u32_e64 s25, v40
	s_cbranch_execz .LBB175_11
.LBB175_18:
	v_lshlrev_b32_e32 v7, 3, v40
	s_delay_alu instid0(VALU_DEP_1) | instskip(NEXT) | instid1(VALU_DEP_1)
	v_add_co_u32 v7, s28, s27, v7
	v_add_co_ci_u32_e64 v8, null, s1, 0, s28
	flat_load_b64 v[7:8], v[7:8]
	s_or_b32 exec_lo, exec_lo, s0
	s_delay_alu instid0(SALU_CYCLE_1)
	s_mov_b32 s0, exec_lo
	v_cmpx_gt_u32_e64 s25, v37
	s_cbranch_execnz .LBB175_12
.LBB175_19:
	s_or_b32 exec_lo, exec_lo, s0
	s_delay_alu instid0(SALU_CYCLE_1)
	s_mov_b32 s0, exec_lo
	v_cmpx_gt_u32_e64 s25, v35
	s_cbranch_execz .LBB175_13
.LBB175_20:
	v_lshlrev_b32_e32 v11, 3, v35
	s_delay_alu instid0(VALU_DEP_1) | instskip(NEXT) | instid1(VALU_DEP_1)
	v_add_co_u32 v11, s28, s27, v11
	v_add_co_ci_u32_e64 v12, null, s1, 0, s28
	flat_load_b64 v[11:12], v[11:12]
	s_or_b32 exec_lo, exec_lo, s0
	s_delay_alu instid0(SALU_CYCLE_1)
	s_mov_b32 s0, exec_lo
	v_cmpx_gt_u32_e64 s25, v33
	s_cbranch_execnz .LBB175_14
.LBB175_21:
	s_or_b32 exec_lo, exec_lo, s0
	s_delay_alu instid0(SALU_CYCLE_1)
	s_mov_b32 s0, exec_lo
	v_cmpx_gt_u32_e64 s25, v36
	s_cbranch_execz .LBB175_23
.LBB175_22:
	v_lshlrev_b32_e32 v15, 3, v36
	s_delay_alu instid0(VALU_DEP_1) | instskip(NEXT) | instid1(VALU_DEP_1)
	v_add_co_u32 v15, s28, s27, v15
	v_add_co_ci_u32_e64 v16, null, s1, 0, s28
	flat_load_b64 v[15:16], v[15:16]
.LBB175_23:
	s_or_b32 exec_lo, exec_lo, s0
	v_lshrrev_b32_e32 v17, 2, v39
	v_lshrrev_b32_e32 v18, 2, v38
	;; [unrolled: 1-line block ×4, first 2 shown]
	v_and_b32_e32 v19, 0x78, v34
	v_lshrrev_b32_e32 v22, 2, v35
	v_lshrrev_b32_e32 v23, 2, v33
	;; [unrolled: 1-line block ×3, first 2 shown]
	v_and_b32_e32 v17, 0xf8, v17
	v_and_b32_e32 v18, 0x1f8, v18
	;; [unrolled: 1-line block ×4, first 2 shown]
	v_add_nc_u32_e32 v19, v19, v55
	v_and_b32_e32 v22, 0x3f8, v22
	v_and_b32_e32 v23, 0x3f8, v23
	;; [unrolled: 1-line block ×3, first 2 shown]
	v_add_nc_u32_e32 v17, v17, v55
	v_add_nc_u32_e32 v18, v18, v55
	;; [unrolled: 1-line block ×7, first 2 shown]
	s_waitcnt vmcnt(0) lgkmcnt(0)
	ds_store_b64 v19, v[1:2]
	ds_store_b64 v17, v[3:4] offset:4096
	ds_store_b64 v18, v[5:6] offset:8192
	;; [unrolled: 1-line block ×7, first 2 shown]
	s_waitcnt lgkmcnt(0)
	s_barrier
.LBB175_24:
	v_add_lshl_u32 v41, v34, v55, 3
	buffer_gl0_inv
	s_add_u32 s0, s8, s14
	s_addc_u32 s8, s9, s15
	s_add_u32 s0, s0, s4
	ds_load_2addr_b64 v[29:32], v41 offset1:1
	ds_load_2addr_b64 v[25:28], v41 offset0:2 offset1:3
	ds_load_2addr_b64 v[21:24], v41 offset0:4 offset1:5
	;; [unrolled: 1-line block ×3, first 2 shown]
	s_addc_u32 s4, s8, s5
	s_and_b32 vcc_lo, exec_lo, s23
	s_mov_b32 s5, -1
	s_waitcnt lgkmcnt(0)
	s_barrier
	buffer_gl0_inv
	s_cbranch_vccz .LBB175_26
; %bb.25:
	v_add_co_u32 v1, s5, s0, v55
	s_delay_alu instid0(VALU_DEP_1) | instskip(SKIP_1) | instid1(VALU_DEP_3)
	v_add_co_ci_u32_e64 v2, null, s4, 0, s5
	v_lshrrev_b32_e32 v43, 2, v39
	v_add_co_u32 v3, vcc_lo, 0x1000, v1
	s_delay_alu instid0(VALU_DEP_3)
	v_add_co_ci_u32_e32 v4, vcc_lo, 0, v2, vcc_lo
	v_add_co_u32 v5, vcc_lo, 0x2000, v1
	v_add_co_ci_u32_e32 v6, vcc_lo, 0, v2, vcc_lo
	v_add_co_u32 v7, vcc_lo, 0x3000, v1
	;; [unrolled: 2-line block ×6, first 2 shown]
	v_add_co_ci_u32_e32 v16, vcc_lo, 0, v2, vcc_lo
	s_clause 0x7
	flat_load_b64 v[1:2], v[1:2]
	flat_load_b64 v[3:4], v[3:4]
	;; [unrolled: 1-line block ×8, first 2 shown]
	v_lshrrev_b32_e32 v44, 2, v38
	v_lshrrev_b32_e32 v45, 2, v40
	;; [unrolled: 1-line block ×3, first 2 shown]
	v_and_b32_e32 v42, 0x78, v34
	v_lshrrev_b32_e32 v47, 2, v35
	v_lshrrev_b32_e32 v48, 2, v33
	;; [unrolled: 1-line block ×3, first 2 shown]
	v_and_b32_e32 v43, 0xf8, v43
	v_and_b32_e32 v44, 0x178, v44
	;; [unrolled: 1-line block ×4, first 2 shown]
	v_add_nc_u32_e32 v42, v42, v55
	v_and_b32_e32 v47, 0x2f8, v47
	v_and_b32_e32 v48, 0x378, v48
	;; [unrolled: 1-line block ×3, first 2 shown]
	v_add_nc_u32_e32 v43, v43, v55
	v_add_nc_u32_e32 v44, v44, v55
	;; [unrolled: 1-line block ×4, first 2 shown]
	s_mov_b32 s5, 0
	v_add_nc_u32_e32 v47, v47, v55
	v_add_nc_u32_e32 v48, v48, v55
	;; [unrolled: 1-line block ×3, first 2 shown]
	s_waitcnt vmcnt(7) lgkmcnt(7)
	ds_store_b64 v42, v[1:2]
	s_waitcnt vmcnt(6) lgkmcnt(7)
	ds_store_b64 v43, v[3:4] offset:4096
	s_waitcnt vmcnt(5) lgkmcnt(7)
	ds_store_b64 v44, v[5:6] offset:8192
	;; [unrolled: 2-line block ×7, first 2 shown]
	s_waitcnt lgkmcnt(0)
	s_barrier
.LBB175_26:
	s_and_not1_b32 vcc_lo, exec_lo, s5
	s_cbranch_vccnz .LBB175_44
; %bb.27:
	s_mov_b32 s5, exec_lo
                                        ; implicit-def: $vgpr1_vgpr2
	v_cmpx_gt_u32_e64 s25, v0
	s_cbranch_execz .LBB175_29
; %bb.28:
	v_add_co_u32 v1, s8, s0, v55
	s_delay_alu instid0(VALU_DEP_1)
	v_add_co_ci_u32_e64 v2, null, s4, 0, s8
	flat_load_b64 v[1:2], v[1:2]
.LBB175_29:
	s_or_b32 exec_lo, exec_lo, s5
	s_delay_alu instid0(SALU_CYCLE_1)
	s_mov_b32 s5, exec_lo
                                        ; implicit-def: $vgpr3_vgpr4
	v_cmpx_gt_u32_e64 s25, v39
	s_cbranch_execz .LBB175_31
; %bb.30:
	v_lshlrev_b32_e32 v3, 3, v39
	s_delay_alu instid0(VALU_DEP_1) | instskip(NEXT) | instid1(VALU_DEP_1)
	v_add_co_u32 v3, s8, s0, v3
	v_add_co_ci_u32_e64 v4, null, s4, 0, s8
	flat_load_b64 v[3:4], v[3:4]
.LBB175_31:
	s_or_b32 exec_lo, exec_lo, s5
	s_delay_alu instid0(SALU_CYCLE_1)
	s_mov_b32 s5, exec_lo
                                        ; implicit-def: $vgpr5_vgpr6
	v_cmpx_gt_u32_e64 s25, v38
	s_cbranch_execz .LBB175_33
; %bb.32:
	v_lshlrev_b32_e32 v5, 3, v38
	s_delay_alu instid0(VALU_DEP_1) | instskip(NEXT) | instid1(VALU_DEP_1)
	v_add_co_u32 v5, s8, s0, v5
	v_add_co_ci_u32_e64 v6, null, s4, 0, s8
	flat_load_b64 v[5:6], v[5:6]
.LBB175_33:
	s_or_b32 exec_lo, exec_lo, s5
	s_delay_alu instid0(SALU_CYCLE_1)
	s_mov_b32 s5, exec_lo
                                        ; implicit-def: $vgpr7_vgpr8
	v_cmpx_gt_u32_e64 s25, v40
	s_cbranch_execz .LBB175_35
; %bb.34:
	v_lshlrev_b32_e32 v7, 3, v40
	s_delay_alu instid0(VALU_DEP_1) | instskip(NEXT) | instid1(VALU_DEP_1)
	v_add_co_u32 v7, s8, s0, v7
	v_add_co_ci_u32_e64 v8, null, s4, 0, s8
	flat_load_b64 v[7:8], v[7:8]
.LBB175_35:
	s_or_b32 exec_lo, exec_lo, s5
	s_delay_alu instid0(SALU_CYCLE_1)
	s_mov_b32 s5, exec_lo
                                        ; implicit-def: $vgpr9_vgpr10
	v_cmpx_gt_u32_e64 s25, v37
	s_cbranch_execz .LBB175_37
; %bb.36:
	v_lshlrev_b32_e32 v9, 3, v37
	s_delay_alu instid0(VALU_DEP_1) | instskip(NEXT) | instid1(VALU_DEP_1)
	v_add_co_u32 v9, s8, s0, v9
	v_add_co_ci_u32_e64 v10, null, s4, 0, s8
	flat_load_b64 v[9:10], v[9:10]
.LBB175_37:
	s_or_b32 exec_lo, exec_lo, s5
	s_delay_alu instid0(SALU_CYCLE_1)
	s_mov_b32 s5, exec_lo
                                        ; implicit-def: $vgpr11_vgpr12
	v_cmpx_gt_u32_e64 s25, v35
	s_cbranch_execz .LBB175_39
; %bb.38:
	v_lshlrev_b32_e32 v11, 3, v35
	s_delay_alu instid0(VALU_DEP_1) | instskip(NEXT) | instid1(VALU_DEP_1)
	v_add_co_u32 v11, s8, s0, v11
	v_add_co_ci_u32_e64 v12, null, s4, 0, s8
	flat_load_b64 v[11:12], v[11:12]
.LBB175_39:
	s_or_b32 exec_lo, exec_lo, s5
	s_delay_alu instid0(SALU_CYCLE_1)
	s_mov_b32 s5, exec_lo
                                        ; implicit-def: $vgpr13_vgpr14
	v_cmpx_gt_u32_e64 s25, v33
	s_cbranch_execz .LBB175_41
; %bb.40:
	v_lshlrev_b32_e32 v13, 3, v33
	s_delay_alu instid0(VALU_DEP_1) | instskip(NEXT) | instid1(VALU_DEP_1)
	v_add_co_u32 v13, s8, s0, v13
	v_add_co_ci_u32_e64 v14, null, s4, 0, s8
	flat_load_b64 v[13:14], v[13:14]
.LBB175_41:
	s_or_b32 exec_lo, exec_lo, s5
	s_delay_alu instid0(SALU_CYCLE_1)
	s_mov_b32 s5, exec_lo
                                        ; implicit-def: $vgpr15_vgpr16
	v_cmpx_gt_u32_e64 s25, v36
	s_cbranch_execz .LBB175_43
; %bb.42:
	v_lshlrev_b32_e32 v15, 3, v36
	s_delay_alu instid0(VALU_DEP_1) | instskip(NEXT) | instid1(VALU_DEP_1)
	v_add_co_u32 v15, s0, s0, v15
	v_add_co_ci_u32_e64 v16, null, s4, 0, s0
	flat_load_b64 v[15:16], v[15:16]
.LBB175_43:
	s_or_b32 exec_lo, exec_lo, s5
	v_lshrrev_b32_e32 v39, 2, v39
	v_lshrrev_b32_e32 v38, 2, v38
	;; [unrolled: 1-line block ×4, first 2 shown]
	v_and_b32_e32 v34, 0x78, v34
	v_lshrrev_b32_e32 v35, 2, v35
	v_lshrrev_b32_e32 v33, 2, v33
	;; [unrolled: 1-line block ×3, first 2 shown]
	v_and_b32_e32 v39, 0xf8, v39
	v_and_b32_e32 v38, 0x1f8, v38
	v_and_b32_e32 v40, 0x1f8, v40
	v_and_b32_e32 v37, 0x3f8, v37
	v_add_nc_u32_e32 v34, v34, v55
	v_and_b32_e32 v35, 0x3f8, v35
	v_and_b32_e32 v33, 0x3f8, v33
	;; [unrolled: 1-line block ×3, first 2 shown]
	v_add_nc_u32_e32 v39, v39, v55
	v_add_nc_u32_e32 v38, v38, v55
	;; [unrolled: 1-line block ×7, first 2 shown]
	s_waitcnt vmcnt(0) lgkmcnt(0)
	ds_store_b64 v34, v[1:2]
	ds_store_b64 v39, v[3:4] offset:4096
	ds_store_b64 v38, v[5:6] offset:8192
	;; [unrolled: 1-line block ×7, first 2 shown]
	s_waitcnt lgkmcnt(0)
	s_barrier
.LBB175_44:
	buffer_gl0_inv
	ds_load_2addr_b64 v[13:16], v41 offset1:1
	ds_load_2addr_b64 v[9:12], v41 offset0:2 offset1:3
	ds_load_2addr_b64 v[5:8], v41 offset0:4 offset1:5
	;; [unrolled: 1-line block ×3, first 2 shown]
	s_cmp_lg_u32 s24, 0
	s_mov_b32 s14, 0
	s_cselect_b32 s9, -1, 0
	s_cmp_lg_u64 s[6:7], 0
	s_waitcnt lgkmcnt(0)
	s_cselect_b32 s0, -1, 0
	s_barrier
	s_or_b32 s0, s0, s9
	buffer_gl0_inv
	s_and_b32 vcc_lo, exec_lo, s0
	s_cbranch_vccz .LBB175_49
; %bb.45:
	v_add_co_u32 v33, s0, -8, s27
	s_delay_alu instid0(VALU_DEP_1)
	v_add_co_ci_u32_e64 v34, null, -1, s1, s0
	s_mov_b32 s1, -1
	s_and_b32 vcc_lo, exec_lo, s23
	flat_load_b64 v[35:36], v[33:34]
	ds_store_b64 v55, v[19:20]
	s_cbranch_vccz .LBB175_50
; %bb.46:
	s_waitcnt vmcnt(0) lgkmcnt(1)
	v_dual_mov_b32 v33, v35 :: v_dual_mov_b32 v34, v36
	s_waitcnt lgkmcnt(0)
	s_barrier
	buffer_gl0_inv
	s_and_saveexec_b32 s0, s3
	s_cbranch_execz .LBB175_48
; %bb.47:
	v_add_nc_u32_e32 v33, -8, v55
	ds_load_b64 v[33:34], v33
.LBB175_48:
	s_or_b32 exec_lo, exec_lo, s0
	v_cmp_ne_u64_e32 vcc_lo, v[17:18], v[19:20]
	s_waitcnt lgkmcnt(0)
	v_cmp_ne_u64_e64 s0, v[33:34], v[29:30]
	v_cndmask_b32_e64 v37, 0, 1, vcc_lo
	v_cmp_ne_u64_e32 vcc_lo, v[23:24], v[17:18]
	s_delay_alu instid0(VALU_DEP_2) | instskip(SKIP_2) | instid1(VALU_DEP_2)
	v_lshlrev_b16 v37, 8, v37
	v_cndmask_b32_e64 v38, 0, 1, vcc_lo
	v_cmp_ne_u64_e32 vcc_lo, v[21:22], v[23:24]
	v_or_b32_e32 v37, v38, v37
	v_cndmask_b32_e64 v39, 0, 1, vcc_lo
	v_cmp_ne_u64_e32 vcc_lo, v[25:26], v[27:28]
	s_delay_alu instid0(VALU_DEP_3) | instskip(NEXT) | instid1(VALU_DEP_3)
	v_lshlrev_b32_e32 v37, 16, v37
	v_lshlrev_b16 v39, 8, v39
	v_cndmask_b32_e64 v40, 0, 1, vcc_lo
	v_cmp_ne_u64_e32 vcc_lo, v[27:28], v[21:22]
	s_delay_alu instid0(VALU_DEP_2) | instskip(SKIP_2) | instid1(VALU_DEP_2)
	v_lshlrev_b16 v40, 8, v40
	v_cndmask_b32_e64 v41, 0, 1, vcc_lo
	v_cmp_ne_u64_e32 vcc_lo, v[31:32], v[25:26]
	v_or_b32_e32 v39, v41, v39
	v_cndmask_b32_e64 v42, 0, 1, vcc_lo
	v_cmp_ne_u64_e32 vcc_lo, v[29:30], v[31:32]
	s_delay_alu instid0(VALU_DEP_3) | instskip(NEXT) | instid1(VALU_DEP_3)
	v_and_b32_e32 v39, 0xffff, v39
	v_or_b32_e32 v40, v42, v40
	v_cndmask_b32_e64 v43, 0, 1, vcc_lo
	s_delay_alu instid0(VALU_DEP_3) | instskip(NEXT) | instid1(VALU_DEP_3)
	v_or_b32_e32 v34, v39, v37
	v_lshlrev_b32_e32 v38, 16, v40
	s_delay_alu instid0(VALU_DEP_3) | instskip(NEXT) | instid1(VALU_DEP_1)
	v_lshlrev_b16 v42, 8, v43
	v_and_b32_e32 v40, 0xffff, v42
	s_delay_alu instid0(VALU_DEP_1)
	v_or_b32_e32 v33, v40, v38
	s_branch .LBB175_54
.LBB175_49:
                                        ; implicit-def: $sgpr0
                                        ; implicit-def: $vgpr34
	s_branch .LBB175_55
.LBB175_50:
                                        ; implicit-def: $sgpr0
                                        ; implicit-def: $vgpr34
	s_and_b32 vcc_lo, exec_lo, s1
	s_cbranch_vccz .LBB175_54
; %bb.51:
	s_waitcnt vmcnt(0) lgkmcnt(0)
	s_barrier
	buffer_gl0_inv
	s_and_saveexec_b32 s0, s3
	s_cbranch_execz .LBB175_53
; %bb.52:
	v_add_nc_u32_e32 v33, -8, v55
	ds_load_b64 v[35:36], v33
.LBB175_53:
	s_or_b32 exec_lo, exec_lo, s0
	v_or_b32_e32 v33, 7, v55
	v_or_b32_e32 v34, 6, v55
	v_cmp_ne_u64_e32 vcc_lo, v[17:18], v[19:20]
	v_or_b32_e32 v37, 5, v55
	v_cmp_ne_u64_e64 s1, v[23:24], v[17:18]
	v_cmp_gt_u32_e64 s0, s25, v33
	v_cmp_gt_u32_e64 s4, s25, v34
	v_cmp_ne_u64_e64 s5, v[21:22], v[23:24]
	v_cmp_gt_u32_e64 s6, s25, v37
	v_or_b32_e32 v37, 3, v55
	s_and_b32 s0, s0, vcc_lo
	v_or_b32_e32 v38, 4, v55
	v_cndmask_b32_e64 v33, 0, 1, s0
	s_and_b32 s0, s4, s1
	v_cmp_ne_u64_e32 vcc_lo, v[25:26], v[27:28]
	v_cndmask_b32_e64 v34, 0, 1, s0
	s_and_b32 s0, s6, s5
	v_cmp_gt_u32_e64 s1, s25, v38
	v_cndmask_b32_e64 v39, 0, 1, s0
	v_cmp_gt_u32_e64 s0, s25, v37
	v_or_b32_e32 v37, 2, v55
	v_or_b32_e32 v38, 1, v55
	v_cmp_ne_u64_e64 s4, v[27:28], v[21:22]
	v_cmp_ne_u64_e64 s6, v[29:30], v[31:32]
	s_and_b32 s0, s0, vcc_lo
	v_cmp_ne_u64_e32 vcc_lo, v[31:32], v[25:26]
	v_cndmask_b32_e64 v40, 0, 1, s0
	v_cmp_gt_u32_e64 s0, s25, v37
	v_cmp_gt_u32_e64 s5, s25, v38
	s_and_b32 s1, s1, s4
	v_lshlrev_b16 v39, 8, v39
	v_cndmask_b32_e64 v37, 0, 1, s1
	s_and_b32 s0, s0, vcc_lo
	v_lshlrev_b16 v40, 8, v40
	v_cndmask_b32_e64 v38, 0, 1, s0
	s_and_b32 s0, s5, s6
	v_lshlrev_b16 v33, 8, v33
	v_cndmask_b32_e64 v41, 0, 1, s0
	v_or_b32_e32 v37, v37, v39
	v_or_b32_e32 v38, v38, v40
	s_waitcnt lgkmcnt(0)
	v_cmp_ne_u64_e32 vcc_lo, v[35:36], v[29:30]
	v_or_b32_e32 v33, v34, v33
	v_lshlrev_b16 v40, 8, v41
	v_and_b32_e32 v37, 0xffff, v37
	v_lshlrev_b32_e32 v34, 16, v38
	v_cmp_gt_u32_e64 s0, s25, v55
	v_lshlrev_b32_e32 v39, 16, v33
	v_and_b32_e32 v38, 0xffff, v40
	s_delay_alu instid0(VALU_DEP_3) | instskip(NEXT) | instid1(VALU_DEP_1)
	s_and_b32 s0, s0, vcc_lo
	v_or_b32_e32 v33, v38, v34
	s_delay_alu instid0(VALU_DEP_3)
	v_or_b32_e32 v34, v37, v39
.LBB175_54:
	s_mov_b32 s14, -1
	s_cbranch_execnz .LBB175_63
.LBB175_55:
	v_cmp_ne_u64_e64 s1, v[17:18], v[19:20]
	v_cmp_ne_u64_e64 s4, v[23:24], v[17:18]
	;; [unrolled: 1-line block ×7, first 2 shown]
	s_and_b32 vcc_lo, exec_lo, s23
	ds_store_b64 v55, v[19:20]
	s_cbranch_vccz .LBB175_59
; %bb.56:
	v_cndmask_b32_e64 v33, 0, 1, s1
	s_waitcnt vmcnt(0) lgkmcnt(2)
	v_cndmask_b32_e64 v35, 0, 1, s5
	v_cndmask_b32_e64 v37, 0, 1, s7
	;; [unrolled: 1-line block ×6, first 2 shown]
	v_lshlrev_b16 v35, 8, v35
	v_lshlrev_b16 v33, 8, v33
	;; [unrolled: 1-line block ×4, first 2 shown]
	s_waitcnt lgkmcnt(0)
	v_or_b32_e32 v35, v36, v35
	v_or_b32_e32 v33, v34, v33
	;; [unrolled: 1-line block ×4, first 2 shown]
	s_barrier
	v_and_b32_e32 v35, 0xffff, v35
	v_lshlrev_b32_e32 v33, 16, v33
	v_lshlrev_b32_e32 v37, 16, v34
	v_and_b32_e32 v36, 0xffff, v36
	buffer_gl0_inv
                                        ; implicit-def: $sgpr0
	v_or_b32_e32 v34, v35, v33
	v_or_b32_e32 v33, v36, v37
	s_and_saveexec_b32 s1, s3
	s_delay_alu instid0(SALU_CYCLE_1)
	s_xor_b32 s1, exec_lo, s1
	s_cbranch_execz .LBB175_58
; %bb.57:
	v_add_nc_u32_e32 v35, -8, v55
	s_or_b32 s14, s14, exec_lo
	ds_load_b64 v[35:36], v35
	s_waitcnt lgkmcnt(0)
	v_cmp_ne_u64_e32 vcc_lo, v[35:36], v[29:30]
	s_and_b32 s0, vcc_lo, exec_lo
.LBB175_58:
	s_or_b32 exec_lo, exec_lo, s1
	s_branch .LBB175_63
.LBB175_59:
                                        ; implicit-def: $sgpr0
                                        ; implicit-def: $vgpr34
	s_cbranch_execz .LBB175_63
; %bb.60:
	v_or_b32_e32 v33, 7, v55
	v_or_b32_e32 v34, 6, v55
	v_cmp_ne_u64_e32 vcc_lo, v[17:18], v[19:20]
	v_cmp_ne_u64_e64 s0, v[23:24], v[17:18]
	s_waitcnt vmcnt(0) lgkmcnt(2)
	v_or_b32_e32 v35, 4, v55
	v_cmp_gt_u32_e64 s1, s25, v33
	v_or_b32_e32 v33, 5, v55
	v_cmp_gt_u32_e64 s5, s25, v34
	v_cmp_ne_u64_e64 s4, v[21:22], v[23:24]
	v_cmp_ne_u64_e64 s6, v[27:28], v[21:22]
	s_and_b32 s1, s1, vcc_lo
	v_cmp_gt_u32_e32 vcc_lo, s25, v33
	v_cndmask_b32_e64 v34, 0, 1, s1
	v_cmp_gt_u32_e64 s1, s25, v35
	s_and_b32 s0, s5, s0
	v_or_b32_e32 v36, 3, v55
	v_cndmask_b32_e64 v33, 0, 1, s0
	s_and_b32 s0, vcc_lo, s4
	v_or_b32_e32 v38, 1, v55
	v_cndmask_b32_e64 v35, 0, 1, s0
	s_and_b32 s0, s1, s6
	v_cmp_ne_u64_e32 vcc_lo, v[25:26], v[27:28]
	v_cndmask_b32_e64 v37, 0, 1, s0
	v_cmp_gt_u32_e64 s0, s25, v36
	v_cmp_ne_u64_e64 s1, v[29:30], v[31:32]
	v_or_b32_e32 v39, 2, v55
	v_cmp_gt_u32_e64 s4, s25, v38
	v_cmp_ne_u64_e64 s5, v[31:32], v[25:26]
	s_and_b32 s0, s0, vcc_lo
	v_lshlrev_b16 v35, 8, v35
	v_cmp_gt_u32_e64 s6, s25, v39
	v_cndmask_b32_e64 v36, 0, 1, s0
	s_and_b32 s0, s4, s1
	v_lshlrev_b16 v34, 8, v34
	v_cndmask_b32_e64 v38, 0, 1, s0
	s_and_b32 s0, s6, s5
	v_lshlrev_b16 v36, 8, v36
	v_cndmask_b32_e64 v39, 0, 1, s0
	v_or_b32_e32 v35, v37, v35
	v_lshlrev_b16 v38, 8, v38
	v_or_b32_e32 v33, v33, v34
	s_waitcnt lgkmcnt(0)
	v_or_b32_e32 v34, v39, v36
	v_and_b32_e32 v35, 0xffff, v35
	v_or_b32_e32 v36, 1, v38
	v_lshlrev_b32_e32 v33, 16, v33
	s_barrier
	v_lshlrev_b32_e32 v37, 16, v34
	buffer_gl0_inv
	v_and_b32_e32 v36, 0xffff, v36
	v_or_b32_e32 v34, v35, v33
                                        ; implicit-def: $sgpr0
	s_delay_alu instid0(VALU_DEP_2)
	v_or_b32_e32 v33, v36, v37
	s_and_saveexec_b32 s1, s3
	s_cbranch_execz .LBB175_62
; %bb.61:
	v_add_nc_u32_e32 v35, -8, v55
	v_cmp_gt_u32_e64 s0, s25, v55
	s_or_b32 s14, s14, exec_lo
	ds_load_b64 v[35:36], v35
	s_waitcnt lgkmcnt(0)
	v_cmp_ne_u64_e32 vcc_lo, v[35:36], v[29:30]
	s_and_b32 s0, s0, vcc_lo
	s_delay_alu instid0(SALU_CYCLE_1)
	s_and_b32 s0, s0, exec_lo
.LBB175_62:
	s_or_b32 exec_lo, exec_lo, s1
.LBB175_63:
	s_and_saveexec_b32 s1, s14
	s_cbranch_execz .LBB175_65
; %bb.64:
	s_waitcnt vmcnt(0) lgkmcnt(1)
	v_and_b32_e32 v35, 0xffffff00, v33
	v_cndmask_b32_e64 v36, 0, 1, s0
	s_delay_alu instid0(VALU_DEP_1) | instskip(NEXT) | instid1(VALU_DEP_1)
	v_or_b32_e32 v35, v36, v35
	v_and_b32_e32 v35, 0xffff, v35
	s_delay_alu instid0(VALU_DEP_1)
	v_and_or_b32 v33, 0xffff0000, v33, v35
.LBB175_65:
	s_or_b32 exec_lo, exec_lo, s1
	s_delay_alu instid0(SALU_CYCLE_1)
	s_and_not1_b32 vcc_lo, exec_lo, s26
	s_cbranch_vccnz .LBB175_67
; %bb.66:
	v_cmp_gt_u32_e32 vcc_lo, s25, v55
	s_waitcnt vmcnt(0) lgkmcnt(1)
	v_or_b32_e32 v36, 1, v55
	v_and_b32_e32 v37, 0xffffff00, v34
	v_or_b32_e32 v38, 2, v55
	v_cndmask_b32_e32 v35, 0, v33, vcc_lo
	s_delay_alu instid0(VALU_DEP_4) | instskip(SKIP_1) | instid1(VALU_DEP_4)
	v_cmp_gt_u32_e32 vcc_lo, s25, v36
	v_or_b32_e32 v36, 4, v55
	v_cmp_gt_u32_e64 s0, s25, v38
	v_or_b32_e32 v38, 3, v55
	v_and_b32_e32 v35, 0xff, v35
	s_delay_alu instid0(VALU_DEP_2) | instskip(NEXT) | instid1(VALU_DEP_2)
	v_cmp_gt_u32_e64 s1, s25, v38
	v_cndmask_b32_e32 v35, v35, v33, vcc_lo
	v_cmp_gt_u32_e32 vcc_lo, s25, v36
	v_cndmask_b32_e32 v36, v37, v34, vcc_lo
	v_or_b32_e32 v37, 5, v55
	s_delay_alu instid0(VALU_DEP_2) | instskip(SKIP_1) | instid1(VALU_DEP_1)
	v_and_b32_e32 v36, 0xffff00ff, v36
	v_and_b32_e32 v35, 0xffff, v35
	v_cndmask_b32_e64 v35, v35, v33, s0
	s_delay_alu instid0(VALU_DEP_4) | instskip(SKIP_1) | instid1(VALU_DEP_3)
	v_cmp_gt_u32_e64 s0, s25, v37
	v_or_b32_e32 v37, 6, v55
	v_and_b32_e32 v35, 0xffffff, v35
	s_delay_alu instid0(VALU_DEP_3) | instskip(NEXT) | instid1(VALU_DEP_2)
	v_cndmask_b32_e64 v36, v36, v34, s0
	v_cndmask_b32_e64 v35, v35, v33, s1
	s_delay_alu instid0(VALU_DEP_1) | instskip(SKIP_2) | instid1(VALU_DEP_3)
	v_dual_cndmask_b32 v35, v35, v33 :: v_dual_and_b32 v36, 0xff00ffff, v36
	v_cmp_gt_u32_e32 vcc_lo, s25, v37
	v_or_b32_e32 v37, 7, v55
	v_cndmask_b32_e64 v35, v35, v33, s0
	s_delay_alu instid0(VALU_DEP_1) | instskip(NEXT) | instid1(VALU_DEP_1)
	v_dual_cndmask_b32 v36, v36, v34 :: v_dual_cndmask_b32 v35, v35, v33
	v_and_b32_e32 v36, 0xffffff, v36
	s_delay_alu instid0(VALU_DEP_4) | instskip(NEXT) | instid1(VALU_DEP_2)
	v_cmp_gt_u32_e32 vcc_lo, s25, v37
	v_dual_cndmask_b32 v34, v36, v34 :: v_dual_cndmask_b32 v33, v35, v33
.LBB175_67:
	s_delay_alu instid0(VALU_DEP_1) | instskip(SKIP_1) | instid1(VALU_DEP_2)
	v_and_b32_e32 v44, 0xff, v33
	s_waitcnt vmcnt(0) lgkmcnt(1)
	v_alignbit_b32 v35, v34, v33, 24
	v_bfe_u32 v46, v33, 8, 8
	v_bfe_u32 v48, v33, 16, 8
	v_and_b32_e32 v52, 0xff, v34
	v_bfe_u32 v54, v34, 8, 8
	v_and_b32_e32 v50, 0xff, v35
	v_add_nc_u32_e32 v35, v46, v44
	v_mbcnt_lo_u32_b32 v58, -1, 0
	v_bfe_u32 v57, v34, 16, 8
	v_lshrrev_b32_e32 v56, 24, v34
	v_lshrrev_b32_e32 v59, 5, v0
	v_add3_u32 v35, v35, v48, v50
	v_and_b32_e32 v36, 15, v58
	v_and_b32_e32 v37, 16, v58
	s_and_b32 vcc_lo, exec_lo, s9
	s_mov_b32 s7, -1
	v_add3_u32 v35, v35, v52, v54
	v_cmp_eq_u32_e64 s3, 0, v36
	v_cmp_lt_u32_e64 s0, 1, v36
	v_cmp_lt_u32_e64 s4, 3, v36
	;; [unrolled: 1-line block ×3, first 2 shown]
	v_add3_u32 v60, v35, v57, v56
	v_or_b32_e32 v35, 31, v0
	v_cmp_eq_u32_e64 s6, 0, v37
	s_waitcnt lgkmcnt(0)
	s_barrier
	buffer_gl0_inv
	v_cmp_eq_u32_e64 s5, v35, v0
	s_cbranch_vccz .LBB175_93
; %bb.68:
	v_mov_b32_dpp v35, v60 row_shr:1 row_mask:0xf bank_mask:0xf
	s_delay_alu instid0(VALU_DEP_1) | instskip(NEXT) | instid1(VALU_DEP_1)
	v_cndmask_b32_e64 v35, v35, 0, s3
	v_add_nc_u32_e32 v35, v35, v60
	s_delay_alu instid0(VALU_DEP_1) | instskip(NEXT) | instid1(VALU_DEP_1)
	v_mov_b32_dpp v36, v35 row_shr:2 row_mask:0xf bank_mask:0xf
	v_cndmask_b32_e64 v36, 0, v36, s0
	s_delay_alu instid0(VALU_DEP_1) | instskip(NEXT) | instid1(VALU_DEP_1)
	v_add_nc_u32_e32 v35, v35, v36
	v_mov_b32_dpp v36, v35 row_shr:4 row_mask:0xf bank_mask:0xf
	s_delay_alu instid0(VALU_DEP_1) | instskip(NEXT) | instid1(VALU_DEP_1)
	v_cndmask_b32_e64 v36, 0, v36, s4
	v_add_nc_u32_e32 v35, v35, v36
	s_delay_alu instid0(VALU_DEP_1) | instskip(NEXT) | instid1(VALU_DEP_1)
	v_mov_b32_dpp v36, v35 row_shr:8 row_mask:0xf bank_mask:0xf
	v_cndmask_b32_e64 v36, 0, v36, s1
	s_delay_alu instid0(VALU_DEP_1) | instskip(SKIP_3) | instid1(VALU_DEP_1)
	v_add_nc_u32_e32 v35, v35, v36
	ds_swizzle_b32 v36, v35 offset:swizzle(BROADCAST,32,15)
	s_waitcnt lgkmcnt(0)
	v_cndmask_b32_e64 v36, v36, 0, s6
	v_add_nc_u32_e32 v35, v35, v36
	s_and_saveexec_b32 s7, s5
	s_cbranch_execz .LBB175_70
; %bb.69:
	v_lshlrev_b32_e32 v36, 2, v59
	ds_store_b32 v36, v35
.LBB175_70:
	s_or_b32 exec_lo, exec_lo, s7
	s_delay_alu instid0(SALU_CYCLE_1)
	s_mov_b32 s7, exec_lo
	s_waitcnt lgkmcnt(0)
	s_barrier
	buffer_gl0_inv
	v_cmpx_gt_u32_e32 16, v0
	s_cbranch_execz .LBB175_72
; %bb.71:
	v_lshlrev_b32_e32 v36, 2, v0
	ds_load_b32 v37, v36
	s_waitcnt lgkmcnt(0)
	v_mov_b32_dpp v38, v37 row_shr:1 row_mask:0xf bank_mask:0xf
	s_delay_alu instid0(VALU_DEP_1) | instskip(NEXT) | instid1(VALU_DEP_1)
	v_cndmask_b32_e64 v38, v38, 0, s3
	v_add_nc_u32_e32 v37, v38, v37
	s_delay_alu instid0(VALU_DEP_1) | instskip(NEXT) | instid1(VALU_DEP_1)
	v_mov_b32_dpp v38, v37 row_shr:2 row_mask:0xf bank_mask:0xf
	v_cndmask_b32_e64 v38, 0, v38, s0
	s_delay_alu instid0(VALU_DEP_1) | instskip(NEXT) | instid1(VALU_DEP_1)
	v_add_nc_u32_e32 v37, v37, v38
	v_mov_b32_dpp v38, v37 row_shr:4 row_mask:0xf bank_mask:0xf
	s_delay_alu instid0(VALU_DEP_1) | instskip(NEXT) | instid1(VALU_DEP_1)
	v_cndmask_b32_e64 v38, 0, v38, s4
	v_add_nc_u32_e32 v37, v37, v38
	s_delay_alu instid0(VALU_DEP_1) | instskip(NEXT) | instid1(VALU_DEP_1)
	v_mov_b32_dpp v38, v37 row_shr:8 row_mask:0xf bank_mask:0xf
	v_cndmask_b32_e64 v38, 0, v38, s1
	s_delay_alu instid0(VALU_DEP_1)
	v_add_nc_u32_e32 v37, v37, v38
	ds_store_b32 v36, v37
.LBB175_72:
	s_or_b32 exec_lo, exec_lo, s7
	v_cmp_gt_u32_e32 vcc_lo, 32, v0
	s_mov_b32 s8, exec_lo
	s_waitcnt lgkmcnt(0)
	s_barrier
	buffer_gl0_inv
                                        ; implicit-def: $vgpr43
	v_cmpx_lt_u32_e32 31, v0
	s_cbranch_execz .LBB175_74
; %bb.73:
	v_lshl_add_u32 v36, v59, 2, -4
	ds_load_b32 v43, v36
	s_waitcnt lgkmcnt(0)
	v_add_nc_u32_e32 v35, v43, v35
.LBB175_74:
	s_or_b32 exec_lo, exec_lo, s8
	v_add_nc_u32_e32 v36, -1, v58
	s_delay_alu instid0(VALU_DEP_1) | instskip(NEXT) | instid1(VALU_DEP_1)
	v_cmp_gt_i32_e64 s7, 0, v36
	v_cndmask_b32_e64 v36, v36, v58, s7
	v_cmp_eq_u32_e64 s7, 0, v58
	s_delay_alu instid0(VALU_DEP_2)
	v_lshlrev_b32_e32 v36, 2, v36
	ds_bpermute_b32 v45, v36, v35
	s_and_saveexec_b32 s8, vcc_lo
	s_cbranch_execz .LBB175_92
; %bb.75:
	v_mov_b32_e32 v39, 0
	ds_load_b32 v35, v39 offset:60
	s_and_saveexec_b32 s9, s7
	s_cbranch_execz .LBB175_77
; %bb.76:
	s_add_i32 s14, s24, 32
	s_mov_b32 s15, 0
	v_mov_b32_e32 v36, 1
	s_lshl_b64 s[14:15], s[14:15], 3
	s_delay_alu instid0(SALU_CYCLE_1)
	s_add_u32 s14, s20, s14
	s_addc_u32 s15, s21, s15
	s_waitcnt lgkmcnt(0)
	global_store_b64 v39, v[35:36], s[14:15]
.LBB175_77:
	s_or_b32 exec_lo, exec_lo, s9
	v_xad_u32 v37, v58, -1, s24
	s_mov_b32 s14, 0
	s_mov_b32 s9, exec_lo
	s_delay_alu instid0(VALU_DEP_1) | instskip(NEXT) | instid1(VALU_DEP_1)
	v_add_nc_u32_e32 v38, 32, v37
	v_lshlrev_b64 v[38:39], 3, v[38:39]
	s_delay_alu instid0(VALU_DEP_1) | instskip(NEXT) | instid1(VALU_DEP_2)
	v_add_co_u32 v41, vcc_lo, s20, v38
	v_add_co_ci_u32_e32 v42, vcc_lo, s21, v39, vcc_lo
	global_load_b64 v[39:40], v[41:42], off glc
	s_waitcnt vmcnt(0)
	v_and_b32_e32 v36, 0xff, v40
	s_delay_alu instid0(VALU_DEP_1)
	v_cmpx_eq_u16_e32 0, v36
	s_cbranch_execz .LBB175_80
.LBB175_78:                             ; =>This Inner Loop Header: Depth=1
	global_load_b64 v[39:40], v[41:42], off glc
	s_waitcnt vmcnt(0)
	v_and_b32_e32 v36, 0xff, v40
	s_delay_alu instid0(VALU_DEP_1) | instskip(SKIP_1) | instid1(SALU_CYCLE_1)
	v_cmp_ne_u16_e32 vcc_lo, 0, v36
	s_or_b32 s14, vcc_lo, s14
	s_and_not1_b32 exec_lo, exec_lo, s14
	s_cbranch_execnz .LBB175_78
; %bb.79:
	s_or_b32 exec_lo, exec_lo, s14
.LBB175_80:
	s_delay_alu instid0(SALU_CYCLE_1)
	s_or_b32 exec_lo, exec_lo, s9
	v_cmp_ne_u32_e32 vcc_lo, 31, v58
	v_lshlrev_b32_e64 v49, v58, -1
	v_add_nc_u32_e32 v53, 2, v58
	v_add_nc_u32_e32 v66, 16, v58
	v_add_co_ci_u32_e32 v36, vcc_lo, 0, v58, vcc_lo
	s_delay_alu instid0(VALU_DEP_1)
	v_lshlrev_b32_e32 v47, 2, v36
	v_and_b32_e32 v36, 0xff, v40
	ds_bpermute_b32 v38, v47, v39
	v_cmp_eq_u16_e32 vcc_lo, 2, v36
	v_and_or_b32 v36, vcc_lo, v49, 0x80000000
	v_cmp_gt_u32_e32 vcc_lo, 30, v58
	s_delay_alu instid0(VALU_DEP_2) | instskip(SKIP_1) | instid1(VALU_DEP_2)
	v_ctz_i32_b32_e32 v36, v36
	v_cndmask_b32_e64 v41, 0, 1, vcc_lo
	v_cmp_lt_u32_e32 vcc_lo, v58, v36
	s_waitcnt lgkmcnt(0)
	s_delay_alu instid0(VALU_DEP_2) | instskip(NEXT) | instid1(VALU_DEP_1)
	v_dual_cndmask_b32 v38, 0, v38 :: v_dual_lshlrev_b32 v41, 1, v41
	v_add_lshl_u32 v51, v41, v58, 2
	v_cmp_gt_u32_e32 vcc_lo, 28, v58
	s_delay_alu instid0(VALU_DEP_3) | instskip(SKIP_4) | instid1(VALU_DEP_1)
	v_add_nc_u32_e32 v38, v38, v39
	v_cndmask_b32_e64 v41, 0, 1, vcc_lo
	v_cmp_le_u32_e32 vcc_lo, v53, v36
	ds_bpermute_b32 v39, v51, v38
	v_lshlrev_b32_e32 v41, 2, v41
	v_add_lshl_u32 v61, v41, v58, 2
	s_waitcnt lgkmcnt(0)
	v_cndmask_b32_e32 v39, 0, v39, vcc_lo
	v_cmp_gt_u32_e32 vcc_lo, 24, v58
	s_delay_alu instid0(VALU_DEP_2) | instskip(SKIP_4) | instid1(VALU_DEP_2)
	v_add_nc_u32_e32 v38, v38, v39
	v_cndmask_b32_e64 v41, 0, 1, vcc_lo
	ds_bpermute_b32 v39, v61, v38
	v_add_nc_u32_e32 v62, 4, v58
	v_lshlrev_b32_e32 v41, 3, v41
	v_cmp_le_u32_e32 vcc_lo, v62, v36
	s_delay_alu instid0(VALU_DEP_2) | instskip(SKIP_3) | instid1(VALU_DEP_2)
	v_add_lshl_u32 v63, v41, v58, 2
	s_waitcnt lgkmcnt(0)
	v_cndmask_b32_e32 v39, 0, v39, vcc_lo
	v_cmp_gt_u32_e32 vcc_lo, 16, v58
	v_add_nc_u32_e32 v38, v38, v39
	v_cndmask_b32_e64 v41, 0, 1, vcc_lo
	ds_bpermute_b32 v39, v63, v38
	v_add_nc_u32_e32 v64, 8, v58
	v_lshlrev_b32_e32 v41, 4, v41
	s_delay_alu instid0(VALU_DEP_2) | instskip(NEXT) | instid1(VALU_DEP_2)
	v_cmp_le_u32_e32 vcc_lo, v64, v36
	v_add_lshl_u32 v65, v41, v58, 2
	s_waitcnt lgkmcnt(0)
	v_cndmask_b32_e32 v39, 0, v39, vcc_lo
	v_cmp_le_u32_e32 vcc_lo, v66, v36
	s_delay_alu instid0(VALU_DEP_2) | instskip(SKIP_3) | instid1(VALU_DEP_1)
	v_add_nc_u32_e32 v38, v38, v39
	ds_bpermute_b32 v39, v65, v38
	s_waitcnt lgkmcnt(0)
	v_cndmask_b32_e32 v36, 0, v39, vcc_lo
	v_dual_mov_b32 v38, 0 :: v_dual_add_nc_u32 v39, v38, v36
	s_branch .LBB175_82
.LBB175_81:                             ;   in Loop: Header=BB175_82 Depth=1
	s_or_b32 exec_lo, exec_lo, s9
	ds_bpermute_b32 v42, v47, v39
	v_and_b32_e32 v41, 0xff, v40
	v_subrev_nc_u32_e32 v37, 32, v37
	s_delay_alu instid0(VALU_DEP_2) | instskip(SKIP_1) | instid1(VALU_DEP_1)
	v_cmp_eq_u16_e32 vcc_lo, 2, v41
	v_and_or_b32 v41, vcc_lo, v49, 0x80000000
	v_ctz_i32_b32_e32 v41, v41
	s_delay_alu instid0(VALU_DEP_1) | instskip(SKIP_3) | instid1(VALU_DEP_2)
	v_cmp_lt_u32_e32 vcc_lo, v58, v41
	s_waitcnt lgkmcnt(0)
	v_cndmask_b32_e32 v42, 0, v42, vcc_lo
	v_cmp_le_u32_e32 vcc_lo, v53, v41
	v_add_nc_u32_e32 v39, v42, v39
	ds_bpermute_b32 v42, v51, v39
	s_waitcnt lgkmcnt(0)
	v_cndmask_b32_e32 v42, 0, v42, vcc_lo
	v_cmp_le_u32_e32 vcc_lo, v62, v41
	s_delay_alu instid0(VALU_DEP_2) | instskip(SKIP_4) | instid1(VALU_DEP_2)
	v_add_nc_u32_e32 v39, v39, v42
	ds_bpermute_b32 v42, v61, v39
	s_waitcnt lgkmcnt(0)
	v_cndmask_b32_e32 v42, 0, v42, vcc_lo
	v_cmp_le_u32_e32 vcc_lo, v64, v41
	v_add_nc_u32_e32 v39, v39, v42
	ds_bpermute_b32 v42, v63, v39
	s_waitcnt lgkmcnt(0)
	v_cndmask_b32_e32 v42, 0, v42, vcc_lo
	v_cmp_le_u32_e32 vcc_lo, v66, v41
	s_delay_alu instid0(VALU_DEP_2) | instskip(SKIP_3) | instid1(VALU_DEP_1)
	v_add_nc_u32_e32 v39, v39, v42
	ds_bpermute_b32 v42, v65, v39
	s_waitcnt lgkmcnt(0)
	v_cndmask_b32_e32 v41, 0, v42, vcc_lo
	v_add3_u32 v39, v41, v36, v39
.LBB175_82:                             ; =>This Loop Header: Depth=1
                                        ;     Child Loop BB175_85 Depth 2
	v_and_b32_e32 v36, 0xff, v40
	s_delay_alu instid0(VALU_DEP_1) | instskip(SKIP_2) | instid1(VALU_DEP_1)
	v_cmp_ne_u16_e32 vcc_lo, 2, v36
	v_cndmask_b32_e64 v36, 0, 1, vcc_lo
	;;#ASMSTART
	;;#ASMEND
	v_cmp_ne_u32_e32 vcc_lo, 0, v36
	v_mov_b32_e32 v36, v39
	s_cmp_lg_u32 vcc_lo, exec_lo
	s_cbranch_scc1 .LBB175_87
; %bb.83:                               ;   in Loop: Header=BB175_82 Depth=1
	v_lshlrev_b64 v[39:40], 3, v[37:38]
	s_mov_b32 s9, exec_lo
	s_delay_alu instid0(VALU_DEP_1) | instskip(NEXT) | instid1(VALU_DEP_2)
	v_add_co_u32 v41, vcc_lo, s20, v39
	v_add_co_ci_u32_e32 v42, vcc_lo, s21, v40, vcc_lo
	global_load_b64 v[39:40], v[41:42], off glc
	s_waitcnt vmcnt(0)
	v_and_b32_e32 v67, 0xff, v40
	s_delay_alu instid0(VALU_DEP_1)
	v_cmpx_eq_u16_e32 0, v67
	s_cbranch_execz .LBB175_81
; %bb.84:                               ;   in Loop: Header=BB175_82 Depth=1
	s_mov_b32 s14, 0
.LBB175_85:                             ;   Parent Loop BB175_82 Depth=1
                                        ; =>  This Inner Loop Header: Depth=2
	global_load_b64 v[39:40], v[41:42], off glc
	s_waitcnt vmcnt(0)
	v_and_b32_e32 v67, 0xff, v40
	s_delay_alu instid0(VALU_DEP_1) | instskip(SKIP_1) | instid1(SALU_CYCLE_1)
	v_cmp_ne_u16_e32 vcc_lo, 0, v67
	s_or_b32 s14, vcc_lo, s14
	s_and_not1_b32 exec_lo, exec_lo, s14
	s_cbranch_execnz .LBB175_85
; %bb.86:                               ;   in Loop: Header=BB175_82 Depth=1
	s_or_b32 exec_lo, exec_lo, s14
	s_branch .LBB175_81
.LBB175_87:                             ;   in Loop: Header=BB175_82 Depth=1
                                        ; implicit-def: $vgpr39
                                        ; implicit-def: $vgpr40
	s_cbranch_execz .LBB175_82
; %bb.88:
	s_and_saveexec_b32 s9, s7
	s_cbranch_execz .LBB175_90
; %bb.89:
	s_add_i32 s14, s24, 32
	s_mov_b32 s15, 0
	v_dual_mov_b32 v38, 2 :: v_dual_add_nc_u32 v37, v36, v35
	s_lshl_b64 s[14:15], s[14:15], 3
	v_mov_b32_e32 v39, 0
	s_add_u32 s14, s20, s14
	s_addc_u32 s15, s21, s15
	global_store_b64 v39, v[37:38], s[14:15]
	ds_store_b64 v39, v[35:36] offset:33792
.LBB175_90:
	s_or_b32 exec_lo, exec_lo, s9
	s_delay_alu instid0(SALU_CYCLE_1)
	s_and_b32 exec_lo, exec_lo, s2
	s_cbranch_execz .LBB175_92
; %bb.91:
	v_mov_b32_e32 v35, 0
	ds_store_b32 v35, v36 offset:60
.LBB175_92:
	s_or_b32 exec_lo, exec_lo, s8
	v_mov_b32_e32 v35, 0
	s_waitcnt lgkmcnt(0)
	s_waitcnt_vscnt null, 0x0
	s_barrier
	buffer_gl0_inv
	v_cndmask_b32_e64 v37, v45, v43, s7
	ds_load_b32 v36, v35 offset:60
	s_waitcnt lgkmcnt(0)
	s_barrier
	buffer_gl0_inv
	v_cndmask_b32_e64 v37, v37, 0, s2
	s_delay_alu instid0(VALU_DEP_1) | instskip(SKIP_2) | instid1(VALU_DEP_1)
	v_add_nc_u32_e32 v53, v36, v37
	ds_load_b64 v[35:36], v35 offset:33792
	v_add_nc_u32_e32 v51, v53, v44
	v_add_nc_u32_e32 v49, v51, v46
	s_delay_alu instid0(VALU_DEP_1) | instskip(NEXT) | instid1(VALU_DEP_1)
	v_add_nc_u32_e32 v47, v49, v48
	v_add_nc_u32_e32 v45, v47, v50
	s_waitcnt lgkmcnt(0)
	v_readfirstlane_b32 s8, v36
	s_delay_alu instid0(VALU_DEP_2) | instskip(NEXT) | instid1(VALU_DEP_1)
	v_add_nc_u32_e32 v43, v45, v52
	v_add_nc_u32_e32 v41, v43, v54
	s_delay_alu instid0(VALU_DEP_1)
	v_add_nc_u32_e32 v39, v41, v57
	v_lshrrev_b64 v[37:38], 24, v[33:34]
	s_branch .LBB175_103
.LBB175_93:
                                        ; implicit-def: $vgpr39
                                        ; implicit-def: $vgpr41
                                        ; implicit-def: $vgpr43
                                        ; implicit-def: $vgpr45
                                        ; implicit-def: $vgpr47
                                        ; implicit-def: $vgpr49
                                        ; implicit-def: $vgpr51
                                        ; implicit-def: $vgpr53
                                        ; implicit-def: $sgpr8
                                        ; implicit-def: $vgpr35
	v_lshrrev_b64 v[37:38], 24, v[33:34]
	s_and_b32 vcc_lo, exec_lo, s7
	s_cbranch_vccz .LBB175_103
; %bb.94:
	v_mov_b32_dpp v35, v60 row_shr:1 row_mask:0xf bank_mask:0xf
	s_delay_alu instid0(VALU_DEP_1) | instskip(NEXT) | instid1(VALU_DEP_1)
	v_cndmask_b32_e64 v35, v35, 0, s3
	v_add_nc_u32_e32 v35, v35, v60
	s_delay_alu instid0(VALU_DEP_1) | instskip(NEXT) | instid1(VALU_DEP_1)
	v_mov_b32_dpp v36, v35 row_shr:2 row_mask:0xf bank_mask:0xf
	v_cndmask_b32_e64 v36, 0, v36, s0
	s_delay_alu instid0(VALU_DEP_1) | instskip(NEXT) | instid1(VALU_DEP_1)
	v_add_nc_u32_e32 v35, v35, v36
	v_mov_b32_dpp v36, v35 row_shr:4 row_mask:0xf bank_mask:0xf
	s_delay_alu instid0(VALU_DEP_1) | instskip(NEXT) | instid1(VALU_DEP_1)
	v_cndmask_b32_e64 v36, 0, v36, s4
	v_add_nc_u32_e32 v35, v35, v36
	s_delay_alu instid0(VALU_DEP_1) | instskip(NEXT) | instid1(VALU_DEP_1)
	v_mov_b32_dpp v36, v35 row_shr:8 row_mask:0xf bank_mask:0xf
	v_cndmask_b32_e64 v36, 0, v36, s1
	s_delay_alu instid0(VALU_DEP_1) | instskip(SKIP_3) | instid1(VALU_DEP_1)
	v_add_nc_u32_e32 v35, v35, v36
	ds_swizzle_b32 v36, v35 offset:swizzle(BROADCAST,32,15)
	s_waitcnt lgkmcnt(0)
	v_cndmask_b32_e64 v36, v36, 0, s6
	v_add_nc_u32_e32 v35, v35, v36
	s_and_saveexec_b32 s6, s5
	s_cbranch_execz .LBB175_96
; %bb.95:
	v_lshlrev_b32_e32 v36, 2, v59
	ds_store_b32 v36, v35
.LBB175_96:
	s_or_b32 exec_lo, exec_lo, s6
	s_delay_alu instid0(SALU_CYCLE_1)
	s_mov_b32 s5, exec_lo
	s_waitcnt lgkmcnt(0)
	s_barrier
	buffer_gl0_inv
	v_cmpx_gt_u32_e32 16, v0
	s_cbranch_execz .LBB175_98
; %bb.97:
	v_lshlrev_b32_e32 v36, 2, v0
	ds_load_b32 v38, v36
	s_waitcnt lgkmcnt(0)
	v_mov_b32_dpp v39, v38 row_shr:1 row_mask:0xf bank_mask:0xf
	s_delay_alu instid0(VALU_DEP_1) | instskip(NEXT) | instid1(VALU_DEP_1)
	v_cndmask_b32_e64 v39, v39, 0, s3
	v_add_nc_u32_e32 v38, v39, v38
	s_delay_alu instid0(VALU_DEP_1) | instskip(NEXT) | instid1(VALU_DEP_1)
	v_mov_b32_dpp v39, v38 row_shr:2 row_mask:0xf bank_mask:0xf
	v_cndmask_b32_e64 v39, 0, v39, s0
	s_delay_alu instid0(VALU_DEP_1) | instskip(NEXT) | instid1(VALU_DEP_1)
	v_add_nc_u32_e32 v38, v38, v39
	v_mov_b32_dpp v39, v38 row_shr:4 row_mask:0xf bank_mask:0xf
	s_delay_alu instid0(VALU_DEP_1) | instskip(NEXT) | instid1(VALU_DEP_1)
	v_cndmask_b32_e64 v39, 0, v39, s4
	v_add_nc_u32_e32 v38, v38, v39
	s_delay_alu instid0(VALU_DEP_1) | instskip(NEXT) | instid1(VALU_DEP_1)
	v_mov_b32_dpp v39, v38 row_shr:8 row_mask:0xf bank_mask:0xf
	v_cndmask_b32_e64 v39, 0, v39, s1
	s_delay_alu instid0(VALU_DEP_1)
	v_add_nc_u32_e32 v38, v38, v39
	ds_store_b32 v36, v38
.LBB175_98:
	s_or_b32 exec_lo, exec_lo, s5
	v_mov_b32_e32 v36, 0
	v_mov_b32_e32 v38, 0
	s_mov_b32 s0, exec_lo
	s_waitcnt lgkmcnt(0)
	s_barrier
	buffer_gl0_inv
	v_cmpx_lt_u32_e32 31, v0
	s_cbranch_execz .LBB175_100
; %bb.99:
	v_lshl_add_u32 v38, v59, 2, -4
	ds_load_b32 v38, v38
.LBB175_100:
	s_or_b32 exec_lo, exec_lo, s0
	v_add_nc_u32_e32 v39, -1, v58
	s_waitcnt lgkmcnt(0)
	v_add_nc_u32_e32 v35, v38, v35
	s_mov_b32 s8, 0
	s_delay_alu instid0(VALU_DEP_2) | instskip(SKIP_1) | instid1(VALU_DEP_1)
	v_cmp_gt_i32_e32 vcc_lo, 0, v39
	v_cndmask_b32_e32 v39, v39, v58, vcc_lo
	v_lshlrev_b32_e32 v39, 2, v39
	ds_bpermute_b32 v39, v39, v35
	ds_load_b32 v35, v36 offset:60
	s_and_saveexec_b32 s0, s2
	s_cbranch_execz .LBB175_102
; %bb.101:
	v_mov_b32_e32 v40, 0
	v_mov_b32_e32 v36, 2
	s_waitcnt lgkmcnt(0)
	global_store_b64 v40, v[35:36], s[20:21] offset:256
.LBB175_102:
	s_or_b32 exec_lo, exec_lo, s0
	v_cmp_eq_u32_e32 vcc_lo, 0, v58
	s_waitcnt lgkmcnt(0)
	s_waitcnt_vscnt null, 0x0
	s_barrier
	buffer_gl0_inv
	v_cndmask_b32_e32 v36, v39, v38, vcc_lo
	s_delay_alu instid0(VALU_DEP_1) | instskip(NEXT) | instid1(VALU_DEP_1)
	v_cndmask_b32_e64 v53, v36, 0, s2
	v_add_nc_u32_e32 v51, v53, v44
	s_delay_alu instid0(VALU_DEP_1) | instskip(NEXT) | instid1(VALU_DEP_1)
	v_add_nc_u32_e32 v49, v51, v46
	v_add_nc_u32_e32 v47, v49, v48
	s_delay_alu instid0(VALU_DEP_1) | instskip(NEXT) | instid1(VALU_DEP_1)
	v_add_nc_u32_e32 v45, v47, v50
	;; [unrolled: 3-line block ×3, first 2 shown]
	v_add_nc_u32_e32 v39, v41, v57
.LBB175_103:
	v_add_nc_u32_e32 v59, s8, v35
	v_cmp_gt_u32_e64 s0, 0x201, v35
	v_lshrrev_b32_e32 v58, 8, v33
	v_lshrrev_b32_e32 v57, 16, v33
	v_lshrrev_b32_e32 v38, 8, v34
	v_lshrrev_b32_e32 v36, 16, v34
	v_cmp_lt_u32_e64 s1, v53, v59
	s_and_b32 vcc_lo, exec_lo, s0
	s_mov_b32 s3, -1
	s_cbranch_vccz .LBB175_129
; %bb.104:
	s_lshl_b64 s[4:5], s[10:11], 3
	s_delay_alu instid0(SALU_CYCLE_1) | instskip(SKIP_2) | instid1(SALU_CYCLE_1)
	s_add_u32 s3, s16, s4
	s_addc_u32 s4, s17, s5
	s_or_b32 s5, s23, s1
	s_and_saveexec_b32 s1, s5
	s_cbranch_execz .LBB175_107
; %bb.105:
	v_and_b32_e32 v40, 1, v33
	s_delay_alu instid0(VALU_DEP_1)
	v_cmp_eq_u32_e32 vcc_lo, 1, v40
	s_and_b32 exec_lo, exec_lo, vcc_lo
	s_cbranch_execz .LBB175_107
; %bb.106:
	v_mov_b32_e32 v54, 0
	s_delay_alu instid0(VALU_DEP_1) | instskip(NEXT) | instid1(VALU_DEP_1)
	v_lshlrev_b64 v[60:61], 3, v[53:54]
	v_add_co_u32 v60, vcc_lo, s3, v60
	s_delay_alu instid0(VALU_DEP_2)
	v_add_co_ci_u32_e32 v61, vcc_lo, s4, v61, vcc_lo
	global_store_b64 v[60:61], v[29:30], off
.LBB175_107:
	s_or_b32 exec_lo, exec_lo, s1
	v_cmp_lt_u32_e32 vcc_lo, v51, v59
	s_or_b32 s5, s23, vcc_lo
	s_delay_alu instid0(SALU_CYCLE_1)
	s_and_saveexec_b32 s1, s5
	s_cbranch_execz .LBB175_110
; %bb.108:
	v_and_b32_e32 v40, 1, v58
	s_delay_alu instid0(VALU_DEP_1)
	v_cmp_eq_u32_e32 vcc_lo, 1, v40
	s_and_b32 exec_lo, exec_lo, vcc_lo
	s_cbranch_execz .LBB175_110
; %bb.109:
	v_mov_b32_e32 v52, 0
	s_delay_alu instid0(VALU_DEP_1) | instskip(NEXT) | instid1(VALU_DEP_1)
	v_lshlrev_b64 v[60:61], 3, v[51:52]
	v_add_co_u32 v60, vcc_lo, s3, v60
	s_delay_alu instid0(VALU_DEP_2)
	v_add_co_ci_u32_e32 v61, vcc_lo, s4, v61, vcc_lo
	global_store_b64 v[60:61], v[31:32], off
.LBB175_110:
	s_or_b32 exec_lo, exec_lo, s1
	v_cmp_lt_u32_e32 vcc_lo, v49, v59
	s_or_b32 s5, s23, vcc_lo
	s_delay_alu instid0(SALU_CYCLE_1)
	;; [unrolled: 21-line block ×7, first 2 shown]
	s_and_saveexec_b32 s1, s5
	s_cbranch_execz .LBB175_128
; %bb.126:
	v_and_b32_e32 v40, 1, v56
	s_delay_alu instid0(VALU_DEP_1)
	v_cmp_eq_u32_e32 vcc_lo, 1, v40
	s_and_b32 exec_lo, exec_lo, vcc_lo
	s_cbranch_execz .LBB175_128
; %bb.127:
	v_mov_b32_e32 v40, 0
	s_delay_alu instid0(VALU_DEP_1) | instskip(NEXT) | instid1(VALU_DEP_1)
	v_lshlrev_b64 v[60:61], 3, v[39:40]
	v_add_co_u32 v60, vcc_lo, s3, v60
	s_delay_alu instid0(VALU_DEP_2)
	v_add_co_ci_u32_e32 v61, vcc_lo, s4, v61, vcc_lo
	global_store_b64 v[60:61], v[19:20], off
.LBB175_128:
	s_or_b32 exec_lo, exec_lo, s1
	s_mov_b32 s3, 0
.LBB175_129:
	v_and_b32_e32 v33, 1, v33
	s_and_b32 vcc_lo, exec_lo, s3
	s_delay_alu instid0(VALU_DEP_1)
	v_cmp_eq_u32_e64 s1, 1, v33
	s_cbranch_vccz .LBB175_150
; %bb.130:
	s_delay_alu instid0(VALU_DEP_1)
	s_and_saveexec_b32 s3, s1
	s_cbranch_execz .LBB175_132
; %bb.131:
	v_subrev_nc_u32_e32 v40, s8, v53
	s_delay_alu instid0(VALU_DEP_1)
	v_lshlrev_b32_e32 v40, 3, v40
	ds_store_b64 v40, v[29:30]
.LBB175_132:
	s_or_b32 exec_lo, exec_lo, s3
	v_and_b32_e32 v29, 1, v58
	s_mov_b32 s1, exec_lo
	s_delay_alu instid0(VALU_DEP_1)
	v_cmpx_eq_u32_e32 1, v29
	s_cbranch_execz .LBB175_134
; %bb.133:
	v_subrev_nc_u32_e32 v29, s8, v51
	s_delay_alu instid0(VALU_DEP_1)
	v_lshlrev_b32_e32 v29, 3, v29
	ds_store_b64 v29, v[31:32]
.LBB175_134:
	s_or_b32 exec_lo, exec_lo, s1
	v_and_b32_e32 v29, 1, v57
	s_mov_b32 s1, exec_lo
	s_delay_alu instid0(VALU_DEP_1)
	v_cmpx_eq_u32_e32 1, v29
	;; [unrolled: 12-line block ×7, first 2 shown]
	s_cbranch_execz .LBB175_146
; %bb.145:
	v_subrev_nc_u32_e32 v17, s8, v39
	s_delay_alu instid0(VALU_DEP_1)
	v_lshlrev_b32_e32 v17, 3, v17
	ds_store_b64 v17, v[19:20]
.LBB175_146:
	s_or_b32 exec_lo, exec_lo, s1
	s_delay_alu instid0(SALU_CYCLE_1)
	s_mov_b32 s3, exec_lo
	s_waitcnt lgkmcnt(0)
	s_waitcnt_vscnt null, 0x0
	s_barrier
	buffer_gl0_inv
	v_cmpx_lt_u32_e64 v0, v35
	s_cbranch_execz .LBB175_149
; %bb.147:
	s_mov_b32 s9, 0
	s_lshl_b64 s[4:5], s[10:11], 3
	s_lshl_b64 s[6:7], s[8:9], 3
	v_dual_mov_b32 v19, v55 :: v_dual_mov_b32 v20, v0
	s_add_u32 s1, s4, s6
	s_addc_u32 s4, s5, s7
	s_add_u32 s1, s16, s1
	s_addc_u32 s4, s17, s4
	v_add_co_u32 v17, s1, s1, v55
	s_delay_alu instid0(VALU_DEP_1)
	v_add_co_ci_u32_e64 v18, null, s4, 0, s1
	.p2align	6
.LBB175_148:                            ; =>This Inner Loop Header: Depth=1
	ds_load_b64 v[21:22], v19
	v_add_nc_u32_e32 v20, 0x200, v20
	v_add_nc_u32_e32 v19, 0x1000, v19
	s_delay_alu instid0(VALU_DEP_2) | instskip(SKIP_4) | instid1(VALU_DEP_1)
	v_cmp_ge_u32_e32 vcc_lo, v20, v35
	s_or_b32 s9, vcc_lo, s9
	s_waitcnt lgkmcnt(0)
	global_store_b64 v[17:18], v[21:22], off
	v_add_co_u32 v17, s1, 0x1000, v17
	v_add_co_ci_u32_e64 v18, s1, 0, v18, s1
	s_and_not1_b32 exec_lo, exec_lo, s9
	s_cbranch_execnz .LBB175_148
.LBB175_149:
	s_or_b32 exec_lo, exec_lo, s3
.LBB175_150:
	s_delay_alu instid0(SALU_CYCLE_1)
	s_and_b32 vcc_lo, exec_lo, s0
	s_mov_b32 s0, -1
	s_waitcnt_vscnt null, 0x0
	s_barrier
	buffer_gl0_inv
	s_cbranch_vccz .LBB175_178
; %bb.151:
	v_cmp_lt_u32_e32 vcc_lo, v53, v59
	s_lshl_b64 s[0:1], s[10:11], 3
	s_delay_alu instid0(SALU_CYCLE_1) | instskip(SKIP_2) | instid1(SALU_CYCLE_1)
	s_add_u32 s0, s18, s0
	s_addc_u32 s1, s19, s1
	s_or_b32 s4, s23, vcc_lo
	s_and_saveexec_b32 s3, s4
	s_cbranch_execz .LBB175_154
; %bb.152:
	v_cmp_eq_u32_e32 vcc_lo, 1, v33
	s_and_b32 exec_lo, exec_lo, vcc_lo
	s_cbranch_execz .LBB175_154
; %bb.153:
	v_mov_b32_e32 v54, 0
	s_delay_alu instid0(VALU_DEP_1) | instskip(NEXT) | instid1(VALU_DEP_1)
	v_lshlrev_b64 v[17:18], 3, v[53:54]
	v_add_co_u32 v17, vcc_lo, s0, v17
	s_delay_alu instid0(VALU_DEP_2)
	v_add_co_ci_u32_e32 v18, vcc_lo, s1, v18, vcc_lo
	global_store_b64 v[17:18], v[13:14], off
.LBB175_154:
	s_or_b32 exec_lo, exec_lo, s3
	v_cmp_lt_u32_e32 vcc_lo, v51, v59
	s_or_b32 s4, s23, vcc_lo
	s_delay_alu instid0(SALU_CYCLE_1)
	s_and_saveexec_b32 s3, s4
	s_cbranch_execz .LBB175_157
; %bb.155:
	v_and_b32_e32 v17, 1, v58
	s_delay_alu instid0(VALU_DEP_1)
	v_cmp_eq_u32_e32 vcc_lo, 1, v17
	s_and_b32 exec_lo, exec_lo, vcc_lo
	s_cbranch_execz .LBB175_157
; %bb.156:
	v_mov_b32_e32 v52, 0
	s_delay_alu instid0(VALU_DEP_1) | instskip(NEXT) | instid1(VALU_DEP_1)
	v_lshlrev_b64 v[17:18], 3, v[51:52]
	v_add_co_u32 v17, vcc_lo, s0, v17
	s_delay_alu instid0(VALU_DEP_2)
	v_add_co_ci_u32_e32 v18, vcc_lo, s1, v18, vcc_lo
	global_store_b64 v[17:18], v[15:16], off
.LBB175_157:
	s_or_b32 exec_lo, exec_lo, s3
	v_cmp_lt_u32_e32 vcc_lo, v49, v59
	s_or_b32 s4, s23, vcc_lo
	s_delay_alu instid0(SALU_CYCLE_1)
	s_and_saveexec_b32 s3, s4
	s_cbranch_execz .LBB175_160
; %bb.158:
	v_and_b32_e32 v17, 1, v57
	s_delay_alu instid0(VALU_DEP_1)
	v_cmp_eq_u32_e32 vcc_lo, 1, v17
	s_and_b32 exec_lo, exec_lo, vcc_lo
	s_cbranch_execz .LBB175_160
; %bb.159:
	v_mov_b32_e32 v50, 0
	s_delay_alu instid0(VALU_DEP_1) | instskip(NEXT) | instid1(VALU_DEP_1)
	v_lshlrev_b64 v[17:18], 3, v[49:50]
	v_add_co_u32 v17, vcc_lo, s0, v17
	s_delay_alu instid0(VALU_DEP_2)
	v_add_co_ci_u32_e32 v18, vcc_lo, s1, v18, vcc_lo
	global_store_b64 v[17:18], v[9:10], off
.LBB175_160:
	;; [unrolled: 21-line block ×7, first 2 shown]
	s_or_b32 exec_lo, exec_lo, s3
.LBB175_176:
	s_and_b32 s0, s2, s22
	s_delay_alu instid0(SALU_CYCLE_1)
	s_and_saveexec_b32 s1, s0
	s_cbranch_execz .LBB175_199
.LBB175_177:
	v_add_co_u32 v0, s0, s10, v35
	s_delay_alu instid0(VALU_DEP_1) | instskip(SKIP_1) | instid1(VALU_DEP_3)
	v_add_co_ci_u32_e64 v1, null, s11, 0, s0
	v_mov_b32_e32 v2, 0
	v_add_co_u32 v0, vcc_lo, v0, s8
	s_delay_alu instid0(VALU_DEP_3)
	v_add_co_ci_u32_e32 v1, vcc_lo, 0, v1, vcc_lo
	global_store_b64 v2, v[0:1], s[12:13]
	s_nop 0
	s_sendmsg sendmsg(MSG_DEALLOC_VGPRS)
	s_endpgm
.LBB175_178:
	s_and_b32 vcc_lo, exec_lo, s0
	s_cbranch_vccz .LBB175_176
; %bb.179:
	s_mov_b32 s0, exec_lo
	v_cmpx_eq_u32_e32 1, v33
	s_cbranch_execz .LBB175_181
; %bb.180:
	v_subrev_nc_u32_e32 v17, s8, v53
	s_delay_alu instid0(VALU_DEP_1)
	v_lshlrev_b32_e32 v17, 3, v17
	ds_store_b64 v17, v[13:14]
.LBB175_181:
	s_or_b32 exec_lo, exec_lo, s0
	v_and_b32_e32 v13, 1, v58
	s_mov_b32 s0, exec_lo
	s_delay_alu instid0(VALU_DEP_1)
	v_cmpx_eq_u32_e32 1, v13
	s_cbranch_execz .LBB175_183
; %bb.182:
	v_subrev_nc_u32_e32 v13, s8, v51
	s_delay_alu instid0(VALU_DEP_1)
	v_lshlrev_b32_e32 v13, 3, v13
	ds_store_b64 v13, v[15:16]
.LBB175_183:
	s_or_b32 exec_lo, exec_lo, s0
	v_and_b32_e32 v13, 1, v57
	s_mov_b32 s0, exec_lo
	s_delay_alu instid0(VALU_DEP_1)
	;; [unrolled: 12-line block ×7, first 2 shown]
	v_cmpx_eq_u32_e32 1, v1
	s_cbranch_execz .LBB175_195
; %bb.194:
	v_subrev_nc_u32_e32 v1, s8, v39
	s_delay_alu instid0(VALU_DEP_1)
	v_lshlrev_b32_e32 v1, 3, v1
	ds_store_b64 v1, v[3:4]
.LBB175_195:
	s_or_b32 exec_lo, exec_lo, s0
	s_delay_alu instid0(SALU_CYCLE_1)
	s_mov_b32 s1, exec_lo
	s_waitcnt lgkmcnt(0)
	s_waitcnt_vscnt null, 0x0
	s_barrier
	buffer_gl0_inv
	v_cmpx_lt_u32_e64 v0, v35
	s_cbranch_execz .LBB175_198
; %bb.196:
	s_mov_b32 s9, 0
	s_lshl_b64 s[4:5], s[10:11], 3
	s_lshl_b64 s[6:7], s[8:9], 3
	s_delay_alu instid0(SALU_CYCLE_1) | instskip(SKIP_4) | instid1(VALU_DEP_1)
	s_add_u32 s0, s4, s6
	s_addc_u32 s3, s5, s7
	s_add_u32 s0, s18, s0
	s_addc_u32 s3, s19, s3
	v_add_co_u32 v1, s0, s0, v55
	v_add_co_ci_u32_e64 v2, null, s3, 0, s0
	.p2align	6
.LBB175_197:                            ; =>This Inner Loop Header: Depth=1
	ds_load_b64 v[3:4], v55
	v_add_nc_u32_e32 v0, 0x200, v0
	v_add_nc_u32_e32 v55, 0x1000, v55
	s_delay_alu instid0(VALU_DEP_2) | instskip(SKIP_4) | instid1(VALU_DEP_1)
	v_cmp_ge_u32_e32 vcc_lo, v0, v35
	s_or_b32 s9, vcc_lo, s9
	s_waitcnt lgkmcnt(0)
	global_store_b64 v[1:2], v[3:4], off
	v_add_co_u32 v1, s0, 0x1000, v1
	v_add_co_ci_u32_e64 v2, s0, 0, v2, s0
	s_and_not1_b32 exec_lo, exec_lo, s9
	s_cbranch_execnz .LBB175_197
.LBB175_198:
	s_or_b32 exec_lo, exec_lo, s1
	s_and_b32 s0, s2, s22
	s_delay_alu instid0(SALU_CYCLE_1)
	s_and_saveexec_b32 s1, s0
	s_cbranch_execnz .LBB175_177
.LBB175_199:
	s_nop 0
	s_sendmsg sendmsg(MSG_DEALLOC_VGPRS)
	s_endpgm
	.section	.rodata,"a",@progbits
	.p2align	6, 0x0
	.amdhsa_kernel _ZN7rocprim17ROCPRIM_400000_NS6detail17trampoline_kernelINS0_14default_configENS1_25partition_config_selectorILNS1_17partition_subalgoE9EyybEEZZNS1_14partition_implILS5_9ELb0ES3_jN6thrust23THRUST_200600_302600_NS6detail15normal_iteratorINS9_10device_ptrIyEEEESE_PNS0_10empty_typeENS0_5tupleIJSE_SF_EEENSH_IJSE_SG_EEENS0_18inequality_wrapperINS9_8equal_toIyEEEEPmJSF_EEE10hipError_tPvRmT3_T4_T5_T6_T7_T9_mT8_P12ihipStream_tbDpT10_ENKUlT_T0_E_clISt17integral_constantIbLb0EES17_IbLb1EEEEDaS13_S14_EUlS13_E_NS1_11comp_targetILNS1_3genE9ELNS1_11target_archE1100ELNS1_3gpuE3ELNS1_3repE0EEENS1_30default_config_static_selectorELNS0_4arch9wavefront6targetE0EEEvT1_
		.amdhsa_group_segment_fixed_size 33800
		.amdhsa_private_segment_fixed_size 0
		.amdhsa_kernarg_size 128
		.amdhsa_user_sgpr_count 15
		.amdhsa_user_sgpr_dispatch_ptr 0
		.amdhsa_user_sgpr_queue_ptr 0
		.amdhsa_user_sgpr_kernarg_segment_ptr 1
		.amdhsa_user_sgpr_dispatch_id 0
		.amdhsa_user_sgpr_private_segment_size 0
		.amdhsa_wavefront_size32 1
		.amdhsa_uses_dynamic_stack 0
		.amdhsa_enable_private_segment 0
		.amdhsa_system_sgpr_workgroup_id_x 1
		.amdhsa_system_sgpr_workgroup_id_y 0
		.amdhsa_system_sgpr_workgroup_id_z 0
		.amdhsa_system_sgpr_workgroup_info 0
		.amdhsa_system_vgpr_workitem_id 0
		.amdhsa_next_free_vgpr 68
		.amdhsa_next_free_sgpr 29
		.amdhsa_reserve_vcc 1
		.amdhsa_float_round_mode_32 0
		.amdhsa_float_round_mode_16_64 0
		.amdhsa_float_denorm_mode_32 3
		.amdhsa_float_denorm_mode_16_64 3
		.amdhsa_dx10_clamp 1
		.amdhsa_ieee_mode 1
		.amdhsa_fp16_overflow 0
		.amdhsa_workgroup_processor_mode 1
		.amdhsa_memory_ordered 1
		.amdhsa_forward_progress 0
		.amdhsa_shared_vgpr_count 0
		.amdhsa_exception_fp_ieee_invalid_op 0
		.amdhsa_exception_fp_denorm_src 0
		.amdhsa_exception_fp_ieee_div_zero 0
		.amdhsa_exception_fp_ieee_overflow 0
		.amdhsa_exception_fp_ieee_underflow 0
		.amdhsa_exception_fp_ieee_inexact 0
		.amdhsa_exception_int_div_zero 0
	.end_amdhsa_kernel
	.section	.text._ZN7rocprim17ROCPRIM_400000_NS6detail17trampoline_kernelINS0_14default_configENS1_25partition_config_selectorILNS1_17partition_subalgoE9EyybEEZZNS1_14partition_implILS5_9ELb0ES3_jN6thrust23THRUST_200600_302600_NS6detail15normal_iteratorINS9_10device_ptrIyEEEESE_PNS0_10empty_typeENS0_5tupleIJSE_SF_EEENSH_IJSE_SG_EEENS0_18inequality_wrapperINS9_8equal_toIyEEEEPmJSF_EEE10hipError_tPvRmT3_T4_T5_T6_T7_T9_mT8_P12ihipStream_tbDpT10_ENKUlT_T0_E_clISt17integral_constantIbLb0EES17_IbLb1EEEEDaS13_S14_EUlS13_E_NS1_11comp_targetILNS1_3genE9ELNS1_11target_archE1100ELNS1_3gpuE3ELNS1_3repE0EEENS1_30default_config_static_selectorELNS0_4arch9wavefront6targetE0EEEvT1_,"axG",@progbits,_ZN7rocprim17ROCPRIM_400000_NS6detail17trampoline_kernelINS0_14default_configENS1_25partition_config_selectorILNS1_17partition_subalgoE9EyybEEZZNS1_14partition_implILS5_9ELb0ES3_jN6thrust23THRUST_200600_302600_NS6detail15normal_iteratorINS9_10device_ptrIyEEEESE_PNS0_10empty_typeENS0_5tupleIJSE_SF_EEENSH_IJSE_SG_EEENS0_18inequality_wrapperINS9_8equal_toIyEEEEPmJSF_EEE10hipError_tPvRmT3_T4_T5_T6_T7_T9_mT8_P12ihipStream_tbDpT10_ENKUlT_T0_E_clISt17integral_constantIbLb0EES17_IbLb1EEEEDaS13_S14_EUlS13_E_NS1_11comp_targetILNS1_3genE9ELNS1_11target_archE1100ELNS1_3gpuE3ELNS1_3repE0EEENS1_30default_config_static_selectorELNS0_4arch9wavefront6targetE0EEEvT1_,comdat
.Lfunc_end175:
	.size	_ZN7rocprim17ROCPRIM_400000_NS6detail17trampoline_kernelINS0_14default_configENS1_25partition_config_selectorILNS1_17partition_subalgoE9EyybEEZZNS1_14partition_implILS5_9ELb0ES3_jN6thrust23THRUST_200600_302600_NS6detail15normal_iteratorINS9_10device_ptrIyEEEESE_PNS0_10empty_typeENS0_5tupleIJSE_SF_EEENSH_IJSE_SG_EEENS0_18inequality_wrapperINS9_8equal_toIyEEEEPmJSF_EEE10hipError_tPvRmT3_T4_T5_T6_T7_T9_mT8_P12ihipStream_tbDpT10_ENKUlT_T0_E_clISt17integral_constantIbLb0EES17_IbLb1EEEEDaS13_S14_EUlS13_E_NS1_11comp_targetILNS1_3genE9ELNS1_11target_archE1100ELNS1_3gpuE3ELNS1_3repE0EEENS1_30default_config_static_selectorELNS0_4arch9wavefront6targetE0EEEvT1_, .Lfunc_end175-_ZN7rocprim17ROCPRIM_400000_NS6detail17trampoline_kernelINS0_14default_configENS1_25partition_config_selectorILNS1_17partition_subalgoE9EyybEEZZNS1_14partition_implILS5_9ELb0ES3_jN6thrust23THRUST_200600_302600_NS6detail15normal_iteratorINS9_10device_ptrIyEEEESE_PNS0_10empty_typeENS0_5tupleIJSE_SF_EEENSH_IJSE_SG_EEENS0_18inequality_wrapperINS9_8equal_toIyEEEEPmJSF_EEE10hipError_tPvRmT3_T4_T5_T6_T7_T9_mT8_P12ihipStream_tbDpT10_ENKUlT_T0_E_clISt17integral_constantIbLb0EES17_IbLb1EEEEDaS13_S14_EUlS13_E_NS1_11comp_targetILNS1_3genE9ELNS1_11target_archE1100ELNS1_3gpuE3ELNS1_3repE0EEENS1_30default_config_static_selectorELNS0_4arch9wavefront6targetE0EEEvT1_
                                        ; -- End function
	.section	.AMDGPU.csdata,"",@progbits
; Kernel info:
; codeLenInByte = 9460
; NumSgprs: 31
; NumVgprs: 68
; ScratchSize: 0
; MemoryBound: 0
; FloatMode: 240
; IeeeMode: 1
; LDSByteSize: 33800 bytes/workgroup (compile time only)
; SGPRBlocks: 3
; VGPRBlocks: 8
; NumSGPRsForWavesPerEU: 31
; NumVGPRsForWavesPerEU: 68
; Occupancy: 12
; WaveLimiterHint : 1
; COMPUTE_PGM_RSRC2:SCRATCH_EN: 0
; COMPUTE_PGM_RSRC2:USER_SGPR: 15
; COMPUTE_PGM_RSRC2:TRAP_HANDLER: 0
; COMPUTE_PGM_RSRC2:TGID_X_EN: 1
; COMPUTE_PGM_RSRC2:TGID_Y_EN: 0
; COMPUTE_PGM_RSRC2:TGID_Z_EN: 0
; COMPUTE_PGM_RSRC2:TIDIG_COMP_CNT: 0
	.section	.text._ZN7rocprim17ROCPRIM_400000_NS6detail17trampoline_kernelINS0_14default_configENS1_25partition_config_selectorILNS1_17partition_subalgoE9EyybEEZZNS1_14partition_implILS5_9ELb0ES3_jN6thrust23THRUST_200600_302600_NS6detail15normal_iteratorINS9_10device_ptrIyEEEESE_PNS0_10empty_typeENS0_5tupleIJSE_SF_EEENSH_IJSE_SG_EEENS0_18inequality_wrapperINS9_8equal_toIyEEEEPmJSF_EEE10hipError_tPvRmT3_T4_T5_T6_T7_T9_mT8_P12ihipStream_tbDpT10_ENKUlT_T0_E_clISt17integral_constantIbLb0EES17_IbLb1EEEEDaS13_S14_EUlS13_E_NS1_11comp_targetILNS1_3genE8ELNS1_11target_archE1030ELNS1_3gpuE2ELNS1_3repE0EEENS1_30default_config_static_selectorELNS0_4arch9wavefront6targetE0EEEvT1_,"axG",@progbits,_ZN7rocprim17ROCPRIM_400000_NS6detail17trampoline_kernelINS0_14default_configENS1_25partition_config_selectorILNS1_17partition_subalgoE9EyybEEZZNS1_14partition_implILS5_9ELb0ES3_jN6thrust23THRUST_200600_302600_NS6detail15normal_iteratorINS9_10device_ptrIyEEEESE_PNS0_10empty_typeENS0_5tupleIJSE_SF_EEENSH_IJSE_SG_EEENS0_18inequality_wrapperINS9_8equal_toIyEEEEPmJSF_EEE10hipError_tPvRmT3_T4_T5_T6_T7_T9_mT8_P12ihipStream_tbDpT10_ENKUlT_T0_E_clISt17integral_constantIbLb0EES17_IbLb1EEEEDaS13_S14_EUlS13_E_NS1_11comp_targetILNS1_3genE8ELNS1_11target_archE1030ELNS1_3gpuE2ELNS1_3repE0EEENS1_30default_config_static_selectorELNS0_4arch9wavefront6targetE0EEEvT1_,comdat
	.protected	_ZN7rocprim17ROCPRIM_400000_NS6detail17trampoline_kernelINS0_14default_configENS1_25partition_config_selectorILNS1_17partition_subalgoE9EyybEEZZNS1_14partition_implILS5_9ELb0ES3_jN6thrust23THRUST_200600_302600_NS6detail15normal_iteratorINS9_10device_ptrIyEEEESE_PNS0_10empty_typeENS0_5tupleIJSE_SF_EEENSH_IJSE_SG_EEENS0_18inequality_wrapperINS9_8equal_toIyEEEEPmJSF_EEE10hipError_tPvRmT3_T4_T5_T6_T7_T9_mT8_P12ihipStream_tbDpT10_ENKUlT_T0_E_clISt17integral_constantIbLb0EES17_IbLb1EEEEDaS13_S14_EUlS13_E_NS1_11comp_targetILNS1_3genE8ELNS1_11target_archE1030ELNS1_3gpuE2ELNS1_3repE0EEENS1_30default_config_static_selectorELNS0_4arch9wavefront6targetE0EEEvT1_ ; -- Begin function _ZN7rocprim17ROCPRIM_400000_NS6detail17trampoline_kernelINS0_14default_configENS1_25partition_config_selectorILNS1_17partition_subalgoE9EyybEEZZNS1_14partition_implILS5_9ELb0ES3_jN6thrust23THRUST_200600_302600_NS6detail15normal_iteratorINS9_10device_ptrIyEEEESE_PNS0_10empty_typeENS0_5tupleIJSE_SF_EEENSH_IJSE_SG_EEENS0_18inequality_wrapperINS9_8equal_toIyEEEEPmJSF_EEE10hipError_tPvRmT3_T4_T5_T6_T7_T9_mT8_P12ihipStream_tbDpT10_ENKUlT_T0_E_clISt17integral_constantIbLb0EES17_IbLb1EEEEDaS13_S14_EUlS13_E_NS1_11comp_targetILNS1_3genE8ELNS1_11target_archE1030ELNS1_3gpuE2ELNS1_3repE0EEENS1_30default_config_static_selectorELNS0_4arch9wavefront6targetE0EEEvT1_
	.globl	_ZN7rocprim17ROCPRIM_400000_NS6detail17trampoline_kernelINS0_14default_configENS1_25partition_config_selectorILNS1_17partition_subalgoE9EyybEEZZNS1_14partition_implILS5_9ELb0ES3_jN6thrust23THRUST_200600_302600_NS6detail15normal_iteratorINS9_10device_ptrIyEEEESE_PNS0_10empty_typeENS0_5tupleIJSE_SF_EEENSH_IJSE_SG_EEENS0_18inequality_wrapperINS9_8equal_toIyEEEEPmJSF_EEE10hipError_tPvRmT3_T4_T5_T6_T7_T9_mT8_P12ihipStream_tbDpT10_ENKUlT_T0_E_clISt17integral_constantIbLb0EES17_IbLb1EEEEDaS13_S14_EUlS13_E_NS1_11comp_targetILNS1_3genE8ELNS1_11target_archE1030ELNS1_3gpuE2ELNS1_3repE0EEENS1_30default_config_static_selectorELNS0_4arch9wavefront6targetE0EEEvT1_
	.p2align	8
	.type	_ZN7rocprim17ROCPRIM_400000_NS6detail17trampoline_kernelINS0_14default_configENS1_25partition_config_selectorILNS1_17partition_subalgoE9EyybEEZZNS1_14partition_implILS5_9ELb0ES3_jN6thrust23THRUST_200600_302600_NS6detail15normal_iteratorINS9_10device_ptrIyEEEESE_PNS0_10empty_typeENS0_5tupleIJSE_SF_EEENSH_IJSE_SG_EEENS0_18inequality_wrapperINS9_8equal_toIyEEEEPmJSF_EEE10hipError_tPvRmT3_T4_T5_T6_T7_T9_mT8_P12ihipStream_tbDpT10_ENKUlT_T0_E_clISt17integral_constantIbLb0EES17_IbLb1EEEEDaS13_S14_EUlS13_E_NS1_11comp_targetILNS1_3genE8ELNS1_11target_archE1030ELNS1_3gpuE2ELNS1_3repE0EEENS1_30default_config_static_selectorELNS0_4arch9wavefront6targetE0EEEvT1_,@function
_ZN7rocprim17ROCPRIM_400000_NS6detail17trampoline_kernelINS0_14default_configENS1_25partition_config_selectorILNS1_17partition_subalgoE9EyybEEZZNS1_14partition_implILS5_9ELb0ES3_jN6thrust23THRUST_200600_302600_NS6detail15normal_iteratorINS9_10device_ptrIyEEEESE_PNS0_10empty_typeENS0_5tupleIJSE_SF_EEENSH_IJSE_SG_EEENS0_18inequality_wrapperINS9_8equal_toIyEEEEPmJSF_EEE10hipError_tPvRmT3_T4_T5_T6_T7_T9_mT8_P12ihipStream_tbDpT10_ENKUlT_T0_E_clISt17integral_constantIbLb0EES17_IbLb1EEEEDaS13_S14_EUlS13_E_NS1_11comp_targetILNS1_3genE8ELNS1_11target_archE1030ELNS1_3gpuE2ELNS1_3repE0EEENS1_30default_config_static_selectorELNS0_4arch9wavefront6targetE0EEEvT1_: ; @_ZN7rocprim17ROCPRIM_400000_NS6detail17trampoline_kernelINS0_14default_configENS1_25partition_config_selectorILNS1_17partition_subalgoE9EyybEEZZNS1_14partition_implILS5_9ELb0ES3_jN6thrust23THRUST_200600_302600_NS6detail15normal_iteratorINS9_10device_ptrIyEEEESE_PNS0_10empty_typeENS0_5tupleIJSE_SF_EEENSH_IJSE_SG_EEENS0_18inequality_wrapperINS9_8equal_toIyEEEEPmJSF_EEE10hipError_tPvRmT3_T4_T5_T6_T7_T9_mT8_P12ihipStream_tbDpT10_ENKUlT_T0_E_clISt17integral_constantIbLb0EES17_IbLb1EEEEDaS13_S14_EUlS13_E_NS1_11comp_targetILNS1_3genE8ELNS1_11target_archE1030ELNS1_3gpuE2ELNS1_3repE0EEENS1_30default_config_static_selectorELNS0_4arch9wavefront6targetE0EEEvT1_
; %bb.0:
	.section	.rodata,"a",@progbits
	.p2align	6, 0x0
	.amdhsa_kernel _ZN7rocprim17ROCPRIM_400000_NS6detail17trampoline_kernelINS0_14default_configENS1_25partition_config_selectorILNS1_17partition_subalgoE9EyybEEZZNS1_14partition_implILS5_9ELb0ES3_jN6thrust23THRUST_200600_302600_NS6detail15normal_iteratorINS9_10device_ptrIyEEEESE_PNS0_10empty_typeENS0_5tupleIJSE_SF_EEENSH_IJSE_SG_EEENS0_18inequality_wrapperINS9_8equal_toIyEEEEPmJSF_EEE10hipError_tPvRmT3_T4_T5_T6_T7_T9_mT8_P12ihipStream_tbDpT10_ENKUlT_T0_E_clISt17integral_constantIbLb0EES17_IbLb1EEEEDaS13_S14_EUlS13_E_NS1_11comp_targetILNS1_3genE8ELNS1_11target_archE1030ELNS1_3gpuE2ELNS1_3repE0EEENS1_30default_config_static_selectorELNS0_4arch9wavefront6targetE0EEEvT1_
		.amdhsa_group_segment_fixed_size 0
		.amdhsa_private_segment_fixed_size 0
		.amdhsa_kernarg_size 128
		.amdhsa_user_sgpr_count 15
		.amdhsa_user_sgpr_dispatch_ptr 0
		.amdhsa_user_sgpr_queue_ptr 0
		.amdhsa_user_sgpr_kernarg_segment_ptr 1
		.amdhsa_user_sgpr_dispatch_id 0
		.amdhsa_user_sgpr_private_segment_size 0
		.amdhsa_wavefront_size32 1
		.amdhsa_uses_dynamic_stack 0
		.amdhsa_enable_private_segment 0
		.amdhsa_system_sgpr_workgroup_id_x 1
		.amdhsa_system_sgpr_workgroup_id_y 0
		.amdhsa_system_sgpr_workgroup_id_z 0
		.amdhsa_system_sgpr_workgroup_info 0
		.amdhsa_system_vgpr_workitem_id 0
		.amdhsa_next_free_vgpr 1
		.amdhsa_next_free_sgpr 1
		.amdhsa_reserve_vcc 0
		.amdhsa_float_round_mode_32 0
		.amdhsa_float_round_mode_16_64 0
		.amdhsa_float_denorm_mode_32 3
		.amdhsa_float_denorm_mode_16_64 3
		.amdhsa_dx10_clamp 1
		.amdhsa_ieee_mode 1
		.amdhsa_fp16_overflow 0
		.amdhsa_workgroup_processor_mode 1
		.amdhsa_memory_ordered 1
		.amdhsa_forward_progress 0
		.amdhsa_shared_vgpr_count 0
		.amdhsa_exception_fp_ieee_invalid_op 0
		.amdhsa_exception_fp_denorm_src 0
		.amdhsa_exception_fp_ieee_div_zero 0
		.amdhsa_exception_fp_ieee_overflow 0
		.amdhsa_exception_fp_ieee_underflow 0
		.amdhsa_exception_fp_ieee_inexact 0
		.amdhsa_exception_int_div_zero 0
	.end_amdhsa_kernel
	.section	.text._ZN7rocprim17ROCPRIM_400000_NS6detail17trampoline_kernelINS0_14default_configENS1_25partition_config_selectorILNS1_17partition_subalgoE9EyybEEZZNS1_14partition_implILS5_9ELb0ES3_jN6thrust23THRUST_200600_302600_NS6detail15normal_iteratorINS9_10device_ptrIyEEEESE_PNS0_10empty_typeENS0_5tupleIJSE_SF_EEENSH_IJSE_SG_EEENS0_18inequality_wrapperINS9_8equal_toIyEEEEPmJSF_EEE10hipError_tPvRmT3_T4_T5_T6_T7_T9_mT8_P12ihipStream_tbDpT10_ENKUlT_T0_E_clISt17integral_constantIbLb0EES17_IbLb1EEEEDaS13_S14_EUlS13_E_NS1_11comp_targetILNS1_3genE8ELNS1_11target_archE1030ELNS1_3gpuE2ELNS1_3repE0EEENS1_30default_config_static_selectorELNS0_4arch9wavefront6targetE0EEEvT1_,"axG",@progbits,_ZN7rocprim17ROCPRIM_400000_NS6detail17trampoline_kernelINS0_14default_configENS1_25partition_config_selectorILNS1_17partition_subalgoE9EyybEEZZNS1_14partition_implILS5_9ELb0ES3_jN6thrust23THRUST_200600_302600_NS6detail15normal_iteratorINS9_10device_ptrIyEEEESE_PNS0_10empty_typeENS0_5tupleIJSE_SF_EEENSH_IJSE_SG_EEENS0_18inequality_wrapperINS9_8equal_toIyEEEEPmJSF_EEE10hipError_tPvRmT3_T4_T5_T6_T7_T9_mT8_P12ihipStream_tbDpT10_ENKUlT_T0_E_clISt17integral_constantIbLb0EES17_IbLb1EEEEDaS13_S14_EUlS13_E_NS1_11comp_targetILNS1_3genE8ELNS1_11target_archE1030ELNS1_3gpuE2ELNS1_3repE0EEENS1_30default_config_static_selectorELNS0_4arch9wavefront6targetE0EEEvT1_,comdat
.Lfunc_end176:
	.size	_ZN7rocprim17ROCPRIM_400000_NS6detail17trampoline_kernelINS0_14default_configENS1_25partition_config_selectorILNS1_17partition_subalgoE9EyybEEZZNS1_14partition_implILS5_9ELb0ES3_jN6thrust23THRUST_200600_302600_NS6detail15normal_iteratorINS9_10device_ptrIyEEEESE_PNS0_10empty_typeENS0_5tupleIJSE_SF_EEENSH_IJSE_SG_EEENS0_18inequality_wrapperINS9_8equal_toIyEEEEPmJSF_EEE10hipError_tPvRmT3_T4_T5_T6_T7_T9_mT8_P12ihipStream_tbDpT10_ENKUlT_T0_E_clISt17integral_constantIbLb0EES17_IbLb1EEEEDaS13_S14_EUlS13_E_NS1_11comp_targetILNS1_3genE8ELNS1_11target_archE1030ELNS1_3gpuE2ELNS1_3repE0EEENS1_30default_config_static_selectorELNS0_4arch9wavefront6targetE0EEEvT1_, .Lfunc_end176-_ZN7rocprim17ROCPRIM_400000_NS6detail17trampoline_kernelINS0_14default_configENS1_25partition_config_selectorILNS1_17partition_subalgoE9EyybEEZZNS1_14partition_implILS5_9ELb0ES3_jN6thrust23THRUST_200600_302600_NS6detail15normal_iteratorINS9_10device_ptrIyEEEESE_PNS0_10empty_typeENS0_5tupleIJSE_SF_EEENSH_IJSE_SG_EEENS0_18inequality_wrapperINS9_8equal_toIyEEEEPmJSF_EEE10hipError_tPvRmT3_T4_T5_T6_T7_T9_mT8_P12ihipStream_tbDpT10_ENKUlT_T0_E_clISt17integral_constantIbLb0EES17_IbLb1EEEEDaS13_S14_EUlS13_E_NS1_11comp_targetILNS1_3genE8ELNS1_11target_archE1030ELNS1_3gpuE2ELNS1_3repE0EEENS1_30default_config_static_selectorELNS0_4arch9wavefront6targetE0EEEvT1_
                                        ; -- End function
	.section	.AMDGPU.csdata,"",@progbits
; Kernel info:
; codeLenInByte = 0
; NumSgprs: 0
; NumVgprs: 0
; ScratchSize: 0
; MemoryBound: 0
; FloatMode: 240
; IeeeMode: 1
; LDSByteSize: 0 bytes/workgroup (compile time only)
; SGPRBlocks: 0
; VGPRBlocks: 0
; NumSGPRsForWavesPerEU: 1
; NumVGPRsForWavesPerEU: 1
; Occupancy: 16
; WaveLimiterHint : 0
; COMPUTE_PGM_RSRC2:SCRATCH_EN: 0
; COMPUTE_PGM_RSRC2:USER_SGPR: 15
; COMPUTE_PGM_RSRC2:TRAP_HANDLER: 0
; COMPUTE_PGM_RSRC2:TGID_X_EN: 1
; COMPUTE_PGM_RSRC2:TGID_Y_EN: 0
; COMPUTE_PGM_RSRC2:TGID_Z_EN: 0
; COMPUTE_PGM_RSRC2:TIDIG_COMP_CNT: 0
	.section	.text._ZN7rocprim17ROCPRIM_400000_NS6detail17trampoline_kernelINS0_14default_configENS1_25partition_config_selectorILNS1_17partition_subalgoE9EyybEEZZNS1_14partition_implILS5_9ELb0ES3_jN6thrust23THRUST_200600_302600_NS6detail15normal_iteratorINS9_10device_ptrIyEEEESE_PNS0_10empty_typeENS0_5tupleIJSE_SF_EEENSH_IJSE_SG_EEENS0_18inequality_wrapperI22is_equal_div_10_uniqueIyEEEPmJSF_EEE10hipError_tPvRmT3_T4_T5_T6_T7_T9_mT8_P12ihipStream_tbDpT10_ENKUlT_T0_E_clISt17integral_constantIbLb0EES18_EEDaS13_S14_EUlS13_E_NS1_11comp_targetILNS1_3genE0ELNS1_11target_archE4294967295ELNS1_3gpuE0ELNS1_3repE0EEENS1_30default_config_static_selectorELNS0_4arch9wavefront6targetE0EEEvT1_,"axG",@progbits,_ZN7rocprim17ROCPRIM_400000_NS6detail17trampoline_kernelINS0_14default_configENS1_25partition_config_selectorILNS1_17partition_subalgoE9EyybEEZZNS1_14partition_implILS5_9ELb0ES3_jN6thrust23THRUST_200600_302600_NS6detail15normal_iteratorINS9_10device_ptrIyEEEESE_PNS0_10empty_typeENS0_5tupleIJSE_SF_EEENSH_IJSE_SG_EEENS0_18inequality_wrapperI22is_equal_div_10_uniqueIyEEEPmJSF_EEE10hipError_tPvRmT3_T4_T5_T6_T7_T9_mT8_P12ihipStream_tbDpT10_ENKUlT_T0_E_clISt17integral_constantIbLb0EES18_EEDaS13_S14_EUlS13_E_NS1_11comp_targetILNS1_3genE0ELNS1_11target_archE4294967295ELNS1_3gpuE0ELNS1_3repE0EEENS1_30default_config_static_selectorELNS0_4arch9wavefront6targetE0EEEvT1_,comdat
	.protected	_ZN7rocprim17ROCPRIM_400000_NS6detail17trampoline_kernelINS0_14default_configENS1_25partition_config_selectorILNS1_17partition_subalgoE9EyybEEZZNS1_14partition_implILS5_9ELb0ES3_jN6thrust23THRUST_200600_302600_NS6detail15normal_iteratorINS9_10device_ptrIyEEEESE_PNS0_10empty_typeENS0_5tupleIJSE_SF_EEENSH_IJSE_SG_EEENS0_18inequality_wrapperI22is_equal_div_10_uniqueIyEEEPmJSF_EEE10hipError_tPvRmT3_T4_T5_T6_T7_T9_mT8_P12ihipStream_tbDpT10_ENKUlT_T0_E_clISt17integral_constantIbLb0EES18_EEDaS13_S14_EUlS13_E_NS1_11comp_targetILNS1_3genE0ELNS1_11target_archE4294967295ELNS1_3gpuE0ELNS1_3repE0EEENS1_30default_config_static_selectorELNS0_4arch9wavefront6targetE0EEEvT1_ ; -- Begin function _ZN7rocprim17ROCPRIM_400000_NS6detail17trampoline_kernelINS0_14default_configENS1_25partition_config_selectorILNS1_17partition_subalgoE9EyybEEZZNS1_14partition_implILS5_9ELb0ES3_jN6thrust23THRUST_200600_302600_NS6detail15normal_iteratorINS9_10device_ptrIyEEEESE_PNS0_10empty_typeENS0_5tupleIJSE_SF_EEENSH_IJSE_SG_EEENS0_18inequality_wrapperI22is_equal_div_10_uniqueIyEEEPmJSF_EEE10hipError_tPvRmT3_T4_T5_T6_T7_T9_mT8_P12ihipStream_tbDpT10_ENKUlT_T0_E_clISt17integral_constantIbLb0EES18_EEDaS13_S14_EUlS13_E_NS1_11comp_targetILNS1_3genE0ELNS1_11target_archE4294967295ELNS1_3gpuE0ELNS1_3repE0EEENS1_30default_config_static_selectorELNS0_4arch9wavefront6targetE0EEEvT1_
	.globl	_ZN7rocprim17ROCPRIM_400000_NS6detail17trampoline_kernelINS0_14default_configENS1_25partition_config_selectorILNS1_17partition_subalgoE9EyybEEZZNS1_14partition_implILS5_9ELb0ES3_jN6thrust23THRUST_200600_302600_NS6detail15normal_iteratorINS9_10device_ptrIyEEEESE_PNS0_10empty_typeENS0_5tupleIJSE_SF_EEENSH_IJSE_SG_EEENS0_18inequality_wrapperI22is_equal_div_10_uniqueIyEEEPmJSF_EEE10hipError_tPvRmT3_T4_T5_T6_T7_T9_mT8_P12ihipStream_tbDpT10_ENKUlT_T0_E_clISt17integral_constantIbLb0EES18_EEDaS13_S14_EUlS13_E_NS1_11comp_targetILNS1_3genE0ELNS1_11target_archE4294967295ELNS1_3gpuE0ELNS1_3repE0EEENS1_30default_config_static_selectorELNS0_4arch9wavefront6targetE0EEEvT1_
	.p2align	8
	.type	_ZN7rocprim17ROCPRIM_400000_NS6detail17trampoline_kernelINS0_14default_configENS1_25partition_config_selectorILNS1_17partition_subalgoE9EyybEEZZNS1_14partition_implILS5_9ELb0ES3_jN6thrust23THRUST_200600_302600_NS6detail15normal_iteratorINS9_10device_ptrIyEEEESE_PNS0_10empty_typeENS0_5tupleIJSE_SF_EEENSH_IJSE_SG_EEENS0_18inequality_wrapperI22is_equal_div_10_uniqueIyEEEPmJSF_EEE10hipError_tPvRmT3_T4_T5_T6_T7_T9_mT8_P12ihipStream_tbDpT10_ENKUlT_T0_E_clISt17integral_constantIbLb0EES18_EEDaS13_S14_EUlS13_E_NS1_11comp_targetILNS1_3genE0ELNS1_11target_archE4294967295ELNS1_3gpuE0ELNS1_3repE0EEENS1_30default_config_static_selectorELNS0_4arch9wavefront6targetE0EEEvT1_,@function
_ZN7rocprim17ROCPRIM_400000_NS6detail17trampoline_kernelINS0_14default_configENS1_25partition_config_selectorILNS1_17partition_subalgoE9EyybEEZZNS1_14partition_implILS5_9ELb0ES3_jN6thrust23THRUST_200600_302600_NS6detail15normal_iteratorINS9_10device_ptrIyEEEESE_PNS0_10empty_typeENS0_5tupleIJSE_SF_EEENSH_IJSE_SG_EEENS0_18inequality_wrapperI22is_equal_div_10_uniqueIyEEEPmJSF_EEE10hipError_tPvRmT3_T4_T5_T6_T7_T9_mT8_P12ihipStream_tbDpT10_ENKUlT_T0_E_clISt17integral_constantIbLb0EES18_EEDaS13_S14_EUlS13_E_NS1_11comp_targetILNS1_3genE0ELNS1_11target_archE4294967295ELNS1_3gpuE0ELNS1_3repE0EEENS1_30default_config_static_selectorELNS0_4arch9wavefront6targetE0EEEvT1_: ; @_ZN7rocprim17ROCPRIM_400000_NS6detail17trampoline_kernelINS0_14default_configENS1_25partition_config_selectorILNS1_17partition_subalgoE9EyybEEZZNS1_14partition_implILS5_9ELb0ES3_jN6thrust23THRUST_200600_302600_NS6detail15normal_iteratorINS9_10device_ptrIyEEEESE_PNS0_10empty_typeENS0_5tupleIJSE_SF_EEENSH_IJSE_SG_EEENS0_18inequality_wrapperI22is_equal_div_10_uniqueIyEEEPmJSF_EEE10hipError_tPvRmT3_T4_T5_T6_T7_T9_mT8_P12ihipStream_tbDpT10_ENKUlT_T0_E_clISt17integral_constantIbLb0EES18_EEDaS13_S14_EUlS13_E_NS1_11comp_targetILNS1_3genE0ELNS1_11target_archE4294967295ELNS1_3gpuE0ELNS1_3repE0EEENS1_30default_config_static_selectorELNS0_4arch9wavefront6targetE0EEEvT1_
; %bb.0:
	.section	.rodata,"a",@progbits
	.p2align	6, 0x0
	.amdhsa_kernel _ZN7rocprim17ROCPRIM_400000_NS6detail17trampoline_kernelINS0_14default_configENS1_25partition_config_selectorILNS1_17partition_subalgoE9EyybEEZZNS1_14partition_implILS5_9ELb0ES3_jN6thrust23THRUST_200600_302600_NS6detail15normal_iteratorINS9_10device_ptrIyEEEESE_PNS0_10empty_typeENS0_5tupleIJSE_SF_EEENSH_IJSE_SG_EEENS0_18inequality_wrapperI22is_equal_div_10_uniqueIyEEEPmJSF_EEE10hipError_tPvRmT3_T4_T5_T6_T7_T9_mT8_P12ihipStream_tbDpT10_ENKUlT_T0_E_clISt17integral_constantIbLb0EES18_EEDaS13_S14_EUlS13_E_NS1_11comp_targetILNS1_3genE0ELNS1_11target_archE4294967295ELNS1_3gpuE0ELNS1_3repE0EEENS1_30default_config_static_selectorELNS0_4arch9wavefront6targetE0EEEvT1_
		.amdhsa_group_segment_fixed_size 0
		.amdhsa_private_segment_fixed_size 0
		.amdhsa_kernarg_size 112
		.amdhsa_user_sgpr_count 15
		.amdhsa_user_sgpr_dispatch_ptr 0
		.amdhsa_user_sgpr_queue_ptr 0
		.amdhsa_user_sgpr_kernarg_segment_ptr 1
		.amdhsa_user_sgpr_dispatch_id 0
		.amdhsa_user_sgpr_private_segment_size 0
		.amdhsa_wavefront_size32 1
		.amdhsa_uses_dynamic_stack 0
		.amdhsa_enable_private_segment 0
		.amdhsa_system_sgpr_workgroup_id_x 1
		.amdhsa_system_sgpr_workgroup_id_y 0
		.amdhsa_system_sgpr_workgroup_id_z 0
		.amdhsa_system_sgpr_workgroup_info 0
		.amdhsa_system_vgpr_workitem_id 0
		.amdhsa_next_free_vgpr 1
		.amdhsa_next_free_sgpr 1
		.amdhsa_reserve_vcc 0
		.amdhsa_float_round_mode_32 0
		.amdhsa_float_round_mode_16_64 0
		.amdhsa_float_denorm_mode_32 3
		.amdhsa_float_denorm_mode_16_64 3
		.amdhsa_dx10_clamp 1
		.amdhsa_ieee_mode 1
		.amdhsa_fp16_overflow 0
		.amdhsa_workgroup_processor_mode 1
		.amdhsa_memory_ordered 1
		.amdhsa_forward_progress 0
		.amdhsa_shared_vgpr_count 0
		.amdhsa_exception_fp_ieee_invalid_op 0
		.amdhsa_exception_fp_denorm_src 0
		.amdhsa_exception_fp_ieee_div_zero 0
		.amdhsa_exception_fp_ieee_overflow 0
		.amdhsa_exception_fp_ieee_underflow 0
		.amdhsa_exception_fp_ieee_inexact 0
		.amdhsa_exception_int_div_zero 0
	.end_amdhsa_kernel
	.section	.text._ZN7rocprim17ROCPRIM_400000_NS6detail17trampoline_kernelINS0_14default_configENS1_25partition_config_selectorILNS1_17partition_subalgoE9EyybEEZZNS1_14partition_implILS5_9ELb0ES3_jN6thrust23THRUST_200600_302600_NS6detail15normal_iteratorINS9_10device_ptrIyEEEESE_PNS0_10empty_typeENS0_5tupleIJSE_SF_EEENSH_IJSE_SG_EEENS0_18inequality_wrapperI22is_equal_div_10_uniqueIyEEEPmJSF_EEE10hipError_tPvRmT3_T4_T5_T6_T7_T9_mT8_P12ihipStream_tbDpT10_ENKUlT_T0_E_clISt17integral_constantIbLb0EES18_EEDaS13_S14_EUlS13_E_NS1_11comp_targetILNS1_3genE0ELNS1_11target_archE4294967295ELNS1_3gpuE0ELNS1_3repE0EEENS1_30default_config_static_selectorELNS0_4arch9wavefront6targetE0EEEvT1_,"axG",@progbits,_ZN7rocprim17ROCPRIM_400000_NS6detail17trampoline_kernelINS0_14default_configENS1_25partition_config_selectorILNS1_17partition_subalgoE9EyybEEZZNS1_14partition_implILS5_9ELb0ES3_jN6thrust23THRUST_200600_302600_NS6detail15normal_iteratorINS9_10device_ptrIyEEEESE_PNS0_10empty_typeENS0_5tupleIJSE_SF_EEENSH_IJSE_SG_EEENS0_18inequality_wrapperI22is_equal_div_10_uniqueIyEEEPmJSF_EEE10hipError_tPvRmT3_T4_T5_T6_T7_T9_mT8_P12ihipStream_tbDpT10_ENKUlT_T0_E_clISt17integral_constantIbLb0EES18_EEDaS13_S14_EUlS13_E_NS1_11comp_targetILNS1_3genE0ELNS1_11target_archE4294967295ELNS1_3gpuE0ELNS1_3repE0EEENS1_30default_config_static_selectorELNS0_4arch9wavefront6targetE0EEEvT1_,comdat
.Lfunc_end177:
	.size	_ZN7rocprim17ROCPRIM_400000_NS6detail17trampoline_kernelINS0_14default_configENS1_25partition_config_selectorILNS1_17partition_subalgoE9EyybEEZZNS1_14partition_implILS5_9ELb0ES3_jN6thrust23THRUST_200600_302600_NS6detail15normal_iteratorINS9_10device_ptrIyEEEESE_PNS0_10empty_typeENS0_5tupleIJSE_SF_EEENSH_IJSE_SG_EEENS0_18inequality_wrapperI22is_equal_div_10_uniqueIyEEEPmJSF_EEE10hipError_tPvRmT3_T4_T5_T6_T7_T9_mT8_P12ihipStream_tbDpT10_ENKUlT_T0_E_clISt17integral_constantIbLb0EES18_EEDaS13_S14_EUlS13_E_NS1_11comp_targetILNS1_3genE0ELNS1_11target_archE4294967295ELNS1_3gpuE0ELNS1_3repE0EEENS1_30default_config_static_selectorELNS0_4arch9wavefront6targetE0EEEvT1_, .Lfunc_end177-_ZN7rocprim17ROCPRIM_400000_NS6detail17trampoline_kernelINS0_14default_configENS1_25partition_config_selectorILNS1_17partition_subalgoE9EyybEEZZNS1_14partition_implILS5_9ELb0ES3_jN6thrust23THRUST_200600_302600_NS6detail15normal_iteratorINS9_10device_ptrIyEEEESE_PNS0_10empty_typeENS0_5tupleIJSE_SF_EEENSH_IJSE_SG_EEENS0_18inequality_wrapperI22is_equal_div_10_uniqueIyEEEPmJSF_EEE10hipError_tPvRmT3_T4_T5_T6_T7_T9_mT8_P12ihipStream_tbDpT10_ENKUlT_T0_E_clISt17integral_constantIbLb0EES18_EEDaS13_S14_EUlS13_E_NS1_11comp_targetILNS1_3genE0ELNS1_11target_archE4294967295ELNS1_3gpuE0ELNS1_3repE0EEENS1_30default_config_static_selectorELNS0_4arch9wavefront6targetE0EEEvT1_
                                        ; -- End function
	.section	.AMDGPU.csdata,"",@progbits
; Kernel info:
; codeLenInByte = 0
; NumSgprs: 0
; NumVgprs: 0
; ScratchSize: 0
; MemoryBound: 0
; FloatMode: 240
; IeeeMode: 1
; LDSByteSize: 0 bytes/workgroup (compile time only)
; SGPRBlocks: 0
; VGPRBlocks: 0
; NumSGPRsForWavesPerEU: 1
; NumVGPRsForWavesPerEU: 1
; Occupancy: 16
; WaveLimiterHint : 0
; COMPUTE_PGM_RSRC2:SCRATCH_EN: 0
; COMPUTE_PGM_RSRC2:USER_SGPR: 15
; COMPUTE_PGM_RSRC2:TRAP_HANDLER: 0
; COMPUTE_PGM_RSRC2:TGID_X_EN: 1
; COMPUTE_PGM_RSRC2:TGID_Y_EN: 0
; COMPUTE_PGM_RSRC2:TGID_Z_EN: 0
; COMPUTE_PGM_RSRC2:TIDIG_COMP_CNT: 0
	.section	.text._ZN7rocprim17ROCPRIM_400000_NS6detail17trampoline_kernelINS0_14default_configENS1_25partition_config_selectorILNS1_17partition_subalgoE9EyybEEZZNS1_14partition_implILS5_9ELb0ES3_jN6thrust23THRUST_200600_302600_NS6detail15normal_iteratorINS9_10device_ptrIyEEEESE_PNS0_10empty_typeENS0_5tupleIJSE_SF_EEENSH_IJSE_SG_EEENS0_18inequality_wrapperI22is_equal_div_10_uniqueIyEEEPmJSF_EEE10hipError_tPvRmT3_T4_T5_T6_T7_T9_mT8_P12ihipStream_tbDpT10_ENKUlT_T0_E_clISt17integral_constantIbLb0EES18_EEDaS13_S14_EUlS13_E_NS1_11comp_targetILNS1_3genE5ELNS1_11target_archE942ELNS1_3gpuE9ELNS1_3repE0EEENS1_30default_config_static_selectorELNS0_4arch9wavefront6targetE0EEEvT1_,"axG",@progbits,_ZN7rocprim17ROCPRIM_400000_NS6detail17trampoline_kernelINS0_14default_configENS1_25partition_config_selectorILNS1_17partition_subalgoE9EyybEEZZNS1_14partition_implILS5_9ELb0ES3_jN6thrust23THRUST_200600_302600_NS6detail15normal_iteratorINS9_10device_ptrIyEEEESE_PNS0_10empty_typeENS0_5tupleIJSE_SF_EEENSH_IJSE_SG_EEENS0_18inequality_wrapperI22is_equal_div_10_uniqueIyEEEPmJSF_EEE10hipError_tPvRmT3_T4_T5_T6_T7_T9_mT8_P12ihipStream_tbDpT10_ENKUlT_T0_E_clISt17integral_constantIbLb0EES18_EEDaS13_S14_EUlS13_E_NS1_11comp_targetILNS1_3genE5ELNS1_11target_archE942ELNS1_3gpuE9ELNS1_3repE0EEENS1_30default_config_static_selectorELNS0_4arch9wavefront6targetE0EEEvT1_,comdat
	.protected	_ZN7rocprim17ROCPRIM_400000_NS6detail17trampoline_kernelINS0_14default_configENS1_25partition_config_selectorILNS1_17partition_subalgoE9EyybEEZZNS1_14partition_implILS5_9ELb0ES3_jN6thrust23THRUST_200600_302600_NS6detail15normal_iteratorINS9_10device_ptrIyEEEESE_PNS0_10empty_typeENS0_5tupleIJSE_SF_EEENSH_IJSE_SG_EEENS0_18inequality_wrapperI22is_equal_div_10_uniqueIyEEEPmJSF_EEE10hipError_tPvRmT3_T4_T5_T6_T7_T9_mT8_P12ihipStream_tbDpT10_ENKUlT_T0_E_clISt17integral_constantIbLb0EES18_EEDaS13_S14_EUlS13_E_NS1_11comp_targetILNS1_3genE5ELNS1_11target_archE942ELNS1_3gpuE9ELNS1_3repE0EEENS1_30default_config_static_selectorELNS0_4arch9wavefront6targetE0EEEvT1_ ; -- Begin function _ZN7rocprim17ROCPRIM_400000_NS6detail17trampoline_kernelINS0_14default_configENS1_25partition_config_selectorILNS1_17partition_subalgoE9EyybEEZZNS1_14partition_implILS5_9ELb0ES3_jN6thrust23THRUST_200600_302600_NS6detail15normal_iteratorINS9_10device_ptrIyEEEESE_PNS0_10empty_typeENS0_5tupleIJSE_SF_EEENSH_IJSE_SG_EEENS0_18inequality_wrapperI22is_equal_div_10_uniqueIyEEEPmJSF_EEE10hipError_tPvRmT3_T4_T5_T6_T7_T9_mT8_P12ihipStream_tbDpT10_ENKUlT_T0_E_clISt17integral_constantIbLb0EES18_EEDaS13_S14_EUlS13_E_NS1_11comp_targetILNS1_3genE5ELNS1_11target_archE942ELNS1_3gpuE9ELNS1_3repE0EEENS1_30default_config_static_selectorELNS0_4arch9wavefront6targetE0EEEvT1_
	.globl	_ZN7rocprim17ROCPRIM_400000_NS6detail17trampoline_kernelINS0_14default_configENS1_25partition_config_selectorILNS1_17partition_subalgoE9EyybEEZZNS1_14partition_implILS5_9ELb0ES3_jN6thrust23THRUST_200600_302600_NS6detail15normal_iteratorINS9_10device_ptrIyEEEESE_PNS0_10empty_typeENS0_5tupleIJSE_SF_EEENSH_IJSE_SG_EEENS0_18inequality_wrapperI22is_equal_div_10_uniqueIyEEEPmJSF_EEE10hipError_tPvRmT3_T4_T5_T6_T7_T9_mT8_P12ihipStream_tbDpT10_ENKUlT_T0_E_clISt17integral_constantIbLb0EES18_EEDaS13_S14_EUlS13_E_NS1_11comp_targetILNS1_3genE5ELNS1_11target_archE942ELNS1_3gpuE9ELNS1_3repE0EEENS1_30default_config_static_selectorELNS0_4arch9wavefront6targetE0EEEvT1_
	.p2align	8
	.type	_ZN7rocprim17ROCPRIM_400000_NS6detail17trampoline_kernelINS0_14default_configENS1_25partition_config_selectorILNS1_17partition_subalgoE9EyybEEZZNS1_14partition_implILS5_9ELb0ES3_jN6thrust23THRUST_200600_302600_NS6detail15normal_iteratorINS9_10device_ptrIyEEEESE_PNS0_10empty_typeENS0_5tupleIJSE_SF_EEENSH_IJSE_SG_EEENS0_18inequality_wrapperI22is_equal_div_10_uniqueIyEEEPmJSF_EEE10hipError_tPvRmT3_T4_T5_T6_T7_T9_mT8_P12ihipStream_tbDpT10_ENKUlT_T0_E_clISt17integral_constantIbLb0EES18_EEDaS13_S14_EUlS13_E_NS1_11comp_targetILNS1_3genE5ELNS1_11target_archE942ELNS1_3gpuE9ELNS1_3repE0EEENS1_30default_config_static_selectorELNS0_4arch9wavefront6targetE0EEEvT1_,@function
_ZN7rocprim17ROCPRIM_400000_NS6detail17trampoline_kernelINS0_14default_configENS1_25partition_config_selectorILNS1_17partition_subalgoE9EyybEEZZNS1_14partition_implILS5_9ELb0ES3_jN6thrust23THRUST_200600_302600_NS6detail15normal_iteratorINS9_10device_ptrIyEEEESE_PNS0_10empty_typeENS0_5tupleIJSE_SF_EEENSH_IJSE_SG_EEENS0_18inequality_wrapperI22is_equal_div_10_uniqueIyEEEPmJSF_EEE10hipError_tPvRmT3_T4_T5_T6_T7_T9_mT8_P12ihipStream_tbDpT10_ENKUlT_T0_E_clISt17integral_constantIbLb0EES18_EEDaS13_S14_EUlS13_E_NS1_11comp_targetILNS1_3genE5ELNS1_11target_archE942ELNS1_3gpuE9ELNS1_3repE0EEENS1_30default_config_static_selectorELNS0_4arch9wavefront6targetE0EEEvT1_: ; @_ZN7rocprim17ROCPRIM_400000_NS6detail17trampoline_kernelINS0_14default_configENS1_25partition_config_selectorILNS1_17partition_subalgoE9EyybEEZZNS1_14partition_implILS5_9ELb0ES3_jN6thrust23THRUST_200600_302600_NS6detail15normal_iteratorINS9_10device_ptrIyEEEESE_PNS0_10empty_typeENS0_5tupleIJSE_SF_EEENSH_IJSE_SG_EEENS0_18inequality_wrapperI22is_equal_div_10_uniqueIyEEEPmJSF_EEE10hipError_tPvRmT3_T4_T5_T6_T7_T9_mT8_P12ihipStream_tbDpT10_ENKUlT_T0_E_clISt17integral_constantIbLb0EES18_EEDaS13_S14_EUlS13_E_NS1_11comp_targetILNS1_3genE5ELNS1_11target_archE942ELNS1_3gpuE9ELNS1_3repE0EEENS1_30default_config_static_selectorELNS0_4arch9wavefront6targetE0EEEvT1_
; %bb.0:
	.section	.rodata,"a",@progbits
	.p2align	6, 0x0
	.amdhsa_kernel _ZN7rocprim17ROCPRIM_400000_NS6detail17trampoline_kernelINS0_14default_configENS1_25partition_config_selectorILNS1_17partition_subalgoE9EyybEEZZNS1_14partition_implILS5_9ELb0ES3_jN6thrust23THRUST_200600_302600_NS6detail15normal_iteratorINS9_10device_ptrIyEEEESE_PNS0_10empty_typeENS0_5tupleIJSE_SF_EEENSH_IJSE_SG_EEENS0_18inequality_wrapperI22is_equal_div_10_uniqueIyEEEPmJSF_EEE10hipError_tPvRmT3_T4_T5_T6_T7_T9_mT8_P12ihipStream_tbDpT10_ENKUlT_T0_E_clISt17integral_constantIbLb0EES18_EEDaS13_S14_EUlS13_E_NS1_11comp_targetILNS1_3genE5ELNS1_11target_archE942ELNS1_3gpuE9ELNS1_3repE0EEENS1_30default_config_static_selectorELNS0_4arch9wavefront6targetE0EEEvT1_
		.amdhsa_group_segment_fixed_size 0
		.amdhsa_private_segment_fixed_size 0
		.amdhsa_kernarg_size 112
		.amdhsa_user_sgpr_count 15
		.amdhsa_user_sgpr_dispatch_ptr 0
		.amdhsa_user_sgpr_queue_ptr 0
		.amdhsa_user_sgpr_kernarg_segment_ptr 1
		.amdhsa_user_sgpr_dispatch_id 0
		.amdhsa_user_sgpr_private_segment_size 0
		.amdhsa_wavefront_size32 1
		.amdhsa_uses_dynamic_stack 0
		.amdhsa_enable_private_segment 0
		.amdhsa_system_sgpr_workgroup_id_x 1
		.amdhsa_system_sgpr_workgroup_id_y 0
		.amdhsa_system_sgpr_workgroup_id_z 0
		.amdhsa_system_sgpr_workgroup_info 0
		.amdhsa_system_vgpr_workitem_id 0
		.amdhsa_next_free_vgpr 1
		.amdhsa_next_free_sgpr 1
		.amdhsa_reserve_vcc 0
		.amdhsa_float_round_mode_32 0
		.amdhsa_float_round_mode_16_64 0
		.amdhsa_float_denorm_mode_32 3
		.amdhsa_float_denorm_mode_16_64 3
		.amdhsa_dx10_clamp 1
		.amdhsa_ieee_mode 1
		.amdhsa_fp16_overflow 0
		.amdhsa_workgroup_processor_mode 1
		.amdhsa_memory_ordered 1
		.amdhsa_forward_progress 0
		.amdhsa_shared_vgpr_count 0
		.amdhsa_exception_fp_ieee_invalid_op 0
		.amdhsa_exception_fp_denorm_src 0
		.amdhsa_exception_fp_ieee_div_zero 0
		.amdhsa_exception_fp_ieee_overflow 0
		.amdhsa_exception_fp_ieee_underflow 0
		.amdhsa_exception_fp_ieee_inexact 0
		.amdhsa_exception_int_div_zero 0
	.end_amdhsa_kernel
	.section	.text._ZN7rocprim17ROCPRIM_400000_NS6detail17trampoline_kernelINS0_14default_configENS1_25partition_config_selectorILNS1_17partition_subalgoE9EyybEEZZNS1_14partition_implILS5_9ELb0ES3_jN6thrust23THRUST_200600_302600_NS6detail15normal_iteratorINS9_10device_ptrIyEEEESE_PNS0_10empty_typeENS0_5tupleIJSE_SF_EEENSH_IJSE_SG_EEENS0_18inequality_wrapperI22is_equal_div_10_uniqueIyEEEPmJSF_EEE10hipError_tPvRmT3_T4_T5_T6_T7_T9_mT8_P12ihipStream_tbDpT10_ENKUlT_T0_E_clISt17integral_constantIbLb0EES18_EEDaS13_S14_EUlS13_E_NS1_11comp_targetILNS1_3genE5ELNS1_11target_archE942ELNS1_3gpuE9ELNS1_3repE0EEENS1_30default_config_static_selectorELNS0_4arch9wavefront6targetE0EEEvT1_,"axG",@progbits,_ZN7rocprim17ROCPRIM_400000_NS6detail17trampoline_kernelINS0_14default_configENS1_25partition_config_selectorILNS1_17partition_subalgoE9EyybEEZZNS1_14partition_implILS5_9ELb0ES3_jN6thrust23THRUST_200600_302600_NS6detail15normal_iteratorINS9_10device_ptrIyEEEESE_PNS0_10empty_typeENS0_5tupleIJSE_SF_EEENSH_IJSE_SG_EEENS0_18inequality_wrapperI22is_equal_div_10_uniqueIyEEEPmJSF_EEE10hipError_tPvRmT3_T4_T5_T6_T7_T9_mT8_P12ihipStream_tbDpT10_ENKUlT_T0_E_clISt17integral_constantIbLb0EES18_EEDaS13_S14_EUlS13_E_NS1_11comp_targetILNS1_3genE5ELNS1_11target_archE942ELNS1_3gpuE9ELNS1_3repE0EEENS1_30default_config_static_selectorELNS0_4arch9wavefront6targetE0EEEvT1_,comdat
.Lfunc_end178:
	.size	_ZN7rocprim17ROCPRIM_400000_NS6detail17trampoline_kernelINS0_14default_configENS1_25partition_config_selectorILNS1_17partition_subalgoE9EyybEEZZNS1_14partition_implILS5_9ELb0ES3_jN6thrust23THRUST_200600_302600_NS6detail15normal_iteratorINS9_10device_ptrIyEEEESE_PNS0_10empty_typeENS0_5tupleIJSE_SF_EEENSH_IJSE_SG_EEENS0_18inequality_wrapperI22is_equal_div_10_uniqueIyEEEPmJSF_EEE10hipError_tPvRmT3_T4_T5_T6_T7_T9_mT8_P12ihipStream_tbDpT10_ENKUlT_T0_E_clISt17integral_constantIbLb0EES18_EEDaS13_S14_EUlS13_E_NS1_11comp_targetILNS1_3genE5ELNS1_11target_archE942ELNS1_3gpuE9ELNS1_3repE0EEENS1_30default_config_static_selectorELNS0_4arch9wavefront6targetE0EEEvT1_, .Lfunc_end178-_ZN7rocprim17ROCPRIM_400000_NS6detail17trampoline_kernelINS0_14default_configENS1_25partition_config_selectorILNS1_17partition_subalgoE9EyybEEZZNS1_14partition_implILS5_9ELb0ES3_jN6thrust23THRUST_200600_302600_NS6detail15normal_iteratorINS9_10device_ptrIyEEEESE_PNS0_10empty_typeENS0_5tupleIJSE_SF_EEENSH_IJSE_SG_EEENS0_18inequality_wrapperI22is_equal_div_10_uniqueIyEEEPmJSF_EEE10hipError_tPvRmT3_T4_T5_T6_T7_T9_mT8_P12ihipStream_tbDpT10_ENKUlT_T0_E_clISt17integral_constantIbLb0EES18_EEDaS13_S14_EUlS13_E_NS1_11comp_targetILNS1_3genE5ELNS1_11target_archE942ELNS1_3gpuE9ELNS1_3repE0EEENS1_30default_config_static_selectorELNS0_4arch9wavefront6targetE0EEEvT1_
                                        ; -- End function
	.section	.AMDGPU.csdata,"",@progbits
; Kernel info:
; codeLenInByte = 0
; NumSgprs: 0
; NumVgprs: 0
; ScratchSize: 0
; MemoryBound: 0
; FloatMode: 240
; IeeeMode: 1
; LDSByteSize: 0 bytes/workgroup (compile time only)
; SGPRBlocks: 0
; VGPRBlocks: 0
; NumSGPRsForWavesPerEU: 1
; NumVGPRsForWavesPerEU: 1
; Occupancy: 16
; WaveLimiterHint : 0
; COMPUTE_PGM_RSRC2:SCRATCH_EN: 0
; COMPUTE_PGM_RSRC2:USER_SGPR: 15
; COMPUTE_PGM_RSRC2:TRAP_HANDLER: 0
; COMPUTE_PGM_RSRC2:TGID_X_EN: 1
; COMPUTE_PGM_RSRC2:TGID_Y_EN: 0
; COMPUTE_PGM_RSRC2:TGID_Z_EN: 0
; COMPUTE_PGM_RSRC2:TIDIG_COMP_CNT: 0
	.section	.text._ZN7rocprim17ROCPRIM_400000_NS6detail17trampoline_kernelINS0_14default_configENS1_25partition_config_selectorILNS1_17partition_subalgoE9EyybEEZZNS1_14partition_implILS5_9ELb0ES3_jN6thrust23THRUST_200600_302600_NS6detail15normal_iteratorINS9_10device_ptrIyEEEESE_PNS0_10empty_typeENS0_5tupleIJSE_SF_EEENSH_IJSE_SG_EEENS0_18inequality_wrapperI22is_equal_div_10_uniqueIyEEEPmJSF_EEE10hipError_tPvRmT3_T4_T5_T6_T7_T9_mT8_P12ihipStream_tbDpT10_ENKUlT_T0_E_clISt17integral_constantIbLb0EES18_EEDaS13_S14_EUlS13_E_NS1_11comp_targetILNS1_3genE4ELNS1_11target_archE910ELNS1_3gpuE8ELNS1_3repE0EEENS1_30default_config_static_selectorELNS0_4arch9wavefront6targetE0EEEvT1_,"axG",@progbits,_ZN7rocprim17ROCPRIM_400000_NS6detail17trampoline_kernelINS0_14default_configENS1_25partition_config_selectorILNS1_17partition_subalgoE9EyybEEZZNS1_14partition_implILS5_9ELb0ES3_jN6thrust23THRUST_200600_302600_NS6detail15normal_iteratorINS9_10device_ptrIyEEEESE_PNS0_10empty_typeENS0_5tupleIJSE_SF_EEENSH_IJSE_SG_EEENS0_18inequality_wrapperI22is_equal_div_10_uniqueIyEEEPmJSF_EEE10hipError_tPvRmT3_T4_T5_T6_T7_T9_mT8_P12ihipStream_tbDpT10_ENKUlT_T0_E_clISt17integral_constantIbLb0EES18_EEDaS13_S14_EUlS13_E_NS1_11comp_targetILNS1_3genE4ELNS1_11target_archE910ELNS1_3gpuE8ELNS1_3repE0EEENS1_30default_config_static_selectorELNS0_4arch9wavefront6targetE0EEEvT1_,comdat
	.protected	_ZN7rocprim17ROCPRIM_400000_NS6detail17trampoline_kernelINS0_14default_configENS1_25partition_config_selectorILNS1_17partition_subalgoE9EyybEEZZNS1_14partition_implILS5_9ELb0ES3_jN6thrust23THRUST_200600_302600_NS6detail15normal_iteratorINS9_10device_ptrIyEEEESE_PNS0_10empty_typeENS0_5tupleIJSE_SF_EEENSH_IJSE_SG_EEENS0_18inequality_wrapperI22is_equal_div_10_uniqueIyEEEPmJSF_EEE10hipError_tPvRmT3_T4_T5_T6_T7_T9_mT8_P12ihipStream_tbDpT10_ENKUlT_T0_E_clISt17integral_constantIbLb0EES18_EEDaS13_S14_EUlS13_E_NS1_11comp_targetILNS1_3genE4ELNS1_11target_archE910ELNS1_3gpuE8ELNS1_3repE0EEENS1_30default_config_static_selectorELNS0_4arch9wavefront6targetE0EEEvT1_ ; -- Begin function _ZN7rocprim17ROCPRIM_400000_NS6detail17trampoline_kernelINS0_14default_configENS1_25partition_config_selectorILNS1_17partition_subalgoE9EyybEEZZNS1_14partition_implILS5_9ELb0ES3_jN6thrust23THRUST_200600_302600_NS6detail15normal_iteratorINS9_10device_ptrIyEEEESE_PNS0_10empty_typeENS0_5tupleIJSE_SF_EEENSH_IJSE_SG_EEENS0_18inequality_wrapperI22is_equal_div_10_uniqueIyEEEPmJSF_EEE10hipError_tPvRmT3_T4_T5_T6_T7_T9_mT8_P12ihipStream_tbDpT10_ENKUlT_T0_E_clISt17integral_constantIbLb0EES18_EEDaS13_S14_EUlS13_E_NS1_11comp_targetILNS1_3genE4ELNS1_11target_archE910ELNS1_3gpuE8ELNS1_3repE0EEENS1_30default_config_static_selectorELNS0_4arch9wavefront6targetE0EEEvT1_
	.globl	_ZN7rocprim17ROCPRIM_400000_NS6detail17trampoline_kernelINS0_14default_configENS1_25partition_config_selectorILNS1_17partition_subalgoE9EyybEEZZNS1_14partition_implILS5_9ELb0ES3_jN6thrust23THRUST_200600_302600_NS6detail15normal_iteratorINS9_10device_ptrIyEEEESE_PNS0_10empty_typeENS0_5tupleIJSE_SF_EEENSH_IJSE_SG_EEENS0_18inequality_wrapperI22is_equal_div_10_uniqueIyEEEPmJSF_EEE10hipError_tPvRmT3_T4_T5_T6_T7_T9_mT8_P12ihipStream_tbDpT10_ENKUlT_T0_E_clISt17integral_constantIbLb0EES18_EEDaS13_S14_EUlS13_E_NS1_11comp_targetILNS1_3genE4ELNS1_11target_archE910ELNS1_3gpuE8ELNS1_3repE0EEENS1_30default_config_static_selectorELNS0_4arch9wavefront6targetE0EEEvT1_
	.p2align	8
	.type	_ZN7rocprim17ROCPRIM_400000_NS6detail17trampoline_kernelINS0_14default_configENS1_25partition_config_selectorILNS1_17partition_subalgoE9EyybEEZZNS1_14partition_implILS5_9ELb0ES3_jN6thrust23THRUST_200600_302600_NS6detail15normal_iteratorINS9_10device_ptrIyEEEESE_PNS0_10empty_typeENS0_5tupleIJSE_SF_EEENSH_IJSE_SG_EEENS0_18inequality_wrapperI22is_equal_div_10_uniqueIyEEEPmJSF_EEE10hipError_tPvRmT3_T4_T5_T6_T7_T9_mT8_P12ihipStream_tbDpT10_ENKUlT_T0_E_clISt17integral_constantIbLb0EES18_EEDaS13_S14_EUlS13_E_NS1_11comp_targetILNS1_3genE4ELNS1_11target_archE910ELNS1_3gpuE8ELNS1_3repE0EEENS1_30default_config_static_selectorELNS0_4arch9wavefront6targetE0EEEvT1_,@function
_ZN7rocprim17ROCPRIM_400000_NS6detail17trampoline_kernelINS0_14default_configENS1_25partition_config_selectorILNS1_17partition_subalgoE9EyybEEZZNS1_14partition_implILS5_9ELb0ES3_jN6thrust23THRUST_200600_302600_NS6detail15normal_iteratorINS9_10device_ptrIyEEEESE_PNS0_10empty_typeENS0_5tupleIJSE_SF_EEENSH_IJSE_SG_EEENS0_18inequality_wrapperI22is_equal_div_10_uniqueIyEEEPmJSF_EEE10hipError_tPvRmT3_T4_T5_T6_T7_T9_mT8_P12ihipStream_tbDpT10_ENKUlT_T0_E_clISt17integral_constantIbLb0EES18_EEDaS13_S14_EUlS13_E_NS1_11comp_targetILNS1_3genE4ELNS1_11target_archE910ELNS1_3gpuE8ELNS1_3repE0EEENS1_30default_config_static_selectorELNS0_4arch9wavefront6targetE0EEEvT1_: ; @_ZN7rocprim17ROCPRIM_400000_NS6detail17trampoline_kernelINS0_14default_configENS1_25partition_config_selectorILNS1_17partition_subalgoE9EyybEEZZNS1_14partition_implILS5_9ELb0ES3_jN6thrust23THRUST_200600_302600_NS6detail15normal_iteratorINS9_10device_ptrIyEEEESE_PNS0_10empty_typeENS0_5tupleIJSE_SF_EEENSH_IJSE_SG_EEENS0_18inequality_wrapperI22is_equal_div_10_uniqueIyEEEPmJSF_EEE10hipError_tPvRmT3_T4_T5_T6_T7_T9_mT8_P12ihipStream_tbDpT10_ENKUlT_T0_E_clISt17integral_constantIbLb0EES18_EEDaS13_S14_EUlS13_E_NS1_11comp_targetILNS1_3genE4ELNS1_11target_archE910ELNS1_3gpuE8ELNS1_3repE0EEENS1_30default_config_static_selectorELNS0_4arch9wavefront6targetE0EEEvT1_
; %bb.0:
	.section	.rodata,"a",@progbits
	.p2align	6, 0x0
	.amdhsa_kernel _ZN7rocprim17ROCPRIM_400000_NS6detail17trampoline_kernelINS0_14default_configENS1_25partition_config_selectorILNS1_17partition_subalgoE9EyybEEZZNS1_14partition_implILS5_9ELb0ES3_jN6thrust23THRUST_200600_302600_NS6detail15normal_iteratorINS9_10device_ptrIyEEEESE_PNS0_10empty_typeENS0_5tupleIJSE_SF_EEENSH_IJSE_SG_EEENS0_18inequality_wrapperI22is_equal_div_10_uniqueIyEEEPmJSF_EEE10hipError_tPvRmT3_T4_T5_T6_T7_T9_mT8_P12ihipStream_tbDpT10_ENKUlT_T0_E_clISt17integral_constantIbLb0EES18_EEDaS13_S14_EUlS13_E_NS1_11comp_targetILNS1_3genE4ELNS1_11target_archE910ELNS1_3gpuE8ELNS1_3repE0EEENS1_30default_config_static_selectorELNS0_4arch9wavefront6targetE0EEEvT1_
		.amdhsa_group_segment_fixed_size 0
		.amdhsa_private_segment_fixed_size 0
		.amdhsa_kernarg_size 112
		.amdhsa_user_sgpr_count 15
		.amdhsa_user_sgpr_dispatch_ptr 0
		.amdhsa_user_sgpr_queue_ptr 0
		.amdhsa_user_sgpr_kernarg_segment_ptr 1
		.amdhsa_user_sgpr_dispatch_id 0
		.amdhsa_user_sgpr_private_segment_size 0
		.amdhsa_wavefront_size32 1
		.amdhsa_uses_dynamic_stack 0
		.amdhsa_enable_private_segment 0
		.amdhsa_system_sgpr_workgroup_id_x 1
		.amdhsa_system_sgpr_workgroup_id_y 0
		.amdhsa_system_sgpr_workgroup_id_z 0
		.amdhsa_system_sgpr_workgroup_info 0
		.amdhsa_system_vgpr_workitem_id 0
		.amdhsa_next_free_vgpr 1
		.amdhsa_next_free_sgpr 1
		.amdhsa_reserve_vcc 0
		.amdhsa_float_round_mode_32 0
		.amdhsa_float_round_mode_16_64 0
		.amdhsa_float_denorm_mode_32 3
		.amdhsa_float_denorm_mode_16_64 3
		.amdhsa_dx10_clamp 1
		.amdhsa_ieee_mode 1
		.amdhsa_fp16_overflow 0
		.amdhsa_workgroup_processor_mode 1
		.amdhsa_memory_ordered 1
		.amdhsa_forward_progress 0
		.amdhsa_shared_vgpr_count 0
		.amdhsa_exception_fp_ieee_invalid_op 0
		.amdhsa_exception_fp_denorm_src 0
		.amdhsa_exception_fp_ieee_div_zero 0
		.amdhsa_exception_fp_ieee_overflow 0
		.amdhsa_exception_fp_ieee_underflow 0
		.amdhsa_exception_fp_ieee_inexact 0
		.amdhsa_exception_int_div_zero 0
	.end_amdhsa_kernel
	.section	.text._ZN7rocprim17ROCPRIM_400000_NS6detail17trampoline_kernelINS0_14default_configENS1_25partition_config_selectorILNS1_17partition_subalgoE9EyybEEZZNS1_14partition_implILS5_9ELb0ES3_jN6thrust23THRUST_200600_302600_NS6detail15normal_iteratorINS9_10device_ptrIyEEEESE_PNS0_10empty_typeENS0_5tupleIJSE_SF_EEENSH_IJSE_SG_EEENS0_18inequality_wrapperI22is_equal_div_10_uniqueIyEEEPmJSF_EEE10hipError_tPvRmT3_T4_T5_T6_T7_T9_mT8_P12ihipStream_tbDpT10_ENKUlT_T0_E_clISt17integral_constantIbLb0EES18_EEDaS13_S14_EUlS13_E_NS1_11comp_targetILNS1_3genE4ELNS1_11target_archE910ELNS1_3gpuE8ELNS1_3repE0EEENS1_30default_config_static_selectorELNS0_4arch9wavefront6targetE0EEEvT1_,"axG",@progbits,_ZN7rocprim17ROCPRIM_400000_NS6detail17trampoline_kernelINS0_14default_configENS1_25partition_config_selectorILNS1_17partition_subalgoE9EyybEEZZNS1_14partition_implILS5_9ELb0ES3_jN6thrust23THRUST_200600_302600_NS6detail15normal_iteratorINS9_10device_ptrIyEEEESE_PNS0_10empty_typeENS0_5tupleIJSE_SF_EEENSH_IJSE_SG_EEENS0_18inequality_wrapperI22is_equal_div_10_uniqueIyEEEPmJSF_EEE10hipError_tPvRmT3_T4_T5_T6_T7_T9_mT8_P12ihipStream_tbDpT10_ENKUlT_T0_E_clISt17integral_constantIbLb0EES18_EEDaS13_S14_EUlS13_E_NS1_11comp_targetILNS1_3genE4ELNS1_11target_archE910ELNS1_3gpuE8ELNS1_3repE0EEENS1_30default_config_static_selectorELNS0_4arch9wavefront6targetE0EEEvT1_,comdat
.Lfunc_end179:
	.size	_ZN7rocprim17ROCPRIM_400000_NS6detail17trampoline_kernelINS0_14default_configENS1_25partition_config_selectorILNS1_17partition_subalgoE9EyybEEZZNS1_14partition_implILS5_9ELb0ES3_jN6thrust23THRUST_200600_302600_NS6detail15normal_iteratorINS9_10device_ptrIyEEEESE_PNS0_10empty_typeENS0_5tupleIJSE_SF_EEENSH_IJSE_SG_EEENS0_18inequality_wrapperI22is_equal_div_10_uniqueIyEEEPmJSF_EEE10hipError_tPvRmT3_T4_T5_T6_T7_T9_mT8_P12ihipStream_tbDpT10_ENKUlT_T0_E_clISt17integral_constantIbLb0EES18_EEDaS13_S14_EUlS13_E_NS1_11comp_targetILNS1_3genE4ELNS1_11target_archE910ELNS1_3gpuE8ELNS1_3repE0EEENS1_30default_config_static_selectorELNS0_4arch9wavefront6targetE0EEEvT1_, .Lfunc_end179-_ZN7rocprim17ROCPRIM_400000_NS6detail17trampoline_kernelINS0_14default_configENS1_25partition_config_selectorILNS1_17partition_subalgoE9EyybEEZZNS1_14partition_implILS5_9ELb0ES3_jN6thrust23THRUST_200600_302600_NS6detail15normal_iteratorINS9_10device_ptrIyEEEESE_PNS0_10empty_typeENS0_5tupleIJSE_SF_EEENSH_IJSE_SG_EEENS0_18inequality_wrapperI22is_equal_div_10_uniqueIyEEEPmJSF_EEE10hipError_tPvRmT3_T4_T5_T6_T7_T9_mT8_P12ihipStream_tbDpT10_ENKUlT_T0_E_clISt17integral_constantIbLb0EES18_EEDaS13_S14_EUlS13_E_NS1_11comp_targetILNS1_3genE4ELNS1_11target_archE910ELNS1_3gpuE8ELNS1_3repE0EEENS1_30default_config_static_selectorELNS0_4arch9wavefront6targetE0EEEvT1_
                                        ; -- End function
	.section	.AMDGPU.csdata,"",@progbits
; Kernel info:
; codeLenInByte = 0
; NumSgprs: 0
; NumVgprs: 0
; ScratchSize: 0
; MemoryBound: 0
; FloatMode: 240
; IeeeMode: 1
; LDSByteSize: 0 bytes/workgroup (compile time only)
; SGPRBlocks: 0
; VGPRBlocks: 0
; NumSGPRsForWavesPerEU: 1
; NumVGPRsForWavesPerEU: 1
; Occupancy: 16
; WaveLimiterHint : 0
; COMPUTE_PGM_RSRC2:SCRATCH_EN: 0
; COMPUTE_PGM_RSRC2:USER_SGPR: 15
; COMPUTE_PGM_RSRC2:TRAP_HANDLER: 0
; COMPUTE_PGM_RSRC2:TGID_X_EN: 1
; COMPUTE_PGM_RSRC2:TGID_Y_EN: 0
; COMPUTE_PGM_RSRC2:TGID_Z_EN: 0
; COMPUTE_PGM_RSRC2:TIDIG_COMP_CNT: 0
	.section	.text._ZN7rocprim17ROCPRIM_400000_NS6detail17trampoline_kernelINS0_14default_configENS1_25partition_config_selectorILNS1_17partition_subalgoE9EyybEEZZNS1_14partition_implILS5_9ELb0ES3_jN6thrust23THRUST_200600_302600_NS6detail15normal_iteratorINS9_10device_ptrIyEEEESE_PNS0_10empty_typeENS0_5tupleIJSE_SF_EEENSH_IJSE_SG_EEENS0_18inequality_wrapperI22is_equal_div_10_uniqueIyEEEPmJSF_EEE10hipError_tPvRmT3_T4_T5_T6_T7_T9_mT8_P12ihipStream_tbDpT10_ENKUlT_T0_E_clISt17integral_constantIbLb0EES18_EEDaS13_S14_EUlS13_E_NS1_11comp_targetILNS1_3genE3ELNS1_11target_archE908ELNS1_3gpuE7ELNS1_3repE0EEENS1_30default_config_static_selectorELNS0_4arch9wavefront6targetE0EEEvT1_,"axG",@progbits,_ZN7rocprim17ROCPRIM_400000_NS6detail17trampoline_kernelINS0_14default_configENS1_25partition_config_selectorILNS1_17partition_subalgoE9EyybEEZZNS1_14partition_implILS5_9ELb0ES3_jN6thrust23THRUST_200600_302600_NS6detail15normal_iteratorINS9_10device_ptrIyEEEESE_PNS0_10empty_typeENS0_5tupleIJSE_SF_EEENSH_IJSE_SG_EEENS0_18inequality_wrapperI22is_equal_div_10_uniqueIyEEEPmJSF_EEE10hipError_tPvRmT3_T4_T5_T6_T7_T9_mT8_P12ihipStream_tbDpT10_ENKUlT_T0_E_clISt17integral_constantIbLb0EES18_EEDaS13_S14_EUlS13_E_NS1_11comp_targetILNS1_3genE3ELNS1_11target_archE908ELNS1_3gpuE7ELNS1_3repE0EEENS1_30default_config_static_selectorELNS0_4arch9wavefront6targetE0EEEvT1_,comdat
	.protected	_ZN7rocprim17ROCPRIM_400000_NS6detail17trampoline_kernelINS0_14default_configENS1_25partition_config_selectorILNS1_17partition_subalgoE9EyybEEZZNS1_14partition_implILS5_9ELb0ES3_jN6thrust23THRUST_200600_302600_NS6detail15normal_iteratorINS9_10device_ptrIyEEEESE_PNS0_10empty_typeENS0_5tupleIJSE_SF_EEENSH_IJSE_SG_EEENS0_18inequality_wrapperI22is_equal_div_10_uniqueIyEEEPmJSF_EEE10hipError_tPvRmT3_T4_T5_T6_T7_T9_mT8_P12ihipStream_tbDpT10_ENKUlT_T0_E_clISt17integral_constantIbLb0EES18_EEDaS13_S14_EUlS13_E_NS1_11comp_targetILNS1_3genE3ELNS1_11target_archE908ELNS1_3gpuE7ELNS1_3repE0EEENS1_30default_config_static_selectorELNS0_4arch9wavefront6targetE0EEEvT1_ ; -- Begin function _ZN7rocprim17ROCPRIM_400000_NS6detail17trampoline_kernelINS0_14default_configENS1_25partition_config_selectorILNS1_17partition_subalgoE9EyybEEZZNS1_14partition_implILS5_9ELb0ES3_jN6thrust23THRUST_200600_302600_NS6detail15normal_iteratorINS9_10device_ptrIyEEEESE_PNS0_10empty_typeENS0_5tupleIJSE_SF_EEENSH_IJSE_SG_EEENS0_18inequality_wrapperI22is_equal_div_10_uniqueIyEEEPmJSF_EEE10hipError_tPvRmT3_T4_T5_T6_T7_T9_mT8_P12ihipStream_tbDpT10_ENKUlT_T0_E_clISt17integral_constantIbLb0EES18_EEDaS13_S14_EUlS13_E_NS1_11comp_targetILNS1_3genE3ELNS1_11target_archE908ELNS1_3gpuE7ELNS1_3repE0EEENS1_30default_config_static_selectorELNS0_4arch9wavefront6targetE0EEEvT1_
	.globl	_ZN7rocprim17ROCPRIM_400000_NS6detail17trampoline_kernelINS0_14default_configENS1_25partition_config_selectorILNS1_17partition_subalgoE9EyybEEZZNS1_14partition_implILS5_9ELb0ES3_jN6thrust23THRUST_200600_302600_NS6detail15normal_iteratorINS9_10device_ptrIyEEEESE_PNS0_10empty_typeENS0_5tupleIJSE_SF_EEENSH_IJSE_SG_EEENS0_18inequality_wrapperI22is_equal_div_10_uniqueIyEEEPmJSF_EEE10hipError_tPvRmT3_T4_T5_T6_T7_T9_mT8_P12ihipStream_tbDpT10_ENKUlT_T0_E_clISt17integral_constantIbLb0EES18_EEDaS13_S14_EUlS13_E_NS1_11comp_targetILNS1_3genE3ELNS1_11target_archE908ELNS1_3gpuE7ELNS1_3repE0EEENS1_30default_config_static_selectorELNS0_4arch9wavefront6targetE0EEEvT1_
	.p2align	8
	.type	_ZN7rocprim17ROCPRIM_400000_NS6detail17trampoline_kernelINS0_14default_configENS1_25partition_config_selectorILNS1_17partition_subalgoE9EyybEEZZNS1_14partition_implILS5_9ELb0ES3_jN6thrust23THRUST_200600_302600_NS6detail15normal_iteratorINS9_10device_ptrIyEEEESE_PNS0_10empty_typeENS0_5tupleIJSE_SF_EEENSH_IJSE_SG_EEENS0_18inequality_wrapperI22is_equal_div_10_uniqueIyEEEPmJSF_EEE10hipError_tPvRmT3_T4_T5_T6_T7_T9_mT8_P12ihipStream_tbDpT10_ENKUlT_T0_E_clISt17integral_constantIbLb0EES18_EEDaS13_S14_EUlS13_E_NS1_11comp_targetILNS1_3genE3ELNS1_11target_archE908ELNS1_3gpuE7ELNS1_3repE0EEENS1_30default_config_static_selectorELNS0_4arch9wavefront6targetE0EEEvT1_,@function
_ZN7rocprim17ROCPRIM_400000_NS6detail17trampoline_kernelINS0_14default_configENS1_25partition_config_selectorILNS1_17partition_subalgoE9EyybEEZZNS1_14partition_implILS5_9ELb0ES3_jN6thrust23THRUST_200600_302600_NS6detail15normal_iteratorINS9_10device_ptrIyEEEESE_PNS0_10empty_typeENS0_5tupleIJSE_SF_EEENSH_IJSE_SG_EEENS0_18inequality_wrapperI22is_equal_div_10_uniqueIyEEEPmJSF_EEE10hipError_tPvRmT3_T4_T5_T6_T7_T9_mT8_P12ihipStream_tbDpT10_ENKUlT_T0_E_clISt17integral_constantIbLb0EES18_EEDaS13_S14_EUlS13_E_NS1_11comp_targetILNS1_3genE3ELNS1_11target_archE908ELNS1_3gpuE7ELNS1_3repE0EEENS1_30default_config_static_selectorELNS0_4arch9wavefront6targetE0EEEvT1_: ; @_ZN7rocprim17ROCPRIM_400000_NS6detail17trampoline_kernelINS0_14default_configENS1_25partition_config_selectorILNS1_17partition_subalgoE9EyybEEZZNS1_14partition_implILS5_9ELb0ES3_jN6thrust23THRUST_200600_302600_NS6detail15normal_iteratorINS9_10device_ptrIyEEEESE_PNS0_10empty_typeENS0_5tupleIJSE_SF_EEENSH_IJSE_SG_EEENS0_18inequality_wrapperI22is_equal_div_10_uniqueIyEEEPmJSF_EEE10hipError_tPvRmT3_T4_T5_T6_T7_T9_mT8_P12ihipStream_tbDpT10_ENKUlT_T0_E_clISt17integral_constantIbLb0EES18_EEDaS13_S14_EUlS13_E_NS1_11comp_targetILNS1_3genE3ELNS1_11target_archE908ELNS1_3gpuE7ELNS1_3repE0EEENS1_30default_config_static_selectorELNS0_4arch9wavefront6targetE0EEEvT1_
; %bb.0:
	.section	.rodata,"a",@progbits
	.p2align	6, 0x0
	.amdhsa_kernel _ZN7rocprim17ROCPRIM_400000_NS6detail17trampoline_kernelINS0_14default_configENS1_25partition_config_selectorILNS1_17partition_subalgoE9EyybEEZZNS1_14partition_implILS5_9ELb0ES3_jN6thrust23THRUST_200600_302600_NS6detail15normal_iteratorINS9_10device_ptrIyEEEESE_PNS0_10empty_typeENS0_5tupleIJSE_SF_EEENSH_IJSE_SG_EEENS0_18inequality_wrapperI22is_equal_div_10_uniqueIyEEEPmJSF_EEE10hipError_tPvRmT3_T4_T5_T6_T7_T9_mT8_P12ihipStream_tbDpT10_ENKUlT_T0_E_clISt17integral_constantIbLb0EES18_EEDaS13_S14_EUlS13_E_NS1_11comp_targetILNS1_3genE3ELNS1_11target_archE908ELNS1_3gpuE7ELNS1_3repE0EEENS1_30default_config_static_selectorELNS0_4arch9wavefront6targetE0EEEvT1_
		.amdhsa_group_segment_fixed_size 0
		.amdhsa_private_segment_fixed_size 0
		.amdhsa_kernarg_size 112
		.amdhsa_user_sgpr_count 15
		.amdhsa_user_sgpr_dispatch_ptr 0
		.amdhsa_user_sgpr_queue_ptr 0
		.amdhsa_user_sgpr_kernarg_segment_ptr 1
		.amdhsa_user_sgpr_dispatch_id 0
		.amdhsa_user_sgpr_private_segment_size 0
		.amdhsa_wavefront_size32 1
		.amdhsa_uses_dynamic_stack 0
		.amdhsa_enable_private_segment 0
		.amdhsa_system_sgpr_workgroup_id_x 1
		.amdhsa_system_sgpr_workgroup_id_y 0
		.amdhsa_system_sgpr_workgroup_id_z 0
		.amdhsa_system_sgpr_workgroup_info 0
		.amdhsa_system_vgpr_workitem_id 0
		.amdhsa_next_free_vgpr 1
		.amdhsa_next_free_sgpr 1
		.amdhsa_reserve_vcc 0
		.amdhsa_float_round_mode_32 0
		.amdhsa_float_round_mode_16_64 0
		.amdhsa_float_denorm_mode_32 3
		.amdhsa_float_denorm_mode_16_64 3
		.amdhsa_dx10_clamp 1
		.amdhsa_ieee_mode 1
		.amdhsa_fp16_overflow 0
		.amdhsa_workgroup_processor_mode 1
		.amdhsa_memory_ordered 1
		.amdhsa_forward_progress 0
		.amdhsa_shared_vgpr_count 0
		.amdhsa_exception_fp_ieee_invalid_op 0
		.amdhsa_exception_fp_denorm_src 0
		.amdhsa_exception_fp_ieee_div_zero 0
		.amdhsa_exception_fp_ieee_overflow 0
		.amdhsa_exception_fp_ieee_underflow 0
		.amdhsa_exception_fp_ieee_inexact 0
		.amdhsa_exception_int_div_zero 0
	.end_amdhsa_kernel
	.section	.text._ZN7rocprim17ROCPRIM_400000_NS6detail17trampoline_kernelINS0_14default_configENS1_25partition_config_selectorILNS1_17partition_subalgoE9EyybEEZZNS1_14partition_implILS5_9ELb0ES3_jN6thrust23THRUST_200600_302600_NS6detail15normal_iteratorINS9_10device_ptrIyEEEESE_PNS0_10empty_typeENS0_5tupleIJSE_SF_EEENSH_IJSE_SG_EEENS0_18inequality_wrapperI22is_equal_div_10_uniqueIyEEEPmJSF_EEE10hipError_tPvRmT3_T4_T5_T6_T7_T9_mT8_P12ihipStream_tbDpT10_ENKUlT_T0_E_clISt17integral_constantIbLb0EES18_EEDaS13_S14_EUlS13_E_NS1_11comp_targetILNS1_3genE3ELNS1_11target_archE908ELNS1_3gpuE7ELNS1_3repE0EEENS1_30default_config_static_selectorELNS0_4arch9wavefront6targetE0EEEvT1_,"axG",@progbits,_ZN7rocprim17ROCPRIM_400000_NS6detail17trampoline_kernelINS0_14default_configENS1_25partition_config_selectorILNS1_17partition_subalgoE9EyybEEZZNS1_14partition_implILS5_9ELb0ES3_jN6thrust23THRUST_200600_302600_NS6detail15normal_iteratorINS9_10device_ptrIyEEEESE_PNS0_10empty_typeENS0_5tupleIJSE_SF_EEENSH_IJSE_SG_EEENS0_18inequality_wrapperI22is_equal_div_10_uniqueIyEEEPmJSF_EEE10hipError_tPvRmT3_T4_T5_T6_T7_T9_mT8_P12ihipStream_tbDpT10_ENKUlT_T0_E_clISt17integral_constantIbLb0EES18_EEDaS13_S14_EUlS13_E_NS1_11comp_targetILNS1_3genE3ELNS1_11target_archE908ELNS1_3gpuE7ELNS1_3repE0EEENS1_30default_config_static_selectorELNS0_4arch9wavefront6targetE0EEEvT1_,comdat
.Lfunc_end180:
	.size	_ZN7rocprim17ROCPRIM_400000_NS6detail17trampoline_kernelINS0_14default_configENS1_25partition_config_selectorILNS1_17partition_subalgoE9EyybEEZZNS1_14partition_implILS5_9ELb0ES3_jN6thrust23THRUST_200600_302600_NS6detail15normal_iteratorINS9_10device_ptrIyEEEESE_PNS0_10empty_typeENS0_5tupleIJSE_SF_EEENSH_IJSE_SG_EEENS0_18inequality_wrapperI22is_equal_div_10_uniqueIyEEEPmJSF_EEE10hipError_tPvRmT3_T4_T5_T6_T7_T9_mT8_P12ihipStream_tbDpT10_ENKUlT_T0_E_clISt17integral_constantIbLb0EES18_EEDaS13_S14_EUlS13_E_NS1_11comp_targetILNS1_3genE3ELNS1_11target_archE908ELNS1_3gpuE7ELNS1_3repE0EEENS1_30default_config_static_selectorELNS0_4arch9wavefront6targetE0EEEvT1_, .Lfunc_end180-_ZN7rocprim17ROCPRIM_400000_NS6detail17trampoline_kernelINS0_14default_configENS1_25partition_config_selectorILNS1_17partition_subalgoE9EyybEEZZNS1_14partition_implILS5_9ELb0ES3_jN6thrust23THRUST_200600_302600_NS6detail15normal_iteratorINS9_10device_ptrIyEEEESE_PNS0_10empty_typeENS0_5tupleIJSE_SF_EEENSH_IJSE_SG_EEENS0_18inequality_wrapperI22is_equal_div_10_uniqueIyEEEPmJSF_EEE10hipError_tPvRmT3_T4_T5_T6_T7_T9_mT8_P12ihipStream_tbDpT10_ENKUlT_T0_E_clISt17integral_constantIbLb0EES18_EEDaS13_S14_EUlS13_E_NS1_11comp_targetILNS1_3genE3ELNS1_11target_archE908ELNS1_3gpuE7ELNS1_3repE0EEENS1_30default_config_static_selectorELNS0_4arch9wavefront6targetE0EEEvT1_
                                        ; -- End function
	.section	.AMDGPU.csdata,"",@progbits
; Kernel info:
; codeLenInByte = 0
; NumSgprs: 0
; NumVgprs: 0
; ScratchSize: 0
; MemoryBound: 0
; FloatMode: 240
; IeeeMode: 1
; LDSByteSize: 0 bytes/workgroup (compile time only)
; SGPRBlocks: 0
; VGPRBlocks: 0
; NumSGPRsForWavesPerEU: 1
; NumVGPRsForWavesPerEU: 1
; Occupancy: 16
; WaveLimiterHint : 0
; COMPUTE_PGM_RSRC2:SCRATCH_EN: 0
; COMPUTE_PGM_RSRC2:USER_SGPR: 15
; COMPUTE_PGM_RSRC2:TRAP_HANDLER: 0
; COMPUTE_PGM_RSRC2:TGID_X_EN: 1
; COMPUTE_PGM_RSRC2:TGID_Y_EN: 0
; COMPUTE_PGM_RSRC2:TGID_Z_EN: 0
; COMPUTE_PGM_RSRC2:TIDIG_COMP_CNT: 0
	.section	.text._ZN7rocprim17ROCPRIM_400000_NS6detail17trampoline_kernelINS0_14default_configENS1_25partition_config_selectorILNS1_17partition_subalgoE9EyybEEZZNS1_14partition_implILS5_9ELb0ES3_jN6thrust23THRUST_200600_302600_NS6detail15normal_iteratorINS9_10device_ptrIyEEEESE_PNS0_10empty_typeENS0_5tupleIJSE_SF_EEENSH_IJSE_SG_EEENS0_18inequality_wrapperI22is_equal_div_10_uniqueIyEEEPmJSF_EEE10hipError_tPvRmT3_T4_T5_T6_T7_T9_mT8_P12ihipStream_tbDpT10_ENKUlT_T0_E_clISt17integral_constantIbLb0EES18_EEDaS13_S14_EUlS13_E_NS1_11comp_targetILNS1_3genE2ELNS1_11target_archE906ELNS1_3gpuE6ELNS1_3repE0EEENS1_30default_config_static_selectorELNS0_4arch9wavefront6targetE0EEEvT1_,"axG",@progbits,_ZN7rocprim17ROCPRIM_400000_NS6detail17trampoline_kernelINS0_14default_configENS1_25partition_config_selectorILNS1_17partition_subalgoE9EyybEEZZNS1_14partition_implILS5_9ELb0ES3_jN6thrust23THRUST_200600_302600_NS6detail15normal_iteratorINS9_10device_ptrIyEEEESE_PNS0_10empty_typeENS0_5tupleIJSE_SF_EEENSH_IJSE_SG_EEENS0_18inequality_wrapperI22is_equal_div_10_uniqueIyEEEPmJSF_EEE10hipError_tPvRmT3_T4_T5_T6_T7_T9_mT8_P12ihipStream_tbDpT10_ENKUlT_T0_E_clISt17integral_constantIbLb0EES18_EEDaS13_S14_EUlS13_E_NS1_11comp_targetILNS1_3genE2ELNS1_11target_archE906ELNS1_3gpuE6ELNS1_3repE0EEENS1_30default_config_static_selectorELNS0_4arch9wavefront6targetE0EEEvT1_,comdat
	.protected	_ZN7rocprim17ROCPRIM_400000_NS6detail17trampoline_kernelINS0_14default_configENS1_25partition_config_selectorILNS1_17partition_subalgoE9EyybEEZZNS1_14partition_implILS5_9ELb0ES3_jN6thrust23THRUST_200600_302600_NS6detail15normal_iteratorINS9_10device_ptrIyEEEESE_PNS0_10empty_typeENS0_5tupleIJSE_SF_EEENSH_IJSE_SG_EEENS0_18inequality_wrapperI22is_equal_div_10_uniqueIyEEEPmJSF_EEE10hipError_tPvRmT3_T4_T5_T6_T7_T9_mT8_P12ihipStream_tbDpT10_ENKUlT_T0_E_clISt17integral_constantIbLb0EES18_EEDaS13_S14_EUlS13_E_NS1_11comp_targetILNS1_3genE2ELNS1_11target_archE906ELNS1_3gpuE6ELNS1_3repE0EEENS1_30default_config_static_selectorELNS0_4arch9wavefront6targetE0EEEvT1_ ; -- Begin function _ZN7rocprim17ROCPRIM_400000_NS6detail17trampoline_kernelINS0_14default_configENS1_25partition_config_selectorILNS1_17partition_subalgoE9EyybEEZZNS1_14partition_implILS5_9ELb0ES3_jN6thrust23THRUST_200600_302600_NS6detail15normal_iteratorINS9_10device_ptrIyEEEESE_PNS0_10empty_typeENS0_5tupleIJSE_SF_EEENSH_IJSE_SG_EEENS0_18inequality_wrapperI22is_equal_div_10_uniqueIyEEEPmJSF_EEE10hipError_tPvRmT3_T4_T5_T6_T7_T9_mT8_P12ihipStream_tbDpT10_ENKUlT_T0_E_clISt17integral_constantIbLb0EES18_EEDaS13_S14_EUlS13_E_NS1_11comp_targetILNS1_3genE2ELNS1_11target_archE906ELNS1_3gpuE6ELNS1_3repE0EEENS1_30default_config_static_selectorELNS0_4arch9wavefront6targetE0EEEvT1_
	.globl	_ZN7rocprim17ROCPRIM_400000_NS6detail17trampoline_kernelINS0_14default_configENS1_25partition_config_selectorILNS1_17partition_subalgoE9EyybEEZZNS1_14partition_implILS5_9ELb0ES3_jN6thrust23THRUST_200600_302600_NS6detail15normal_iteratorINS9_10device_ptrIyEEEESE_PNS0_10empty_typeENS0_5tupleIJSE_SF_EEENSH_IJSE_SG_EEENS0_18inequality_wrapperI22is_equal_div_10_uniqueIyEEEPmJSF_EEE10hipError_tPvRmT3_T4_T5_T6_T7_T9_mT8_P12ihipStream_tbDpT10_ENKUlT_T0_E_clISt17integral_constantIbLb0EES18_EEDaS13_S14_EUlS13_E_NS1_11comp_targetILNS1_3genE2ELNS1_11target_archE906ELNS1_3gpuE6ELNS1_3repE0EEENS1_30default_config_static_selectorELNS0_4arch9wavefront6targetE0EEEvT1_
	.p2align	8
	.type	_ZN7rocprim17ROCPRIM_400000_NS6detail17trampoline_kernelINS0_14default_configENS1_25partition_config_selectorILNS1_17partition_subalgoE9EyybEEZZNS1_14partition_implILS5_9ELb0ES3_jN6thrust23THRUST_200600_302600_NS6detail15normal_iteratorINS9_10device_ptrIyEEEESE_PNS0_10empty_typeENS0_5tupleIJSE_SF_EEENSH_IJSE_SG_EEENS0_18inequality_wrapperI22is_equal_div_10_uniqueIyEEEPmJSF_EEE10hipError_tPvRmT3_T4_T5_T6_T7_T9_mT8_P12ihipStream_tbDpT10_ENKUlT_T0_E_clISt17integral_constantIbLb0EES18_EEDaS13_S14_EUlS13_E_NS1_11comp_targetILNS1_3genE2ELNS1_11target_archE906ELNS1_3gpuE6ELNS1_3repE0EEENS1_30default_config_static_selectorELNS0_4arch9wavefront6targetE0EEEvT1_,@function
_ZN7rocprim17ROCPRIM_400000_NS6detail17trampoline_kernelINS0_14default_configENS1_25partition_config_selectorILNS1_17partition_subalgoE9EyybEEZZNS1_14partition_implILS5_9ELb0ES3_jN6thrust23THRUST_200600_302600_NS6detail15normal_iteratorINS9_10device_ptrIyEEEESE_PNS0_10empty_typeENS0_5tupleIJSE_SF_EEENSH_IJSE_SG_EEENS0_18inequality_wrapperI22is_equal_div_10_uniqueIyEEEPmJSF_EEE10hipError_tPvRmT3_T4_T5_T6_T7_T9_mT8_P12ihipStream_tbDpT10_ENKUlT_T0_E_clISt17integral_constantIbLb0EES18_EEDaS13_S14_EUlS13_E_NS1_11comp_targetILNS1_3genE2ELNS1_11target_archE906ELNS1_3gpuE6ELNS1_3repE0EEENS1_30default_config_static_selectorELNS0_4arch9wavefront6targetE0EEEvT1_: ; @_ZN7rocprim17ROCPRIM_400000_NS6detail17trampoline_kernelINS0_14default_configENS1_25partition_config_selectorILNS1_17partition_subalgoE9EyybEEZZNS1_14partition_implILS5_9ELb0ES3_jN6thrust23THRUST_200600_302600_NS6detail15normal_iteratorINS9_10device_ptrIyEEEESE_PNS0_10empty_typeENS0_5tupleIJSE_SF_EEENSH_IJSE_SG_EEENS0_18inequality_wrapperI22is_equal_div_10_uniqueIyEEEPmJSF_EEE10hipError_tPvRmT3_T4_T5_T6_T7_T9_mT8_P12ihipStream_tbDpT10_ENKUlT_T0_E_clISt17integral_constantIbLb0EES18_EEDaS13_S14_EUlS13_E_NS1_11comp_targetILNS1_3genE2ELNS1_11target_archE906ELNS1_3gpuE6ELNS1_3repE0EEENS1_30default_config_static_selectorELNS0_4arch9wavefront6targetE0EEEvT1_
; %bb.0:
	.section	.rodata,"a",@progbits
	.p2align	6, 0x0
	.amdhsa_kernel _ZN7rocprim17ROCPRIM_400000_NS6detail17trampoline_kernelINS0_14default_configENS1_25partition_config_selectorILNS1_17partition_subalgoE9EyybEEZZNS1_14partition_implILS5_9ELb0ES3_jN6thrust23THRUST_200600_302600_NS6detail15normal_iteratorINS9_10device_ptrIyEEEESE_PNS0_10empty_typeENS0_5tupleIJSE_SF_EEENSH_IJSE_SG_EEENS0_18inequality_wrapperI22is_equal_div_10_uniqueIyEEEPmJSF_EEE10hipError_tPvRmT3_T4_T5_T6_T7_T9_mT8_P12ihipStream_tbDpT10_ENKUlT_T0_E_clISt17integral_constantIbLb0EES18_EEDaS13_S14_EUlS13_E_NS1_11comp_targetILNS1_3genE2ELNS1_11target_archE906ELNS1_3gpuE6ELNS1_3repE0EEENS1_30default_config_static_selectorELNS0_4arch9wavefront6targetE0EEEvT1_
		.amdhsa_group_segment_fixed_size 0
		.amdhsa_private_segment_fixed_size 0
		.amdhsa_kernarg_size 112
		.amdhsa_user_sgpr_count 15
		.amdhsa_user_sgpr_dispatch_ptr 0
		.amdhsa_user_sgpr_queue_ptr 0
		.amdhsa_user_sgpr_kernarg_segment_ptr 1
		.amdhsa_user_sgpr_dispatch_id 0
		.amdhsa_user_sgpr_private_segment_size 0
		.amdhsa_wavefront_size32 1
		.amdhsa_uses_dynamic_stack 0
		.amdhsa_enable_private_segment 0
		.amdhsa_system_sgpr_workgroup_id_x 1
		.amdhsa_system_sgpr_workgroup_id_y 0
		.amdhsa_system_sgpr_workgroup_id_z 0
		.amdhsa_system_sgpr_workgroup_info 0
		.amdhsa_system_vgpr_workitem_id 0
		.amdhsa_next_free_vgpr 1
		.amdhsa_next_free_sgpr 1
		.amdhsa_reserve_vcc 0
		.amdhsa_float_round_mode_32 0
		.amdhsa_float_round_mode_16_64 0
		.amdhsa_float_denorm_mode_32 3
		.amdhsa_float_denorm_mode_16_64 3
		.amdhsa_dx10_clamp 1
		.amdhsa_ieee_mode 1
		.amdhsa_fp16_overflow 0
		.amdhsa_workgroup_processor_mode 1
		.amdhsa_memory_ordered 1
		.amdhsa_forward_progress 0
		.amdhsa_shared_vgpr_count 0
		.amdhsa_exception_fp_ieee_invalid_op 0
		.amdhsa_exception_fp_denorm_src 0
		.amdhsa_exception_fp_ieee_div_zero 0
		.amdhsa_exception_fp_ieee_overflow 0
		.amdhsa_exception_fp_ieee_underflow 0
		.amdhsa_exception_fp_ieee_inexact 0
		.amdhsa_exception_int_div_zero 0
	.end_amdhsa_kernel
	.section	.text._ZN7rocprim17ROCPRIM_400000_NS6detail17trampoline_kernelINS0_14default_configENS1_25partition_config_selectorILNS1_17partition_subalgoE9EyybEEZZNS1_14partition_implILS5_9ELb0ES3_jN6thrust23THRUST_200600_302600_NS6detail15normal_iteratorINS9_10device_ptrIyEEEESE_PNS0_10empty_typeENS0_5tupleIJSE_SF_EEENSH_IJSE_SG_EEENS0_18inequality_wrapperI22is_equal_div_10_uniqueIyEEEPmJSF_EEE10hipError_tPvRmT3_T4_T5_T6_T7_T9_mT8_P12ihipStream_tbDpT10_ENKUlT_T0_E_clISt17integral_constantIbLb0EES18_EEDaS13_S14_EUlS13_E_NS1_11comp_targetILNS1_3genE2ELNS1_11target_archE906ELNS1_3gpuE6ELNS1_3repE0EEENS1_30default_config_static_selectorELNS0_4arch9wavefront6targetE0EEEvT1_,"axG",@progbits,_ZN7rocprim17ROCPRIM_400000_NS6detail17trampoline_kernelINS0_14default_configENS1_25partition_config_selectorILNS1_17partition_subalgoE9EyybEEZZNS1_14partition_implILS5_9ELb0ES3_jN6thrust23THRUST_200600_302600_NS6detail15normal_iteratorINS9_10device_ptrIyEEEESE_PNS0_10empty_typeENS0_5tupleIJSE_SF_EEENSH_IJSE_SG_EEENS0_18inequality_wrapperI22is_equal_div_10_uniqueIyEEEPmJSF_EEE10hipError_tPvRmT3_T4_T5_T6_T7_T9_mT8_P12ihipStream_tbDpT10_ENKUlT_T0_E_clISt17integral_constantIbLb0EES18_EEDaS13_S14_EUlS13_E_NS1_11comp_targetILNS1_3genE2ELNS1_11target_archE906ELNS1_3gpuE6ELNS1_3repE0EEENS1_30default_config_static_selectorELNS0_4arch9wavefront6targetE0EEEvT1_,comdat
.Lfunc_end181:
	.size	_ZN7rocprim17ROCPRIM_400000_NS6detail17trampoline_kernelINS0_14default_configENS1_25partition_config_selectorILNS1_17partition_subalgoE9EyybEEZZNS1_14partition_implILS5_9ELb0ES3_jN6thrust23THRUST_200600_302600_NS6detail15normal_iteratorINS9_10device_ptrIyEEEESE_PNS0_10empty_typeENS0_5tupleIJSE_SF_EEENSH_IJSE_SG_EEENS0_18inequality_wrapperI22is_equal_div_10_uniqueIyEEEPmJSF_EEE10hipError_tPvRmT3_T4_T5_T6_T7_T9_mT8_P12ihipStream_tbDpT10_ENKUlT_T0_E_clISt17integral_constantIbLb0EES18_EEDaS13_S14_EUlS13_E_NS1_11comp_targetILNS1_3genE2ELNS1_11target_archE906ELNS1_3gpuE6ELNS1_3repE0EEENS1_30default_config_static_selectorELNS0_4arch9wavefront6targetE0EEEvT1_, .Lfunc_end181-_ZN7rocprim17ROCPRIM_400000_NS6detail17trampoline_kernelINS0_14default_configENS1_25partition_config_selectorILNS1_17partition_subalgoE9EyybEEZZNS1_14partition_implILS5_9ELb0ES3_jN6thrust23THRUST_200600_302600_NS6detail15normal_iteratorINS9_10device_ptrIyEEEESE_PNS0_10empty_typeENS0_5tupleIJSE_SF_EEENSH_IJSE_SG_EEENS0_18inequality_wrapperI22is_equal_div_10_uniqueIyEEEPmJSF_EEE10hipError_tPvRmT3_T4_T5_T6_T7_T9_mT8_P12ihipStream_tbDpT10_ENKUlT_T0_E_clISt17integral_constantIbLb0EES18_EEDaS13_S14_EUlS13_E_NS1_11comp_targetILNS1_3genE2ELNS1_11target_archE906ELNS1_3gpuE6ELNS1_3repE0EEENS1_30default_config_static_selectorELNS0_4arch9wavefront6targetE0EEEvT1_
                                        ; -- End function
	.section	.AMDGPU.csdata,"",@progbits
; Kernel info:
; codeLenInByte = 0
; NumSgprs: 0
; NumVgprs: 0
; ScratchSize: 0
; MemoryBound: 0
; FloatMode: 240
; IeeeMode: 1
; LDSByteSize: 0 bytes/workgroup (compile time only)
; SGPRBlocks: 0
; VGPRBlocks: 0
; NumSGPRsForWavesPerEU: 1
; NumVGPRsForWavesPerEU: 1
; Occupancy: 15
; WaveLimiterHint : 0
; COMPUTE_PGM_RSRC2:SCRATCH_EN: 0
; COMPUTE_PGM_RSRC2:USER_SGPR: 15
; COMPUTE_PGM_RSRC2:TRAP_HANDLER: 0
; COMPUTE_PGM_RSRC2:TGID_X_EN: 1
; COMPUTE_PGM_RSRC2:TGID_Y_EN: 0
; COMPUTE_PGM_RSRC2:TGID_Z_EN: 0
; COMPUTE_PGM_RSRC2:TIDIG_COMP_CNT: 0
	.section	.text._ZN7rocprim17ROCPRIM_400000_NS6detail17trampoline_kernelINS0_14default_configENS1_25partition_config_selectorILNS1_17partition_subalgoE9EyybEEZZNS1_14partition_implILS5_9ELb0ES3_jN6thrust23THRUST_200600_302600_NS6detail15normal_iteratorINS9_10device_ptrIyEEEESE_PNS0_10empty_typeENS0_5tupleIJSE_SF_EEENSH_IJSE_SG_EEENS0_18inequality_wrapperI22is_equal_div_10_uniqueIyEEEPmJSF_EEE10hipError_tPvRmT3_T4_T5_T6_T7_T9_mT8_P12ihipStream_tbDpT10_ENKUlT_T0_E_clISt17integral_constantIbLb0EES18_EEDaS13_S14_EUlS13_E_NS1_11comp_targetILNS1_3genE10ELNS1_11target_archE1200ELNS1_3gpuE4ELNS1_3repE0EEENS1_30default_config_static_selectorELNS0_4arch9wavefront6targetE0EEEvT1_,"axG",@progbits,_ZN7rocprim17ROCPRIM_400000_NS6detail17trampoline_kernelINS0_14default_configENS1_25partition_config_selectorILNS1_17partition_subalgoE9EyybEEZZNS1_14partition_implILS5_9ELb0ES3_jN6thrust23THRUST_200600_302600_NS6detail15normal_iteratorINS9_10device_ptrIyEEEESE_PNS0_10empty_typeENS0_5tupleIJSE_SF_EEENSH_IJSE_SG_EEENS0_18inequality_wrapperI22is_equal_div_10_uniqueIyEEEPmJSF_EEE10hipError_tPvRmT3_T4_T5_T6_T7_T9_mT8_P12ihipStream_tbDpT10_ENKUlT_T0_E_clISt17integral_constantIbLb0EES18_EEDaS13_S14_EUlS13_E_NS1_11comp_targetILNS1_3genE10ELNS1_11target_archE1200ELNS1_3gpuE4ELNS1_3repE0EEENS1_30default_config_static_selectorELNS0_4arch9wavefront6targetE0EEEvT1_,comdat
	.protected	_ZN7rocprim17ROCPRIM_400000_NS6detail17trampoline_kernelINS0_14default_configENS1_25partition_config_selectorILNS1_17partition_subalgoE9EyybEEZZNS1_14partition_implILS5_9ELb0ES3_jN6thrust23THRUST_200600_302600_NS6detail15normal_iteratorINS9_10device_ptrIyEEEESE_PNS0_10empty_typeENS0_5tupleIJSE_SF_EEENSH_IJSE_SG_EEENS0_18inequality_wrapperI22is_equal_div_10_uniqueIyEEEPmJSF_EEE10hipError_tPvRmT3_T4_T5_T6_T7_T9_mT8_P12ihipStream_tbDpT10_ENKUlT_T0_E_clISt17integral_constantIbLb0EES18_EEDaS13_S14_EUlS13_E_NS1_11comp_targetILNS1_3genE10ELNS1_11target_archE1200ELNS1_3gpuE4ELNS1_3repE0EEENS1_30default_config_static_selectorELNS0_4arch9wavefront6targetE0EEEvT1_ ; -- Begin function _ZN7rocprim17ROCPRIM_400000_NS6detail17trampoline_kernelINS0_14default_configENS1_25partition_config_selectorILNS1_17partition_subalgoE9EyybEEZZNS1_14partition_implILS5_9ELb0ES3_jN6thrust23THRUST_200600_302600_NS6detail15normal_iteratorINS9_10device_ptrIyEEEESE_PNS0_10empty_typeENS0_5tupleIJSE_SF_EEENSH_IJSE_SG_EEENS0_18inequality_wrapperI22is_equal_div_10_uniqueIyEEEPmJSF_EEE10hipError_tPvRmT3_T4_T5_T6_T7_T9_mT8_P12ihipStream_tbDpT10_ENKUlT_T0_E_clISt17integral_constantIbLb0EES18_EEDaS13_S14_EUlS13_E_NS1_11comp_targetILNS1_3genE10ELNS1_11target_archE1200ELNS1_3gpuE4ELNS1_3repE0EEENS1_30default_config_static_selectorELNS0_4arch9wavefront6targetE0EEEvT1_
	.globl	_ZN7rocprim17ROCPRIM_400000_NS6detail17trampoline_kernelINS0_14default_configENS1_25partition_config_selectorILNS1_17partition_subalgoE9EyybEEZZNS1_14partition_implILS5_9ELb0ES3_jN6thrust23THRUST_200600_302600_NS6detail15normal_iteratorINS9_10device_ptrIyEEEESE_PNS0_10empty_typeENS0_5tupleIJSE_SF_EEENSH_IJSE_SG_EEENS0_18inequality_wrapperI22is_equal_div_10_uniqueIyEEEPmJSF_EEE10hipError_tPvRmT3_T4_T5_T6_T7_T9_mT8_P12ihipStream_tbDpT10_ENKUlT_T0_E_clISt17integral_constantIbLb0EES18_EEDaS13_S14_EUlS13_E_NS1_11comp_targetILNS1_3genE10ELNS1_11target_archE1200ELNS1_3gpuE4ELNS1_3repE0EEENS1_30default_config_static_selectorELNS0_4arch9wavefront6targetE0EEEvT1_
	.p2align	8
	.type	_ZN7rocprim17ROCPRIM_400000_NS6detail17trampoline_kernelINS0_14default_configENS1_25partition_config_selectorILNS1_17partition_subalgoE9EyybEEZZNS1_14partition_implILS5_9ELb0ES3_jN6thrust23THRUST_200600_302600_NS6detail15normal_iteratorINS9_10device_ptrIyEEEESE_PNS0_10empty_typeENS0_5tupleIJSE_SF_EEENSH_IJSE_SG_EEENS0_18inequality_wrapperI22is_equal_div_10_uniqueIyEEEPmJSF_EEE10hipError_tPvRmT3_T4_T5_T6_T7_T9_mT8_P12ihipStream_tbDpT10_ENKUlT_T0_E_clISt17integral_constantIbLb0EES18_EEDaS13_S14_EUlS13_E_NS1_11comp_targetILNS1_3genE10ELNS1_11target_archE1200ELNS1_3gpuE4ELNS1_3repE0EEENS1_30default_config_static_selectorELNS0_4arch9wavefront6targetE0EEEvT1_,@function
_ZN7rocprim17ROCPRIM_400000_NS6detail17trampoline_kernelINS0_14default_configENS1_25partition_config_selectorILNS1_17partition_subalgoE9EyybEEZZNS1_14partition_implILS5_9ELb0ES3_jN6thrust23THRUST_200600_302600_NS6detail15normal_iteratorINS9_10device_ptrIyEEEESE_PNS0_10empty_typeENS0_5tupleIJSE_SF_EEENSH_IJSE_SG_EEENS0_18inequality_wrapperI22is_equal_div_10_uniqueIyEEEPmJSF_EEE10hipError_tPvRmT3_T4_T5_T6_T7_T9_mT8_P12ihipStream_tbDpT10_ENKUlT_T0_E_clISt17integral_constantIbLb0EES18_EEDaS13_S14_EUlS13_E_NS1_11comp_targetILNS1_3genE10ELNS1_11target_archE1200ELNS1_3gpuE4ELNS1_3repE0EEENS1_30default_config_static_selectorELNS0_4arch9wavefront6targetE0EEEvT1_: ; @_ZN7rocprim17ROCPRIM_400000_NS6detail17trampoline_kernelINS0_14default_configENS1_25partition_config_selectorILNS1_17partition_subalgoE9EyybEEZZNS1_14partition_implILS5_9ELb0ES3_jN6thrust23THRUST_200600_302600_NS6detail15normal_iteratorINS9_10device_ptrIyEEEESE_PNS0_10empty_typeENS0_5tupleIJSE_SF_EEENSH_IJSE_SG_EEENS0_18inequality_wrapperI22is_equal_div_10_uniqueIyEEEPmJSF_EEE10hipError_tPvRmT3_T4_T5_T6_T7_T9_mT8_P12ihipStream_tbDpT10_ENKUlT_T0_E_clISt17integral_constantIbLb0EES18_EEDaS13_S14_EUlS13_E_NS1_11comp_targetILNS1_3genE10ELNS1_11target_archE1200ELNS1_3gpuE4ELNS1_3repE0EEENS1_30default_config_static_selectorELNS0_4arch9wavefront6targetE0EEEvT1_
; %bb.0:
	.section	.rodata,"a",@progbits
	.p2align	6, 0x0
	.amdhsa_kernel _ZN7rocprim17ROCPRIM_400000_NS6detail17trampoline_kernelINS0_14default_configENS1_25partition_config_selectorILNS1_17partition_subalgoE9EyybEEZZNS1_14partition_implILS5_9ELb0ES3_jN6thrust23THRUST_200600_302600_NS6detail15normal_iteratorINS9_10device_ptrIyEEEESE_PNS0_10empty_typeENS0_5tupleIJSE_SF_EEENSH_IJSE_SG_EEENS0_18inequality_wrapperI22is_equal_div_10_uniqueIyEEEPmJSF_EEE10hipError_tPvRmT3_T4_T5_T6_T7_T9_mT8_P12ihipStream_tbDpT10_ENKUlT_T0_E_clISt17integral_constantIbLb0EES18_EEDaS13_S14_EUlS13_E_NS1_11comp_targetILNS1_3genE10ELNS1_11target_archE1200ELNS1_3gpuE4ELNS1_3repE0EEENS1_30default_config_static_selectorELNS0_4arch9wavefront6targetE0EEEvT1_
		.amdhsa_group_segment_fixed_size 0
		.amdhsa_private_segment_fixed_size 0
		.amdhsa_kernarg_size 112
		.amdhsa_user_sgpr_count 15
		.amdhsa_user_sgpr_dispatch_ptr 0
		.amdhsa_user_sgpr_queue_ptr 0
		.amdhsa_user_sgpr_kernarg_segment_ptr 1
		.amdhsa_user_sgpr_dispatch_id 0
		.amdhsa_user_sgpr_private_segment_size 0
		.amdhsa_wavefront_size32 1
		.amdhsa_uses_dynamic_stack 0
		.amdhsa_enable_private_segment 0
		.amdhsa_system_sgpr_workgroup_id_x 1
		.amdhsa_system_sgpr_workgroup_id_y 0
		.amdhsa_system_sgpr_workgroup_id_z 0
		.amdhsa_system_sgpr_workgroup_info 0
		.amdhsa_system_vgpr_workitem_id 0
		.amdhsa_next_free_vgpr 1
		.amdhsa_next_free_sgpr 1
		.amdhsa_reserve_vcc 0
		.amdhsa_float_round_mode_32 0
		.amdhsa_float_round_mode_16_64 0
		.amdhsa_float_denorm_mode_32 3
		.amdhsa_float_denorm_mode_16_64 3
		.amdhsa_dx10_clamp 1
		.amdhsa_ieee_mode 1
		.amdhsa_fp16_overflow 0
		.amdhsa_workgroup_processor_mode 1
		.amdhsa_memory_ordered 1
		.amdhsa_forward_progress 0
		.amdhsa_shared_vgpr_count 0
		.amdhsa_exception_fp_ieee_invalid_op 0
		.amdhsa_exception_fp_denorm_src 0
		.amdhsa_exception_fp_ieee_div_zero 0
		.amdhsa_exception_fp_ieee_overflow 0
		.amdhsa_exception_fp_ieee_underflow 0
		.amdhsa_exception_fp_ieee_inexact 0
		.amdhsa_exception_int_div_zero 0
	.end_amdhsa_kernel
	.section	.text._ZN7rocprim17ROCPRIM_400000_NS6detail17trampoline_kernelINS0_14default_configENS1_25partition_config_selectorILNS1_17partition_subalgoE9EyybEEZZNS1_14partition_implILS5_9ELb0ES3_jN6thrust23THRUST_200600_302600_NS6detail15normal_iteratorINS9_10device_ptrIyEEEESE_PNS0_10empty_typeENS0_5tupleIJSE_SF_EEENSH_IJSE_SG_EEENS0_18inequality_wrapperI22is_equal_div_10_uniqueIyEEEPmJSF_EEE10hipError_tPvRmT3_T4_T5_T6_T7_T9_mT8_P12ihipStream_tbDpT10_ENKUlT_T0_E_clISt17integral_constantIbLb0EES18_EEDaS13_S14_EUlS13_E_NS1_11comp_targetILNS1_3genE10ELNS1_11target_archE1200ELNS1_3gpuE4ELNS1_3repE0EEENS1_30default_config_static_selectorELNS0_4arch9wavefront6targetE0EEEvT1_,"axG",@progbits,_ZN7rocprim17ROCPRIM_400000_NS6detail17trampoline_kernelINS0_14default_configENS1_25partition_config_selectorILNS1_17partition_subalgoE9EyybEEZZNS1_14partition_implILS5_9ELb0ES3_jN6thrust23THRUST_200600_302600_NS6detail15normal_iteratorINS9_10device_ptrIyEEEESE_PNS0_10empty_typeENS0_5tupleIJSE_SF_EEENSH_IJSE_SG_EEENS0_18inequality_wrapperI22is_equal_div_10_uniqueIyEEEPmJSF_EEE10hipError_tPvRmT3_T4_T5_T6_T7_T9_mT8_P12ihipStream_tbDpT10_ENKUlT_T0_E_clISt17integral_constantIbLb0EES18_EEDaS13_S14_EUlS13_E_NS1_11comp_targetILNS1_3genE10ELNS1_11target_archE1200ELNS1_3gpuE4ELNS1_3repE0EEENS1_30default_config_static_selectorELNS0_4arch9wavefront6targetE0EEEvT1_,comdat
.Lfunc_end182:
	.size	_ZN7rocprim17ROCPRIM_400000_NS6detail17trampoline_kernelINS0_14default_configENS1_25partition_config_selectorILNS1_17partition_subalgoE9EyybEEZZNS1_14partition_implILS5_9ELb0ES3_jN6thrust23THRUST_200600_302600_NS6detail15normal_iteratorINS9_10device_ptrIyEEEESE_PNS0_10empty_typeENS0_5tupleIJSE_SF_EEENSH_IJSE_SG_EEENS0_18inequality_wrapperI22is_equal_div_10_uniqueIyEEEPmJSF_EEE10hipError_tPvRmT3_T4_T5_T6_T7_T9_mT8_P12ihipStream_tbDpT10_ENKUlT_T0_E_clISt17integral_constantIbLb0EES18_EEDaS13_S14_EUlS13_E_NS1_11comp_targetILNS1_3genE10ELNS1_11target_archE1200ELNS1_3gpuE4ELNS1_3repE0EEENS1_30default_config_static_selectorELNS0_4arch9wavefront6targetE0EEEvT1_, .Lfunc_end182-_ZN7rocprim17ROCPRIM_400000_NS6detail17trampoline_kernelINS0_14default_configENS1_25partition_config_selectorILNS1_17partition_subalgoE9EyybEEZZNS1_14partition_implILS5_9ELb0ES3_jN6thrust23THRUST_200600_302600_NS6detail15normal_iteratorINS9_10device_ptrIyEEEESE_PNS0_10empty_typeENS0_5tupleIJSE_SF_EEENSH_IJSE_SG_EEENS0_18inequality_wrapperI22is_equal_div_10_uniqueIyEEEPmJSF_EEE10hipError_tPvRmT3_T4_T5_T6_T7_T9_mT8_P12ihipStream_tbDpT10_ENKUlT_T0_E_clISt17integral_constantIbLb0EES18_EEDaS13_S14_EUlS13_E_NS1_11comp_targetILNS1_3genE10ELNS1_11target_archE1200ELNS1_3gpuE4ELNS1_3repE0EEENS1_30default_config_static_selectorELNS0_4arch9wavefront6targetE0EEEvT1_
                                        ; -- End function
	.section	.AMDGPU.csdata,"",@progbits
; Kernel info:
; codeLenInByte = 0
; NumSgprs: 0
; NumVgprs: 0
; ScratchSize: 0
; MemoryBound: 0
; FloatMode: 240
; IeeeMode: 1
; LDSByteSize: 0 bytes/workgroup (compile time only)
; SGPRBlocks: 0
; VGPRBlocks: 0
; NumSGPRsForWavesPerEU: 1
; NumVGPRsForWavesPerEU: 1
; Occupancy: 15
; WaveLimiterHint : 0
; COMPUTE_PGM_RSRC2:SCRATCH_EN: 0
; COMPUTE_PGM_RSRC2:USER_SGPR: 15
; COMPUTE_PGM_RSRC2:TRAP_HANDLER: 0
; COMPUTE_PGM_RSRC2:TGID_X_EN: 1
; COMPUTE_PGM_RSRC2:TGID_Y_EN: 0
; COMPUTE_PGM_RSRC2:TGID_Z_EN: 0
; COMPUTE_PGM_RSRC2:TIDIG_COMP_CNT: 0
	.section	.text._ZN7rocprim17ROCPRIM_400000_NS6detail17trampoline_kernelINS0_14default_configENS1_25partition_config_selectorILNS1_17partition_subalgoE9EyybEEZZNS1_14partition_implILS5_9ELb0ES3_jN6thrust23THRUST_200600_302600_NS6detail15normal_iteratorINS9_10device_ptrIyEEEESE_PNS0_10empty_typeENS0_5tupleIJSE_SF_EEENSH_IJSE_SG_EEENS0_18inequality_wrapperI22is_equal_div_10_uniqueIyEEEPmJSF_EEE10hipError_tPvRmT3_T4_T5_T6_T7_T9_mT8_P12ihipStream_tbDpT10_ENKUlT_T0_E_clISt17integral_constantIbLb0EES18_EEDaS13_S14_EUlS13_E_NS1_11comp_targetILNS1_3genE9ELNS1_11target_archE1100ELNS1_3gpuE3ELNS1_3repE0EEENS1_30default_config_static_selectorELNS0_4arch9wavefront6targetE0EEEvT1_,"axG",@progbits,_ZN7rocprim17ROCPRIM_400000_NS6detail17trampoline_kernelINS0_14default_configENS1_25partition_config_selectorILNS1_17partition_subalgoE9EyybEEZZNS1_14partition_implILS5_9ELb0ES3_jN6thrust23THRUST_200600_302600_NS6detail15normal_iteratorINS9_10device_ptrIyEEEESE_PNS0_10empty_typeENS0_5tupleIJSE_SF_EEENSH_IJSE_SG_EEENS0_18inequality_wrapperI22is_equal_div_10_uniqueIyEEEPmJSF_EEE10hipError_tPvRmT3_T4_T5_T6_T7_T9_mT8_P12ihipStream_tbDpT10_ENKUlT_T0_E_clISt17integral_constantIbLb0EES18_EEDaS13_S14_EUlS13_E_NS1_11comp_targetILNS1_3genE9ELNS1_11target_archE1100ELNS1_3gpuE3ELNS1_3repE0EEENS1_30default_config_static_selectorELNS0_4arch9wavefront6targetE0EEEvT1_,comdat
	.protected	_ZN7rocprim17ROCPRIM_400000_NS6detail17trampoline_kernelINS0_14default_configENS1_25partition_config_selectorILNS1_17partition_subalgoE9EyybEEZZNS1_14partition_implILS5_9ELb0ES3_jN6thrust23THRUST_200600_302600_NS6detail15normal_iteratorINS9_10device_ptrIyEEEESE_PNS0_10empty_typeENS0_5tupleIJSE_SF_EEENSH_IJSE_SG_EEENS0_18inequality_wrapperI22is_equal_div_10_uniqueIyEEEPmJSF_EEE10hipError_tPvRmT3_T4_T5_T6_T7_T9_mT8_P12ihipStream_tbDpT10_ENKUlT_T0_E_clISt17integral_constantIbLb0EES18_EEDaS13_S14_EUlS13_E_NS1_11comp_targetILNS1_3genE9ELNS1_11target_archE1100ELNS1_3gpuE3ELNS1_3repE0EEENS1_30default_config_static_selectorELNS0_4arch9wavefront6targetE0EEEvT1_ ; -- Begin function _ZN7rocprim17ROCPRIM_400000_NS6detail17trampoline_kernelINS0_14default_configENS1_25partition_config_selectorILNS1_17partition_subalgoE9EyybEEZZNS1_14partition_implILS5_9ELb0ES3_jN6thrust23THRUST_200600_302600_NS6detail15normal_iteratorINS9_10device_ptrIyEEEESE_PNS0_10empty_typeENS0_5tupleIJSE_SF_EEENSH_IJSE_SG_EEENS0_18inequality_wrapperI22is_equal_div_10_uniqueIyEEEPmJSF_EEE10hipError_tPvRmT3_T4_T5_T6_T7_T9_mT8_P12ihipStream_tbDpT10_ENKUlT_T0_E_clISt17integral_constantIbLb0EES18_EEDaS13_S14_EUlS13_E_NS1_11comp_targetILNS1_3genE9ELNS1_11target_archE1100ELNS1_3gpuE3ELNS1_3repE0EEENS1_30default_config_static_selectorELNS0_4arch9wavefront6targetE0EEEvT1_
	.globl	_ZN7rocprim17ROCPRIM_400000_NS6detail17trampoline_kernelINS0_14default_configENS1_25partition_config_selectorILNS1_17partition_subalgoE9EyybEEZZNS1_14partition_implILS5_9ELb0ES3_jN6thrust23THRUST_200600_302600_NS6detail15normal_iteratorINS9_10device_ptrIyEEEESE_PNS0_10empty_typeENS0_5tupleIJSE_SF_EEENSH_IJSE_SG_EEENS0_18inequality_wrapperI22is_equal_div_10_uniqueIyEEEPmJSF_EEE10hipError_tPvRmT3_T4_T5_T6_T7_T9_mT8_P12ihipStream_tbDpT10_ENKUlT_T0_E_clISt17integral_constantIbLb0EES18_EEDaS13_S14_EUlS13_E_NS1_11comp_targetILNS1_3genE9ELNS1_11target_archE1100ELNS1_3gpuE3ELNS1_3repE0EEENS1_30default_config_static_selectorELNS0_4arch9wavefront6targetE0EEEvT1_
	.p2align	8
	.type	_ZN7rocprim17ROCPRIM_400000_NS6detail17trampoline_kernelINS0_14default_configENS1_25partition_config_selectorILNS1_17partition_subalgoE9EyybEEZZNS1_14partition_implILS5_9ELb0ES3_jN6thrust23THRUST_200600_302600_NS6detail15normal_iteratorINS9_10device_ptrIyEEEESE_PNS0_10empty_typeENS0_5tupleIJSE_SF_EEENSH_IJSE_SG_EEENS0_18inequality_wrapperI22is_equal_div_10_uniqueIyEEEPmJSF_EEE10hipError_tPvRmT3_T4_T5_T6_T7_T9_mT8_P12ihipStream_tbDpT10_ENKUlT_T0_E_clISt17integral_constantIbLb0EES18_EEDaS13_S14_EUlS13_E_NS1_11comp_targetILNS1_3genE9ELNS1_11target_archE1100ELNS1_3gpuE3ELNS1_3repE0EEENS1_30default_config_static_selectorELNS0_4arch9wavefront6targetE0EEEvT1_,@function
_ZN7rocprim17ROCPRIM_400000_NS6detail17trampoline_kernelINS0_14default_configENS1_25partition_config_selectorILNS1_17partition_subalgoE9EyybEEZZNS1_14partition_implILS5_9ELb0ES3_jN6thrust23THRUST_200600_302600_NS6detail15normal_iteratorINS9_10device_ptrIyEEEESE_PNS0_10empty_typeENS0_5tupleIJSE_SF_EEENSH_IJSE_SG_EEENS0_18inequality_wrapperI22is_equal_div_10_uniqueIyEEEPmJSF_EEE10hipError_tPvRmT3_T4_T5_T6_T7_T9_mT8_P12ihipStream_tbDpT10_ENKUlT_T0_E_clISt17integral_constantIbLb0EES18_EEDaS13_S14_EUlS13_E_NS1_11comp_targetILNS1_3genE9ELNS1_11target_archE1100ELNS1_3gpuE3ELNS1_3repE0EEENS1_30default_config_static_selectorELNS0_4arch9wavefront6targetE0EEEvT1_: ; @_ZN7rocprim17ROCPRIM_400000_NS6detail17trampoline_kernelINS0_14default_configENS1_25partition_config_selectorILNS1_17partition_subalgoE9EyybEEZZNS1_14partition_implILS5_9ELb0ES3_jN6thrust23THRUST_200600_302600_NS6detail15normal_iteratorINS9_10device_ptrIyEEEESE_PNS0_10empty_typeENS0_5tupleIJSE_SF_EEENSH_IJSE_SG_EEENS0_18inequality_wrapperI22is_equal_div_10_uniqueIyEEEPmJSF_EEE10hipError_tPvRmT3_T4_T5_T6_T7_T9_mT8_P12ihipStream_tbDpT10_ENKUlT_T0_E_clISt17integral_constantIbLb0EES18_EEDaS13_S14_EUlS13_E_NS1_11comp_targetILNS1_3genE9ELNS1_11target_archE1100ELNS1_3gpuE3ELNS1_3repE0EEENS1_30default_config_static_selectorELNS0_4arch9wavefront6targetE0EEEvT1_
; %bb.0:
	s_clause 0x4
	s_load_b128 s[4:7], s[0:1], 0x8
	s_load_b32 s14, s[0:1], 0x68
	s_load_b128 s[16:19], s[0:1], 0x40
	s_load_b64 s[2:3], s[0:1], 0x50
	s_load_b64 s[8:9], s[0:1], 0x18
	s_mov_b32 s21, 0
	v_lshlrev_b32_e32 v55, 3, v0
	v_lshrrev_b32_e32 v33, 2, v0
	v_or_b32_e32 v38, 0x200, v0
	v_or_b32_e32 v36, 0x400, v0
	v_or_b32_e32 v40, 0x600, v0
	v_or_b32_e32 v39, 0x800, v0
	v_or_b32_e32 v37, 0xa00, v0
	v_or_b32_e32 v34, 0xc00, v0
	v_or_b32_e32 v35, 0xe00, v0
	s_waitcnt lgkmcnt(0)
	s_lshl_b64 s[12:13], s[6:7], 3
	s_delay_alu instid0(SALU_CYCLE_1)
	s_add_u32 s22, s4, s12
	s_addc_u32 s23, s5, s13
	s_add_i32 s24, s14, -1
	s_load_b64 s[10:11], s[18:19], 0x0
	s_lshl_b32 s4, s24, 12
	s_lshl_b32 s5, s14, 12
	s_add_i32 s4, s6, s4
	s_lshl_b32 s20, s15, 12
	s_sub_i32 s19, s2, s4
	s_add_u32 s4, s6, s5
	s_addc_u32 s5, s7, 0
	s_cmp_eq_u32 s15, s24
	v_cmp_ge_u64_e64 s2, s[4:5], s[2:3]
	s_cselect_b32 s14, -1, 0
	s_lshl_b64 s[4:5], s[20:21], 3
	s_delay_alu instid0(VALU_DEP_1) | instskip(NEXT) | instid1(SALU_CYCLE_1)
	s_and_b32 s3, s14, s2
	s_xor_b32 s18, s3, -1
	s_add_u32 s21, s22, s4
	s_addc_u32 s20, s23, s5
	s_and_b32 vcc_lo, exec_lo, s18
	s_mov_b32 s22, -1
	s_cbranch_vccz .LBB183_2
; %bb.1:
	v_add_co_u32 v1, s2, s21, v55
	s_delay_alu instid0(VALU_DEP_1) | instskip(SKIP_1) | instid1(VALU_DEP_3)
	v_add_co_ci_u32_e64 v2, null, s20, 0, s2
	v_lshrrev_b32_e32 v18, 2, v38
	v_add_co_u32 v3, vcc_lo, 0x1000, v1
	s_delay_alu instid0(VALU_DEP_3)
	v_add_co_ci_u32_e32 v4, vcc_lo, 0, v2, vcc_lo
	v_add_co_u32 v5, vcc_lo, 0x2000, v1
	v_add_co_ci_u32_e32 v6, vcc_lo, 0, v2, vcc_lo
	v_add_co_u32 v7, vcc_lo, 0x3000, v1
	;; [unrolled: 2-line block ×6, first 2 shown]
	v_add_co_ci_u32_e32 v16, vcc_lo, 0, v2, vcc_lo
	s_clause 0x7
	flat_load_b64 v[1:2], v[1:2]
	flat_load_b64 v[3:4], v[3:4]
	flat_load_b64 v[5:6], v[5:6]
	flat_load_b64 v[7:8], v[7:8]
	flat_load_b64 v[9:10], v[9:10]
	flat_load_b64 v[11:12], v[11:12]
	flat_load_b64 v[13:14], v[13:14]
	flat_load_b64 v[15:16], v[15:16]
	v_lshrrev_b32_e32 v19, 2, v36
	v_lshrrev_b32_e32 v20, 2, v40
	;; [unrolled: 1-line block ×3, first 2 shown]
	v_and_b32_e32 v17, 0x78, v33
	v_lshrrev_b32_e32 v22, 2, v37
	v_lshrrev_b32_e32 v23, 2, v34
	v_lshrrev_b32_e32 v24, 2, v35
	v_and_b32_e32 v18, 0xf8, v18
	v_and_b32_e32 v19, 0x178, v19
	;; [unrolled: 1-line block ×4, first 2 shown]
	v_add_nc_u32_e32 v17, v17, v55
	v_and_b32_e32 v22, 0x2f8, v22
	v_and_b32_e32 v23, 0x378, v23
	;; [unrolled: 1-line block ×3, first 2 shown]
	v_add_nc_u32_e32 v18, v18, v55
	v_add_nc_u32_e32 v19, v19, v55
	;; [unrolled: 1-line block ×4, first 2 shown]
	s_mov_b32 s22, 0
	v_add_nc_u32_e32 v22, v22, v55
	v_add_nc_u32_e32 v23, v23, v55
	;; [unrolled: 1-line block ×3, first 2 shown]
	s_waitcnt vmcnt(7) lgkmcnt(0)
	ds_store_b64 v17, v[1:2]
	s_waitcnt vmcnt(6)
	ds_store_b64 v18, v[3:4] offset:4096
	s_waitcnt vmcnt(5)
	ds_store_b64 v19, v[5:6] offset:8192
	;; [unrolled: 2-line block ×7, first 2 shown]
	s_waitcnt lgkmcnt(0)
	s_barrier
.LBB183_2:
	v_cmp_gt_u32_e64 s2, s19, v0
	s_and_not1_b32 vcc_lo, exec_lo, s22
	s_cbranch_vccnz .LBB183_20
; %bb.3:
                                        ; implicit-def: $vgpr1_vgpr2_vgpr3_vgpr4_vgpr5_vgpr6_vgpr7_vgpr8_vgpr9_vgpr10_vgpr11_vgpr12_vgpr13_vgpr14_vgpr15_vgpr16
	s_delay_alu instid0(VALU_DEP_1)
	s_and_saveexec_b32 s22, s2
	s_cbranch_execz .LBB183_11
; %bb.4:
	v_add_co_u32 v1, s2, s21, v55
	s_delay_alu instid0(VALU_DEP_1) | instskip(SKIP_2) | instid1(SALU_CYCLE_1)
	v_add_co_ci_u32_e64 v2, null, s20, 0, s2
	flat_load_b64 v[1:2], v[1:2]
	s_or_b32 exec_lo, exec_lo, s22
	s_mov_b32 s2, exec_lo
	v_cmpx_gt_u32_e64 s19, v38
	s_cbranch_execnz .LBB183_12
.LBB183_5:
	s_or_b32 exec_lo, exec_lo, s2
	s_delay_alu instid0(SALU_CYCLE_1)
	s_mov_b32 s2, exec_lo
	v_cmpx_gt_u32_e64 s19, v36
	s_cbranch_execz .LBB183_13
.LBB183_6:
	v_lshlrev_b32_e32 v5, 3, v36
	s_delay_alu instid0(VALU_DEP_1) | instskip(NEXT) | instid1(VALU_DEP_1)
	v_add_co_u32 v5, s22, s21, v5
	v_add_co_ci_u32_e64 v6, null, s20, 0, s22
	flat_load_b64 v[5:6], v[5:6]
	s_or_b32 exec_lo, exec_lo, s2
	s_delay_alu instid0(SALU_CYCLE_1)
	s_mov_b32 s2, exec_lo
	v_cmpx_gt_u32_e64 s19, v40
	s_cbranch_execnz .LBB183_14
.LBB183_7:
	s_or_b32 exec_lo, exec_lo, s2
	s_delay_alu instid0(SALU_CYCLE_1)
	s_mov_b32 s2, exec_lo
	v_cmpx_gt_u32_e64 s19, v39
	s_cbranch_execz .LBB183_15
.LBB183_8:
	v_lshlrev_b32_e32 v9, 3, v39
	s_delay_alu instid0(VALU_DEP_1) | instskip(NEXT) | instid1(VALU_DEP_1)
	v_add_co_u32 v9, s22, s21, v9
	v_add_co_ci_u32_e64 v10, null, s20, 0, s22
	flat_load_b64 v[9:10], v[9:10]
	s_or_b32 exec_lo, exec_lo, s2
	s_delay_alu instid0(SALU_CYCLE_1)
	s_mov_b32 s2, exec_lo
	v_cmpx_gt_u32_e64 s19, v37
	s_cbranch_execnz .LBB183_16
.LBB183_9:
	s_or_b32 exec_lo, exec_lo, s2
	s_delay_alu instid0(SALU_CYCLE_1)
	s_mov_b32 s2, exec_lo
	v_cmpx_gt_u32_e64 s19, v34
	s_cbranch_execz .LBB183_17
.LBB183_10:
	v_lshlrev_b32_e32 v13, 3, v34
	s_delay_alu instid0(VALU_DEP_1) | instskip(NEXT) | instid1(VALU_DEP_1)
	v_add_co_u32 v13, s22, s21, v13
	v_add_co_ci_u32_e64 v14, null, s20, 0, s22
	flat_load_b64 v[13:14], v[13:14]
	s_or_b32 exec_lo, exec_lo, s2
	s_delay_alu instid0(SALU_CYCLE_1)
	s_mov_b32 s2, exec_lo
	v_cmpx_gt_u32_e64 s19, v35
	s_cbranch_execnz .LBB183_18
	s_branch .LBB183_19
.LBB183_11:
	s_or_b32 exec_lo, exec_lo, s22
	s_delay_alu instid0(SALU_CYCLE_1)
	s_mov_b32 s2, exec_lo
	v_cmpx_gt_u32_e64 s19, v38
	s_cbranch_execz .LBB183_5
.LBB183_12:
	v_lshlrev_b32_e32 v3, 3, v38
	s_delay_alu instid0(VALU_DEP_1) | instskip(NEXT) | instid1(VALU_DEP_1)
	v_add_co_u32 v3, s22, s21, v3
	v_add_co_ci_u32_e64 v4, null, s20, 0, s22
	flat_load_b64 v[3:4], v[3:4]
	s_or_b32 exec_lo, exec_lo, s2
	s_delay_alu instid0(SALU_CYCLE_1)
	s_mov_b32 s2, exec_lo
	v_cmpx_gt_u32_e64 s19, v36
	s_cbranch_execnz .LBB183_6
.LBB183_13:
	s_or_b32 exec_lo, exec_lo, s2
	s_delay_alu instid0(SALU_CYCLE_1)
	s_mov_b32 s2, exec_lo
	v_cmpx_gt_u32_e64 s19, v40
	s_cbranch_execz .LBB183_7
.LBB183_14:
	v_lshlrev_b32_e32 v7, 3, v40
	s_delay_alu instid0(VALU_DEP_1) | instskip(NEXT) | instid1(VALU_DEP_1)
	v_add_co_u32 v7, s22, s21, v7
	v_add_co_ci_u32_e64 v8, null, s20, 0, s22
	flat_load_b64 v[7:8], v[7:8]
	s_or_b32 exec_lo, exec_lo, s2
	s_delay_alu instid0(SALU_CYCLE_1)
	s_mov_b32 s2, exec_lo
	v_cmpx_gt_u32_e64 s19, v39
	s_cbranch_execnz .LBB183_8
.LBB183_15:
	s_or_b32 exec_lo, exec_lo, s2
	s_delay_alu instid0(SALU_CYCLE_1)
	s_mov_b32 s2, exec_lo
	v_cmpx_gt_u32_e64 s19, v37
	s_cbranch_execz .LBB183_9
.LBB183_16:
	v_lshlrev_b32_e32 v11, 3, v37
	s_delay_alu instid0(VALU_DEP_1) | instskip(NEXT) | instid1(VALU_DEP_1)
	v_add_co_u32 v11, s22, s21, v11
	v_add_co_ci_u32_e64 v12, null, s20, 0, s22
	flat_load_b64 v[11:12], v[11:12]
	s_or_b32 exec_lo, exec_lo, s2
	s_delay_alu instid0(SALU_CYCLE_1)
	s_mov_b32 s2, exec_lo
	v_cmpx_gt_u32_e64 s19, v34
	s_cbranch_execnz .LBB183_10
.LBB183_17:
	s_or_b32 exec_lo, exec_lo, s2
	s_delay_alu instid0(SALU_CYCLE_1)
	s_mov_b32 s2, exec_lo
	v_cmpx_gt_u32_e64 s19, v35
	s_cbranch_execz .LBB183_19
.LBB183_18:
	v_lshlrev_b32_e32 v15, 3, v35
	s_delay_alu instid0(VALU_DEP_1) | instskip(NEXT) | instid1(VALU_DEP_1)
	v_add_co_u32 v15, s22, s21, v15
	v_add_co_ci_u32_e64 v16, null, s20, 0, s22
	flat_load_b64 v[15:16], v[15:16]
.LBB183_19:
	s_or_b32 exec_lo, exec_lo, s2
	v_lshrrev_b32_e32 v17, 2, v38
	v_lshrrev_b32_e32 v18, 2, v36
	;; [unrolled: 1-line block ×4, first 2 shown]
	v_and_b32_e32 v19, 0x78, v33
	v_lshrrev_b32_e32 v22, 2, v37
	v_lshrrev_b32_e32 v23, 2, v34
	;; [unrolled: 1-line block ×3, first 2 shown]
	v_and_b32_e32 v17, 0xf8, v17
	v_and_b32_e32 v18, 0x1f8, v18
	v_and_b32_e32 v20, 0x1f8, v20
	v_and_b32_e32 v21, 0x3f8, v21
	v_add_nc_u32_e32 v19, v19, v55
	v_and_b32_e32 v22, 0x3f8, v22
	v_and_b32_e32 v23, 0x3f8, v23
	;; [unrolled: 1-line block ×3, first 2 shown]
	v_add_nc_u32_e32 v17, v17, v55
	v_add_nc_u32_e32 v18, v18, v55
	;; [unrolled: 1-line block ×7, first 2 shown]
	s_waitcnt vmcnt(0) lgkmcnt(0)
	ds_store_b64 v19, v[1:2]
	ds_store_b64 v17, v[3:4] offset:4096
	ds_store_b64 v18, v[5:6] offset:8192
	;; [unrolled: 1-line block ×7, first 2 shown]
	s_waitcnt lgkmcnt(0)
	s_barrier
.LBB183_20:
	v_add_lshl_u32 v41, v33, v55, 3
	s_waitcnt lgkmcnt(0)
	buffer_gl0_inv
	s_add_u32 s2, s8, s12
	s_addc_u32 s8, s9, s13
	s_add_u32 s2, s2, s4
	ds_load_2addr_b64 v[29:32], v41 offset1:1
	ds_load_2addr_b64 v[25:28], v41 offset0:2 offset1:3
	ds_load_2addr_b64 v[21:24], v41 offset0:4 offset1:5
	;; [unrolled: 1-line block ×3, first 2 shown]
	s_addc_u32 s4, s8, s5
	s_and_b32 vcc_lo, exec_lo, s18
	s_mov_b32 s5, -1
	s_waitcnt lgkmcnt(0)
	s_barrier
	buffer_gl0_inv
	s_cbranch_vccz .LBB183_22
; %bb.21:
	v_add_co_u32 v1, s5, s2, v55
	s_delay_alu instid0(VALU_DEP_1) | instskip(SKIP_1) | instid1(VALU_DEP_3)
	v_add_co_ci_u32_e64 v2, null, s4, 0, s5
	v_lshrrev_b32_e32 v43, 2, v38
	v_add_co_u32 v3, vcc_lo, 0x1000, v1
	s_delay_alu instid0(VALU_DEP_3)
	v_add_co_ci_u32_e32 v4, vcc_lo, 0, v2, vcc_lo
	v_add_co_u32 v5, vcc_lo, 0x2000, v1
	v_add_co_ci_u32_e32 v6, vcc_lo, 0, v2, vcc_lo
	v_add_co_u32 v7, vcc_lo, 0x3000, v1
	;; [unrolled: 2-line block ×6, first 2 shown]
	v_add_co_ci_u32_e32 v16, vcc_lo, 0, v2, vcc_lo
	s_clause 0x7
	flat_load_b64 v[1:2], v[1:2]
	flat_load_b64 v[3:4], v[3:4]
	;; [unrolled: 1-line block ×8, first 2 shown]
	v_lshrrev_b32_e32 v44, 2, v36
	v_lshrrev_b32_e32 v45, 2, v40
	;; [unrolled: 1-line block ×3, first 2 shown]
	v_and_b32_e32 v42, 0x78, v33
	v_lshrrev_b32_e32 v47, 2, v37
	v_lshrrev_b32_e32 v48, 2, v34
	;; [unrolled: 1-line block ×3, first 2 shown]
	v_and_b32_e32 v43, 0xf8, v43
	v_and_b32_e32 v44, 0x178, v44
	;; [unrolled: 1-line block ×4, first 2 shown]
	v_add_nc_u32_e32 v42, v42, v55
	v_and_b32_e32 v47, 0x2f8, v47
	v_and_b32_e32 v48, 0x378, v48
	;; [unrolled: 1-line block ×3, first 2 shown]
	v_add_nc_u32_e32 v43, v43, v55
	v_add_nc_u32_e32 v44, v44, v55
	;; [unrolled: 1-line block ×4, first 2 shown]
	s_mov_b32 s5, 0
	v_add_nc_u32_e32 v47, v47, v55
	v_add_nc_u32_e32 v48, v48, v55
	;; [unrolled: 1-line block ×3, first 2 shown]
	s_waitcnt vmcnt(7) lgkmcnt(7)
	ds_store_b64 v42, v[1:2]
	s_waitcnt vmcnt(6) lgkmcnt(7)
	ds_store_b64 v43, v[3:4] offset:4096
	s_waitcnt vmcnt(5) lgkmcnt(7)
	ds_store_b64 v44, v[5:6] offset:8192
	;; [unrolled: 2-line block ×7, first 2 shown]
	s_waitcnt lgkmcnt(0)
	s_barrier
.LBB183_22:
	s_and_not1_b32 vcc_lo, exec_lo, s5
	s_cbranch_vccnz .LBB183_40
; %bb.23:
	s_mov_b32 s5, exec_lo
                                        ; implicit-def: $vgpr1_vgpr2
	v_cmpx_gt_u32_e64 s19, v0
	s_cbranch_execz .LBB183_25
; %bb.24:
	v_add_co_u32 v1, s8, s2, v55
	s_delay_alu instid0(VALU_DEP_1)
	v_add_co_ci_u32_e64 v2, null, s4, 0, s8
	flat_load_b64 v[1:2], v[1:2]
.LBB183_25:
	s_or_b32 exec_lo, exec_lo, s5
	s_delay_alu instid0(SALU_CYCLE_1)
	s_mov_b32 s5, exec_lo
                                        ; implicit-def: $vgpr3_vgpr4
	v_cmpx_gt_u32_e64 s19, v38
	s_cbranch_execz .LBB183_27
; %bb.26:
	v_lshlrev_b32_e32 v3, 3, v38
	s_delay_alu instid0(VALU_DEP_1) | instskip(NEXT) | instid1(VALU_DEP_1)
	v_add_co_u32 v3, s8, s2, v3
	v_add_co_ci_u32_e64 v4, null, s4, 0, s8
	flat_load_b64 v[3:4], v[3:4]
.LBB183_27:
	s_or_b32 exec_lo, exec_lo, s5
	s_delay_alu instid0(SALU_CYCLE_1)
	s_mov_b32 s5, exec_lo
                                        ; implicit-def: $vgpr5_vgpr6
	v_cmpx_gt_u32_e64 s19, v36
	s_cbranch_execz .LBB183_29
; %bb.28:
	v_lshlrev_b32_e32 v5, 3, v36
	s_delay_alu instid0(VALU_DEP_1) | instskip(NEXT) | instid1(VALU_DEP_1)
	v_add_co_u32 v5, s8, s2, v5
	v_add_co_ci_u32_e64 v6, null, s4, 0, s8
	flat_load_b64 v[5:6], v[5:6]
.LBB183_29:
	s_or_b32 exec_lo, exec_lo, s5
	s_delay_alu instid0(SALU_CYCLE_1)
	s_mov_b32 s5, exec_lo
                                        ; implicit-def: $vgpr7_vgpr8
	v_cmpx_gt_u32_e64 s19, v40
	s_cbranch_execz .LBB183_31
; %bb.30:
	v_lshlrev_b32_e32 v7, 3, v40
	s_delay_alu instid0(VALU_DEP_1) | instskip(NEXT) | instid1(VALU_DEP_1)
	v_add_co_u32 v7, s8, s2, v7
	v_add_co_ci_u32_e64 v8, null, s4, 0, s8
	flat_load_b64 v[7:8], v[7:8]
.LBB183_31:
	s_or_b32 exec_lo, exec_lo, s5
	s_delay_alu instid0(SALU_CYCLE_1)
	s_mov_b32 s5, exec_lo
                                        ; implicit-def: $vgpr9_vgpr10
	v_cmpx_gt_u32_e64 s19, v39
	s_cbranch_execz .LBB183_33
; %bb.32:
	v_lshlrev_b32_e32 v9, 3, v39
	s_delay_alu instid0(VALU_DEP_1) | instskip(NEXT) | instid1(VALU_DEP_1)
	v_add_co_u32 v9, s8, s2, v9
	v_add_co_ci_u32_e64 v10, null, s4, 0, s8
	flat_load_b64 v[9:10], v[9:10]
.LBB183_33:
	s_or_b32 exec_lo, exec_lo, s5
	s_delay_alu instid0(SALU_CYCLE_1)
	s_mov_b32 s5, exec_lo
                                        ; implicit-def: $vgpr11_vgpr12
	v_cmpx_gt_u32_e64 s19, v37
	s_cbranch_execz .LBB183_35
; %bb.34:
	v_lshlrev_b32_e32 v11, 3, v37
	s_delay_alu instid0(VALU_DEP_1) | instskip(NEXT) | instid1(VALU_DEP_1)
	v_add_co_u32 v11, s8, s2, v11
	v_add_co_ci_u32_e64 v12, null, s4, 0, s8
	flat_load_b64 v[11:12], v[11:12]
.LBB183_35:
	s_or_b32 exec_lo, exec_lo, s5
	s_delay_alu instid0(SALU_CYCLE_1)
	s_mov_b32 s5, exec_lo
                                        ; implicit-def: $vgpr13_vgpr14
	v_cmpx_gt_u32_e64 s19, v34
	s_cbranch_execz .LBB183_37
; %bb.36:
	v_lshlrev_b32_e32 v13, 3, v34
	s_delay_alu instid0(VALU_DEP_1) | instskip(NEXT) | instid1(VALU_DEP_1)
	v_add_co_u32 v13, s8, s2, v13
	v_add_co_ci_u32_e64 v14, null, s4, 0, s8
	flat_load_b64 v[13:14], v[13:14]
.LBB183_37:
	s_or_b32 exec_lo, exec_lo, s5
	s_delay_alu instid0(SALU_CYCLE_1)
	s_mov_b32 s5, exec_lo
                                        ; implicit-def: $vgpr15_vgpr16
	v_cmpx_gt_u32_e64 s19, v35
	s_cbranch_execz .LBB183_39
; %bb.38:
	v_lshlrev_b32_e32 v15, 3, v35
	s_delay_alu instid0(VALU_DEP_1) | instskip(NEXT) | instid1(VALU_DEP_1)
	v_add_co_u32 v15, s2, s2, v15
	v_add_co_ci_u32_e64 v16, null, s4, 0, s2
	flat_load_b64 v[15:16], v[15:16]
.LBB183_39:
	s_or_b32 exec_lo, exec_lo, s5
	v_lshrrev_b32_e32 v38, 2, v38
	v_lshrrev_b32_e32 v36, 2, v36
	;; [unrolled: 1-line block ×4, first 2 shown]
	v_and_b32_e32 v33, 0x78, v33
	v_lshrrev_b32_e32 v37, 2, v37
	v_lshrrev_b32_e32 v34, 2, v34
	;; [unrolled: 1-line block ×3, first 2 shown]
	v_and_b32_e32 v38, 0xf8, v38
	v_and_b32_e32 v36, 0x1f8, v36
	;; [unrolled: 1-line block ×4, first 2 shown]
	v_add_nc_u32_e32 v33, v33, v55
	v_and_b32_e32 v37, 0x3f8, v37
	v_and_b32_e32 v34, 0x3f8, v34
	;; [unrolled: 1-line block ×3, first 2 shown]
	v_add_nc_u32_e32 v38, v38, v55
	v_add_nc_u32_e32 v36, v36, v55
	;; [unrolled: 1-line block ×7, first 2 shown]
	s_waitcnt vmcnt(0) lgkmcnt(0)
	ds_store_b64 v33, v[1:2]
	ds_store_b64 v38, v[3:4] offset:4096
	ds_store_b64 v36, v[5:6] offset:8192
	;; [unrolled: 1-line block ×7, first 2 shown]
	s_waitcnt lgkmcnt(0)
	s_barrier
.LBB183_40:
	buffer_gl0_inv
	ds_load_2addr_b64 v[13:16], v41 offset1:1
	ds_load_2addr_b64 v[9:12], v41 offset0:2 offset1:3
	ds_load_2addr_b64 v[5:8], v41 offset0:4 offset1:5
	;; [unrolled: 1-line block ×3, first 2 shown]
	s_cmp_lg_u32 s15, 0
	s_waitcnt lgkmcnt(0)
	s_cselect_b32 s8, -1, 0
	s_cmp_lg_u64 s[6:7], 0
	s_barrier
	s_cselect_b32 s2, -1, 0
	buffer_gl0_inv
	s_or_b32 s2, s8, s2
	s_delay_alu instid0(SALU_CYCLE_1)
	s_and_b32 vcc_lo, exec_lo, s2
	s_mov_b32 s2, 0
	s_cbranch_vccz .LBB183_45
; %bb.41:
	v_add_co_u32 v33, s2, -8, s21
	s_delay_alu instid0(VALU_DEP_1)
	v_add_co_ci_u32_e64 v34, null, -1, s20, s2
	s_mov_b32 s2, -1
	s_and_b32 vcc_lo, exec_lo, s18
	flat_load_b64 v[35:36], v[33:34]
	ds_store_b64 v55, v[19:20]
	s_cbranch_vccz .LBB183_46
; %bb.42:
	s_waitcnt vmcnt(0) lgkmcnt(1)
	v_dual_mov_b32 v33, v35 :: v_dual_mov_b32 v34, v36
	s_mov_b32 s2, 0
	s_mov_b32 s4, exec_lo
	s_waitcnt lgkmcnt(0)
	s_barrier
	buffer_gl0_inv
	v_cmpx_ne_u32_e32 0, v0
	s_cbranch_execz .LBB183_44
; %bb.43:
	v_add_nc_u32_e32 v33, -8, v55
	ds_load_b64 v[33:34], v33
.LBB183_44:
	s_or_b32 exec_lo, exec_lo, s4
	s_waitcnt lgkmcnt(0)
	v_mul_hi_i32 v34, 0x66666667, v17
	v_mul_hi_i32 v36, 0x66666667, v19
	v_mul_hi_i32 v37, 0x66666667, v23
	v_mul_hi_i32 v38, 0x66666667, v21
	v_mul_hi_i32 v39, 0x66666667, v27
	v_mul_hi_i32 v33, 0x66666667, v33
	v_lshrrev_b32_e32 v40, 31, v34
	v_ashrrev_i32_e32 v34, 2, v34
	v_lshrrev_b32_e32 v41, 31, v36
	v_ashrrev_i32_e32 v36, 2, v36
	;; [unrolled: 2-line block ×3, first 2 shown]
	v_add_nc_u32_e32 v34, v34, v40
	v_lshrrev_b32_e32 v43, 31, v38
	v_add_nc_u32_e32 v36, v36, v41
	v_ashrrev_i32_e32 v38, 2, v38
	v_add_nc_u32_e32 v37, v37, v42
	v_mul_hi_i32 v41, 0x66666667, v25
	v_lshrrev_b32_e32 v40, 31, v39
	v_cmp_ne_u32_e32 vcc_lo, v34, v36
	v_add_nc_u32_e32 v38, v38, v43
	v_ashrrev_i32_e32 v39, 2, v39
	v_mul_hi_i32 v42, 0x66666667, v31
	v_mul_hi_i32 v43, 0x66666667, v29
	v_cndmask_b32_e64 v36, 0, 1, vcc_lo
	v_cmp_ne_u32_e32 vcc_lo, v37, v34
	v_add_nc_u32_e32 v39, v39, v40
	v_lshrrev_b32_e32 v40, 31, v41
	v_ashrrev_i32_e32 v41, 2, v41
	v_lshlrev_b16 v36, 8, v36
	v_cndmask_b32_e64 v34, 0, 1, vcc_lo
	v_cmp_ne_u32_e32 vcc_lo, v38, v37
	v_lshrrev_b32_e32 v44, 31, v42
	v_ashrrev_i32_e32 v42, 2, v42
	v_add_nc_u32_e32 v40, v41, v40
	v_lshrrev_b32_e32 v45, 31, v43
	v_cndmask_b32_e64 v37, 0, 1, vcc_lo
	v_cmp_ne_u32_e32 vcc_lo, v39, v38
	v_ashrrev_i32_e32 v43, 2, v43
	v_add_nc_u32_e32 v41, v42, v44
	v_or_b32_e32 v34, v34, v36
	v_lshlrev_b16 v37, 8, v37
	v_cndmask_b32_e64 v38, 0, 1, vcc_lo
	v_cmp_ne_u32_e32 vcc_lo, v40, v39
	v_add_nc_u32_e32 v42, v43, v45
	v_lshrrev_b32_e32 v43, 31, v33
	v_ashrrev_i32_e32 v33, 2, v33
	v_or_b32_e32 v37, v38, v37
	v_cndmask_b32_e64 v39, 0, 1, vcc_lo
	v_cmp_ne_u32_e32 vcc_lo, v41, v40
	v_lshlrev_b32_e32 v34, 16, v34
	v_add_nc_u32_e32 v33, v33, v43
	v_and_b32_e32 v37, 0xffff, v37
	v_lshlrev_b16 v39, 8, v39
	v_cndmask_b32_e64 v40, 0, 1, vcc_lo
	v_cmp_ne_u32_e32 vcc_lo, v42, v41
	v_cmp_ne_u32_e64 s4, v33, v42
	v_or_b32_e32 v34, v37, v34
	s_delay_alu instid0(VALU_DEP_4) | instskip(SKIP_1) | instid1(VALU_DEP_2)
	v_or_b32_e32 v39, v40, v39
	v_cndmask_b32_e64 v41, 0, 1, vcc_lo
	v_lshlrev_b32_e32 v36, 16, v39
	s_delay_alu instid0(VALU_DEP_2) | instskip(NEXT) | instid1(VALU_DEP_1)
	v_lshlrev_b16 v40, 8, v41
	v_and_b32_e32 v38, 0xffff, v40
	s_delay_alu instid0(VALU_DEP_1)
	v_or_b32_e32 v33, v38, v36
	s_and_b32 vcc_lo, exec_lo, s2
	s_cbranch_vccnz .LBB183_47
	s_branch .LBB183_66
.LBB183_45:
                                        ; implicit-def: $sgpr4
                                        ; implicit-def: $vgpr34
	s_branch .LBB183_67
.LBB183_46:
                                        ; implicit-def: $sgpr4
                                        ; implicit-def: $vgpr34
	s_and_b32 vcc_lo, exec_lo, s2
	s_cbranch_vccz .LBB183_66
.LBB183_47:
	v_or_b32_e32 v33, 7, v55
	s_mov_b32 s2, 0
	s_mov_b32 s4, 0
	s_mov_b32 s5, exec_lo
	s_delay_alu instid0(VALU_DEP_1)
	v_cmpx_gt_u32_e64 s19, v33
	s_cbranch_execz .LBB183_49
; %bb.48:
	v_mul_hi_i32 v33, 0x66666667, v17
	v_mul_hi_i32 v34, 0x66666667, v19
	s_waitcnt vmcnt(0) lgkmcnt(1)
	s_delay_alu instid0(VALU_DEP_2) | instskip(SKIP_1) | instid1(VALU_DEP_3)
	v_lshrrev_b32_e32 v36, 31, v33
	v_ashrrev_i32_e32 v33, 2, v33
	v_lshrrev_b32_e32 v37, 31, v34
	v_ashrrev_i32_e32 v34, 2, v34
	s_delay_alu instid0(VALU_DEP_3) | instskip(NEXT) | instid1(VALU_DEP_2)
	v_add_nc_u32_e32 v33, v33, v36
	v_add_nc_u32_e32 v34, v34, v37
	s_delay_alu instid0(VALU_DEP_1)
	v_cmp_ne_u32_e32 vcc_lo, v33, v34
	s_and_b32 s4, vcc_lo, exec_lo
.LBB183_49:
	s_or_b32 exec_lo, exec_lo, s5
	v_or_b32_e32 v33, 6, v55
	s_mov_b32 s5, exec_lo
	s_delay_alu instid0(VALU_DEP_1)
	v_cmpx_gt_u32_e64 s19, v33
	s_cbranch_execz .LBB183_51
; %bb.50:
	v_mul_hi_i32 v33, 0x66666667, v23
	v_mul_hi_i32 v34, 0x66666667, v17
	s_waitcnt vmcnt(0) lgkmcnt(1)
	s_delay_alu instid0(VALU_DEP_2) | instskip(SKIP_1) | instid1(VALU_DEP_3)
	v_lshrrev_b32_e32 v36, 31, v33
	v_ashrrev_i32_e32 v33, 2, v33
	v_lshrrev_b32_e32 v37, 31, v34
	v_ashrrev_i32_e32 v34, 2, v34
	s_delay_alu instid0(VALU_DEP_3) | instskip(NEXT) | instid1(VALU_DEP_2)
	v_add_nc_u32_e32 v33, v33, v36
	v_add_nc_u32_e32 v34, v34, v37
	s_delay_alu instid0(VALU_DEP_1)
	v_cmp_ne_u32_e32 vcc_lo, v33, v34
	s_and_b32 s2, vcc_lo, exec_lo
.LBB183_51:
	s_or_b32 exec_lo, exec_lo, s5
	v_or_b32_e32 v33, 5, v55
	s_mov_b32 s6, 0
	s_mov_b32 s5, 0
	s_mov_b32 s7, exec_lo
	s_delay_alu instid0(VALU_DEP_1)
	v_cmpx_gt_u32_e64 s19, v33
	s_cbranch_execz .LBB183_53
; %bb.52:
	v_mul_hi_i32 v33, 0x66666667, v21
	v_mul_hi_i32 v34, 0x66666667, v23
	s_waitcnt vmcnt(0) lgkmcnt(1)
	s_delay_alu instid0(VALU_DEP_2) | instskip(SKIP_1) | instid1(VALU_DEP_3)
	v_lshrrev_b32_e32 v36, 31, v33
	v_ashrrev_i32_e32 v33, 2, v33
	v_lshrrev_b32_e32 v37, 31, v34
	v_ashrrev_i32_e32 v34, 2, v34
	s_delay_alu instid0(VALU_DEP_3) | instskip(NEXT) | instid1(VALU_DEP_2)
	v_add_nc_u32_e32 v33, v33, v36
	v_add_nc_u32_e32 v34, v34, v37
	s_delay_alu instid0(VALU_DEP_1)
	v_cmp_ne_u32_e32 vcc_lo, v33, v34
	s_and_b32 s5, vcc_lo, exec_lo
.LBB183_53:
	s_or_b32 exec_lo, exec_lo, s7
	v_or_b32_e32 v33, 4, v55
	s_mov_b32 s7, exec_lo
	s_delay_alu instid0(VALU_DEP_1)
	v_cmpx_gt_u32_e64 s19, v33
	s_cbranch_execz .LBB183_55
; %bb.54:
	v_mul_hi_i32 v33, 0x66666667, v27
	v_mul_hi_i32 v34, 0x66666667, v21
	s_waitcnt vmcnt(0) lgkmcnt(1)
	s_delay_alu instid0(VALU_DEP_2) | instskip(SKIP_1) | instid1(VALU_DEP_3)
	v_lshrrev_b32_e32 v36, 31, v33
	v_ashrrev_i32_e32 v33, 2, v33
	v_lshrrev_b32_e32 v37, 31, v34
	v_ashrrev_i32_e32 v34, 2, v34
	s_delay_alu instid0(VALU_DEP_3) | instskip(NEXT) | instid1(VALU_DEP_2)
	v_add_nc_u32_e32 v33, v33, v36
	v_add_nc_u32_e32 v34, v34, v37
	s_delay_alu instid0(VALU_DEP_1)
	v_cmp_ne_u32_e32 vcc_lo, v33, v34
	s_and_b32 s6, vcc_lo, exec_lo
.LBB183_55:
	s_or_b32 exec_lo, exec_lo, s7
	;; [unrolled: 46-line block ×3, first 2 shown]
	v_or_b32_e32 v33, 1, v55
	s_mov_b32 s12, 0
	s_mov_b32 s13, exec_lo
	s_delay_alu instid0(VALU_DEP_1)
	v_cmpx_gt_u32_e64 s19, v33
	s_cbranch_execz .LBB183_61
; %bb.60:
	v_mul_hi_i32 v33, 0x66666667, v29
	v_mul_hi_i32 v34, 0x66666667, v31
	s_waitcnt vmcnt(0) lgkmcnt(1)
	s_delay_alu instid0(VALU_DEP_2) | instskip(SKIP_1) | instid1(VALU_DEP_3)
	v_lshrrev_b32_e32 v36, 31, v33
	v_ashrrev_i32_e32 v33, 2, v33
	v_lshrrev_b32_e32 v37, 31, v34
	v_ashrrev_i32_e32 v34, 2, v34
	s_delay_alu instid0(VALU_DEP_3) | instskip(NEXT) | instid1(VALU_DEP_2)
	v_add_nc_u32_e32 v33, v33, v36
	v_add_nc_u32_e32 v34, v34, v37
	s_delay_alu instid0(VALU_DEP_1)
	v_cmp_ne_u32_e32 vcc_lo, v33, v34
	s_and_b32 s12, vcc_lo, exec_lo
.LBB183_61:
	s_or_b32 exec_lo, exec_lo, s13
	s_delay_alu instid0(SALU_CYCLE_1)
	s_mov_b32 s13, exec_lo
	s_waitcnt vmcnt(0) lgkmcnt(0)
	s_barrier
	buffer_gl0_inv
	v_cmpx_ne_u32_e32 0, v0
	s_cbranch_execz .LBB183_63
; %bb.62:
	v_add_nc_u32_e32 v33, -8, v55
	ds_load_b64 v[35:36], v33
.LBB183_63:
	s_or_b32 exec_lo, exec_lo, s13
	v_cndmask_b32_e64 v34, 0, 1, s7
	v_cndmask_b32_e64 v37, 0, 1, s5
	;; [unrolled: 1-line block ×4, first 2 shown]
	s_waitcnt lgkmcnt(0)
	v_cndmask_b32_e64 v36, 0, 1, s6
	v_cndmask_b32_e64 v39, 0, 1, s2
	;; [unrolled: 1-line block ×3, first 2 shown]
	v_lshlrev_b16 v34, 8, v34
	v_lshlrev_b16 v37, 8, v37
	;; [unrolled: 1-line block ×3, first 2 shown]
	s_mov_b32 s4, 0
	v_lshlrev_b16 v40, 8, v40
	v_or_b32_e32 v34, v33, v34
	v_or_b32_e32 v36, v36, v37
	;; [unrolled: 1-line block ×3, first 2 shown]
	s_mov_b32 s2, exec_lo
	v_and_b32_e32 v33, 0xffff, v40
	v_lshlrev_b32_e32 v34, 16, v34
	v_and_b32_e32 v36, 0xffff, v36
	v_lshlrev_b32_e32 v37, 16, v37
	v_cmpx_gt_u32_e64 s19, v55
; %bb.64:
	v_mul_hi_i32 v35, 0x66666667, v35
	v_mul_hi_i32 v38, 0x66666667, v29
	s_delay_alu instid0(VALU_DEP_2) | instskip(SKIP_1) | instid1(VALU_DEP_3)
	v_lshrrev_b32_e32 v39, 31, v35
	v_ashrrev_i32_e32 v35, 2, v35
	v_lshrrev_b32_e32 v40, 31, v38
	v_ashrrev_i32_e32 v38, 2, v38
	s_delay_alu instid0(VALU_DEP_3) | instskip(NEXT) | instid1(VALU_DEP_2)
	v_add_nc_u32_e32 v35, v35, v39
	v_add_nc_u32_e32 v38, v38, v40
	s_delay_alu instid0(VALU_DEP_1)
	v_cmp_ne_u32_e32 vcc_lo, v35, v38
	s_and_b32 s4, vcc_lo, exec_lo
; %bb.65:
	s_or_b32 exec_lo, exec_lo, s2
	v_or_b32_e32 v33, v33, v34
	v_or_b32_e32 v34, v36, v37
.LBB183_66:
	s_mov_b32 s2, -1
	s_cbranch_execnz .LBB183_91
.LBB183_67:
	v_mul_hi_i32 v40, 0x66666667, v17
	v_mul_hi_i32 v39, 0x66666667, v23
	;; [unrolled: 1-line block ×4, first 2 shown]
	s_waitcnt vmcnt(0) lgkmcnt(1)
	v_mul_hi_i32 v36, 0x66666667, v25
	v_mul_hi_i32 v35, 0x66666667, v31
	s_and_b32 vcc_lo, exec_lo, s18
	ds_store_b64 v55, v[19:20]
	s_cbranch_vccz .LBB183_71
; %bb.68:
	v_mul_hi_i32 v33, 0x66666667, v19
	v_lshrrev_b32_e32 v34, 31, v40
	v_ashrrev_i32_e32 v41, 2, v40
	v_lshrrev_b32_e32 v42, 31, v39
	v_ashrrev_i32_e32 v43, 2, v39
	;; [unrolled: 2-line block ×3, first 2 shown]
	v_add_nc_u32_e32 v34, v41, v34
	v_lshrrev_b32_e32 v45, 31, v33
	v_ashrrev_i32_e32 v33, 2, v33
	v_add_nc_u32_e32 v41, v43, v42
	v_lshrrev_b32_e32 v42, 31, v37
	v_ashrrev_i32_e32 v43, 2, v37
	v_ashrrev_i32_e32 v48, 2, v35
	v_add_nc_u32_e32 v33, v33, v45
	v_cmp_ne_u32_e32 vcc_lo, v41, v34
	v_mul_hi_i32 v45, 0x66666667, v29
	v_add_nc_u32_e32 v42, v43, v42
	v_lshrrev_b32_e32 v43, 31, v36
	s_mov_b32 s5, 0
	v_cndmask_b32_e64 v47, 0, 1, vcc_lo
	v_cmp_ne_u32_e32 vcc_lo, v34, v33
	v_add_nc_u32_e32 v34, v46, v44
	v_ashrrev_i32_e32 v44, 2, v36
	v_lshrrev_b32_e32 v46, 31, v35
	v_lshrrev_b32_e32 v49, 31, v45
	v_cndmask_b32_e64 v33, 0, 1, vcc_lo
	v_cmp_ne_u32_e32 vcc_lo, v34, v41
	v_ashrrev_i32_e32 v45, 2, v45
	v_add_nc_u32_e32 v43, v44, v43
	v_add_nc_u32_e32 v44, v48, v46
	v_lshlrev_b16 v33, 8, v33
	v_cndmask_b32_e64 v50, 0, 1, vcc_lo
	v_cmp_ne_u32_e32 vcc_lo, v42, v34
	v_add_nc_u32_e32 v41, v45, v49
	s_mov_b32 s6, exec_lo
	v_or_b32_e32 v33, v47, v33
	s_waitcnt lgkmcnt(0)
	v_cndmask_b32_e64 v34, 0, 1, vcc_lo
	v_cmp_ne_u32_e32 vcc_lo, v43, v42
	s_barrier
	v_lshlrev_b32_e32 v33, 16, v33
	buffer_gl0_inv
                                        ; implicit-def: $sgpr4
	v_cndmask_b32_e64 v42, 0, 1, vcc_lo
	v_cmp_ne_u32_e32 vcc_lo, v41, v44
	s_delay_alu instid0(VALU_DEP_2) | instskip(SKIP_3) | instid1(VALU_DEP_3)
	v_lshlrev_b16 v42, 8, v42
	v_cndmask_b32_e64 v45, 0, 1, vcc_lo
	v_cmp_ne_u32_e32 vcc_lo, v44, v43
	v_lshlrev_b16 v44, 8, v50
	v_lshlrev_b16 v45, 8, v45
	v_cndmask_b32_e64 v43, 0, 1, vcc_lo
	s_delay_alu instid0(VALU_DEP_3) | instskip(NEXT) | instid1(VALU_DEP_2)
	v_or_b32_e32 v34, v34, v44
	v_or_b32_e32 v42, v43, v42
	s_delay_alu instid0(VALU_DEP_4) | instskip(NEXT) | instid1(VALU_DEP_3)
	v_or_b32_e32 v43, 1, v45
	v_and_b32_e32 v34, 0xffff, v34
	s_delay_alu instid0(VALU_DEP_3) | instskip(NEXT) | instid1(VALU_DEP_3)
	v_lshlrev_b32_e32 v42, 16, v42
	v_and_b32_e32 v43, 0xffff, v43
	s_delay_alu instid0(VALU_DEP_3) | instskip(NEXT) | instid1(VALU_DEP_2)
	v_or_b32_e32 v34, v34, v33
	v_or_b32_e32 v33, v43, v42
	v_cmpx_ne_u32_e32 0, v0
	s_xor_b32 s6, exec_lo, s6
	s_cbranch_execz .LBB183_70
; %bb.69:
	v_add_nc_u32_e32 v42, -8, v55
	s_or_b32 s2, s2, exec_lo
	ds_load_b32 v42, v42
	s_waitcnt lgkmcnt(0)
	v_mul_hi_i32 v42, 0x66666667, v42
	s_delay_alu instid0(VALU_DEP_1) | instskip(SKIP_1) | instid1(VALU_DEP_1)
	v_lshrrev_b32_e32 v43, 31, v42
	v_ashrrev_i32_e32 v42, 2, v42
	v_add_nc_u32_e32 v42, v42, v43
	s_delay_alu instid0(VALU_DEP_1)
	v_cmp_ne_u32_e32 vcc_lo, v42, v41
	s_and_b32 s4, vcc_lo, exec_lo
.LBB183_70:
	s_or_b32 exec_lo, exec_lo, s6
	s_delay_alu instid0(SALU_CYCLE_1)
	s_and_b32 vcc_lo, exec_lo, s5
	s_cbranch_vccnz .LBB183_72
	s_branch .LBB183_91
.LBB183_71:
                                        ; implicit-def: $sgpr4
                                        ; implicit-def: $vgpr34
	s_cbranch_execz .LBB183_91
.LBB183_72:
	v_or_b32_e32 v33, 7, v55
	s_mov_b32 s4, 0
	s_mov_b32 s5, 0
	s_mov_b32 s6, exec_lo
	s_delay_alu instid0(VALU_DEP_1)
	v_cmpx_gt_u32_e64 s19, v33
; %bb.73:
	v_mul_hi_i32 v33, 0x66666667, v19
	v_lshrrev_b32_e32 v34, 31, v40
	v_ashrrev_i32_e32 v41, 2, v40
	s_delay_alu instid0(VALU_DEP_1) | instskip(NEXT) | instid1(VALU_DEP_4)
	v_add_nc_u32_e32 v34, v41, v34
	v_lshrrev_b32_e32 v42, 31, v33
	v_ashrrev_i32_e32 v33, 2, v33
	s_delay_alu instid0(VALU_DEP_1) | instskip(NEXT) | instid1(VALU_DEP_1)
	v_add_nc_u32_e32 v33, v33, v42
	v_cmp_ne_u32_e32 vcc_lo, v34, v33
	s_and_b32 s5, vcc_lo, exec_lo
; %bb.74:
	s_or_b32 exec_lo, exec_lo, s6
	v_or_b32_e32 v33, 6, v55
	s_mov_b32 s6, exec_lo
	s_delay_alu instid0(VALU_DEP_1)
	v_cmpx_gt_u32_e64 s19, v33
; %bb.75:
	v_lshrrev_b32_e32 v33, 31, v39
	v_ashrrev_i32_e32 v34, 2, v39
	v_lshrrev_b32_e32 v41, 31, v40
	v_ashrrev_i32_e32 v40, 2, v40
	s_delay_alu instid0(VALU_DEP_3) | instskip(NEXT) | instid1(VALU_DEP_2)
	v_add_nc_u32_e32 v33, v34, v33
	v_add_nc_u32_e32 v34, v40, v41
	s_delay_alu instid0(VALU_DEP_1)
	v_cmp_ne_u32_e32 vcc_lo, v33, v34
	s_and_b32 s4, vcc_lo, exec_lo
; %bb.76:
	s_or_b32 exec_lo, exec_lo, s6
	v_or_b32_e32 v33, 5, v55
	s_mov_b32 s6, 0
	s_mov_b32 s7, 0
	s_mov_b32 s9, exec_lo
	s_delay_alu instid0(VALU_DEP_1)
	v_cmpx_gt_u32_e64 s19, v33
; %bb.77:
	v_lshrrev_b32_e32 v33, 31, v38
	v_ashrrev_i32_e32 v34, 2, v38
	v_lshrrev_b32_e32 v40, 31, v39
	v_ashrrev_i32_e32 v39, 2, v39
	s_delay_alu instid0(VALU_DEP_3) | instskip(NEXT) | instid1(VALU_DEP_2)
	v_add_nc_u32_e32 v33, v34, v33
	v_add_nc_u32_e32 v34, v39, v40
	s_delay_alu instid0(VALU_DEP_1)
	v_cmp_ne_u32_e32 vcc_lo, v33, v34
	s_and_b32 s7, vcc_lo, exec_lo
; %bb.78:
	s_or_b32 exec_lo, exec_lo, s9
	v_or_b32_e32 v33, 4, v55
	s_mov_b32 s9, exec_lo
	s_delay_alu instid0(VALU_DEP_1)
	v_cmpx_gt_u32_e64 s19, v33
; %bb.79:
	v_lshrrev_b32_e32 v33, 31, v37
	v_ashrrev_i32_e32 v34, 2, v37
	v_lshrrev_b32_e32 v39, 31, v38
	v_ashrrev_i32_e32 v38, 2, v38
	s_delay_alu instid0(VALU_DEP_3) | instskip(NEXT) | instid1(VALU_DEP_2)
	v_add_nc_u32_e32 v33, v34, v33
	v_add_nc_u32_e32 v34, v38, v39
	s_delay_alu instid0(VALU_DEP_1)
	v_cmp_ne_u32_e32 vcc_lo, v33, v34
	s_and_b32 s6, vcc_lo, exec_lo
; %bb.80:
	s_or_b32 exec_lo, exec_lo, s9
	v_or_b32_e32 v33, 3, v55
	s_mov_b32 s12, 0
	s_mov_b32 s9, 0
	s_mov_b32 s13, exec_lo
	s_delay_alu instid0(VALU_DEP_1)
	v_cmpx_gt_u32_e64 s19, v33
; %bb.81:
	v_lshrrev_b32_e32 v33, 31, v36
	v_ashrrev_i32_e32 v34, 2, v36
	v_lshrrev_b32_e32 v38, 31, v37
	v_ashrrev_i32_e32 v37, 2, v37
	s_delay_alu instid0(VALU_DEP_3) | instskip(NEXT) | instid1(VALU_DEP_2)
	v_add_nc_u32_e32 v33, v34, v33
	v_add_nc_u32_e32 v34, v37, v38
	s_delay_alu instid0(VALU_DEP_1)
	v_cmp_ne_u32_e32 vcc_lo, v33, v34
	s_and_b32 s9, vcc_lo, exec_lo
; %bb.82:
	s_or_b32 exec_lo, exec_lo, s13
	v_or_b32_e32 v33, 2, v55
	s_mov_b32 s13, exec_lo
	s_delay_alu instid0(VALU_DEP_1)
	v_cmpx_gt_u32_e64 s19, v33
; %bb.83:
	v_lshrrev_b32_e32 v33, 31, v35
	v_ashrrev_i32_e32 v34, 2, v35
	v_lshrrev_b32_e32 v37, 31, v36
	v_ashrrev_i32_e32 v36, 2, v36
	s_delay_alu instid0(VALU_DEP_3) | instskip(NEXT) | instid1(VALU_DEP_2)
	v_add_nc_u32_e32 v33, v34, v33
	v_add_nc_u32_e32 v34, v36, v37
	s_delay_alu instid0(VALU_DEP_1)
	v_cmp_ne_u32_e32 vcc_lo, v33, v34
	s_and_b32 s12, vcc_lo, exec_lo
; %bb.84:
	s_or_b32 exec_lo, exec_lo, s13
	v_or_b32_e32 v33, 1, v55
	s_mov_b32 s20, 0
	s_mov_b32 s13, exec_lo
	s_delay_alu instid0(VALU_DEP_1)
	v_cmpx_gt_u32_e64 s19, v33
; %bb.85:
	v_mul_hi_i32 v33, 0x66666667, v29
	v_lshrrev_b32_e32 v34, 31, v35
	v_ashrrev_i32_e32 v35, 2, v35
	s_delay_alu instid0(VALU_DEP_1) | instskip(NEXT) | instid1(VALU_DEP_4)
	v_add_nc_u32_e32 v34, v35, v34
	v_lshrrev_b32_e32 v36, 31, v33
	v_ashrrev_i32_e32 v33, 2, v33
	s_delay_alu instid0(VALU_DEP_1) | instskip(NEXT) | instid1(VALU_DEP_1)
	v_add_nc_u32_e32 v33, v33, v36
	v_cmp_ne_u32_e32 vcc_lo, v33, v34
	s_and_b32 s20, vcc_lo, exec_lo
; %bb.86:
	s_or_b32 exec_lo, exec_lo, s13
	v_cndmask_b32_e64 v34, 0, 1, s9
	v_cndmask_b32_e64 v35, 0, 1, s7
	;; [unrolled: 1-line block ×7, first 2 shown]
	v_lshlrev_b16 v35, 8, v35
	v_lshlrev_b16 v36, 8, v36
	v_lshlrev_b16 v37, 8, v37
	v_lshlrev_b16 v34, 8, v34
	s_mov_b32 s5, exec_lo
	v_or_b32_e32 v35, v38, v35
	v_or_b32_e32 v36, v39, v36
	v_or_b32_e32 v37, 1, v37
	v_or_b32_e32 v33, v33, v34
	s_waitcnt lgkmcnt(0)
	v_and_b32_e32 v34, 0xffff, v35
	v_lshlrev_b32_e32 v35, 16, v36
	v_and_b32_e32 v36, 0xffff, v37
	v_lshlrev_b32_e32 v33, 16, v33
	s_barrier
	buffer_gl0_inv
	v_or_b32_e32 v34, v34, v35
                                        ; implicit-def: $sgpr4
	v_or_b32_e32 v33, v36, v33
	v_cmpx_ne_u32_e32 0, v0
	s_cbranch_execz .LBB183_90
; %bb.87:
	s_mov_b32 s6, 0
	s_mov_b32 s4, exec_lo
	v_cmpx_gt_u32_e64 s19, v55
	s_cbranch_execz .LBB183_89
; %bb.88:
	v_add_nc_u32_e32 v35, -8, v55
	v_mul_hi_i32 v36, 0x66666667, v29
	ds_load_b32 v35, v35
	v_lshrrev_b32_e32 v37, 31, v36
	v_ashrrev_i32_e32 v36, 2, v36
	s_delay_alu instid0(VALU_DEP_1) | instskip(SKIP_2) | instid1(VALU_DEP_1)
	v_add_nc_u32_e32 v36, v36, v37
	s_waitcnt lgkmcnt(0)
	v_mul_hi_i32 v35, 0x66666667, v35
	v_lshrrev_b32_e32 v38, 31, v35
	v_ashrrev_i32_e32 v35, 2, v35
	s_delay_alu instid0(VALU_DEP_1) | instskip(NEXT) | instid1(VALU_DEP_1)
	v_add_nc_u32_e32 v35, v35, v38
	v_cmp_ne_u32_e32 vcc_lo, v35, v36
	s_and_b32 s6, vcc_lo, exec_lo
.LBB183_89:
	s_or_b32 exec_lo, exec_lo, s4
	s_delay_alu instid0(SALU_CYCLE_1)
	s_and_b32 s4, s6, exec_lo
	s_or_b32 s2, s2, exec_lo
.LBB183_90:
	s_or_b32 exec_lo, exec_lo, s5
.LBB183_91:
	s_and_saveexec_b32 s5, s2
	s_cbranch_execz .LBB183_93
; %bb.92:
	s_waitcnt vmcnt(0) lgkmcnt(1)
	v_and_b32_e32 v35, 0xffffff00, v33
	v_cndmask_b32_e64 v36, 0, 1, s4
	s_delay_alu instid0(VALU_DEP_1) | instskip(NEXT) | instid1(VALU_DEP_1)
	v_or_b32_e32 v35, v36, v35
	v_and_b32_e32 v35, 0xffff, v35
	s_delay_alu instid0(VALU_DEP_1)
	v_and_or_b32 v33, 0xffff0000, v33, v35
.LBB183_93:
	s_or_b32 exec_lo, exec_lo, s5
	s_load_b64 s[12:13], s[0:1], 0x60
	s_and_not1_b32 vcc_lo, exec_lo, s3
	s_cbranch_vccnz .LBB183_95
; %bb.94:
	v_cmp_gt_u32_e32 vcc_lo, s19, v55
	s_waitcnt vmcnt(0) lgkmcnt(0)
	v_or_b32_e32 v36, 1, v55
	v_and_b32_e32 v37, 0xffffff00, v34
	v_or_b32_e32 v38, 2, v55
	v_cndmask_b32_e32 v35, 0, v33, vcc_lo
	s_delay_alu instid0(VALU_DEP_4) | instskip(SKIP_1) | instid1(VALU_DEP_4)
	v_cmp_gt_u32_e32 vcc_lo, s19, v36
	v_or_b32_e32 v36, 4, v55
	v_cmp_gt_u32_e64 s2, s19, v38
	v_or_b32_e32 v38, 3, v55
	v_and_b32_e32 v35, 0xff, v35
	s_delay_alu instid0(VALU_DEP_2) | instskip(NEXT) | instid1(VALU_DEP_2)
	v_cmp_gt_u32_e64 s3, s19, v38
	v_cndmask_b32_e32 v35, v35, v33, vcc_lo
	v_cmp_gt_u32_e32 vcc_lo, s19, v36
	v_cndmask_b32_e32 v36, v37, v34, vcc_lo
	v_or_b32_e32 v37, 5, v55
	s_delay_alu instid0(VALU_DEP_2) | instskip(SKIP_1) | instid1(VALU_DEP_1)
	v_and_b32_e32 v36, 0xffff00ff, v36
	v_and_b32_e32 v35, 0xffff, v35
	v_cndmask_b32_e64 v35, v35, v33, s2
	s_delay_alu instid0(VALU_DEP_4) | instskip(SKIP_1) | instid1(VALU_DEP_3)
	v_cmp_gt_u32_e64 s2, s19, v37
	v_or_b32_e32 v37, 6, v55
	v_and_b32_e32 v35, 0xffffff, v35
	s_delay_alu instid0(VALU_DEP_3) | instskip(NEXT) | instid1(VALU_DEP_2)
	v_cndmask_b32_e64 v36, v36, v34, s2
	v_cndmask_b32_e64 v35, v35, v33, s3
	s_delay_alu instid0(VALU_DEP_1) | instskip(SKIP_2) | instid1(VALU_DEP_3)
	v_dual_cndmask_b32 v35, v35, v33 :: v_dual_and_b32 v36, 0xff00ffff, v36
	v_cmp_gt_u32_e32 vcc_lo, s19, v37
	v_or_b32_e32 v37, 7, v55
	v_cndmask_b32_e64 v35, v35, v33, s2
	s_delay_alu instid0(VALU_DEP_1) | instskip(NEXT) | instid1(VALU_DEP_1)
	v_dual_cndmask_b32 v36, v36, v34 :: v_dual_cndmask_b32 v35, v35, v33
	v_and_b32_e32 v36, 0xffffff, v36
	s_delay_alu instid0(VALU_DEP_4) | instskip(NEXT) | instid1(VALU_DEP_2)
	v_cmp_gt_u32_e32 vcc_lo, s19, v37
	v_dual_cndmask_b32 v34, v36, v34 :: v_dual_cndmask_b32 v33, v35, v33
.LBB183_95:
	s_delay_alu instid0(VALU_DEP_1) | instskip(SKIP_1) | instid1(VALU_DEP_2)
	v_and_b32_e32 v44, 0xff, v33
	s_waitcnt vmcnt(0) lgkmcnt(0)
	v_alignbit_b32 v35, v34, v33, 24
	v_bfe_u32 v46, v33, 8, 8
	v_bfe_u32 v48, v33, 16, 8
	v_and_b32_e32 v52, 0xff, v34
	v_bfe_u32 v54, v34, 8, 8
	v_and_b32_e32 v50, 0xff, v35
	v_add_nc_u32_e32 v35, v46, v44
	v_mbcnt_lo_u32_b32 v58, -1, 0
	v_bfe_u32 v57, v34, 16, 8
	v_lshrrev_b32_e32 v56, 24, v34
	v_lshrrev_b32_e32 v59, 5, v0
	v_add3_u32 v35, v35, v48, v50
	v_and_b32_e32 v36, 15, v58
	v_and_b32_e32 v37, 16, v58
	s_and_b32 vcc_lo, exec_lo, s8
	s_mov_b32 s9, -1
	v_add3_u32 v35, v35, v52, v54
	v_cmp_eq_u32_e64 s4, 0, v36
	v_cmp_lt_u32_e64 s2, 1, v36
	v_cmp_lt_u32_e64 s5, 3, v36
	;; [unrolled: 1-line block ×3, first 2 shown]
	v_add3_u32 v60, v35, v57, v56
	v_or_b32_e32 v35, 31, v0
	v_cmp_eq_u32_e64 s7, 0, v37
	s_barrier
	buffer_gl0_inv
	v_cmp_eq_u32_e64 s6, v35, v0
	s_cbranch_vccz .LBB183_121
; %bb.96:
	v_mov_b32_dpp v35, v60 row_shr:1 row_mask:0xf bank_mask:0xf
	s_delay_alu instid0(VALU_DEP_1) | instskip(NEXT) | instid1(VALU_DEP_1)
	v_cndmask_b32_e64 v35, v35, 0, s4
	v_add_nc_u32_e32 v35, v35, v60
	s_delay_alu instid0(VALU_DEP_1) | instskip(NEXT) | instid1(VALU_DEP_1)
	v_mov_b32_dpp v36, v35 row_shr:2 row_mask:0xf bank_mask:0xf
	v_cndmask_b32_e64 v36, 0, v36, s2
	s_delay_alu instid0(VALU_DEP_1) | instskip(NEXT) | instid1(VALU_DEP_1)
	v_add_nc_u32_e32 v35, v35, v36
	v_mov_b32_dpp v36, v35 row_shr:4 row_mask:0xf bank_mask:0xf
	s_delay_alu instid0(VALU_DEP_1) | instskip(NEXT) | instid1(VALU_DEP_1)
	v_cndmask_b32_e64 v36, 0, v36, s5
	v_add_nc_u32_e32 v35, v35, v36
	s_delay_alu instid0(VALU_DEP_1) | instskip(NEXT) | instid1(VALU_DEP_1)
	v_mov_b32_dpp v36, v35 row_shr:8 row_mask:0xf bank_mask:0xf
	v_cndmask_b32_e64 v36, 0, v36, s3
	s_delay_alu instid0(VALU_DEP_1) | instskip(SKIP_3) | instid1(VALU_DEP_1)
	v_add_nc_u32_e32 v35, v35, v36
	ds_swizzle_b32 v36, v35 offset:swizzle(BROADCAST,32,15)
	s_waitcnt lgkmcnt(0)
	v_cndmask_b32_e64 v36, v36, 0, s7
	v_add_nc_u32_e32 v35, v35, v36
	s_and_saveexec_b32 s8, s6
	s_cbranch_execz .LBB183_98
; %bb.97:
	v_lshlrev_b32_e32 v36, 2, v59
	ds_store_b32 v36, v35
.LBB183_98:
	s_or_b32 exec_lo, exec_lo, s8
	s_delay_alu instid0(SALU_CYCLE_1)
	s_mov_b32 s8, exec_lo
	s_waitcnt lgkmcnt(0)
	s_barrier
	buffer_gl0_inv
	v_cmpx_gt_u32_e32 16, v0
	s_cbranch_execz .LBB183_100
; %bb.99:
	v_lshlrev_b32_e32 v36, 2, v0
	ds_load_b32 v37, v36
	s_waitcnt lgkmcnt(0)
	v_mov_b32_dpp v38, v37 row_shr:1 row_mask:0xf bank_mask:0xf
	s_delay_alu instid0(VALU_DEP_1) | instskip(NEXT) | instid1(VALU_DEP_1)
	v_cndmask_b32_e64 v38, v38, 0, s4
	v_add_nc_u32_e32 v37, v38, v37
	s_delay_alu instid0(VALU_DEP_1) | instskip(NEXT) | instid1(VALU_DEP_1)
	v_mov_b32_dpp v38, v37 row_shr:2 row_mask:0xf bank_mask:0xf
	v_cndmask_b32_e64 v38, 0, v38, s2
	s_delay_alu instid0(VALU_DEP_1) | instskip(NEXT) | instid1(VALU_DEP_1)
	v_add_nc_u32_e32 v37, v37, v38
	v_mov_b32_dpp v38, v37 row_shr:4 row_mask:0xf bank_mask:0xf
	s_delay_alu instid0(VALU_DEP_1) | instskip(NEXT) | instid1(VALU_DEP_1)
	v_cndmask_b32_e64 v38, 0, v38, s5
	v_add_nc_u32_e32 v37, v37, v38
	s_delay_alu instid0(VALU_DEP_1) | instskip(NEXT) | instid1(VALU_DEP_1)
	v_mov_b32_dpp v38, v37 row_shr:8 row_mask:0xf bank_mask:0xf
	v_cndmask_b32_e64 v38, 0, v38, s3
	s_delay_alu instid0(VALU_DEP_1)
	v_add_nc_u32_e32 v37, v37, v38
	ds_store_b32 v36, v37
.LBB183_100:
	s_or_b32 exec_lo, exec_lo, s8
	v_cmp_gt_u32_e32 vcc_lo, 32, v0
	s_mov_b32 s9, exec_lo
	s_waitcnt lgkmcnt(0)
	s_barrier
	buffer_gl0_inv
                                        ; implicit-def: $vgpr43
	v_cmpx_lt_u32_e32 31, v0
	s_cbranch_execz .LBB183_102
; %bb.101:
	v_lshl_add_u32 v36, v59, 2, -4
	ds_load_b32 v43, v36
	s_waitcnt lgkmcnt(0)
	v_add_nc_u32_e32 v35, v43, v35
.LBB183_102:
	s_or_b32 exec_lo, exec_lo, s9
	v_add_nc_u32_e32 v36, -1, v58
	s_delay_alu instid0(VALU_DEP_1) | instskip(NEXT) | instid1(VALU_DEP_1)
	v_cmp_gt_i32_e64 s8, 0, v36
	v_cndmask_b32_e64 v36, v36, v58, s8
	v_cmp_eq_u32_e64 s8, 0, v58
	s_delay_alu instid0(VALU_DEP_2)
	v_lshlrev_b32_e32 v36, 2, v36
	ds_bpermute_b32 v45, v36, v35
	s_and_saveexec_b32 s9, vcc_lo
	s_cbranch_execz .LBB183_120
; %bb.103:
	v_mov_b32_e32 v39, 0
	ds_load_b32 v35, v39 offset:60
	s_and_saveexec_b32 s19, s8
	s_cbranch_execz .LBB183_105
; %bb.104:
	s_add_i32 s20, s15, 32
	s_mov_b32 s21, 0
	v_mov_b32_e32 v36, 1
	s_lshl_b64 s[20:21], s[20:21], 3
	s_delay_alu instid0(SALU_CYCLE_1)
	s_add_u32 s20, s12, s20
	s_addc_u32 s21, s13, s21
	s_waitcnt lgkmcnt(0)
	global_store_b64 v39, v[35:36], s[20:21]
.LBB183_105:
	s_or_b32 exec_lo, exec_lo, s19
	v_xad_u32 v37, v58, -1, s15
	s_mov_b32 s20, 0
	s_mov_b32 s19, exec_lo
	s_delay_alu instid0(VALU_DEP_1) | instskip(NEXT) | instid1(VALU_DEP_1)
	v_add_nc_u32_e32 v38, 32, v37
	v_lshlrev_b64 v[38:39], 3, v[38:39]
	s_delay_alu instid0(VALU_DEP_1) | instskip(NEXT) | instid1(VALU_DEP_2)
	v_add_co_u32 v41, vcc_lo, s12, v38
	v_add_co_ci_u32_e32 v42, vcc_lo, s13, v39, vcc_lo
	global_load_b64 v[39:40], v[41:42], off glc
	s_waitcnt vmcnt(0)
	v_and_b32_e32 v36, 0xff, v40
	s_delay_alu instid0(VALU_DEP_1)
	v_cmpx_eq_u16_e32 0, v36
	s_cbranch_execz .LBB183_108
.LBB183_106:                            ; =>This Inner Loop Header: Depth=1
	global_load_b64 v[39:40], v[41:42], off glc
	s_waitcnt vmcnt(0)
	v_and_b32_e32 v36, 0xff, v40
	s_delay_alu instid0(VALU_DEP_1) | instskip(SKIP_1) | instid1(SALU_CYCLE_1)
	v_cmp_ne_u16_e32 vcc_lo, 0, v36
	s_or_b32 s20, vcc_lo, s20
	s_and_not1_b32 exec_lo, exec_lo, s20
	s_cbranch_execnz .LBB183_106
; %bb.107:
	s_or_b32 exec_lo, exec_lo, s20
.LBB183_108:
	s_delay_alu instid0(SALU_CYCLE_1)
	s_or_b32 exec_lo, exec_lo, s19
	v_cmp_ne_u32_e32 vcc_lo, 31, v58
	v_lshlrev_b32_e64 v49, v58, -1
	v_add_nc_u32_e32 v53, 2, v58
	v_add_nc_u32_e32 v66, 16, v58
	v_add_co_ci_u32_e32 v36, vcc_lo, 0, v58, vcc_lo
	s_delay_alu instid0(VALU_DEP_1)
	v_lshlrev_b32_e32 v47, 2, v36
	v_and_b32_e32 v36, 0xff, v40
	ds_bpermute_b32 v38, v47, v39
	v_cmp_eq_u16_e32 vcc_lo, 2, v36
	v_and_or_b32 v36, vcc_lo, v49, 0x80000000
	v_cmp_gt_u32_e32 vcc_lo, 30, v58
	s_delay_alu instid0(VALU_DEP_2) | instskip(SKIP_1) | instid1(VALU_DEP_2)
	v_ctz_i32_b32_e32 v36, v36
	v_cndmask_b32_e64 v41, 0, 1, vcc_lo
	v_cmp_lt_u32_e32 vcc_lo, v58, v36
	s_waitcnt lgkmcnt(0)
	s_delay_alu instid0(VALU_DEP_2) | instskip(NEXT) | instid1(VALU_DEP_1)
	v_dual_cndmask_b32 v38, 0, v38 :: v_dual_lshlrev_b32 v41, 1, v41
	v_add_lshl_u32 v51, v41, v58, 2
	v_cmp_gt_u32_e32 vcc_lo, 28, v58
	s_delay_alu instid0(VALU_DEP_3) | instskip(SKIP_4) | instid1(VALU_DEP_1)
	v_add_nc_u32_e32 v38, v38, v39
	v_cndmask_b32_e64 v41, 0, 1, vcc_lo
	v_cmp_le_u32_e32 vcc_lo, v53, v36
	ds_bpermute_b32 v39, v51, v38
	v_lshlrev_b32_e32 v41, 2, v41
	v_add_lshl_u32 v61, v41, v58, 2
	s_waitcnt lgkmcnt(0)
	v_cndmask_b32_e32 v39, 0, v39, vcc_lo
	v_cmp_gt_u32_e32 vcc_lo, 24, v58
	s_delay_alu instid0(VALU_DEP_2) | instskip(SKIP_4) | instid1(VALU_DEP_2)
	v_add_nc_u32_e32 v38, v38, v39
	v_cndmask_b32_e64 v41, 0, 1, vcc_lo
	ds_bpermute_b32 v39, v61, v38
	v_add_nc_u32_e32 v62, 4, v58
	v_lshlrev_b32_e32 v41, 3, v41
	v_cmp_le_u32_e32 vcc_lo, v62, v36
	s_delay_alu instid0(VALU_DEP_2) | instskip(SKIP_3) | instid1(VALU_DEP_2)
	v_add_lshl_u32 v63, v41, v58, 2
	s_waitcnt lgkmcnt(0)
	v_cndmask_b32_e32 v39, 0, v39, vcc_lo
	v_cmp_gt_u32_e32 vcc_lo, 16, v58
	v_add_nc_u32_e32 v38, v38, v39
	v_cndmask_b32_e64 v41, 0, 1, vcc_lo
	ds_bpermute_b32 v39, v63, v38
	v_add_nc_u32_e32 v64, 8, v58
	v_lshlrev_b32_e32 v41, 4, v41
	s_delay_alu instid0(VALU_DEP_2) | instskip(NEXT) | instid1(VALU_DEP_2)
	v_cmp_le_u32_e32 vcc_lo, v64, v36
	v_add_lshl_u32 v65, v41, v58, 2
	s_waitcnt lgkmcnt(0)
	v_cndmask_b32_e32 v39, 0, v39, vcc_lo
	v_cmp_le_u32_e32 vcc_lo, v66, v36
	s_delay_alu instid0(VALU_DEP_2) | instskip(SKIP_3) | instid1(VALU_DEP_1)
	v_add_nc_u32_e32 v38, v38, v39
	ds_bpermute_b32 v39, v65, v38
	s_waitcnt lgkmcnt(0)
	v_cndmask_b32_e32 v36, 0, v39, vcc_lo
	v_dual_mov_b32 v38, 0 :: v_dual_add_nc_u32 v39, v38, v36
	s_branch .LBB183_110
.LBB183_109:                            ;   in Loop: Header=BB183_110 Depth=1
	s_or_b32 exec_lo, exec_lo, s19
	ds_bpermute_b32 v42, v47, v39
	v_and_b32_e32 v41, 0xff, v40
	v_subrev_nc_u32_e32 v37, 32, v37
	s_delay_alu instid0(VALU_DEP_2) | instskip(SKIP_1) | instid1(VALU_DEP_1)
	v_cmp_eq_u16_e32 vcc_lo, 2, v41
	v_and_or_b32 v41, vcc_lo, v49, 0x80000000
	v_ctz_i32_b32_e32 v41, v41
	s_delay_alu instid0(VALU_DEP_1) | instskip(SKIP_3) | instid1(VALU_DEP_2)
	v_cmp_lt_u32_e32 vcc_lo, v58, v41
	s_waitcnt lgkmcnt(0)
	v_cndmask_b32_e32 v42, 0, v42, vcc_lo
	v_cmp_le_u32_e32 vcc_lo, v53, v41
	v_add_nc_u32_e32 v39, v42, v39
	ds_bpermute_b32 v42, v51, v39
	s_waitcnt lgkmcnt(0)
	v_cndmask_b32_e32 v42, 0, v42, vcc_lo
	v_cmp_le_u32_e32 vcc_lo, v62, v41
	s_delay_alu instid0(VALU_DEP_2) | instskip(SKIP_4) | instid1(VALU_DEP_2)
	v_add_nc_u32_e32 v39, v39, v42
	ds_bpermute_b32 v42, v61, v39
	s_waitcnt lgkmcnt(0)
	v_cndmask_b32_e32 v42, 0, v42, vcc_lo
	v_cmp_le_u32_e32 vcc_lo, v64, v41
	v_add_nc_u32_e32 v39, v39, v42
	ds_bpermute_b32 v42, v63, v39
	s_waitcnt lgkmcnt(0)
	v_cndmask_b32_e32 v42, 0, v42, vcc_lo
	v_cmp_le_u32_e32 vcc_lo, v66, v41
	s_delay_alu instid0(VALU_DEP_2) | instskip(SKIP_3) | instid1(VALU_DEP_1)
	v_add_nc_u32_e32 v39, v39, v42
	ds_bpermute_b32 v42, v65, v39
	s_waitcnt lgkmcnt(0)
	v_cndmask_b32_e32 v41, 0, v42, vcc_lo
	v_add3_u32 v39, v41, v36, v39
.LBB183_110:                            ; =>This Loop Header: Depth=1
                                        ;     Child Loop BB183_113 Depth 2
	v_and_b32_e32 v36, 0xff, v40
	s_delay_alu instid0(VALU_DEP_1) | instskip(SKIP_2) | instid1(VALU_DEP_1)
	v_cmp_ne_u16_e32 vcc_lo, 2, v36
	v_cndmask_b32_e64 v36, 0, 1, vcc_lo
	;;#ASMSTART
	;;#ASMEND
	v_cmp_ne_u32_e32 vcc_lo, 0, v36
	v_mov_b32_e32 v36, v39
	s_cmp_lg_u32 vcc_lo, exec_lo
	s_cbranch_scc1 .LBB183_115
; %bb.111:                              ;   in Loop: Header=BB183_110 Depth=1
	v_lshlrev_b64 v[39:40], 3, v[37:38]
	s_mov_b32 s19, exec_lo
	s_delay_alu instid0(VALU_DEP_1) | instskip(NEXT) | instid1(VALU_DEP_2)
	v_add_co_u32 v41, vcc_lo, s12, v39
	v_add_co_ci_u32_e32 v42, vcc_lo, s13, v40, vcc_lo
	global_load_b64 v[39:40], v[41:42], off glc
	s_waitcnt vmcnt(0)
	v_and_b32_e32 v67, 0xff, v40
	s_delay_alu instid0(VALU_DEP_1)
	v_cmpx_eq_u16_e32 0, v67
	s_cbranch_execz .LBB183_109
; %bb.112:                              ;   in Loop: Header=BB183_110 Depth=1
	s_mov_b32 s20, 0
.LBB183_113:                            ;   Parent Loop BB183_110 Depth=1
                                        ; =>  This Inner Loop Header: Depth=2
	global_load_b64 v[39:40], v[41:42], off glc
	s_waitcnt vmcnt(0)
	v_and_b32_e32 v67, 0xff, v40
	s_delay_alu instid0(VALU_DEP_1) | instskip(SKIP_1) | instid1(SALU_CYCLE_1)
	v_cmp_ne_u16_e32 vcc_lo, 0, v67
	s_or_b32 s20, vcc_lo, s20
	s_and_not1_b32 exec_lo, exec_lo, s20
	s_cbranch_execnz .LBB183_113
; %bb.114:                              ;   in Loop: Header=BB183_110 Depth=1
	s_or_b32 exec_lo, exec_lo, s20
	s_branch .LBB183_109
.LBB183_115:                            ;   in Loop: Header=BB183_110 Depth=1
                                        ; implicit-def: $vgpr39
                                        ; implicit-def: $vgpr40
	s_cbranch_execz .LBB183_110
; %bb.116:
	s_and_saveexec_b32 s19, s8
	s_cbranch_execz .LBB183_118
; %bb.117:
	s_add_i32 s20, s15, 32
	s_mov_b32 s21, 0
	v_dual_mov_b32 v38, 2 :: v_dual_add_nc_u32 v37, v36, v35
	s_lshl_b64 s[20:21], s[20:21], 3
	v_mov_b32_e32 v39, 0
	s_add_u32 s20, s12, s20
	s_addc_u32 s21, s13, s21
	global_store_b64 v39, v[37:38], s[20:21]
	ds_store_b64 v39, v[35:36] offset:33792
.LBB183_118:
	s_or_b32 exec_lo, exec_lo, s19
	v_cmp_eq_u32_e32 vcc_lo, 0, v0
	s_and_b32 exec_lo, exec_lo, vcc_lo
	s_cbranch_execz .LBB183_120
; %bb.119:
	v_mov_b32_e32 v35, 0
	ds_store_b32 v35, v36 offset:60
.LBB183_120:
	s_or_b32 exec_lo, exec_lo, s9
	v_mov_b32_e32 v35, 0
	s_waitcnt lgkmcnt(0)
	s_waitcnt_vscnt null, 0x0
	s_barrier
	buffer_gl0_inv
	v_cndmask_b32_e64 v37, v45, v43, s8
	ds_load_b32 v36, v35 offset:60
	v_cmp_ne_u32_e32 vcc_lo, 0, v0
	s_waitcnt lgkmcnt(0)
	s_barrier
	buffer_gl0_inv
	v_cndmask_b32_e32 v37, 0, v37, vcc_lo
	s_delay_alu instid0(VALU_DEP_1) | instskip(SKIP_2) | instid1(VALU_DEP_1)
	v_add_nc_u32_e32 v53, v36, v37
	ds_load_b64 v[35:36], v35 offset:33792
	v_add_nc_u32_e32 v51, v53, v44
	v_add_nc_u32_e32 v49, v51, v46
	s_delay_alu instid0(VALU_DEP_1) | instskip(NEXT) | instid1(VALU_DEP_1)
	v_add_nc_u32_e32 v47, v49, v48
	v_add_nc_u32_e32 v45, v47, v50
	s_waitcnt lgkmcnt(0)
	v_readfirstlane_b32 s8, v36
	s_delay_alu instid0(VALU_DEP_2) | instskip(NEXT) | instid1(VALU_DEP_1)
	v_add_nc_u32_e32 v43, v45, v52
	v_add_nc_u32_e32 v41, v43, v54
	s_delay_alu instid0(VALU_DEP_1)
	v_add_nc_u32_e32 v39, v41, v57
	v_lshrrev_b64 v[37:38], 24, v[33:34]
	s_branch .LBB183_131
.LBB183_121:
                                        ; implicit-def: $vgpr39
                                        ; implicit-def: $vgpr41
                                        ; implicit-def: $vgpr43
                                        ; implicit-def: $vgpr45
                                        ; implicit-def: $vgpr47
                                        ; implicit-def: $vgpr49
                                        ; implicit-def: $vgpr51
                                        ; implicit-def: $vgpr53
                                        ; implicit-def: $sgpr8
                                        ; implicit-def: $vgpr35
	v_lshrrev_b64 v[37:38], 24, v[33:34]
	s_and_b32 vcc_lo, exec_lo, s9
	s_cbranch_vccz .LBB183_131
; %bb.122:
	v_mov_b32_dpp v35, v60 row_shr:1 row_mask:0xf bank_mask:0xf
	s_delay_alu instid0(VALU_DEP_1) | instskip(NEXT) | instid1(VALU_DEP_1)
	v_cndmask_b32_e64 v35, v35, 0, s4
	v_add_nc_u32_e32 v35, v35, v60
	s_delay_alu instid0(VALU_DEP_1) | instskip(NEXT) | instid1(VALU_DEP_1)
	v_mov_b32_dpp v36, v35 row_shr:2 row_mask:0xf bank_mask:0xf
	v_cndmask_b32_e64 v36, 0, v36, s2
	s_delay_alu instid0(VALU_DEP_1) | instskip(NEXT) | instid1(VALU_DEP_1)
	v_add_nc_u32_e32 v35, v35, v36
	v_mov_b32_dpp v36, v35 row_shr:4 row_mask:0xf bank_mask:0xf
	s_delay_alu instid0(VALU_DEP_1) | instskip(NEXT) | instid1(VALU_DEP_1)
	v_cndmask_b32_e64 v36, 0, v36, s5
	v_add_nc_u32_e32 v35, v35, v36
	s_delay_alu instid0(VALU_DEP_1) | instskip(NEXT) | instid1(VALU_DEP_1)
	v_mov_b32_dpp v36, v35 row_shr:8 row_mask:0xf bank_mask:0xf
	v_cndmask_b32_e64 v36, 0, v36, s3
	s_delay_alu instid0(VALU_DEP_1) | instskip(SKIP_3) | instid1(VALU_DEP_1)
	v_add_nc_u32_e32 v35, v35, v36
	ds_swizzle_b32 v36, v35 offset:swizzle(BROADCAST,32,15)
	s_waitcnt lgkmcnt(0)
	v_cndmask_b32_e64 v36, v36, 0, s7
	v_add_nc_u32_e32 v35, v35, v36
	s_and_saveexec_b32 s7, s6
	s_cbranch_execz .LBB183_124
; %bb.123:
	v_lshlrev_b32_e32 v36, 2, v59
	ds_store_b32 v36, v35
.LBB183_124:
	s_or_b32 exec_lo, exec_lo, s7
	s_delay_alu instid0(SALU_CYCLE_1)
	s_mov_b32 s6, exec_lo
	s_waitcnt lgkmcnt(0)
	s_barrier
	buffer_gl0_inv
	v_cmpx_gt_u32_e32 16, v0
	s_cbranch_execz .LBB183_126
; %bb.125:
	v_lshlrev_b32_e32 v36, 2, v0
	ds_load_b32 v38, v36
	s_waitcnt lgkmcnt(0)
	v_mov_b32_dpp v39, v38 row_shr:1 row_mask:0xf bank_mask:0xf
	s_delay_alu instid0(VALU_DEP_1) | instskip(NEXT) | instid1(VALU_DEP_1)
	v_cndmask_b32_e64 v39, v39, 0, s4
	v_add_nc_u32_e32 v38, v39, v38
	s_delay_alu instid0(VALU_DEP_1) | instskip(NEXT) | instid1(VALU_DEP_1)
	v_mov_b32_dpp v39, v38 row_shr:2 row_mask:0xf bank_mask:0xf
	v_cndmask_b32_e64 v39, 0, v39, s2
	s_delay_alu instid0(VALU_DEP_1) | instskip(NEXT) | instid1(VALU_DEP_1)
	v_add_nc_u32_e32 v38, v38, v39
	v_mov_b32_dpp v39, v38 row_shr:4 row_mask:0xf bank_mask:0xf
	s_delay_alu instid0(VALU_DEP_1) | instskip(NEXT) | instid1(VALU_DEP_1)
	v_cndmask_b32_e64 v39, 0, v39, s5
	v_add_nc_u32_e32 v38, v38, v39
	s_delay_alu instid0(VALU_DEP_1) | instskip(NEXT) | instid1(VALU_DEP_1)
	v_mov_b32_dpp v39, v38 row_shr:8 row_mask:0xf bank_mask:0xf
	v_cndmask_b32_e64 v39, 0, v39, s3
	s_delay_alu instid0(VALU_DEP_1)
	v_add_nc_u32_e32 v38, v38, v39
	ds_store_b32 v36, v38
.LBB183_126:
	s_or_b32 exec_lo, exec_lo, s6
	v_mov_b32_e32 v36, 0
	v_mov_b32_e32 v38, 0
	s_mov_b32 s2, exec_lo
	s_waitcnt lgkmcnt(0)
	s_barrier
	buffer_gl0_inv
	v_cmpx_lt_u32_e32 31, v0
	s_cbranch_execz .LBB183_128
; %bb.127:
	v_lshl_add_u32 v38, v59, 2, -4
	ds_load_b32 v38, v38
.LBB183_128:
	s_or_b32 exec_lo, exec_lo, s2
	v_add_nc_u32_e32 v39, -1, v58
	s_waitcnt lgkmcnt(0)
	v_add_nc_u32_e32 v35, v38, v35
	s_mov_b32 s8, 0
	s_delay_alu instid0(VALU_DEP_2) | instskip(SKIP_2) | instid1(VALU_DEP_2)
	v_cmp_gt_i32_e32 vcc_lo, 0, v39
	v_cndmask_b32_e32 v39, v39, v58, vcc_lo
	v_cmp_eq_u32_e32 vcc_lo, 0, v0
	v_lshlrev_b32_e32 v39, 2, v39
	ds_bpermute_b32 v39, v39, v35
	ds_load_b32 v35, v36 offset:60
	s_and_saveexec_b32 s2, vcc_lo
	s_cbranch_execz .LBB183_130
; %bb.129:
	v_mov_b32_e32 v40, 0
	v_mov_b32_e32 v36, 2
	s_waitcnt lgkmcnt(0)
	global_store_b64 v40, v[35:36], s[12:13] offset:256
.LBB183_130:
	s_or_b32 exec_lo, exec_lo, s2
	v_cmp_eq_u32_e64 s2, 0, v58
	s_waitcnt lgkmcnt(0)
	s_waitcnt_vscnt null, 0x0
	s_barrier
	buffer_gl0_inv
	v_cndmask_b32_e64 v36, v39, v38, s2
	s_delay_alu instid0(VALU_DEP_1) | instskip(NEXT) | instid1(VALU_DEP_1)
	v_cndmask_b32_e64 v53, v36, 0, vcc_lo
	v_add_nc_u32_e32 v51, v53, v44
	s_delay_alu instid0(VALU_DEP_1) | instskip(NEXT) | instid1(VALU_DEP_1)
	v_add_nc_u32_e32 v49, v51, v46
	v_add_nc_u32_e32 v47, v49, v48
	s_delay_alu instid0(VALU_DEP_1) | instskip(NEXT) | instid1(VALU_DEP_1)
	v_add_nc_u32_e32 v45, v47, v50
	v_add_nc_u32_e32 v43, v45, v52
	s_delay_alu instid0(VALU_DEP_1) | instskip(NEXT) | instid1(VALU_DEP_1)
	v_add_nc_u32_e32 v41, v43, v54
	v_add_nc_u32_e32 v39, v41, v57
.LBB183_131:
	s_load_b128 s[4:7], s[0:1], 0x28
	v_add_nc_u32_e32 v59, s8, v35
	v_cmp_gt_u32_e64 s0, 0x201, v35
	v_lshrrev_b32_e32 v58, 8, v33
	v_lshrrev_b32_e32 v57, 16, v33
	;; [unrolled: 1-line block ×4, first 2 shown]
	v_cmp_lt_u32_e64 s1, v53, v59
	s_and_b32 vcc_lo, exec_lo, s0
	s_mov_b32 s2, -1
	s_cbranch_vccz .LBB183_157
; %bb.132:
	s_lshl_b64 s[2:3], s[10:11], 3
	s_waitcnt lgkmcnt(0)
	s_add_u32 s2, s4, s2
	s_addc_u32 s3, s5, s3
	s_or_b32 s9, s18, s1
	s_delay_alu instid0(SALU_CYCLE_1)
	s_and_saveexec_b32 s1, s9
	s_cbranch_execz .LBB183_135
; %bb.133:
	v_and_b32_e32 v40, 1, v33
	s_delay_alu instid0(VALU_DEP_1)
	v_cmp_eq_u32_e32 vcc_lo, 1, v40
	s_and_b32 exec_lo, exec_lo, vcc_lo
	s_cbranch_execz .LBB183_135
; %bb.134:
	v_mov_b32_e32 v54, 0
	s_delay_alu instid0(VALU_DEP_1) | instskip(NEXT) | instid1(VALU_DEP_1)
	v_lshlrev_b64 v[60:61], 3, v[53:54]
	v_add_co_u32 v60, vcc_lo, s2, v60
	s_delay_alu instid0(VALU_DEP_2)
	v_add_co_ci_u32_e32 v61, vcc_lo, s3, v61, vcc_lo
	global_store_b64 v[60:61], v[29:30], off
.LBB183_135:
	s_or_b32 exec_lo, exec_lo, s1
	v_cmp_lt_u32_e32 vcc_lo, v51, v59
	s_or_b32 s9, s18, vcc_lo
	s_delay_alu instid0(SALU_CYCLE_1)
	s_and_saveexec_b32 s1, s9
	s_cbranch_execz .LBB183_138
; %bb.136:
	v_and_b32_e32 v40, 1, v58
	s_delay_alu instid0(VALU_DEP_1)
	v_cmp_eq_u32_e32 vcc_lo, 1, v40
	s_and_b32 exec_lo, exec_lo, vcc_lo
	s_cbranch_execz .LBB183_138
; %bb.137:
	v_mov_b32_e32 v52, 0
	s_delay_alu instid0(VALU_DEP_1) | instskip(NEXT) | instid1(VALU_DEP_1)
	v_lshlrev_b64 v[60:61], 3, v[51:52]
	v_add_co_u32 v60, vcc_lo, s2, v60
	s_delay_alu instid0(VALU_DEP_2)
	v_add_co_ci_u32_e32 v61, vcc_lo, s3, v61, vcc_lo
	global_store_b64 v[60:61], v[31:32], off
.LBB183_138:
	s_or_b32 exec_lo, exec_lo, s1
	v_cmp_lt_u32_e32 vcc_lo, v49, v59
	s_or_b32 s9, s18, vcc_lo
	;; [unrolled: 21-line block ×7, first 2 shown]
	s_delay_alu instid0(SALU_CYCLE_1)
	s_and_saveexec_b32 s1, s9
	s_cbranch_execz .LBB183_156
; %bb.154:
	v_and_b32_e32 v40, 1, v56
	s_delay_alu instid0(VALU_DEP_1)
	v_cmp_eq_u32_e32 vcc_lo, 1, v40
	s_and_b32 exec_lo, exec_lo, vcc_lo
	s_cbranch_execz .LBB183_156
; %bb.155:
	v_mov_b32_e32 v40, 0
	s_delay_alu instid0(VALU_DEP_1) | instskip(NEXT) | instid1(VALU_DEP_1)
	v_lshlrev_b64 v[60:61], 3, v[39:40]
	v_add_co_u32 v60, vcc_lo, s2, v60
	s_delay_alu instid0(VALU_DEP_2)
	v_add_co_ci_u32_e32 v61, vcc_lo, s3, v61, vcc_lo
	global_store_b64 v[60:61], v[19:20], off
.LBB183_156:
	s_or_b32 exec_lo, exec_lo, s1
	s_mov_b32 s2, 0
.LBB183_157:
	v_and_b32_e32 v33, 1, v33
	s_and_b32 vcc_lo, exec_lo, s2
	s_delay_alu instid0(VALU_DEP_1)
	v_cmp_eq_u32_e64 s1, 1, v33
	s_cbranch_vccz .LBB183_178
; %bb.158:
	s_delay_alu instid0(VALU_DEP_1)
	s_and_saveexec_b32 s2, s1
	s_cbranch_execz .LBB183_160
; %bb.159:
	v_subrev_nc_u32_e32 v40, s8, v53
	s_delay_alu instid0(VALU_DEP_1)
	v_lshlrev_b32_e32 v40, 3, v40
	ds_store_b64 v40, v[29:30]
.LBB183_160:
	s_or_b32 exec_lo, exec_lo, s2
	v_and_b32_e32 v29, 1, v58
	s_mov_b32 s1, exec_lo
	s_delay_alu instid0(VALU_DEP_1)
	v_cmpx_eq_u32_e32 1, v29
	s_cbranch_execz .LBB183_162
; %bb.161:
	v_subrev_nc_u32_e32 v29, s8, v51
	s_delay_alu instid0(VALU_DEP_1)
	v_lshlrev_b32_e32 v29, 3, v29
	ds_store_b64 v29, v[31:32]
.LBB183_162:
	s_or_b32 exec_lo, exec_lo, s1
	v_and_b32_e32 v29, 1, v57
	s_mov_b32 s1, exec_lo
	s_delay_alu instid0(VALU_DEP_1)
	v_cmpx_eq_u32_e32 1, v29
	;; [unrolled: 12-line block ×7, first 2 shown]
	s_cbranch_execz .LBB183_174
; %bb.173:
	v_subrev_nc_u32_e32 v17, s8, v39
	s_delay_alu instid0(VALU_DEP_1)
	v_lshlrev_b32_e32 v17, 3, v17
	ds_store_b64 v17, v[19:20]
.LBB183_174:
	s_or_b32 exec_lo, exec_lo, s1
	s_delay_alu instid0(SALU_CYCLE_1)
	s_mov_b32 s2, exec_lo
	s_waitcnt lgkmcnt(0)
	s_waitcnt_vscnt null, 0x0
	s_barrier
	buffer_gl0_inv
	v_cmpx_lt_u32_e64 v0, v35
	s_cbranch_execz .LBB183_177
; %bb.175:
	s_mov_b32 s9, 0
	s_lshl_b64 s[12:13], s[10:11], 3
	s_lshl_b64 s[20:21], s[8:9], 3
	v_dual_mov_b32 v19, v55 :: v_dual_mov_b32 v20, v0
	s_add_u32 s1, s12, s20
	s_addc_u32 s3, s13, s21
	s_add_u32 s1, s4, s1
	s_addc_u32 s3, s5, s3
	v_add_co_u32 v17, s1, s1, v55
	s_delay_alu instid0(VALU_DEP_1)
	v_add_co_ci_u32_e64 v18, null, s3, 0, s1
	.p2align	6
.LBB183_176:                            ; =>This Inner Loop Header: Depth=1
	ds_load_b64 v[21:22], v19
	v_add_nc_u32_e32 v20, 0x200, v20
	v_add_nc_u32_e32 v19, 0x1000, v19
	s_delay_alu instid0(VALU_DEP_2) | instskip(SKIP_4) | instid1(VALU_DEP_1)
	v_cmp_ge_u32_e32 vcc_lo, v20, v35
	s_or_b32 s9, vcc_lo, s9
	s_waitcnt lgkmcnt(0)
	global_store_b64 v[17:18], v[21:22], off
	v_add_co_u32 v17, s1, 0x1000, v17
	v_add_co_ci_u32_e64 v18, s1, 0, v18, s1
	s_and_not1_b32 exec_lo, exec_lo, s9
	s_cbranch_execnz .LBB183_176
.LBB183_177:
	s_or_b32 exec_lo, exec_lo, s2
.LBB183_178:
	s_delay_alu instid0(SALU_CYCLE_1)
	s_and_b32 vcc_lo, exec_lo, s0
	s_mov_b32 s0, -1
	s_waitcnt lgkmcnt(0)
	s_waitcnt_vscnt null, 0x0
	s_barrier
	buffer_gl0_inv
	s_cbranch_vccz .LBB183_206
; %bb.179:
	v_cmp_lt_u32_e32 vcc_lo, v53, v59
	s_lshl_b64 s[0:1], s[10:11], 3
	s_delay_alu instid0(SALU_CYCLE_1) | instskip(SKIP_2) | instid1(SALU_CYCLE_1)
	s_add_u32 s0, s6, s0
	s_addc_u32 s1, s7, s1
	s_or_b32 s3, s18, vcc_lo
	s_and_saveexec_b32 s2, s3
	s_cbranch_execz .LBB183_182
; %bb.180:
	v_cmp_eq_u32_e32 vcc_lo, 1, v33
	s_and_b32 exec_lo, exec_lo, vcc_lo
	s_cbranch_execz .LBB183_182
; %bb.181:
	v_mov_b32_e32 v54, 0
	s_delay_alu instid0(VALU_DEP_1) | instskip(NEXT) | instid1(VALU_DEP_1)
	v_lshlrev_b64 v[17:18], 3, v[53:54]
	v_add_co_u32 v17, vcc_lo, s0, v17
	s_delay_alu instid0(VALU_DEP_2)
	v_add_co_ci_u32_e32 v18, vcc_lo, s1, v18, vcc_lo
	global_store_b64 v[17:18], v[13:14], off
.LBB183_182:
	s_or_b32 exec_lo, exec_lo, s2
	v_cmp_lt_u32_e32 vcc_lo, v51, v59
	s_or_b32 s3, s18, vcc_lo
	s_delay_alu instid0(SALU_CYCLE_1)
	s_and_saveexec_b32 s2, s3
	s_cbranch_execz .LBB183_185
; %bb.183:
	v_and_b32_e32 v17, 1, v58
	s_delay_alu instid0(VALU_DEP_1)
	v_cmp_eq_u32_e32 vcc_lo, 1, v17
	s_and_b32 exec_lo, exec_lo, vcc_lo
	s_cbranch_execz .LBB183_185
; %bb.184:
	v_mov_b32_e32 v52, 0
	s_delay_alu instid0(VALU_DEP_1) | instskip(NEXT) | instid1(VALU_DEP_1)
	v_lshlrev_b64 v[17:18], 3, v[51:52]
	v_add_co_u32 v17, vcc_lo, s0, v17
	s_delay_alu instid0(VALU_DEP_2)
	v_add_co_ci_u32_e32 v18, vcc_lo, s1, v18, vcc_lo
	global_store_b64 v[17:18], v[15:16], off
.LBB183_185:
	s_or_b32 exec_lo, exec_lo, s2
	v_cmp_lt_u32_e32 vcc_lo, v49, v59
	s_or_b32 s3, s18, vcc_lo
	s_delay_alu instid0(SALU_CYCLE_1)
	s_and_saveexec_b32 s2, s3
	s_cbranch_execz .LBB183_188
; %bb.186:
	v_and_b32_e32 v17, 1, v57
	s_delay_alu instid0(VALU_DEP_1)
	v_cmp_eq_u32_e32 vcc_lo, 1, v17
	s_and_b32 exec_lo, exec_lo, vcc_lo
	s_cbranch_execz .LBB183_188
; %bb.187:
	v_mov_b32_e32 v50, 0
	s_delay_alu instid0(VALU_DEP_1) | instskip(NEXT) | instid1(VALU_DEP_1)
	v_lshlrev_b64 v[17:18], 3, v[49:50]
	v_add_co_u32 v17, vcc_lo, s0, v17
	s_delay_alu instid0(VALU_DEP_2)
	v_add_co_ci_u32_e32 v18, vcc_lo, s1, v18, vcc_lo
	global_store_b64 v[17:18], v[9:10], off
.LBB183_188:
	;; [unrolled: 21-line block ×7, first 2 shown]
	s_or_b32 exec_lo, exec_lo, s2
.LBB183_204:
	v_cmp_eq_u32_e32 vcc_lo, 0, v0
	s_and_b32 s0, vcc_lo, s14
	s_delay_alu instid0(SALU_CYCLE_1)
	s_and_saveexec_b32 s1, s0
	s_cbranch_execz .LBB183_227
.LBB183_205:
	v_add_co_u32 v0, s0, s10, v35
	s_delay_alu instid0(VALU_DEP_1) | instskip(SKIP_1) | instid1(VALU_DEP_3)
	v_add_co_ci_u32_e64 v1, null, s11, 0, s0
	v_mov_b32_e32 v2, 0
	v_add_co_u32 v0, vcc_lo, v0, s8
	s_delay_alu instid0(VALU_DEP_3)
	v_add_co_ci_u32_e32 v1, vcc_lo, 0, v1, vcc_lo
	global_store_b64 v2, v[0:1], s[16:17]
	s_nop 0
	s_sendmsg sendmsg(MSG_DEALLOC_VGPRS)
	s_endpgm
.LBB183_206:
	s_and_b32 vcc_lo, exec_lo, s0
	s_cbranch_vccz .LBB183_204
; %bb.207:
	s_mov_b32 s0, exec_lo
	v_cmpx_eq_u32_e32 1, v33
	s_cbranch_execz .LBB183_209
; %bb.208:
	v_subrev_nc_u32_e32 v17, s8, v53
	s_delay_alu instid0(VALU_DEP_1)
	v_lshlrev_b32_e32 v17, 3, v17
	ds_store_b64 v17, v[13:14]
.LBB183_209:
	s_or_b32 exec_lo, exec_lo, s0
	v_and_b32_e32 v13, 1, v58
	s_mov_b32 s0, exec_lo
	s_delay_alu instid0(VALU_DEP_1)
	v_cmpx_eq_u32_e32 1, v13
	s_cbranch_execz .LBB183_211
; %bb.210:
	v_subrev_nc_u32_e32 v13, s8, v51
	s_delay_alu instid0(VALU_DEP_1)
	v_lshlrev_b32_e32 v13, 3, v13
	ds_store_b64 v13, v[15:16]
.LBB183_211:
	s_or_b32 exec_lo, exec_lo, s0
	v_and_b32_e32 v13, 1, v57
	s_mov_b32 s0, exec_lo
	s_delay_alu instid0(VALU_DEP_1)
	;; [unrolled: 12-line block ×7, first 2 shown]
	v_cmpx_eq_u32_e32 1, v1
	s_cbranch_execz .LBB183_223
; %bb.222:
	v_subrev_nc_u32_e32 v1, s8, v39
	s_delay_alu instid0(VALU_DEP_1)
	v_lshlrev_b32_e32 v1, 3, v1
	ds_store_b64 v1, v[3:4]
.LBB183_223:
	s_or_b32 exec_lo, exec_lo, s0
	s_delay_alu instid0(SALU_CYCLE_1)
	s_mov_b32 s1, exec_lo
	s_waitcnt lgkmcnt(0)
	s_waitcnt_vscnt null, 0x0
	s_barrier
	buffer_gl0_inv
	v_cmpx_lt_u32_e64 v0, v35
	s_cbranch_execz .LBB183_226
; %bb.224:
	s_mov_b32 s9, 0
	s_lshl_b64 s[2:3], s[10:11], 3
	s_lshl_b64 s[4:5], s[8:9], 3
	v_mov_b32_e32 v3, v0
	s_add_u32 s0, s2, s4
	s_addc_u32 s2, s3, s5
	s_add_u32 s0, s6, s0
	s_addc_u32 s2, s7, s2
	v_add_co_u32 v1, s0, s0, v55
	s_delay_alu instid0(VALU_DEP_1)
	v_add_co_ci_u32_e64 v2, null, s2, 0, s0
	.p2align	6
.LBB183_225:                            ; =>This Inner Loop Header: Depth=1
	ds_load_b64 v[4:5], v55
	v_add_nc_u32_e32 v3, 0x200, v3
	v_add_nc_u32_e32 v55, 0x1000, v55
	s_delay_alu instid0(VALU_DEP_2) | instskip(SKIP_4) | instid1(VALU_DEP_1)
	v_cmp_ge_u32_e32 vcc_lo, v3, v35
	s_or_b32 s9, vcc_lo, s9
	s_waitcnt lgkmcnt(0)
	global_store_b64 v[1:2], v[4:5], off
	v_add_co_u32 v1, s0, 0x1000, v1
	v_add_co_ci_u32_e64 v2, s0, 0, v2, s0
	s_and_not1_b32 exec_lo, exec_lo, s9
	s_cbranch_execnz .LBB183_225
.LBB183_226:
	s_or_b32 exec_lo, exec_lo, s1
	v_cmp_eq_u32_e32 vcc_lo, 0, v0
	s_and_b32 s0, vcc_lo, s14
	s_delay_alu instid0(SALU_CYCLE_1)
	s_and_saveexec_b32 s1, s0
	s_cbranch_execnz .LBB183_205
.LBB183_227:
	s_nop 0
	s_sendmsg sendmsg(MSG_DEALLOC_VGPRS)
	s_endpgm
	.section	.rodata,"a",@progbits
	.p2align	6, 0x0
	.amdhsa_kernel _ZN7rocprim17ROCPRIM_400000_NS6detail17trampoline_kernelINS0_14default_configENS1_25partition_config_selectorILNS1_17partition_subalgoE9EyybEEZZNS1_14partition_implILS5_9ELb0ES3_jN6thrust23THRUST_200600_302600_NS6detail15normal_iteratorINS9_10device_ptrIyEEEESE_PNS0_10empty_typeENS0_5tupleIJSE_SF_EEENSH_IJSE_SG_EEENS0_18inequality_wrapperI22is_equal_div_10_uniqueIyEEEPmJSF_EEE10hipError_tPvRmT3_T4_T5_T6_T7_T9_mT8_P12ihipStream_tbDpT10_ENKUlT_T0_E_clISt17integral_constantIbLb0EES18_EEDaS13_S14_EUlS13_E_NS1_11comp_targetILNS1_3genE9ELNS1_11target_archE1100ELNS1_3gpuE3ELNS1_3repE0EEENS1_30default_config_static_selectorELNS0_4arch9wavefront6targetE0EEEvT1_
		.amdhsa_group_segment_fixed_size 33800
		.amdhsa_private_segment_fixed_size 0
		.amdhsa_kernarg_size 112
		.amdhsa_user_sgpr_count 15
		.amdhsa_user_sgpr_dispatch_ptr 0
		.amdhsa_user_sgpr_queue_ptr 0
		.amdhsa_user_sgpr_kernarg_segment_ptr 1
		.amdhsa_user_sgpr_dispatch_id 0
		.amdhsa_user_sgpr_private_segment_size 0
		.amdhsa_wavefront_size32 1
		.amdhsa_uses_dynamic_stack 0
		.amdhsa_enable_private_segment 0
		.amdhsa_system_sgpr_workgroup_id_x 1
		.amdhsa_system_sgpr_workgroup_id_y 0
		.amdhsa_system_sgpr_workgroup_id_z 0
		.amdhsa_system_sgpr_workgroup_info 0
		.amdhsa_system_vgpr_workitem_id 0
		.amdhsa_next_free_vgpr 68
		.amdhsa_next_free_sgpr 25
		.amdhsa_reserve_vcc 1
		.amdhsa_float_round_mode_32 0
		.amdhsa_float_round_mode_16_64 0
		.amdhsa_float_denorm_mode_32 3
		.amdhsa_float_denorm_mode_16_64 3
		.amdhsa_dx10_clamp 1
		.amdhsa_ieee_mode 1
		.amdhsa_fp16_overflow 0
		.amdhsa_workgroup_processor_mode 1
		.amdhsa_memory_ordered 1
		.amdhsa_forward_progress 0
		.amdhsa_shared_vgpr_count 0
		.amdhsa_exception_fp_ieee_invalid_op 0
		.amdhsa_exception_fp_denorm_src 0
		.amdhsa_exception_fp_ieee_div_zero 0
		.amdhsa_exception_fp_ieee_overflow 0
		.amdhsa_exception_fp_ieee_underflow 0
		.amdhsa_exception_fp_ieee_inexact 0
		.amdhsa_exception_int_div_zero 0
	.end_amdhsa_kernel
	.section	.text._ZN7rocprim17ROCPRIM_400000_NS6detail17trampoline_kernelINS0_14default_configENS1_25partition_config_selectorILNS1_17partition_subalgoE9EyybEEZZNS1_14partition_implILS5_9ELb0ES3_jN6thrust23THRUST_200600_302600_NS6detail15normal_iteratorINS9_10device_ptrIyEEEESE_PNS0_10empty_typeENS0_5tupleIJSE_SF_EEENSH_IJSE_SG_EEENS0_18inequality_wrapperI22is_equal_div_10_uniqueIyEEEPmJSF_EEE10hipError_tPvRmT3_T4_T5_T6_T7_T9_mT8_P12ihipStream_tbDpT10_ENKUlT_T0_E_clISt17integral_constantIbLb0EES18_EEDaS13_S14_EUlS13_E_NS1_11comp_targetILNS1_3genE9ELNS1_11target_archE1100ELNS1_3gpuE3ELNS1_3repE0EEENS1_30default_config_static_selectorELNS0_4arch9wavefront6targetE0EEEvT1_,"axG",@progbits,_ZN7rocprim17ROCPRIM_400000_NS6detail17trampoline_kernelINS0_14default_configENS1_25partition_config_selectorILNS1_17partition_subalgoE9EyybEEZZNS1_14partition_implILS5_9ELb0ES3_jN6thrust23THRUST_200600_302600_NS6detail15normal_iteratorINS9_10device_ptrIyEEEESE_PNS0_10empty_typeENS0_5tupleIJSE_SF_EEENSH_IJSE_SG_EEENS0_18inequality_wrapperI22is_equal_div_10_uniqueIyEEEPmJSF_EEE10hipError_tPvRmT3_T4_T5_T6_T7_T9_mT8_P12ihipStream_tbDpT10_ENKUlT_T0_E_clISt17integral_constantIbLb0EES18_EEDaS13_S14_EUlS13_E_NS1_11comp_targetILNS1_3genE9ELNS1_11target_archE1100ELNS1_3gpuE3ELNS1_3repE0EEENS1_30default_config_static_selectorELNS0_4arch9wavefront6targetE0EEEvT1_,comdat
.Lfunc_end183:
	.size	_ZN7rocprim17ROCPRIM_400000_NS6detail17trampoline_kernelINS0_14default_configENS1_25partition_config_selectorILNS1_17partition_subalgoE9EyybEEZZNS1_14partition_implILS5_9ELb0ES3_jN6thrust23THRUST_200600_302600_NS6detail15normal_iteratorINS9_10device_ptrIyEEEESE_PNS0_10empty_typeENS0_5tupleIJSE_SF_EEENSH_IJSE_SG_EEENS0_18inequality_wrapperI22is_equal_div_10_uniqueIyEEEPmJSF_EEE10hipError_tPvRmT3_T4_T5_T6_T7_T9_mT8_P12ihipStream_tbDpT10_ENKUlT_T0_E_clISt17integral_constantIbLb0EES18_EEDaS13_S14_EUlS13_E_NS1_11comp_targetILNS1_3genE9ELNS1_11target_archE1100ELNS1_3gpuE3ELNS1_3repE0EEENS1_30default_config_static_selectorELNS0_4arch9wavefront6targetE0EEEvT1_, .Lfunc_end183-_ZN7rocprim17ROCPRIM_400000_NS6detail17trampoline_kernelINS0_14default_configENS1_25partition_config_selectorILNS1_17partition_subalgoE9EyybEEZZNS1_14partition_implILS5_9ELb0ES3_jN6thrust23THRUST_200600_302600_NS6detail15normal_iteratorINS9_10device_ptrIyEEEESE_PNS0_10empty_typeENS0_5tupleIJSE_SF_EEENSH_IJSE_SG_EEENS0_18inequality_wrapperI22is_equal_div_10_uniqueIyEEEPmJSF_EEE10hipError_tPvRmT3_T4_T5_T6_T7_T9_mT8_P12ihipStream_tbDpT10_ENKUlT_T0_E_clISt17integral_constantIbLb0EES18_EEDaS13_S14_EUlS13_E_NS1_11comp_targetILNS1_3genE9ELNS1_11target_archE1100ELNS1_3gpuE3ELNS1_3repE0EEENS1_30default_config_static_selectorELNS0_4arch9wavefront6targetE0EEEvT1_
                                        ; -- End function
	.section	.AMDGPU.csdata,"",@progbits
; Kernel info:
; codeLenInByte = 10808
; NumSgprs: 27
; NumVgprs: 68
; ScratchSize: 0
; MemoryBound: 0
; FloatMode: 240
; IeeeMode: 1
; LDSByteSize: 33800 bytes/workgroup (compile time only)
; SGPRBlocks: 3
; VGPRBlocks: 8
; NumSGPRsForWavesPerEU: 27
; NumVGPRsForWavesPerEU: 68
; Occupancy: 12
; WaveLimiterHint : 1
; COMPUTE_PGM_RSRC2:SCRATCH_EN: 0
; COMPUTE_PGM_RSRC2:USER_SGPR: 15
; COMPUTE_PGM_RSRC2:TRAP_HANDLER: 0
; COMPUTE_PGM_RSRC2:TGID_X_EN: 1
; COMPUTE_PGM_RSRC2:TGID_Y_EN: 0
; COMPUTE_PGM_RSRC2:TGID_Z_EN: 0
; COMPUTE_PGM_RSRC2:TIDIG_COMP_CNT: 0
	.section	.text._ZN7rocprim17ROCPRIM_400000_NS6detail17trampoline_kernelINS0_14default_configENS1_25partition_config_selectorILNS1_17partition_subalgoE9EyybEEZZNS1_14partition_implILS5_9ELb0ES3_jN6thrust23THRUST_200600_302600_NS6detail15normal_iteratorINS9_10device_ptrIyEEEESE_PNS0_10empty_typeENS0_5tupleIJSE_SF_EEENSH_IJSE_SG_EEENS0_18inequality_wrapperI22is_equal_div_10_uniqueIyEEEPmJSF_EEE10hipError_tPvRmT3_T4_T5_T6_T7_T9_mT8_P12ihipStream_tbDpT10_ENKUlT_T0_E_clISt17integral_constantIbLb0EES18_EEDaS13_S14_EUlS13_E_NS1_11comp_targetILNS1_3genE8ELNS1_11target_archE1030ELNS1_3gpuE2ELNS1_3repE0EEENS1_30default_config_static_selectorELNS0_4arch9wavefront6targetE0EEEvT1_,"axG",@progbits,_ZN7rocprim17ROCPRIM_400000_NS6detail17trampoline_kernelINS0_14default_configENS1_25partition_config_selectorILNS1_17partition_subalgoE9EyybEEZZNS1_14partition_implILS5_9ELb0ES3_jN6thrust23THRUST_200600_302600_NS6detail15normal_iteratorINS9_10device_ptrIyEEEESE_PNS0_10empty_typeENS0_5tupleIJSE_SF_EEENSH_IJSE_SG_EEENS0_18inequality_wrapperI22is_equal_div_10_uniqueIyEEEPmJSF_EEE10hipError_tPvRmT3_T4_T5_T6_T7_T9_mT8_P12ihipStream_tbDpT10_ENKUlT_T0_E_clISt17integral_constantIbLb0EES18_EEDaS13_S14_EUlS13_E_NS1_11comp_targetILNS1_3genE8ELNS1_11target_archE1030ELNS1_3gpuE2ELNS1_3repE0EEENS1_30default_config_static_selectorELNS0_4arch9wavefront6targetE0EEEvT1_,comdat
	.protected	_ZN7rocprim17ROCPRIM_400000_NS6detail17trampoline_kernelINS0_14default_configENS1_25partition_config_selectorILNS1_17partition_subalgoE9EyybEEZZNS1_14partition_implILS5_9ELb0ES3_jN6thrust23THRUST_200600_302600_NS6detail15normal_iteratorINS9_10device_ptrIyEEEESE_PNS0_10empty_typeENS0_5tupleIJSE_SF_EEENSH_IJSE_SG_EEENS0_18inequality_wrapperI22is_equal_div_10_uniqueIyEEEPmJSF_EEE10hipError_tPvRmT3_T4_T5_T6_T7_T9_mT8_P12ihipStream_tbDpT10_ENKUlT_T0_E_clISt17integral_constantIbLb0EES18_EEDaS13_S14_EUlS13_E_NS1_11comp_targetILNS1_3genE8ELNS1_11target_archE1030ELNS1_3gpuE2ELNS1_3repE0EEENS1_30default_config_static_selectorELNS0_4arch9wavefront6targetE0EEEvT1_ ; -- Begin function _ZN7rocprim17ROCPRIM_400000_NS6detail17trampoline_kernelINS0_14default_configENS1_25partition_config_selectorILNS1_17partition_subalgoE9EyybEEZZNS1_14partition_implILS5_9ELb0ES3_jN6thrust23THRUST_200600_302600_NS6detail15normal_iteratorINS9_10device_ptrIyEEEESE_PNS0_10empty_typeENS0_5tupleIJSE_SF_EEENSH_IJSE_SG_EEENS0_18inequality_wrapperI22is_equal_div_10_uniqueIyEEEPmJSF_EEE10hipError_tPvRmT3_T4_T5_T6_T7_T9_mT8_P12ihipStream_tbDpT10_ENKUlT_T0_E_clISt17integral_constantIbLb0EES18_EEDaS13_S14_EUlS13_E_NS1_11comp_targetILNS1_3genE8ELNS1_11target_archE1030ELNS1_3gpuE2ELNS1_3repE0EEENS1_30default_config_static_selectorELNS0_4arch9wavefront6targetE0EEEvT1_
	.globl	_ZN7rocprim17ROCPRIM_400000_NS6detail17trampoline_kernelINS0_14default_configENS1_25partition_config_selectorILNS1_17partition_subalgoE9EyybEEZZNS1_14partition_implILS5_9ELb0ES3_jN6thrust23THRUST_200600_302600_NS6detail15normal_iteratorINS9_10device_ptrIyEEEESE_PNS0_10empty_typeENS0_5tupleIJSE_SF_EEENSH_IJSE_SG_EEENS0_18inequality_wrapperI22is_equal_div_10_uniqueIyEEEPmJSF_EEE10hipError_tPvRmT3_T4_T5_T6_T7_T9_mT8_P12ihipStream_tbDpT10_ENKUlT_T0_E_clISt17integral_constantIbLb0EES18_EEDaS13_S14_EUlS13_E_NS1_11comp_targetILNS1_3genE8ELNS1_11target_archE1030ELNS1_3gpuE2ELNS1_3repE0EEENS1_30default_config_static_selectorELNS0_4arch9wavefront6targetE0EEEvT1_
	.p2align	8
	.type	_ZN7rocprim17ROCPRIM_400000_NS6detail17trampoline_kernelINS0_14default_configENS1_25partition_config_selectorILNS1_17partition_subalgoE9EyybEEZZNS1_14partition_implILS5_9ELb0ES3_jN6thrust23THRUST_200600_302600_NS6detail15normal_iteratorINS9_10device_ptrIyEEEESE_PNS0_10empty_typeENS0_5tupleIJSE_SF_EEENSH_IJSE_SG_EEENS0_18inequality_wrapperI22is_equal_div_10_uniqueIyEEEPmJSF_EEE10hipError_tPvRmT3_T4_T5_T6_T7_T9_mT8_P12ihipStream_tbDpT10_ENKUlT_T0_E_clISt17integral_constantIbLb0EES18_EEDaS13_S14_EUlS13_E_NS1_11comp_targetILNS1_3genE8ELNS1_11target_archE1030ELNS1_3gpuE2ELNS1_3repE0EEENS1_30default_config_static_selectorELNS0_4arch9wavefront6targetE0EEEvT1_,@function
_ZN7rocprim17ROCPRIM_400000_NS6detail17trampoline_kernelINS0_14default_configENS1_25partition_config_selectorILNS1_17partition_subalgoE9EyybEEZZNS1_14partition_implILS5_9ELb0ES3_jN6thrust23THRUST_200600_302600_NS6detail15normal_iteratorINS9_10device_ptrIyEEEESE_PNS0_10empty_typeENS0_5tupleIJSE_SF_EEENSH_IJSE_SG_EEENS0_18inequality_wrapperI22is_equal_div_10_uniqueIyEEEPmJSF_EEE10hipError_tPvRmT3_T4_T5_T6_T7_T9_mT8_P12ihipStream_tbDpT10_ENKUlT_T0_E_clISt17integral_constantIbLb0EES18_EEDaS13_S14_EUlS13_E_NS1_11comp_targetILNS1_3genE8ELNS1_11target_archE1030ELNS1_3gpuE2ELNS1_3repE0EEENS1_30default_config_static_selectorELNS0_4arch9wavefront6targetE0EEEvT1_: ; @_ZN7rocprim17ROCPRIM_400000_NS6detail17trampoline_kernelINS0_14default_configENS1_25partition_config_selectorILNS1_17partition_subalgoE9EyybEEZZNS1_14partition_implILS5_9ELb0ES3_jN6thrust23THRUST_200600_302600_NS6detail15normal_iteratorINS9_10device_ptrIyEEEESE_PNS0_10empty_typeENS0_5tupleIJSE_SF_EEENSH_IJSE_SG_EEENS0_18inequality_wrapperI22is_equal_div_10_uniqueIyEEEPmJSF_EEE10hipError_tPvRmT3_T4_T5_T6_T7_T9_mT8_P12ihipStream_tbDpT10_ENKUlT_T0_E_clISt17integral_constantIbLb0EES18_EEDaS13_S14_EUlS13_E_NS1_11comp_targetILNS1_3genE8ELNS1_11target_archE1030ELNS1_3gpuE2ELNS1_3repE0EEENS1_30default_config_static_selectorELNS0_4arch9wavefront6targetE0EEEvT1_
; %bb.0:
	.section	.rodata,"a",@progbits
	.p2align	6, 0x0
	.amdhsa_kernel _ZN7rocprim17ROCPRIM_400000_NS6detail17trampoline_kernelINS0_14default_configENS1_25partition_config_selectorILNS1_17partition_subalgoE9EyybEEZZNS1_14partition_implILS5_9ELb0ES3_jN6thrust23THRUST_200600_302600_NS6detail15normal_iteratorINS9_10device_ptrIyEEEESE_PNS0_10empty_typeENS0_5tupleIJSE_SF_EEENSH_IJSE_SG_EEENS0_18inequality_wrapperI22is_equal_div_10_uniqueIyEEEPmJSF_EEE10hipError_tPvRmT3_T4_T5_T6_T7_T9_mT8_P12ihipStream_tbDpT10_ENKUlT_T0_E_clISt17integral_constantIbLb0EES18_EEDaS13_S14_EUlS13_E_NS1_11comp_targetILNS1_3genE8ELNS1_11target_archE1030ELNS1_3gpuE2ELNS1_3repE0EEENS1_30default_config_static_selectorELNS0_4arch9wavefront6targetE0EEEvT1_
		.amdhsa_group_segment_fixed_size 0
		.amdhsa_private_segment_fixed_size 0
		.amdhsa_kernarg_size 112
		.amdhsa_user_sgpr_count 15
		.amdhsa_user_sgpr_dispatch_ptr 0
		.amdhsa_user_sgpr_queue_ptr 0
		.amdhsa_user_sgpr_kernarg_segment_ptr 1
		.amdhsa_user_sgpr_dispatch_id 0
		.amdhsa_user_sgpr_private_segment_size 0
		.amdhsa_wavefront_size32 1
		.amdhsa_uses_dynamic_stack 0
		.amdhsa_enable_private_segment 0
		.amdhsa_system_sgpr_workgroup_id_x 1
		.amdhsa_system_sgpr_workgroup_id_y 0
		.amdhsa_system_sgpr_workgroup_id_z 0
		.amdhsa_system_sgpr_workgroup_info 0
		.amdhsa_system_vgpr_workitem_id 0
		.amdhsa_next_free_vgpr 1
		.amdhsa_next_free_sgpr 1
		.amdhsa_reserve_vcc 0
		.amdhsa_float_round_mode_32 0
		.amdhsa_float_round_mode_16_64 0
		.amdhsa_float_denorm_mode_32 3
		.amdhsa_float_denorm_mode_16_64 3
		.amdhsa_dx10_clamp 1
		.amdhsa_ieee_mode 1
		.amdhsa_fp16_overflow 0
		.amdhsa_workgroup_processor_mode 1
		.amdhsa_memory_ordered 1
		.amdhsa_forward_progress 0
		.amdhsa_shared_vgpr_count 0
		.amdhsa_exception_fp_ieee_invalid_op 0
		.amdhsa_exception_fp_denorm_src 0
		.amdhsa_exception_fp_ieee_div_zero 0
		.amdhsa_exception_fp_ieee_overflow 0
		.amdhsa_exception_fp_ieee_underflow 0
		.amdhsa_exception_fp_ieee_inexact 0
		.amdhsa_exception_int_div_zero 0
	.end_amdhsa_kernel
	.section	.text._ZN7rocprim17ROCPRIM_400000_NS6detail17trampoline_kernelINS0_14default_configENS1_25partition_config_selectorILNS1_17partition_subalgoE9EyybEEZZNS1_14partition_implILS5_9ELb0ES3_jN6thrust23THRUST_200600_302600_NS6detail15normal_iteratorINS9_10device_ptrIyEEEESE_PNS0_10empty_typeENS0_5tupleIJSE_SF_EEENSH_IJSE_SG_EEENS0_18inequality_wrapperI22is_equal_div_10_uniqueIyEEEPmJSF_EEE10hipError_tPvRmT3_T4_T5_T6_T7_T9_mT8_P12ihipStream_tbDpT10_ENKUlT_T0_E_clISt17integral_constantIbLb0EES18_EEDaS13_S14_EUlS13_E_NS1_11comp_targetILNS1_3genE8ELNS1_11target_archE1030ELNS1_3gpuE2ELNS1_3repE0EEENS1_30default_config_static_selectorELNS0_4arch9wavefront6targetE0EEEvT1_,"axG",@progbits,_ZN7rocprim17ROCPRIM_400000_NS6detail17trampoline_kernelINS0_14default_configENS1_25partition_config_selectorILNS1_17partition_subalgoE9EyybEEZZNS1_14partition_implILS5_9ELb0ES3_jN6thrust23THRUST_200600_302600_NS6detail15normal_iteratorINS9_10device_ptrIyEEEESE_PNS0_10empty_typeENS0_5tupleIJSE_SF_EEENSH_IJSE_SG_EEENS0_18inequality_wrapperI22is_equal_div_10_uniqueIyEEEPmJSF_EEE10hipError_tPvRmT3_T4_T5_T6_T7_T9_mT8_P12ihipStream_tbDpT10_ENKUlT_T0_E_clISt17integral_constantIbLb0EES18_EEDaS13_S14_EUlS13_E_NS1_11comp_targetILNS1_3genE8ELNS1_11target_archE1030ELNS1_3gpuE2ELNS1_3repE0EEENS1_30default_config_static_selectorELNS0_4arch9wavefront6targetE0EEEvT1_,comdat
.Lfunc_end184:
	.size	_ZN7rocprim17ROCPRIM_400000_NS6detail17trampoline_kernelINS0_14default_configENS1_25partition_config_selectorILNS1_17partition_subalgoE9EyybEEZZNS1_14partition_implILS5_9ELb0ES3_jN6thrust23THRUST_200600_302600_NS6detail15normal_iteratorINS9_10device_ptrIyEEEESE_PNS0_10empty_typeENS0_5tupleIJSE_SF_EEENSH_IJSE_SG_EEENS0_18inequality_wrapperI22is_equal_div_10_uniqueIyEEEPmJSF_EEE10hipError_tPvRmT3_T4_T5_T6_T7_T9_mT8_P12ihipStream_tbDpT10_ENKUlT_T0_E_clISt17integral_constantIbLb0EES18_EEDaS13_S14_EUlS13_E_NS1_11comp_targetILNS1_3genE8ELNS1_11target_archE1030ELNS1_3gpuE2ELNS1_3repE0EEENS1_30default_config_static_selectorELNS0_4arch9wavefront6targetE0EEEvT1_, .Lfunc_end184-_ZN7rocprim17ROCPRIM_400000_NS6detail17trampoline_kernelINS0_14default_configENS1_25partition_config_selectorILNS1_17partition_subalgoE9EyybEEZZNS1_14partition_implILS5_9ELb0ES3_jN6thrust23THRUST_200600_302600_NS6detail15normal_iteratorINS9_10device_ptrIyEEEESE_PNS0_10empty_typeENS0_5tupleIJSE_SF_EEENSH_IJSE_SG_EEENS0_18inequality_wrapperI22is_equal_div_10_uniqueIyEEEPmJSF_EEE10hipError_tPvRmT3_T4_T5_T6_T7_T9_mT8_P12ihipStream_tbDpT10_ENKUlT_T0_E_clISt17integral_constantIbLb0EES18_EEDaS13_S14_EUlS13_E_NS1_11comp_targetILNS1_3genE8ELNS1_11target_archE1030ELNS1_3gpuE2ELNS1_3repE0EEENS1_30default_config_static_selectorELNS0_4arch9wavefront6targetE0EEEvT1_
                                        ; -- End function
	.section	.AMDGPU.csdata,"",@progbits
; Kernel info:
; codeLenInByte = 0
; NumSgprs: 0
; NumVgprs: 0
; ScratchSize: 0
; MemoryBound: 0
; FloatMode: 240
; IeeeMode: 1
; LDSByteSize: 0 bytes/workgroup (compile time only)
; SGPRBlocks: 0
; VGPRBlocks: 0
; NumSGPRsForWavesPerEU: 1
; NumVGPRsForWavesPerEU: 1
; Occupancy: 16
; WaveLimiterHint : 0
; COMPUTE_PGM_RSRC2:SCRATCH_EN: 0
; COMPUTE_PGM_RSRC2:USER_SGPR: 15
; COMPUTE_PGM_RSRC2:TRAP_HANDLER: 0
; COMPUTE_PGM_RSRC2:TGID_X_EN: 1
; COMPUTE_PGM_RSRC2:TGID_Y_EN: 0
; COMPUTE_PGM_RSRC2:TGID_Z_EN: 0
; COMPUTE_PGM_RSRC2:TIDIG_COMP_CNT: 0
	.section	.text._ZN7rocprim17ROCPRIM_400000_NS6detail17trampoline_kernelINS0_14default_configENS1_25partition_config_selectorILNS1_17partition_subalgoE9EyybEEZZNS1_14partition_implILS5_9ELb0ES3_jN6thrust23THRUST_200600_302600_NS6detail15normal_iteratorINS9_10device_ptrIyEEEESE_PNS0_10empty_typeENS0_5tupleIJSE_SF_EEENSH_IJSE_SG_EEENS0_18inequality_wrapperI22is_equal_div_10_uniqueIyEEEPmJSF_EEE10hipError_tPvRmT3_T4_T5_T6_T7_T9_mT8_P12ihipStream_tbDpT10_ENKUlT_T0_E_clISt17integral_constantIbLb1EES18_EEDaS13_S14_EUlS13_E_NS1_11comp_targetILNS1_3genE0ELNS1_11target_archE4294967295ELNS1_3gpuE0ELNS1_3repE0EEENS1_30default_config_static_selectorELNS0_4arch9wavefront6targetE0EEEvT1_,"axG",@progbits,_ZN7rocprim17ROCPRIM_400000_NS6detail17trampoline_kernelINS0_14default_configENS1_25partition_config_selectorILNS1_17partition_subalgoE9EyybEEZZNS1_14partition_implILS5_9ELb0ES3_jN6thrust23THRUST_200600_302600_NS6detail15normal_iteratorINS9_10device_ptrIyEEEESE_PNS0_10empty_typeENS0_5tupleIJSE_SF_EEENSH_IJSE_SG_EEENS0_18inequality_wrapperI22is_equal_div_10_uniqueIyEEEPmJSF_EEE10hipError_tPvRmT3_T4_T5_T6_T7_T9_mT8_P12ihipStream_tbDpT10_ENKUlT_T0_E_clISt17integral_constantIbLb1EES18_EEDaS13_S14_EUlS13_E_NS1_11comp_targetILNS1_3genE0ELNS1_11target_archE4294967295ELNS1_3gpuE0ELNS1_3repE0EEENS1_30default_config_static_selectorELNS0_4arch9wavefront6targetE0EEEvT1_,comdat
	.protected	_ZN7rocprim17ROCPRIM_400000_NS6detail17trampoline_kernelINS0_14default_configENS1_25partition_config_selectorILNS1_17partition_subalgoE9EyybEEZZNS1_14partition_implILS5_9ELb0ES3_jN6thrust23THRUST_200600_302600_NS6detail15normal_iteratorINS9_10device_ptrIyEEEESE_PNS0_10empty_typeENS0_5tupleIJSE_SF_EEENSH_IJSE_SG_EEENS0_18inequality_wrapperI22is_equal_div_10_uniqueIyEEEPmJSF_EEE10hipError_tPvRmT3_T4_T5_T6_T7_T9_mT8_P12ihipStream_tbDpT10_ENKUlT_T0_E_clISt17integral_constantIbLb1EES18_EEDaS13_S14_EUlS13_E_NS1_11comp_targetILNS1_3genE0ELNS1_11target_archE4294967295ELNS1_3gpuE0ELNS1_3repE0EEENS1_30default_config_static_selectorELNS0_4arch9wavefront6targetE0EEEvT1_ ; -- Begin function _ZN7rocprim17ROCPRIM_400000_NS6detail17trampoline_kernelINS0_14default_configENS1_25partition_config_selectorILNS1_17partition_subalgoE9EyybEEZZNS1_14partition_implILS5_9ELb0ES3_jN6thrust23THRUST_200600_302600_NS6detail15normal_iteratorINS9_10device_ptrIyEEEESE_PNS0_10empty_typeENS0_5tupleIJSE_SF_EEENSH_IJSE_SG_EEENS0_18inequality_wrapperI22is_equal_div_10_uniqueIyEEEPmJSF_EEE10hipError_tPvRmT3_T4_T5_T6_T7_T9_mT8_P12ihipStream_tbDpT10_ENKUlT_T0_E_clISt17integral_constantIbLb1EES18_EEDaS13_S14_EUlS13_E_NS1_11comp_targetILNS1_3genE0ELNS1_11target_archE4294967295ELNS1_3gpuE0ELNS1_3repE0EEENS1_30default_config_static_selectorELNS0_4arch9wavefront6targetE0EEEvT1_
	.globl	_ZN7rocprim17ROCPRIM_400000_NS6detail17trampoline_kernelINS0_14default_configENS1_25partition_config_selectorILNS1_17partition_subalgoE9EyybEEZZNS1_14partition_implILS5_9ELb0ES3_jN6thrust23THRUST_200600_302600_NS6detail15normal_iteratorINS9_10device_ptrIyEEEESE_PNS0_10empty_typeENS0_5tupleIJSE_SF_EEENSH_IJSE_SG_EEENS0_18inequality_wrapperI22is_equal_div_10_uniqueIyEEEPmJSF_EEE10hipError_tPvRmT3_T4_T5_T6_T7_T9_mT8_P12ihipStream_tbDpT10_ENKUlT_T0_E_clISt17integral_constantIbLb1EES18_EEDaS13_S14_EUlS13_E_NS1_11comp_targetILNS1_3genE0ELNS1_11target_archE4294967295ELNS1_3gpuE0ELNS1_3repE0EEENS1_30default_config_static_selectorELNS0_4arch9wavefront6targetE0EEEvT1_
	.p2align	8
	.type	_ZN7rocprim17ROCPRIM_400000_NS6detail17trampoline_kernelINS0_14default_configENS1_25partition_config_selectorILNS1_17partition_subalgoE9EyybEEZZNS1_14partition_implILS5_9ELb0ES3_jN6thrust23THRUST_200600_302600_NS6detail15normal_iteratorINS9_10device_ptrIyEEEESE_PNS0_10empty_typeENS0_5tupleIJSE_SF_EEENSH_IJSE_SG_EEENS0_18inequality_wrapperI22is_equal_div_10_uniqueIyEEEPmJSF_EEE10hipError_tPvRmT3_T4_T5_T6_T7_T9_mT8_P12ihipStream_tbDpT10_ENKUlT_T0_E_clISt17integral_constantIbLb1EES18_EEDaS13_S14_EUlS13_E_NS1_11comp_targetILNS1_3genE0ELNS1_11target_archE4294967295ELNS1_3gpuE0ELNS1_3repE0EEENS1_30default_config_static_selectorELNS0_4arch9wavefront6targetE0EEEvT1_,@function
_ZN7rocprim17ROCPRIM_400000_NS6detail17trampoline_kernelINS0_14default_configENS1_25partition_config_selectorILNS1_17partition_subalgoE9EyybEEZZNS1_14partition_implILS5_9ELb0ES3_jN6thrust23THRUST_200600_302600_NS6detail15normal_iteratorINS9_10device_ptrIyEEEESE_PNS0_10empty_typeENS0_5tupleIJSE_SF_EEENSH_IJSE_SG_EEENS0_18inequality_wrapperI22is_equal_div_10_uniqueIyEEEPmJSF_EEE10hipError_tPvRmT3_T4_T5_T6_T7_T9_mT8_P12ihipStream_tbDpT10_ENKUlT_T0_E_clISt17integral_constantIbLb1EES18_EEDaS13_S14_EUlS13_E_NS1_11comp_targetILNS1_3genE0ELNS1_11target_archE4294967295ELNS1_3gpuE0ELNS1_3repE0EEENS1_30default_config_static_selectorELNS0_4arch9wavefront6targetE0EEEvT1_: ; @_ZN7rocprim17ROCPRIM_400000_NS6detail17trampoline_kernelINS0_14default_configENS1_25partition_config_selectorILNS1_17partition_subalgoE9EyybEEZZNS1_14partition_implILS5_9ELb0ES3_jN6thrust23THRUST_200600_302600_NS6detail15normal_iteratorINS9_10device_ptrIyEEEESE_PNS0_10empty_typeENS0_5tupleIJSE_SF_EEENSH_IJSE_SG_EEENS0_18inequality_wrapperI22is_equal_div_10_uniqueIyEEEPmJSF_EEE10hipError_tPvRmT3_T4_T5_T6_T7_T9_mT8_P12ihipStream_tbDpT10_ENKUlT_T0_E_clISt17integral_constantIbLb1EES18_EEDaS13_S14_EUlS13_E_NS1_11comp_targetILNS1_3genE0ELNS1_11target_archE4294967295ELNS1_3gpuE0ELNS1_3repE0EEENS1_30default_config_static_selectorELNS0_4arch9wavefront6targetE0EEEvT1_
; %bb.0:
	.section	.rodata,"a",@progbits
	.p2align	6, 0x0
	.amdhsa_kernel _ZN7rocprim17ROCPRIM_400000_NS6detail17trampoline_kernelINS0_14default_configENS1_25partition_config_selectorILNS1_17partition_subalgoE9EyybEEZZNS1_14partition_implILS5_9ELb0ES3_jN6thrust23THRUST_200600_302600_NS6detail15normal_iteratorINS9_10device_ptrIyEEEESE_PNS0_10empty_typeENS0_5tupleIJSE_SF_EEENSH_IJSE_SG_EEENS0_18inequality_wrapperI22is_equal_div_10_uniqueIyEEEPmJSF_EEE10hipError_tPvRmT3_T4_T5_T6_T7_T9_mT8_P12ihipStream_tbDpT10_ENKUlT_T0_E_clISt17integral_constantIbLb1EES18_EEDaS13_S14_EUlS13_E_NS1_11comp_targetILNS1_3genE0ELNS1_11target_archE4294967295ELNS1_3gpuE0ELNS1_3repE0EEENS1_30default_config_static_selectorELNS0_4arch9wavefront6targetE0EEEvT1_
		.amdhsa_group_segment_fixed_size 0
		.amdhsa_private_segment_fixed_size 0
		.amdhsa_kernarg_size 128
		.amdhsa_user_sgpr_count 15
		.amdhsa_user_sgpr_dispatch_ptr 0
		.amdhsa_user_sgpr_queue_ptr 0
		.amdhsa_user_sgpr_kernarg_segment_ptr 1
		.amdhsa_user_sgpr_dispatch_id 0
		.amdhsa_user_sgpr_private_segment_size 0
		.amdhsa_wavefront_size32 1
		.amdhsa_uses_dynamic_stack 0
		.amdhsa_enable_private_segment 0
		.amdhsa_system_sgpr_workgroup_id_x 1
		.amdhsa_system_sgpr_workgroup_id_y 0
		.amdhsa_system_sgpr_workgroup_id_z 0
		.amdhsa_system_sgpr_workgroup_info 0
		.amdhsa_system_vgpr_workitem_id 0
		.amdhsa_next_free_vgpr 1
		.amdhsa_next_free_sgpr 1
		.amdhsa_reserve_vcc 0
		.amdhsa_float_round_mode_32 0
		.amdhsa_float_round_mode_16_64 0
		.amdhsa_float_denorm_mode_32 3
		.amdhsa_float_denorm_mode_16_64 3
		.amdhsa_dx10_clamp 1
		.amdhsa_ieee_mode 1
		.amdhsa_fp16_overflow 0
		.amdhsa_workgroup_processor_mode 1
		.amdhsa_memory_ordered 1
		.amdhsa_forward_progress 0
		.amdhsa_shared_vgpr_count 0
		.amdhsa_exception_fp_ieee_invalid_op 0
		.amdhsa_exception_fp_denorm_src 0
		.amdhsa_exception_fp_ieee_div_zero 0
		.amdhsa_exception_fp_ieee_overflow 0
		.amdhsa_exception_fp_ieee_underflow 0
		.amdhsa_exception_fp_ieee_inexact 0
		.amdhsa_exception_int_div_zero 0
	.end_amdhsa_kernel
	.section	.text._ZN7rocprim17ROCPRIM_400000_NS6detail17trampoline_kernelINS0_14default_configENS1_25partition_config_selectorILNS1_17partition_subalgoE9EyybEEZZNS1_14partition_implILS5_9ELb0ES3_jN6thrust23THRUST_200600_302600_NS6detail15normal_iteratorINS9_10device_ptrIyEEEESE_PNS0_10empty_typeENS0_5tupleIJSE_SF_EEENSH_IJSE_SG_EEENS0_18inequality_wrapperI22is_equal_div_10_uniqueIyEEEPmJSF_EEE10hipError_tPvRmT3_T4_T5_T6_T7_T9_mT8_P12ihipStream_tbDpT10_ENKUlT_T0_E_clISt17integral_constantIbLb1EES18_EEDaS13_S14_EUlS13_E_NS1_11comp_targetILNS1_3genE0ELNS1_11target_archE4294967295ELNS1_3gpuE0ELNS1_3repE0EEENS1_30default_config_static_selectorELNS0_4arch9wavefront6targetE0EEEvT1_,"axG",@progbits,_ZN7rocprim17ROCPRIM_400000_NS6detail17trampoline_kernelINS0_14default_configENS1_25partition_config_selectorILNS1_17partition_subalgoE9EyybEEZZNS1_14partition_implILS5_9ELb0ES3_jN6thrust23THRUST_200600_302600_NS6detail15normal_iteratorINS9_10device_ptrIyEEEESE_PNS0_10empty_typeENS0_5tupleIJSE_SF_EEENSH_IJSE_SG_EEENS0_18inequality_wrapperI22is_equal_div_10_uniqueIyEEEPmJSF_EEE10hipError_tPvRmT3_T4_T5_T6_T7_T9_mT8_P12ihipStream_tbDpT10_ENKUlT_T0_E_clISt17integral_constantIbLb1EES18_EEDaS13_S14_EUlS13_E_NS1_11comp_targetILNS1_3genE0ELNS1_11target_archE4294967295ELNS1_3gpuE0ELNS1_3repE0EEENS1_30default_config_static_selectorELNS0_4arch9wavefront6targetE0EEEvT1_,comdat
.Lfunc_end185:
	.size	_ZN7rocprim17ROCPRIM_400000_NS6detail17trampoline_kernelINS0_14default_configENS1_25partition_config_selectorILNS1_17partition_subalgoE9EyybEEZZNS1_14partition_implILS5_9ELb0ES3_jN6thrust23THRUST_200600_302600_NS6detail15normal_iteratorINS9_10device_ptrIyEEEESE_PNS0_10empty_typeENS0_5tupleIJSE_SF_EEENSH_IJSE_SG_EEENS0_18inequality_wrapperI22is_equal_div_10_uniqueIyEEEPmJSF_EEE10hipError_tPvRmT3_T4_T5_T6_T7_T9_mT8_P12ihipStream_tbDpT10_ENKUlT_T0_E_clISt17integral_constantIbLb1EES18_EEDaS13_S14_EUlS13_E_NS1_11comp_targetILNS1_3genE0ELNS1_11target_archE4294967295ELNS1_3gpuE0ELNS1_3repE0EEENS1_30default_config_static_selectorELNS0_4arch9wavefront6targetE0EEEvT1_, .Lfunc_end185-_ZN7rocprim17ROCPRIM_400000_NS6detail17trampoline_kernelINS0_14default_configENS1_25partition_config_selectorILNS1_17partition_subalgoE9EyybEEZZNS1_14partition_implILS5_9ELb0ES3_jN6thrust23THRUST_200600_302600_NS6detail15normal_iteratorINS9_10device_ptrIyEEEESE_PNS0_10empty_typeENS0_5tupleIJSE_SF_EEENSH_IJSE_SG_EEENS0_18inequality_wrapperI22is_equal_div_10_uniqueIyEEEPmJSF_EEE10hipError_tPvRmT3_T4_T5_T6_T7_T9_mT8_P12ihipStream_tbDpT10_ENKUlT_T0_E_clISt17integral_constantIbLb1EES18_EEDaS13_S14_EUlS13_E_NS1_11comp_targetILNS1_3genE0ELNS1_11target_archE4294967295ELNS1_3gpuE0ELNS1_3repE0EEENS1_30default_config_static_selectorELNS0_4arch9wavefront6targetE0EEEvT1_
                                        ; -- End function
	.section	.AMDGPU.csdata,"",@progbits
; Kernel info:
; codeLenInByte = 0
; NumSgprs: 0
; NumVgprs: 0
; ScratchSize: 0
; MemoryBound: 0
; FloatMode: 240
; IeeeMode: 1
; LDSByteSize: 0 bytes/workgroup (compile time only)
; SGPRBlocks: 0
; VGPRBlocks: 0
; NumSGPRsForWavesPerEU: 1
; NumVGPRsForWavesPerEU: 1
; Occupancy: 16
; WaveLimiterHint : 0
; COMPUTE_PGM_RSRC2:SCRATCH_EN: 0
; COMPUTE_PGM_RSRC2:USER_SGPR: 15
; COMPUTE_PGM_RSRC2:TRAP_HANDLER: 0
; COMPUTE_PGM_RSRC2:TGID_X_EN: 1
; COMPUTE_PGM_RSRC2:TGID_Y_EN: 0
; COMPUTE_PGM_RSRC2:TGID_Z_EN: 0
; COMPUTE_PGM_RSRC2:TIDIG_COMP_CNT: 0
	.section	.text._ZN7rocprim17ROCPRIM_400000_NS6detail17trampoline_kernelINS0_14default_configENS1_25partition_config_selectorILNS1_17partition_subalgoE9EyybEEZZNS1_14partition_implILS5_9ELb0ES3_jN6thrust23THRUST_200600_302600_NS6detail15normal_iteratorINS9_10device_ptrIyEEEESE_PNS0_10empty_typeENS0_5tupleIJSE_SF_EEENSH_IJSE_SG_EEENS0_18inequality_wrapperI22is_equal_div_10_uniqueIyEEEPmJSF_EEE10hipError_tPvRmT3_T4_T5_T6_T7_T9_mT8_P12ihipStream_tbDpT10_ENKUlT_T0_E_clISt17integral_constantIbLb1EES18_EEDaS13_S14_EUlS13_E_NS1_11comp_targetILNS1_3genE5ELNS1_11target_archE942ELNS1_3gpuE9ELNS1_3repE0EEENS1_30default_config_static_selectorELNS0_4arch9wavefront6targetE0EEEvT1_,"axG",@progbits,_ZN7rocprim17ROCPRIM_400000_NS6detail17trampoline_kernelINS0_14default_configENS1_25partition_config_selectorILNS1_17partition_subalgoE9EyybEEZZNS1_14partition_implILS5_9ELb0ES3_jN6thrust23THRUST_200600_302600_NS6detail15normal_iteratorINS9_10device_ptrIyEEEESE_PNS0_10empty_typeENS0_5tupleIJSE_SF_EEENSH_IJSE_SG_EEENS0_18inequality_wrapperI22is_equal_div_10_uniqueIyEEEPmJSF_EEE10hipError_tPvRmT3_T4_T5_T6_T7_T9_mT8_P12ihipStream_tbDpT10_ENKUlT_T0_E_clISt17integral_constantIbLb1EES18_EEDaS13_S14_EUlS13_E_NS1_11comp_targetILNS1_3genE5ELNS1_11target_archE942ELNS1_3gpuE9ELNS1_3repE0EEENS1_30default_config_static_selectorELNS0_4arch9wavefront6targetE0EEEvT1_,comdat
	.protected	_ZN7rocprim17ROCPRIM_400000_NS6detail17trampoline_kernelINS0_14default_configENS1_25partition_config_selectorILNS1_17partition_subalgoE9EyybEEZZNS1_14partition_implILS5_9ELb0ES3_jN6thrust23THRUST_200600_302600_NS6detail15normal_iteratorINS9_10device_ptrIyEEEESE_PNS0_10empty_typeENS0_5tupleIJSE_SF_EEENSH_IJSE_SG_EEENS0_18inequality_wrapperI22is_equal_div_10_uniqueIyEEEPmJSF_EEE10hipError_tPvRmT3_T4_T5_T6_T7_T9_mT8_P12ihipStream_tbDpT10_ENKUlT_T0_E_clISt17integral_constantIbLb1EES18_EEDaS13_S14_EUlS13_E_NS1_11comp_targetILNS1_3genE5ELNS1_11target_archE942ELNS1_3gpuE9ELNS1_3repE0EEENS1_30default_config_static_selectorELNS0_4arch9wavefront6targetE0EEEvT1_ ; -- Begin function _ZN7rocprim17ROCPRIM_400000_NS6detail17trampoline_kernelINS0_14default_configENS1_25partition_config_selectorILNS1_17partition_subalgoE9EyybEEZZNS1_14partition_implILS5_9ELb0ES3_jN6thrust23THRUST_200600_302600_NS6detail15normal_iteratorINS9_10device_ptrIyEEEESE_PNS0_10empty_typeENS0_5tupleIJSE_SF_EEENSH_IJSE_SG_EEENS0_18inequality_wrapperI22is_equal_div_10_uniqueIyEEEPmJSF_EEE10hipError_tPvRmT3_T4_T5_T6_T7_T9_mT8_P12ihipStream_tbDpT10_ENKUlT_T0_E_clISt17integral_constantIbLb1EES18_EEDaS13_S14_EUlS13_E_NS1_11comp_targetILNS1_3genE5ELNS1_11target_archE942ELNS1_3gpuE9ELNS1_3repE0EEENS1_30default_config_static_selectorELNS0_4arch9wavefront6targetE0EEEvT1_
	.globl	_ZN7rocprim17ROCPRIM_400000_NS6detail17trampoline_kernelINS0_14default_configENS1_25partition_config_selectorILNS1_17partition_subalgoE9EyybEEZZNS1_14partition_implILS5_9ELb0ES3_jN6thrust23THRUST_200600_302600_NS6detail15normal_iteratorINS9_10device_ptrIyEEEESE_PNS0_10empty_typeENS0_5tupleIJSE_SF_EEENSH_IJSE_SG_EEENS0_18inequality_wrapperI22is_equal_div_10_uniqueIyEEEPmJSF_EEE10hipError_tPvRmT3_T4_T5_T6_T7_T9_mT8_P12ihipStream_tbDpT10_ENKUlT_T0_E_clISt17integral_constantIbLb1EES18_EEDaS13_S14_EUlS13_E_NS1_11comp_targetILNS1_3genE5ELNS1_11target_archE942ELNS1_3gpuE9ELNS1_3repE0EEENS1_30default_config_static_selectorELNS0_4arch9wavefront6targetE0EEEvT1_
	.p2align	8
	.type	_ZN7rocprim17ROCPRIM_400000_NS6detail17trampoline_kernelINS0_14default_configENS1_25partition_config_selectorILNS1_17partition_subalgoE9EyybEEZZNS1_14partition_implILS5_9ELb0ES3_jN6thrust23THRUST_200600_302600_NS6detail15normal_iteratorINS9_10device_ptrIyEEEESE_PNS0_10empty_typeENS0_5tupleIJSE_SF_EEENSH_IJSE_SG_EEENS0_18inequality_wrapperI22is_equal_div_10_uniqueIyEEEPmJSF_EEE10hipError_tPvRmT3_T4_T5_T6_T7_T9_mT8_P12ihipStream_tbDpT10_ENKUlT_T0_E_clISt17integral_constantIbLb1EES18_EEDaS13_S14_EUlS13_E_NS1_11comp_targetILNS1_3genE5ELNS1_11target_archE942ELNS1_3gpuE9ELNS1_3repE0EEENS1_30default_config_static_selectorELNS0_4arch9wavefront6targetE0EEEvT1_,@function
_ZN7rocprim17ROCPRIM_400000_NS6detail17trampoline_kernelINS0_14default_configENS1_25partition_config_selectorILNS1_17partition_subalgoE9EyybEEZZNS1_14partition_implILS5_9ELb0ES3_jN6thrust23THRUST_200600_302600_NS6detail15normal_iteratorINS9_10device_ptrIyEEEESE_PNS0_10empty_typeENS0_5tupleIJSE_SF_EEENSH_IJSE_SG_EEENS0_18inequality_wrapperI22is_equal_div_10_uniqueIyEEEPmJSF_EEE10hipError_tPvRmT3_T4_T5_T6_T7_T9_mT8_P12ihipStream_tbDpT10_ENKUlT_T0_E_clISt17integral_constantIbLb1EES18_EEDaS13_S14_EUlS13_E_NS1_11comp_targetILNS1_3genE5ELNS1_11target_archE942ELNS1_3gpuE9ELNS1_3repE0EEENS1_30default_config_static_selectorELNS0_4arch9wavefront6targetE0EEEvT1_: ; @_ZN7rocprim17ROCPRIM_400000_NS6detail17trampoline_kernelINS0_14default_configENS1_25partition_config_selectorILNS1_17partition_subalgoE9EyybEEZZNS1_14partition_implILS5_9ELb0ES3_jN6thrust23THRUST_200600_302600_NS6detail15normal_iteratorINS9_10device_ptrIyEEEESE_PNS0_10empty_typeENS0_5tupleIJSE_SF_EEENSH_IJSE_SG_EEENS0_18inequality_wrapperI22is_equal_div_10_uniqueIyEEEPmJSF_EEE10hipError_tPvRmT3_T4_T5_T6_T7_T9_mT8_P12ihipStream_tbDpT10_ENKUlT_T0_E_clISt17integral_constantIbLb1EES18_EEDaS13_S14_EUlS13_E_NS1_11comp_targetILNS1_3genE5ELNS1_11target_archE942ELNS1_3gpuE9ELNS1_3repE0EEENS1_30default_config_static_selectorELNS0_4arch9wavefront6targetE0EEEvT1_
; %bb.0:
	.section	.rodata,"a",@progbits
	.p2align	6, 0x0
	.amdhsa_kernel _ZN7rocprim17ROCPRIM_400000_NS6detail17trampoline_kernelINS0_14default_configENS1_25partition_config_selectorILNS1_17partition_subalgoE9EyybEEZZNS1_14partition_implILS5_9ELb0ES3_jN6thrust23THRUST_200600_302600_NS6detail15normal_iteratorINS9_10device_ptrIyEEEESE_PNS0_10empty_typeENS0_5tupleIJSE_SF_EEENSH_IJSE_SG_EEENS0_18inequality_wrapperI22is_equal_div_10_uniqueIyEEEPmJSF_EEE10hipError_tPvRmT3_T4_T5_T6_T7_T9_mT8_P12ihipStream_tbDpT10_ENKUlT_T0_E_clISt17integral_constantIbLb1EES18_EEDaS13_S14_EUlS13_E_NS1_11comp_targetILNS1_3genE5ELNS1_11target_archE942ELNS1_3gpuE9ELNS1_3repE0EEENS1_30default_config_static_selectorELNS0_4arch9wavefront6targetE0EEEvT1_
		.amdhsa_group_segment_fixed_size 0
		.amdhsa_private_segment_fixed_size 0
		.amdhsa_kernarg_size 128
		.amdhsa_user_sgpr_count 15
		.amdhsa_user_sgpr_dispatch_ptr 0
		.amdhsa_user_sgpr_queue_ptr 0
		.amdhsa_user_sgpr_kernarg_segment_ptr 1
		.amdhsa_user_sgpr_dispatch_id 0
		.amdhsa_user_sgpr_private_segment_size 0
		.amdhsa_wavefront_size32 1
		.amdhsa_uses_dynamic_stack 0
		.amdhsa_enable_private_segment 0
		.amdhsa_system_sgpr_workgroup_id_x 1
		.amdhsa_system_sgpr_workgroup_id_y 0
		.amdhsa_system_sgpr_workgroup_id_z 0
		.amdhsa_system_sgpr_workgroup_info 0
		.amdhsa_system_vgpr_workitem_id 0
		.amdhsa_next_free_vgpr 1
		.amdhsa_next_free_sgpr 1
		.amdhsa_reserve_vcc 0
		.amdhsa_float_round_mode_32 0
		.amdhsa_float_round_mode_16_64 0
		.amdhsa_float_denorm_mode_32 3
		.amdhsa_float_denorm_mode_16_64 3
		.amdhsa_dx10_clamp 1
		.amdhsa_ieee_mode 1
		.amdhsa_fp16_overflow 0
		.amdhsa_workgroup_processor_mode 1
		.amdhsa_memory_ordered 1
		.amdhsa_forward_progress 0
		.amdhsa_shared_vgpr_count 0
		.amdhsa_exception_fp_ieee_invalid_op 0
		.amdhsa_exception_fp_denorm_src 0
		.amdhsa_exception_fp_ieee_div_zero 0
		.amdhsa_exception_fp_ieee_overflow 0
		.amdhsa_exception_fp_ieee_underflow 0
		.amdhsa_exception_fp_ieee_inexact 0
		.amdhsa_exception_int_div_zero 0
	.end_amdhsa_kernel
	.section	.text._ZN7rocprim17ROCPRIM_400000_NS6detail17trampoline_kernelINS0_14default_configENS1_25partition_config_selectorILNS1_17partition_subalgoE9EyybEEZZNS1_14partition_implILS5_9ELb0ES3_jN6thrust23THRUST_200600_302600_NS6detail15normal_iteratorINS9_10device_ptrIyEEEESE_PNS0_10empty_typeENS0_5tupleIJSE_SF_EEENSH_IJSE_SG_EEENS0_18inequality_wrapperI22is_equal_div_10_uniqueIyEEEPmJSF_EEE10hipError_tPvRmT3_T4_T5_T6_T7_T9_mT8_P12ihipStream_tbDpT10_ENKUlT_T0_E_clISt17integral_constantIbLb1EES18_EEDaS13_S14_EUlS13_E_NS1_11comp_targetILNS1_3genE5ELNS1_11target_archE942ELNS1_3gpuE9ELNS1_3repE0EEENS1_30default_config_static_selectorELNS0_4arch9wavefront6targetE0EEEvT1_,"axG",@progbits,_ZN7rocprim17ROCPRIM_400000_NS6detail17trampoline_kernelINS0_14default_configENS1_25partition_config_selectorILNS1_17partition_subalgoE9EyybEEZZNS1_14partition_implILS5_9ELb0ES3_jN6thrust23THRUST_200600_302600_NS6detail15normal_iteratorINS9_10device_ptrIyEEEESE_PNS0_10empty_typeENS0_5tupleIJSE_SF_EEENSH_IJSE_SG_EEENS0_18inequality_wrapperI22is_equal_div_10_uniqueIyEEEPmJSF_EEE10hipError_tPvRmT3_T4_T5_T6_T7_T9_mT8_P12ihipStream_tbDpT10_ENKUlT_T0_E_clISt17integral_constantIbLb1EES18_EEDaS13_S14_EUlS13_E_NS1_11comp_targetILNS1_3genE5ELNS1_11target_archE942ELNS1_3gpuE9ELNS1_3repE0EEENS1_30default_config_static_selectorELNS0_4arch9wavefront6targetE0EEEvT1_,comdat
.Lfunc_end186:
	.size	_ZN7rocprim17ROCPRIM_400000_NS6detail17trampoline_kernelINS0_14default_configENS1_25partition_config_selectorILNS1_17partition_subalgoE9EyybEEZZNS1_14partition_implILS5_9ELb0ES3_jN6thrust23THRUST_200600_302600_NS6detail15normal_iteratorINS9_10device_ptrIyEEEESE_PNS0_10empty_typeENS0_5tupleIJSE_SF_EEENSH_IJSE_SG_EEENS0_18inequality_wrapperI22is_equal_div_10_uniqueIyEEEPmJSF_EEE10hipError_tPvRmT3_T4_T5_T6_T7_T9_mT8_P12ihipStream_tbDpT10_ENKUlT_T0_E_clISt17integral_constantIbLb1EES18_EEDaS13_S14_EUlS13_E_NS1_11comp_targetILNS1_3genE5ELNS1_11target_archE942ELNS1_3gpuE9ELNS1_3repE0EEENS1_30default_config_static_selectorELNS0_4arch9wavefront6targetE0EEEvT1_, .Lfunc_end186-_ZN7rocprim17ROCPRIM_400000_NS6detail17trampoline_kernelINS0_14default_configENS1_25partition_config_selectorILNS1_17partition_subalgoE9EyybEEZZNS1_14partition_implILS5_9ELb0ES3_jN6thrust23THRUST_200600_302600_NS6detail15normal_iteratorINS9_10device_ptrIyEEEESE_PNS0_10empty_typeENS0_5tupleIJSE_SF_EEENSH_IJSE_SG_EEENS0_18inequality_wrapperI22is_equal_div_10_uniqueIyEEEPmJSF_EEE10hipError_tPvRmT3_T4_T5_T6_T7_T9_mT8_P12ihipStream_tbDpT10_ENKUlT_T0_E_clISt17integral_constantIbLb1EES18_EEDaS13_S14_EUlS13_E_NS1_11comp_targetILNS1_3genE5ELNS1_11target_archE942ELNS1_3gpuE9ELNS1_3repE0EEENS1_30default_config_static_selectorELNS0_4arch9wavefront6targetE0EEEvT1_
                                        ; -- End function
	.section	.AMDGPU.csdata,"",@progbits
; Kernel info:
; codeLenInByte = 0
; NumSgprs: 0
; NumVgprs: 0
; ScratchSize: 0
; MemoryBound: 0
; FloatMode: 240
; IeeeMode: 1
; LDSByteSize: 0 bytes/workgroup (compile time only)
; SGPRBlocks: 0
; VGPRBlocks: 0
; NumSGPRsForWavesPerEU: 1
; NumVGPRsForWavesPerEU: 1
; Occupancy: 16
; WaveLimiterHint : 0
; COMPUTE_PGM_RSRC2:SCRATCH_EN: 0
; COMPUTE_PGM_RSRC2:USER_SGPR: 15
; COMPUTE_PGM_RSRC2:TRAP_HANDLER: 0
; COMPUTE_PGM_RSRC2:TGID_X_EN: 1
; COMPUTE_PGM_RSRC2:TGID_Y_EN: 0
; COMPUTE_PGM_RSRC2:TGID_Z_EN: 0
; COMPUTE_PGM_RSRC2:TIDIG_COMP_CNT: 0
	.section	.text._ZN7rocprim17ROCPRIM_400000_NS6detail17trampoline_kernelINS0_14default_configENS1_25partition_config_selectorILNS1_17partition_subalgoE9EyybEEZZNS1_14partition_implILS5_9ELb0ES3_jN6thrust23THRUST_200600_302600_NS6detail15normal_iteratorINS9_10device_ptrIyEEEESE_PNS0_10empty_typeENS0_5tupleIJSE_SF_EEENSH_IJSE_SG_EEENS0_18inequality_wrapperI22is_equal_div_10_uniqueIyEEEPmJSF_EEE10hipError_tPvRmT3_T4_T5_T6_T7_T9_mT8_P12ihipStream_tbDpT10_ENKUlT_T0_E_clISt17integral_constantIbLb1EES18_EEDaS13_S14_EUlS13_E_NS1_11comp_targetILNS1_3genE4ELNS1_11target_archE910ELNS1_3gpuE8ELNS1_3repE0EEENS1_30default_config_static_selectorELNS0_4arch9wavefront6targetE0EEEvT1_,"axG",@progbits,_ZN7rocprim17ROCPRIM_400000_NS6detail17trampoline_kernelINS0_14default_configENS1_25partition_config_selectorILNS1_17partition_subalgoE9EyybEEZZNS1_14partition_implILS5_9ELb0ES3_jN6thrust23THRUST_200600_302600_NS6detail15normal_iteratorINS9_10device_ptrIyEEEESE_PNS0_10empty_typeENS0_5tupleIJSE_SF_EEENSH_IJSE_SG_EEENS0_18inequality_wrapperI22is_equal_div_10_uniqueIyEEEPmJSF_EEE10hipError_tPvRmT3_T4_T5_T6_T7_T9_mT8_P12ihipStream_tbDpT10_ENKUlT_T0_E_clISt17integral_constantIbLb1EES18_EEDaS13_S14_EUlS13_E_NS1_11comp_targetILNS1_3genE4ELNS1_11target_archE910ELNS1_3gpuE8ELNS1_3repE0EEENS1_30default_config_static_selectorELNS0_4arch9wavefront6targetE0EEEvT1_,comdat
	.protected	_ZN7rocprim17ROCPRIM_400000_NS6detail17trampoline_kernelINS0_14default_configENS1_25partition_config_selectorILNS1_17partition_subalgoE9EyybEEZZNS1_14partition_implILS5_9ELb0ES3_jN6thrust23THRUST_200600_302600_NS6detail15normal_iteratorINS9_10device_ptrIyEEEESE_PNS0_10empty_typeENS0_5tupleIJSE_SF_EEENSH_IJSE_SG_EEENS0_18inequality_wrapperI22is_equal_div_10_uniqueIyEEEPmJSF_EEE10hipError_tPvRmT3_T4_T5_T6_T7_T9_mT8_P12ihipStream_tbDpT10_ENKUlT_T0_E_clISt17integral_constantIbLb1EES18_EEDaS13_S14_EUlS13_E_NS1_11comp_targetILNS1_3genE4ELNS1_11target_archE910ELNS1_3gpuE8ELNS1_3repE0EEENS1_30default_config_static_selectorELNS0_4arch9wavefront6targetE0EEEvT1_ ; -- Begin function _ZN7rocprim17ROCPRIM_400000_NS6detail17trampoline_kernelINS0_14default_configENS1_25partition_config_selectorILNS1_17partition_subalgoE9EyybEEZZNS1_14partition_implILS5_9ELb0ES3_jN6thrust23THRUST_200600_302600_NS6detail15normal_iteratorINS9_10device_ptrIyEEEESE_PNS0_10empty_typeENS0_5tupleIJSE_SF_EEENSH_IJSE_SG_EEENS0_18inequality_wrapperI22is_equal_div_10_uniqueIyEEEPmJSF_EEE10hipError_tPvRmT3_T4_T5_T6_T7_T9_mT8_P12ihipStream_tbDpT10_ENKUlT_T0_E_clISt17integral_constantIbLb1EES18_EEDaS13_S14_EUlS13_E_NS1_11comp_targetILNS1_3genE4ELNS1_11target_archE910ELNS1_3gpuE8ELNS1_3repE0EEENS1_30default_config_static_selectorELNS0_4arch9wavefront6targetE0EEEvT1_
	.globl	_ZN7rocprim17ROCPRIM_400000_NS6detail17trampoline_kernelINS0_14default_configENS1_25partition_config_selectorILNS1_17partition_subalgoE9EyybEEZZNS1_14partition_implILS5_9ELb0ES3_jN6thrust23THRUST_200600_302600_NS6detail15normal_iteratorINS9_10device_ptrIyEEEESE_PNS0_10empty_typeENS0_5tupleIJSE_SF_EEENSH_IJSE_SG_EEENS0_18inequality_wrapperI22is_equal_div_10_uniqueIyEEEPmJSF_EEE10hipError_tPvRmT3_T4_T5_T6_T7_T9_mT8_P12ihipStream_tbDpT10_ENKUlT_T0_E_clISt17integral_constantIbLb1EES18_EEDaS13_S14_EUlS13_E_NS1_11comp_targetILNS1_3genE4ELNS1_11target_archE910ELNS1_3gpuE8ELNS1_3repE0EEENS1_30default_config_static_selectorELNS0_4arch9wavefront6targetE0EEEvT1_
	.p2align	8
	.type	_ZN7rocprim17ROCPRIM_400000_NS6detail17trampoline_kernelINS0_14default_configENS1_25partition_config_selectorILNS1_17partition_subalgoE9EyybEEZZNS1_14partition_implILS5_9ELb0ES3_jN6thrust23THRUST_200600_302600_NS6detail15normal_iteratorINS9_10device_ptrIyEEEESE_PNS0_10empty_typeENS0_5tupleIJSE_SF_EEENSH_IJSE_SG_EEENS0_18inequality_wrapperI22is_equal_div_10_uniqueIyEEEPmJSF_EEE10hipError_tPvRmT3_T4_T5_T6_T7_T9_mT8_P12ihipStream_tbDpT10_ENKUlT_T0_E_clISt17integral_constantIbLb1EES18_EEDaS13_S14_EUlS13_E_NS1_11comp_targetILNS1_3genE4ELNS1_11target_archE910ELNS1_3gpuE8ELNS1_3repE0EEENS1_30default_config_static_selectorELNS0_4arch9wavefront6targetE0EEEvT1_,@function
_ZN7rocprim17ROCPRIM_400000_NS6detail17trampoline_kernelINS0_14default_configENS1_25partition_config_selectorILNS1_17partition_subalgoE9EyybEEZZNS1_14partition_implILS5_9ELb0ES3_jN6thrust23THRUST_200600_302600_NS6detail15normal_iteratorINS9_10device_ptrIyEEEESE_PNS0_10empty_typeENS0_5tupleIJSE_SF_EEENSH_IJSE_SG_EEENS0_18inequality_wrapperI22is_equal_div_10_uniqueIyEEEPmJSF_EEE10hipError_tPvRmT3_T4_T5_T6_T7_T9_mT8_P12ihipStream_tbDpT10_ENKUlT_T0_E_clISt17integral_constantIbLb1EES18_EEDaS13_S14_EUlS13_E_NS1_11comp_targetILNS1_3genE4ELNS1_11target_archE910ELNS1_3gpuE8ELNS1_3repE0EEENS1_30default_config_static_selectorELNS0_4arch9wavefront6targetE0EEEvT1_: ; @_ZN7rocprim17ROCPRIM_400000_NS6detail17trampoline_kernelINS0_14default_configENS1_25partition_config_selectorILNS1_17partition_subalgoE9EyybEEZZNS1_14partition_implILS5_9ELb0ES3_jN6thrust23THRUST_200600_302600_NS6detail15normal_iteratorINS9_10device_ptrIyEEEESE_PNS0_10empty_typeENS0_5tupleIJSE_SF_EEENSH_IJSE_SG_EEENS0_18inequality_wrapperI22is_equal_div_10_uniqueIyEEEPmJSF_EEE10hipError_tPvRmT3_T4_T5_T6_T7_T9_mT8_P12ihipStream_tbDpT10_ENKUlT_T0_E_clISt17integral_constantIbLb1EES18_EEDaS13_S14_EUlS13_E_NS1_11comp_targetILNS1_3genE4ELNS1_11target_archE910ELNS1_3gpuE8ELNS1_3repE0EEENS1_30default_config_static_selectorELNS0_4arch9wavefront6targetE0EEEvT1_
; %bb.0:
	.section	.rodata,"a",@progbits
	.p2align	6, 0x0
	.amdhsa_kernel _ZN7rocprim17ROCPRIM_400000_NS6detail17trampoline_kernelINS0_14default_configENS1_25partition_config_selectorILNS1_17partition_subalgoE9EyybEEZZNS1_14partition_implILS5_9ELb0ES3_jN6thrust23THRUST_200600_302600_NS6detail15normal_iteratorINS9_10device_ptrIyEEEESE_PNS0_10empty_typeENS0_5tupleIJSE_SF_EEENSH_IJSE_SG_EEENS0_18inequality_wrapperI22is_equal_div_10_uniqueIyEEEPmJSF_EEE10hipError_tPvRmT3_T4_T5_T6_T7_T9_mT8_P12ihipStream_tbDpT10_ENKUlT_T0_E_clISt17integral_constantIbLb1EES18_EEDaS13_S14_EUlS13_E_NS1_11comp_targetILNS1_3genE4ELNS1_11target_archE910ELNS1_3gpuE8ELNS1_3repE0EEENS1_30default_config_static_selectorELNS0_4arch9wavefront6targetE0EEEvT1_
		.amdhsa_group_segment_fixed_size 0
		.amdhsa_private_segment_fixed_size 0
		.amdhsa_kernarg_size 128
		.amdhsa_user_sgpr_count 15
		.amdhsa_user_sgpr_dispatch_ptr 0
		.amdhsa_user_sgpr_queue_ptr 0
		.amdhsa_user_sgpr_kernarg_segment_ptr 1
		.amdhsa_user_sgpr_dispatch_id 0
		.amdhsa_user_sgpr_private_segment_size 0
		.amdhsa_wavefront_size32 1
		.amdhsa_uses_dynamic_stack 0
		.amdhsa_enable_private_segment 0
		.amdhsa_system_sgpr_workgroup_id_x 1
		.amdhsa_system_sgpr_workgroup_id_y 0
		.amdhsa_system_sgpr_workgroup_id_z 0
		.amdhsa_system_sgpr_workgroup_info 0
		.amdhsa_system_vgpr_workitem_id 0
		.amdhsa_next_free_vgpr 1
		.amdhsa_next_free_sgpr 1
		.amdhsa_reserve_vcc 0
		.amdhsa_float_round_mode_32 0
		.amdhsa_float_round_mode_16_64 0
		.amdhsa_float_denorm_mode_32 3
		.amdhsa_float_denorm_mode_16_64 3
		.amdhsa_dx10_clamp 1
		.amdhsa_ieee_mode 1
		.amdhsa_fp16_overflow 0
		.amdhsa_workgroup_processor_mode 1
		.amdhsa_memory_ordered 1
		.amdhsa_forward_progress 0
		.amdhsa_shared_vgpr_count 0
		.amdhsa_exception_fp_ieee_invalid_op 0
		.amdhsa_exception_fp_denorm_src 0
		.amdhsa_exception_fp_ieee_div_zero 0
		.amdhsa_exception_fp_ieee_overflow 0
		.amdhsa_exception_fp_ieee_underflow 0
		.amdhsa_exception_fp_ieee_inexact 0
		.amdhsa_exception_int_div_zero 0
	.end_amdhsa_kernel
	.section	.text._ZN7rocprim17ROCPRIM_400000_NS6detail17trampoline_kernelINS0_14default_configENS1_25partition_config_selectorILNS1_17partition_subalgoE9EyybEEZZNS1_14partition_implILS5_9ELb0ES3_jN6thrust23THRUST_200600_302600_NS6detail15normal_iteratorINS9_10device_ptrIyEEEESE_PNS0_10empty_typeENS0_5tupleIJSE_SF_EEENSH_IJSE_SG_EEENS0_18inequality_wrapperI22is_equal_div_10_uniqueIyEEEPmJSF_EEE10hipError_tPvRmT3_T4_T5_T6_T7_T9_mT8_P12ihipStream_tbDpT10_ENKUlT_T0_E_clISt17integral_constantIbLb1EES18_EEDaS13_S14_EUlS13_E_NS1_11comp_targetILNS1_3genE4ELNS1_11target_archE910ELNS1_3gpuE8ELNS1_3repE0EEENS1_30default_config_static_selectorELNS0_4arch9wavefront6targetE0EEEvT1_,"axG",@progbits,_ZN7rocprim17ROCPRIM_400000_NS6detail17trampoline_kernelINS0_14default_configENS1_25partition_config_selectorILNS1_17partition_subalgoE9EyybEEZZNS1_14partition_implILS5_9ELb0ES3_jN6thrust23THRUST_200600_302600_NS6detail15normal_iteratorINS9_10device_ptrIyEEEESE_PNS0_10empty_typeENS0_5tupleIJSE_SF_EEENSH_IJSE_SG_EEENS0_18inequality_wrapperI22is_equal_div_10_uniqueIyEEEPmJSF_EEE10hipError_tPvRmT3_T4_T5_T6_T7_T9_mT8_P12ihipStream_tbDpT10_ENKUlT_T0_E_clISt17integral_constantIbLb1EES18_EEDaS13_S14_EUlS13_E_NS1_11comp_targetILNS1_3genE4ELNS1_11target_archE910ELNS1_3gpuE8ELNS1_3repE0EEENS1_30default_config_static_selectorELNS0_4arch9wavefront6targetE0EEEvT1_,comdat
.Lfunc_end187:
	.size	_ZN7rocprim17ROCPRIM_400000_NS6detail17trampoline_kernelINS0_14default_configENS1_25partition_config_selectorILNS1_17partition_subalgoE9EyybEEZZNS1_14partition_implILS5_9ELb0ES3_jN6thrust23THRUST_200600_302600_NS6detail15normal_iteratorINS9_10device_ptrIyEEEESE_PNS0_10empty_typeENS0_5tupleIJSE_SF_EEENSH_IJSE_SG_EEENS0_18inequality_wrapperI22is_equal_div_10_uniqueIyEEEPmJSF_EEE10hipError_tPvRmT3_T4_T5_T6_T7_T9_mT8_P12ihipStream_tbDpT10_ENKUlT_T0_E_clISt17integral_constantIbLb1EES18_EEDaS13_S14_EUlS13_E_NS1_11comp_targetILNS1_3genE4ELNS1_11target_archE910ELNS1_3gpuE8ELNS1_3repE0EEENS1_30default_config_static_selectorELNS0_4arch9wavefront6targetE0EEEvT1_, .Lfunc_end187-_ZN7rocprim17ROCPRIM_400000_NS6detail17trampoline_kernelINS0_14default_configENS1_25partition_config_selectorILNS1_17partition_subalgoE9EyybEEZZNS1_14partition_implILS5_9ELb0ES3_jN6thrust23THRUST_200600_302600_NS6detail15normal_iteratorINS9_10device_ptrIyEEEESE_PNS0_10empty_typeENS0_5tupleIJSE_SF_EEENSH_IJSE_SG_EEENS0_18inequality_wrapperI22is_equal_div_10_uniqueIyEEEPmJSF_EEE10hipError_tPvRmT3_T4_T5_T6_T7_T9_mT8_P12ihipStream_tbDpT10_ENKUlT_T0_E_clISt17integral_constantIbLb1EES18_EEDaS13_S14_EUlS13_E_NS1_11comp_targetILNS1_3genE4ELNS1_11target_archE910ELNS1_3gpuE8ELNS1_3repE0EEENS1_30default_config_static_selectorELNS0_4arch9wavefront6targetE0EEEvT1_
                                        ; -- End function
	.section	.AMDGPU.csdata,"",@progbits
; Kernel info:
; codeLenInByte = 0
; NumSgprs: 0
; NumVgprs: 0
; ScratchSize: 0
; MemoryBound: 0
; FloatMode: 240
; IeeeMode: 1
; LDSByteSize: 0 bytes/workgroup (compile time only)
; SGPRBlocks: 0
; VGPRBlocks: 0
; NumSGPRsForWavesPerEU: 1
; NumVGPRsForWavesPerEU: 1
; Occupancy: 16
; WaveLimiterHint : 0
; COMPUTE_PGM_RSRC2:SCRATCH_EN: 0
; COMPUTE_PGM_RSRC2:USER_SGPR: 15
; COMPUTE_PGM_RSRC2:TRAP_HANDLER: 0
; COMPUTE_PGM_RSRC2:TGID_X_EN: 1
; COMPUTE_PGM_RSRC2:TGID_Y_EN: 0
; COMPUTE_PGM_RSRC2:TGID_Z_EN: 0
; COMPUTE_PGM_RSRC2:TIDIG_COMP_CNT: 0
	.section	.text._ZN7rocprim17ROCPRIM_400000_NS6detail17trampoline_kernelINS0_14default_configENS1_25partition_config_selectorILNS1_17partition_subalgoE9EyybEEZZNS1_14partition_implILS5_9ELb0ES3_jN6thrust23THRUST_200600_302600_NS6detail15normal_iteratorINS9_10device_ptrIyEEEESE_PNS0_10empty_typeENS0_5tupleIJSE_SF_EEENSH_IJSE_SG_EEENS0_18inequality_wrapperI22is_equal_div_10_uniqueIyEEEPmJSF_EEE10hipError_tPvRmT3_T4_T5_T6_T7_T9_mT8_P12ihipStream_tbDpT10_ENKUlT_T0_E_clISt17integral_constantIbLb1EES18_EEDaS13_S14_EUlS13_E_NS1_11comp_targetILNS1_3genE3ELNS1_11target_archE908ELNS1_3gpuE7ELNS1_3repE0EEENS1_30default_config_static_selectorELNS0_4arch9wavefront6targetE0EEEvT1_,"axG",@progbits,_ZN7rocprim17ROCPRIM_400000_NS6detail17trampoline_kernelINS0_14default_configENS1_25partition_config_selectorILNS1_17partition_subalgoE9EyybEEZZNS1_14partition_implILS5_9ELb0ES3_jN6thrust23THRUST_200600_302600_NS6detail15normal_iteratorINS9_10device_ptrIyEEEESE_PNS0_10empty_typeENS0_5tupleIJSE_SF_EEENSH_IJSE_SG_EEENS0_18inequality_wrapperI22is_equal_div_10_uniqueIyEEEPmJSF_EEE10hipError_tPvRmT3_T4_T5_T6_T7_T9_mT8_P12ihipStream_tbDpT10_ENKUlT_T0_E_clISt17integral_constantIbLb1EES18_EEDaS13_S14_EUlS13_E_NS1_11comp_targetILNS1_3genE3ELNS1_11target_archE908ELNS1_3gpuE7ELNS1_3repE0EEENS1_30default_config_static_selectorELNS0_4arch9wavefront6targetE0EEEvT1_,comdat
	.protected	_ZN7rocprim17ROCPRIM_400000_NS6detail17trampoline_kernelINS0_14default_configENS1_25partition_config_selectorILNS1_17partition_subalgoE9EyybEEZZNS1_14partition_implILS5_9ELb0ES3_jN6thrust23THRUST_200600_302600_NS6detail15normal_iteratorINS9_10device_ptrIyEEEESE_PNS0_10empty_typeENS0_5tupleIJSE_SF_EEENSH_IJSE_SG_EEENS0_18inequality_wrapperI22is_equal_div_10_uniqueIyEEEPmJSF_EEE10hipError_tPvRmT3_T4_T5_T6_T7_T9_mT8_P12ihipStream_tbDpT10_ENKUlT_T0_E_clISt17integral_constantIbLb1EES18_EEDaS13_S14_EUlS13_E_NS1_11comp_targetILNS1_3genE3ELNS1_11target_archE908ELNS1_3gpuE7ELNS1_3repE0EEENS1_30default_config_static_selectorELNS0_4arch9wavefront6targetE0EEEvT1_ ; -- Begin function _ZN7rocprim17ROCPRIM_400000_NS6detail17trampoline_kernelINS0_14default_configENS1_25partition_config_selectorILNS1_17partition_subalgoE9EyybEEZZNS1_14partition_implILS5_9ELb0ES3_jN6thrust23THRUST_200600_302600_NS6detail15normal_iteratorINS9_10device_ptrIyEEEESE_PNS0_10empty_typeENS0_5tupleIJSE_SF_EEENSH_IJSE_SG_EEENS0_18inequality_wrapperI22is_equal_div_10_uniqueIyEEEPmJSF_EEE10hipError_tPvRmT3_T4_T5_T6_T7_T9_mT8_P12ihipStream_tbDpT10_ENKUlT_T0_E_clISt17integral_constantIbLb1EES18_EEDaS13_S14_EUlS13_E_NS1_11comp_targetILNS1_3genE3ELNS1_11target_archE908ELNS1_3gpuE7ELNS1_3repE0EEENS1_30default_config_static_selectorELNS0_4arch9wavefront6targetE0EEEvT1_
	.globl	_ZN7rocprim17ROCPRIM_400000_NS6detail17trampoline_kernelINS0_14default_configENS1_25partition_config_selectorILNS1_17partition_subalgoE9EyybEEZZNS1_14partition_implILS5_9ELb0ES3_jN6thrust23THRUST_200600_302600_NS6detail15normal_iteratorINS9_10device_ptrIyEEEESE_PNS0_10empty_typeENS0_5tupleIJSE_SF_EEENSH_IJSE_SG_EEENS0_18inequality_wrapperI22is_equal_div_10_uniqueIyEEEPmJSF_EEE10hipError_tPvRmT3_T4_T5_T6_T7_T9_mT8_P12ihipStream_tbDpT10_ENKUlT_T0_E_clISt17integral_constantIbLb1EES18_EEDaS13_S14_EUlS13_E_NS1_11comp_targetILNS1_3genE3ELNS1_11target_archE908ELNS1_3gpuE7ELNS1_3repE0EEENS1_30default_config_static_selectorELNS0_4arch9wavefront6targetE0EEEvT1_
	.p2align	8
	.type	_ZN7rocprim17ROCPRIM_400000_NS6detail17trampoline_kernelINS0_14default_configENS1_25partition_config_selectorILNS1_17partition_subalgoE9EyybEEZZNS1_14partition_implILS5_9ELb0ES3_jN6thrust23THRUST_200600_302600_NS6detail15normal_iteratorINS9_10device_ptrIyEEEESE_PNS0_10empty_typeENS0_5tupleIJSE_SF_EEENSH_IJSE_SG_EEENS0_18inequality_wrapperI22is_equal_div_10_uniqueIyEEEPmJSF_EEE10hipError_tPvRmT3_T4_T5_T6_T7_T9_mT8_P12ihipStream_tbDpT10_ENKUlT_T0_E_clISt17integral_constantIbLb1EES18_EEDaS13_S14_EUlS13_E_NS1_11comp_targetILNS1_3genE3ELNS1_11target_archE908ELNS1_3gpuE7ELNS1_3repE0EEENS1_30default_config_static_selectorELNS0_4arch9wavefront6targetE0EEEvT1_,@function
_ZN7rocprim17ROCPRIM_400000_NS6detail17trampoline_kernelINS0_14default_configENS1_25partition_config_selectorILNS1_17partition_subalgoE9EyybEEZZNS1_14partition_implILS5_9ELb0ES3_jN6thrust23THRUST_200600_302600_NS6detail15normal_iteratorINS9_10device_ptrIyEEEESE_PNS0_10empty_typeENS0_5tupleIJSE_SF_EEENSH_IJSE_SG_EEENS0_18inequality_wrapperI22is_equal_div_10_uniqueIyEEEPmJSF_EEE10hipError_tPvRmT3_T4_T5_T6_T7_T9_mT8_P12ihipStream_tbDpT10_ENKUlT_T0_E_clISt17integral_constantIbLb1EES18_EEDaS13_S14_EUlS13_E_NS1_11comp_targetILNS1_3genE3ELNS1_11target_archE908ELNS1_3gpuE7ELNS1_3repE0EEENS1_30default_config_static_selectorELNS0_4arch9wavefront6targetE0EEEvT1_: ; @_ZN7rocprim17ROCPRIM_400000_NS6detail17trampoline_kernelINS0_14default_configENS1_25partition_config_selectorILNS1_17partition_subalgoE9EyybEEZZNS1_14partition_implILS5_9ELb0ES3_jN6thrust23THRUST_200600_302600_NS6detail15normal_iteratorINS9_10device_ptrIyEEEESE_PNS0_10empty_typeENS0_5tupleIJSE_SF_EEENSH_IJSE_SG_EEENS0_18inequality_wrapperI22is_equal_div_10_uniqueIyEEEPmJSF_EEE10hipError_tPvRmT3_T4_T5_T6_T7_T9_mT8_P12ihipStream_tbDpT10_ENKUlT_T0_E_clISt17integral_constantIbLb1EES18_EEDaS13_S14_EUlS13_E_NS1_11comp_targetILNS1_3genE3ELNS1_11target_archE908ELNS1_3gpuE7ELNS1_3repE0EEENS1_30default_config_static_selectorELNS0_4arch9wavefront6targetE0EEEvT1_
; %bb.0:
	.section	.rodata,"a",@progbits
	.p2align	6, 0x0
	.amdhsa_kernel _ZN7rocprim17ROCPRIM_400000_NS6detail17trampoline_kernelINS0_14default_configENS1_25partition_config_selectorILNS1_17partition_subalgoE9EyybEEZZNS1_14partition_implILS5_9ELb0ES3_jN6thrust23THRUST_200600_302600_NS6detail15normal_iteratorINS9_10device_ptrIyEEEESE_PNS0_10empty_typeENS0_5tupleIJSE_SF_EEENSH_IJSE_SG_EEENS0_18inequality_wrapperI22is_equal_div_10_uniqueIyEEEPmJSF_EEE10hipError_tPvRmT3_T4_T5_T6_T7_T9_mT8_P12ihipStream_tbDpT10_ENKUlT_T0_E_clISt17integral_constantIbLb1EES18_EEDaS13_S14_EUlS13_E_NS1_11comp_targetILNS1_3genE3ELNS1_11target_archE908ELNS1_3gpuE7ELNS1_3repE0EEENS1_30default_config_static_selectorELNS0_4arch9wavefront6targetE0EEEvT1_
		.amdhsa_group_segment_fixed_size 0
		.amdhsa_private_segment_fixed_size 0
		.amdhsa_kernarg_size 128
		.amdhsa_user_sgpr_count 15
		.amdhsa_user_sgpr_dispatch_ptr 0
		.amdhsa_user_sgpr_queue_ptr 0
		.amdhsa_user_sgpr_kernarg_segment_ptr 1
		.amdhsa_user_sgpr_dispatch_id 0
		.amdhsa_user_sgpr_private_segment_size 0
		.amdhsa_wavefront_size32 1
		.amdhsa_uses_dynamic_stack 0
		.amdhsa_enable_private_segment 0
		.amdhsa_system_sgpr_workgroup_id_x 1
		.amdhsa_system_sgpr_workgroup_id_y 0
		.amdhsa_system_sgpr_workgroup_id_z 0
		.amdhsa_system_sgpr_workgroup_info 0
		.amdhsa_system_vgpr_workitem_id 0
		.amdhsa_next_free_vgpr 1
		.amdhsa_next_free_sgpr 1
		.amdhsa_reserve_vcc 0
		.amdhsa_float_round_mode_32 0
		.amdhsa_float_round_mode_16_64 0
		.amdhsa_float_denorm_mode_32 3
		.amdhsa_float_denorm_mode_16_64 3
		.amdhsa_dx10_clamp 1
		.amdhsa_ieee_mode 1
		.amdhsa_fp16_overflow 0
		.amdhsa_workgroup_processor_mode 1
		.amdhsa_memory_ordered 1
		.amdhsa_forward_progress 0
		.amdhsa_shared_vgpr_count 0
		.amdhsa_exception_fp_ieee_invalid_op 0
		.amdhsa_exception_fp_denorm_src 0
		.amdhsa_exception_fp_ieee_div_zero 0
		.amdhsa_exception_fp_ieee_overflow 0
		.amdhsa_exception_fp_ieee_underflow 0
		.amdhsa_exception_fp_ieee_inexact 0
		.amdhsa_exception_int_div_zero 0
	.end_amdhsa_kernel
	.section	.text._ZN7rocprim17ROCPRIM_400000_NS6detail17trampoline_kernelINS0_14default_configENS1_25partition_config_selectorILNS1_17partition_subalgoE9EyybEEZZNS1_14partition_implILS5_9ELb0ES3_jN6thrust23THRUST_200600_302600_NS6detail15normal_iteratorINS9_10device_ptrIyEEEESE_PNS0_10empty_typeENS0_5tupleIJSE_SF_EEENSH_IJSE_SG_EEENS0_18inequality_wrapperI22is_equal_div_10_uniqueIyEEEPmJSF_EEE10hipError_tPvRmT3_T4_T5_T6_T7_T9_mT8_P12ihipStream_tbDpT10_ENKUlT_T0_E_clISt17integral_constantIbLb1EES18_EEDaS13_S14_EUlS13_E_NS1_11comp_targetILNS1_3genE3ELNS1_11target_archE908ELNS1_3gpuE7ELNS1_3repE0EEENS1_30default_config_static_selectorELNS0_4arch9wavefront6targetE0EEEvT1_,"axG",@progbits,_ZN7rocprim17ROCPRIM_400000_NS6detail17trampoline_kernelINS0_14default_configENS1_25partition_config_selectorILNS1_17partition_subalgoE9EyybEEZZNS1_14partition_implILS5_9ELb0ES3_jN6thrust23THRUST_200600_302600_NS6detail15normal_iteratorINS9_10device_ptrIyEEEESE_PNS0_10empty_typeENS0_5tupleIJSE_SF_EEENSH_IJSE_SG_EEENS0_18inequality_wrapperI22is_equal_div_10_uniqueIyEEEPmJSF_EEE10hipError_tPvRmT3_T4_T5_T6_T7_T9_mT8_P12ihipStream_tbDpT10_ENKUlT_T0_E_clISt17integral_constantIbLb1EES18_EEDaS13_S14_EUlS13_E_NS1_11comp_targetILNS1_3genE3ELNS1_11target_archE908ELNS1_3gpuE7ELNS1_3repE0EEENS1_30default_config_static_selectorELNS0_4arch9wavefront6targetE0EEEvT1_,comdat
.Lfunc_end188:
	.size	_ZN7rocprim17ROCPRIM_400000_NS6detail17trampoline_kernelINS0_14default_configENS1_25partition_config_selectorILNS1_17partition_subalgoE9EyybEEZZNS1_14partition_implILS5_9ELb0ES3_jN6thrust23THRUST_200600_302600_NS6detail15normal_iteratorINS9_10device_ptrIyEEEESE_PNS0_10empty_typeENS0_5tupleIJSE_SF_EEENSH_IJSE_SG_EEENS0_18inequality_wrapperI22is_equal_div_10_uniqueIyEEEPmJSF_EEE10hipError_tPvRmT3_T4_T5_T6_T7_T9_mT8_P12ihipStream_tbDpT10_ENKUlT_T0_E_clISt17integral_constantIbLb1EES18_EEDaS13_S14_EUlS13_E_NS1_11comp_targetILNS1_3genE3ELNS1_11target_archE908ELNS1_3gpuE7ELNS1_3repE0EEENS1_30default_config_static_selectorELNS0_4arch9wavefront6targetE0EEEvT1_, .Lfunc_end188-_ZN7rocprim17ROCPRIM_400000_NS6detail17trampoline_kernelINS0_14default_configENS1_25partition_config_selectorILNS1_17partition_subalgoE9EyybEEZZNS1_14partition_implILS5_9ELb0ES3_jN6thrust23THRUST_200600_302600_NS6detail15normal_iteratorINS9_10device_ptrIyEEEESE_PNS0_10empty_typeENS0_5tupleIJSE_SF_EEENSH_IJSE_SG_EEENS0_18inequality_wrapperI22is_equal_div_10_uniqueIyEEEPmJSF_EEE10hipError_tPvRmT3_T4_T5_T6_T7_T9_mT8_P12ihipStream_tbDpT10_ENKUlT_T0_E_clISt17integral_constantIbLb1EES18_EEDaS13_S14_EUlS13_E_NS1_11comp_targetILNS1_3genE3ELNS1_11target_archE908ELNS1_3gpuE7ELNS1_3repE0EEENS1_30default_config_static_selectorELNS0_4arch9wavefront6targetE0EEEvT1_
                                        ; -- End function
	.section	.AMDGPU.csdata,"",@progbits
; Kernel info:
; codeLenInByte = 0
; NumSgprs: 0
; NumVgprs: 0
; ScratchSize: 0
; MemoryBound: 0
; FloatMode: 240
; IeeeMode: 1
; LDSByteSize: 0 bytes/workgroup (compile time only)
; SGPRBlocks: 0
; VGPRBlocks: 0
; NumSGPRsForWavesPerEU: 1
; NumVGPRsForWavesPerEU: 1
; Occupancy: 16
; WaveLimiterHint : 0
; COMPUTE_PGM_RSRC2:SCRATCH_EN: 0
; COMPUTE_PGM_RSRC2:USER_SGPR: 15
; COMPUTE_PGM_RSRC2:TRAP_HANDLER: 0
; COMPUTE_PGM_RSRC2:TGID_X_EN: 1
; COMPUTE_PGM_RSRC2:TGID_Y_EN: 0
; COMPUTE_PGM_RSRC2:TGID_Z_EN: 0
; COMPUTE_PGM_RSRC2:TIDIG_COMP_CNT: 0
	.section	.text._ZN7rocprim17ROCPRIM_400000_NS6detail17trampoline_kernelINS0_14default_configENS1_25partition_config_selectorILNS1_17partition_subalgoE9EyybEEZZNS1_14partition_implILS5_9ELb0ES3_jN6thrust23THRUST_200600_302600_NS6detail15normal_iteratorINS9_10device_ptrIyEEEESE_PNS0_10empty_typeENS0_5tupleIJSE_SF_EEENSH_IJSE_SG_EEENS0_18inequality_wrapperI22is_equal_div_10_uniqueIyEEEPmJSF_EEE10hipError_tPvRmT3_T4_T5_T6_T7_T9_mT8_P12ihipStream_tbDpT10_ENKUlT_T0_E_clISt17integral_constantIbLb1EES18_EEDaS13_S14_EUlS13_E_NS1_11comp_targetILNS1_3genE2ELNS1_11target_archE906ELNS1_3gpuE6ELNS1_3repE0EEENS1_30default_config_static_selectorELNS0_4arch9wavefront6targetE0EEEvT1_,"axG",@progbits,_ZN7rocprim17ROCPRIM_400000_NS6detail17trampoline_kernelINS0_14default_configENS1_25partition_config_selectorILNS1_17partition_subalgoE9EyybEEZZNS1_14partition_implILS5_9ELb0ES3_jN6thrust23THRUST_200600_302600_NS6detail15normal_iteratorINS9_10device_ptrIyEEEESE_PNS0_10empty_typeENS0_5tupleIJSE_SF_EEENSH_IJSE_SG_EEENS0_18inequality_wrapperI22is_equal_div_10_uniqueIyEEEPmJSF_EEE10hipError_tPvRmT3_T4_T5_T6_T7_T9_mT8_P12ihipStream_tbDpT10_ENKUlT_T0_E_clISt17integral_constantIbLb1EES18_EEDaS13_S14_EUlS13_E_NS1_11comp_targetILNS1_3genE2ELNS1_11target_archE906ELNS1_3gpuE6ELNS1_3repE0EEENS1_30default_config_static_selectorELNS0_4arch9wavefront6targetE0EEEvT1_,comdat
	.protected	_ZN7rocprim17ROCPRIM_400000_NS6detail17trampoline_kernelINS0_14default_configENS1_25partition_config_selectorILNS1_17partition_subalgoE9EyybEEZZNS1_14partition_implILS5_9ELb0ES3_jN6thrust23THRUST_200600_302600_NS6detail15normal_iteratorINS9_10device_ptrIyEEEESE_PNS0_10empty_typeENS0_5tupleIJSE_SF_EEENSH_IJSE_SG_EEENS0_18inequality_wrapperI22is_equal_div_10_uniqueIyEEEPmJSF_EEE10hipError_tPvRmT3_T4_T5_T6_T7_T9_mT8_P12ihipStream_tbDpT10_ENKUlT_T0_E_clISt17integral_constantIbLb1EES18_EEDaS13_S14_EUlS13_E_NS1_11comp_targetILNS1_3genE2ELNS1_11target_archE906ELNS1_3gpuE6ELNS1_3repE0EEENS1_30default_config_static_selectorELNS0_4arch9wavefront6targetE0EEEvT1_ ; -- Begin function _ZN7rocprim17ROCPRIM_400000_NS6detail17trampoline_kernelINS0_14default_configENS1_25partition_config_selectorILNS1_17partition_subalgoE9EyybEEZZNS1_14partition_implILS5_9ELb0ES3_jN6thrust23THRUST_200600_302600_NS6detail15normal_iteratorINS9_10device_ptrIyEEEESE_PNS0_10empty_typeENS0_5tupleIJSE_SF_EEENSH_IJSE_SG_EEENS0_18inequality_wrapperI22is_equal_div_10_uniqueIyEEEPmJSF_EEE10hipError_tPvRmT3_T4_T5_T6_T7_T9_mT8_P12ihipStream_tbDpT10_ENKUlT_T0_E_clISt17integral_constantIbLb1EES18_EEDaS13_S14_EUlS13_E_NS1_11comp_targetILNS1_3genE2ELNS1_11target_archE906ELNS1_3gpuE6ELNS1_3repE0EEENS1_30default_config_static_selectorELNS0_4arch9wavefront6targetE0EEEvT1_
	.globl	_ZN7rocprim17ROCPRIM_400000_NS6detail17trampoline_kernelINS0_14default_configENS1_25partition_config_selectorILNS1_17partition_subalgoE9EyybEEZZNS1_14partition_implILS5_9ELb0ES3_jN6thrust23THRUST_200600_302600_NS6detail15normal_iteratorINS9_10device_ptrIyEEEESE_PNS0_10empty_typeENS0_5tupleIJSE_SF_EEENSH_IJSE_SG_EEENS0_18inequality_wrapperI22is_equal_div_10_uniqueIyEEEPmJSF_EEE10hipError_tPvRmT3_T4_T5_T6_T7_T9_mT8_P12ihipStream_tbDpT10_ENKUlT_T0_E_clISt17integral_constantIbLb1EES18_EEDaS13_S14_EUlS13_E_NS1_11comp_targetILNS1_3genE2ELNS1_11target_archE906ELNS1_3gpuE6ELNS1_3repE0EEENS1_30default_config_static_selectorELNS0_4arch9wavefront6targetE0EEEvT1_
	.p2align	8
	.type	_ZN7rocprim17ROCPRIM_400000_NS6detail17trampoline_kernelINS0_14default_configENS1_25partition_config_selectorILNS1_17partition_subalgoE9EyybEEZZNS1_14partition_implILS5_9ELb0ES3_jN6thrust23THRUST_200600_302600_NS6detail15normal_iteratorINS9_10device_ptrIyEEEESE_PNS0_10empty_typeENS0_5tupleIJSE_SF_EEENSH_IJSE_SG_EEENS0_18inequality_wrapperI22is_equal_div_10_uniqueIyEEEPmJSF_EEE10hipError_tPvRmT3_T4_T5_T6_T7_T9_mT8_P12ihipStream_tbDpT10_ENKUlT_T0_E_clISt17integral_constantIbLb1EES18_EEDaS13_S14_EUlS13_E_NS1_11comp_targetILNS1_3genE2ELNS1_11target_archE906ELNS1_3gpuE6ELNS1_3repE0EEENS1_30default_config_static_selectorELNS0_4arch9wavefront6targetE0EEEvT1_,@function
_ZN7rocprim17ROCPRIM_400000_NS6detail17trampoline_kernelINS0_14default_configENS1_25partition_config_selectorILNS1_17partition_subalgoE9EyybEEZZNS1_14partition_implILS5_9ELb0ES3_jN6thrust23THRUST_200600_302600_NS6detail15normal_iteratorINS9_10device_ptrIyEEEESE_PNS0_10empty_typeENS0_5tupleIJSE_SF_EEENSH_IJSE_SG_EEENS0_18inequality_wrapperI22is_equal_div_10_uniqueIyEEEPmJSF_EEE10hipError_tPvRmT3_T4_T5_T6_T7_T9_mT8_P12ihipStream_tbDpT10_ENKUlT_T0_E_clISt17integral_constantIbLb1EES18_EEDaS13_S14_EUlS13_E_NS1_11comp_targetILNS1_3genE2ELNS1_11target_archE906ELNS1_3gpuE6ELNS1_3repE0EEENS1_30default_config_static_selectorELNS0_4arch9wavefront6targetE0EEEvT1_: ; @_ZN7rocprim17ROCPRIM_400000_NS6detail17trampoline_kernelINS0_14default_configENS1_25partition_config_selectorILNS1_17partition_subalgoE9EyybEEZZNS1_14partition_implILS5_9ELb0ES3_jN6thrust23THRUST_200600_302600_NS6detail15normal_iteratorINS9_10device_ptrIyEEEESE_PNS0_10empty_typeENS0_5tupleIJSE_SF_EEENSH_IJSE_SG_EEENS0_18inequality_wrapperI22is_equal_div_10_uniqueIyEEEPmJSF_EEE10hipError_tPvRmT3_T4_T5_T6_T7_T9_mT8_P12ihipStream_tbDpT10_ENKUlT_T0_E_clISt17integral_constantIbLb1EES18_EEDaS13_S14_EUlS13_E_NS1_11comp_targetILNS1_3genE2ELNS1_11target_archE906ELNS1_3gpuE6ELNS1_3repE0EEENS1_30default_config_static_selectorELNS0_4arch9wavefront6targetE0EEEvT1_
; %bb.0:
	.section	.rodata,"a",@progbits
	.p2align	6, 0x0
	.amdhsa_kernel _ZN7rocprim17ROCPRIM_400000_NS6detail17trampoline_kernelINS0_14default_configENS1_25partition_config_selectorILNS1_17partition_subalgoE9EyybEEZZNS1_14partition_implILS5_9ELb0ES3_jN6thrust23THRUST_200600_302600_NS6detail15normal_iteratorINS9_10device_ptrIyEEEESE_PNS0_10empty_typeENS0_5tupleIJSE_SF_EEENSH_IJSE_SG_EEENS0_18inequality_wrapperI22is_equal_div_10_uniqueIyEEEPmJSF_EEE10hipError_tPvRmT3_T4_T5_T6_T7_T9_mT8_P12ihipStream_tbDpT10_ENKUlT_T0_E_clISt17integral_constantIbLb1EES18_EEDaS13_S14_EUlS13_E_NS1_11comp_targetILNS1_3genE2ELNS1_11target_archE906ELNS1_3gpuE6ELNS1_3repE0EEENS1_30default_config_static_selectorELNS0_4arch9wavefront6targetE0EEEvT1_
		.amdhsa_group_segment_fixed_size 0
		.amdhsa_private_segment_fixed_size 0
		.amdhsa_kernarg_size 128
		.amdhsa_user_sgpr_count 15
		.amdhsa_user_sgpr_dispatch_ptr 0
		.amdhsa_user_sgpr_queue_ptr 0
		.amdhsa_user_sgpr_kernarg_segment_ptr 1
		.amdhsa_user_sgpr_dispatch_id 0
		.amdhsa_user_sgpr_private_segment_size 0
		.amdhsa_wavefront_size32 1
		.amdhsa_uses_dynamic_stack 0
		.amdhsa_enable_private_segment 0
		.amdhsa_system_sgpr_workgroup_id_x 1
		.amdhsa_system_sgpr_workgroup_id_y 0
		.amdhsa_system_sgpr_workgroup_id_z 0
		.amdhsa_system_sgpr_workgroup_info 0
		.amdhsa_system_vgpr_workitem_id 0
		.amdhsa_next_free_vgpr 1
		.amdhsa_next_free_sgpr 1
		.amdhsa_reserve_vcc 0
		.amdhsa_float_round_mode_32 0
		.amdhsa_float_round_mode_16_64 0
		.amdhsa_float_denorm_mode_32 3
		.amdhsa_float_denorm_mode_16_64 3
		.amdhsa_dx10_clamp 1
		.amdhsa_ieee_mode 1
		.amdhsa_fp16_overflow 0
		.amdhsa_workgroup_processor_mode 1
		.amdhsa_memory_ordered 1
		.amdhsa_forward_progress 0
		.amdhsa_shared_vgpr_count 0
		.amdhsa_exception_fp_ieee_invalid_op 0
		.amdhsa_exception_fp_denorm_src 0
		.amdhsa_exception_fp_ieee_div_zero 0
		.amdhsa_exception_fp_ieee_overflow 0
		.amdhsa_exception_fp_ieee_underflow 0
		.amdhsa_exception_fp_ieee_inexact 0
		.amdhsa_exception_int_div_zero 0
	.end_amdhsa_kernel
	.section	.text._ZN7rocprim17ROCPRIM_400000_NS6detail17trampoline_kernelINS0_14default_configENS1_25partition_config_selectorILNS1_17partition_subalgoE9EyybEEZZNS1_14partition_implILS5_9ELb0ES3_jN6thrust23THRUST_200600_302600_NS6detail15normal_iteratorINS9_10device_ptrIyEEEESE_PNS0_10empty_typeENS0_5tupleIJSE_SF_EEENSH_IJSE_SG_EEENS0_18inequality_wrapperI22is_equal_div_10_uniqueIyEEEPmJSF_EEE10hipError_tPvRmT3_T4_T5_T6_T7_T9_mT8_P12ihipStream_tbDpT10_ENKUlT_T0_E_clISt17integral_constantIbLb1EES18_EEDaS13_S14_EUlS13_E_NS1_11comp_targetILNS1_3genE2ELNS1_11target_archE906ELNS1_3gpuE6ELNS1_3repE0EEENS1_30default_config_static_selectorELNS0_4arch9wavefront6targetE0EEEvT1_,"axG",@progbits,_ZN7rocprim17ROCPRIM_400000_NS6detail17trampoline_kernelINS0_14default_configENS1_25partition_config_selectorILNS1_17partition_subalgoE9EyybEEZZNS1_14partition_implILS5_9ELb0ES3_jN6thrust23THRUST_200600_302600_NS6detail15normal_iteratorINS9_10device_ptrIyEEEESE_PNS0_10empty_typeENS0_5tupleIJSE_SF_EEENSH_IJSE_SG_EEENS0_18inequality_wrapperI22is_equal_div_10_uniqueIyEEEPmJSF_EEE10hipError_tPvRmT3_T4_T5_T6_T7_T9_mT8_P12ihipStream_tbDpT10_ENKUlT_T0_E_clISt17integral_constantIbLb1EES18_EEDaS13_S14_EUlS13_E_NS1_11comp_targetILNS1_3genE2ELNS1_11target_archE906ELNS1_3gpuE6ELNS1_3repE0EEENS1_30default_config_static_selectorELNS0_4arch9wavefront6targetE0EEEvT1_,comdat
.Lfunc_end189:
	.size	_ZN7rocprim17ROCPRIM_400000_NS6detail17trampoline_kernelINS0_14default_configENS1_25partition_config_selectorILNS1_17partition_subalgoE9EyybEEZZNS1_14partition_implILS5_9ELb0ES3_jN6thrust23THRUST_200600_302600_NS6detail15normal_iteratorINS9_10device_ptrIyEEEESE_PNS0_10empty_typeENS0_5tupleIJSE_SF_EEENSH_IJSE_SG_EEENS0_18inequality_wrapperI22is_equal_div_10_uniqueIyEEEPmJSF_EEE10hipError_tPvRmT3_T4_T5_T6_T7_T9_mT8_P12ihipStream_tbDpT10_ENKUlT_T0_E_clISt17integral_constantIbLb1EES18_EEDaS13_S14_EUlS13_E_NS1_11comp_targetILNS1_3genE2ELNS1_11target_archE906ELNS1_3gpuE6ELNS1_3repE0EEENS1_30default_config_static_selectorELNS0_4arch9wavefront6targetE0EEEvT1_, .Lfunc_end189-_ZN7rocprim17ROCPRIM_400000_NS6detail17trampoline_kernelINS0_14default_configENS1_25partition_config_selectorILNS1_17partition_subalgoE9EyybEEZZNS1_14partition_implILS5_9ELb0ES3_jN6thrust23THRUST_200600_302600_NS6detail15normal_iteratorINS9_10device_ptrIyEEEESE_PNS0_10empty_typeENS0_5tupleIJSE_SF_EEENSH_IJSE_SG_EEENS0_18inequality_wrapperI22is_equal_div_10_uniqueIyEEEPmJSF_EEE10hipError_tPvRmT3_T4_T5_T6_T7_T9_mT8_P12ihipStream_tbDpT10_ENKUlT_T0_E_clISt17integral_constantIbLb1EES18_EEDaS13_S14_EUlS13_E_NS1_11comp_targetILNS1_3genE2ELNS1_11target_archE906ELNS1_3gpuE6ELNS1_3repE0EEENS1_30default_config_static_selectorELNS0_4arch9wavefront6targetE0EEEvT1_
                                        ; -- End function
	.section	.AMDGPU.csdata,"",@progbits
; Kernel info:
; codeLenInByte = 0
; NumSgprs: 0
; NumVgprs: 0
; ScratchSize: 0
; MemoryBound: 0
; FloatMode: 240
; IeeeMode: 1
; LDSByteSize: 0 bytes/workgroup (compile time only)
; SGPRBlocks: 0
; VGPRBlocks: 0
; NumSGPRsForWavesPerEU: 1
; NumVGPRsForWavesPerEU: 1
; Occupancy: 15
; WaveLimiterHint : 0
; COMPUTE_PGM_RSRC2:SCRATCH_EN: 0
; COMPUTE_PGM_RSRC2:USER_SGPR: 15
; COMPUTE_PGM_RSRC2:TRAP_HANDLER: 0
; COMPUTE_PGM_RSRC2:TGID_X_EN: 1
; COMPUTE_PGM_RSRC2:TGID_Y_EN: 0
; COMPUTE_PGM_RSRC2:TGID_Z_EN: 0
; COMPUTE_PGM_RSRC2:TIDIG_COMP_CNT: 0
	.section	.text._ZN7rocprim17ROCPRIM_400000_NS6detail17trampoline_kernelINS0_14default_configENS1_25partition_config_selectorILNS1_17partition_subalgoE9EyybEEZZNS1_14partition_implILS5_9ELb0ES3_jN6thrust23THRUST_200600_302600_NS6detail15normal_iteratorINS9_10device_ptrIyEEEESE_PNS0_10empty_typeENS0_5tupleIJSE_SF_EEENSH_IJSE_SG_EEENS0_18inequality_wrapperI22is_equal_div_10_uniqueIyEEEPmJSF_EEE10hipError_tPvRmT3_T4_T5_T6_T7_T9_mT8_P12ihipStream_tbDpT10_ENKUlT_T0_E_clISt17integral_constantIbLb1EES18_EEDaS13_S14_EUlS13_E_NS1_11comp_targetILNS1_3genE10ELNS1_11target_archE1200ELNS1_3gpuE4ELNS1_3repE0EEENS1_30default_config_static_selectorELNS0_4arch9wavefront6targetE0EEEvT1_,"axG",@progbits,_ZN7rocprim17ROCPRIM_400000_NS6detail17trampoline_kernelINS0_14default_configENS1_25partition_config_selectorILNS1_17partition_subalgoE9EyybEEZZNS1_14partition_implILS5_9ELb0ES3_jN6thrust23THRUST_200600_302600_NS6detail15normal_iteratorINS9_10device_ptrIyEEEESE_PNS0_10empty_typeENS0_5tupleIJSE_SF_EEENSH_IJSE_SG_EEENS0_18inequality_wrapperI22is_equal_div_10_uniqueIyEEEPmJSF_EEE10hipError_tPvRmT3_T4_T5_T6_T7_T9_mT8_P12ihipStream_tbDpT10_ENKUlT_T0_E_clISt17integral_constantIbLb1EES18_EEDaS13_S14_EUlS13_E_NS1_11comp_targetILNS1_3genE10ELNS1_11target_archE1200ELNS1_3gpuE4ELNS1_3repE0EEENS1_30default_config_static_selectorELNS0_4arch9wavefront6targetE0EEEvT1_,comdat
	.protected	_ZN7rocprim17ROCPRIM_400000_NS6detail17trampoline_kernelINS0_14default_configENS1_25partition_config_selectorILNS1_17partition_subalgoE9EyybEEZZNS1_14partition_implILS5_9ELb0ES3_jN6thrust23THRUST_200600_302600_NS6detail15normal_iteratorINS9_10device_ptrIyEEEESE_PNS0_10empty_typeENS0_5tupleIJSE_SF_EEENSH_IJSE_SG_EEENS0_18inequality_wrapperI22is_equal_div_10_uniqueIyEEEPmJSF_EEE10hipError_tPvRmT3_T4_T5_T6_T7_T9_mT8_P12ihipStream_tbDpT10_ENKUlT_T0_E_clISt17integral_constantIbLb1EES18_EEDaS13_S14_EUlS13_E_NS1_11comp_targetILNS1_3genE10ELNS1_11target_archE1200ELNS1_3gpuE4ELNS1_3repE0EEENS1_30default_config_static_selectorELNS0_4arch9wavefront6targetE0EEEvT1_ ; -- Begin function _ZN7rocprim17ROCPRIM_400000_NS6detail17trampoline_kernelINS0_14default_configENS1_25partition_config_selectorILNS1_17partition_subalgoE9EyybEEZZNS1_14partition_implILS5_9ELb0ES3_jN6thrust23THRUST_200600_302600_NS6detail15normal_iteratorINS9_10device_ptrIyEEEESE_PNS0_10empty_typeENS0_5tupleIJSE_SF_EEENSH_IJSE_SG_EEENS0_18inequality_wrapperI22is_equal_div_10_uniqueIyEEEPmJSF_EEE10hipError_tPvRmT3_T4_T5_T6_T7_T9_mT8_P12ihipStream_tbDpT10_ENKUlT_T0_E_clISt17integral_constantIbLb1EES18_EEDaS13_S14_EUlS13_E_NS1_11comp_targetILNS1_3genE10ELNS1_11target_archE1200ELNS1_3gpuE4ELNS1_3repE0EEENS1_30default_config_static_selectorELNS0_4arch9wavefront6targetE0EEEvT1_
	.globl	_ZN7rocprim17ROCPRIM_400000_NS6detail17trampoline_kernelINS0_14default_configENS1_25partition_config_selectorILNS1_17partition_subalgoE9EyybEEZZNS1_14partition_implILS5_9ELb0ES3_jN6thrust23THRUST_200600_302600_NS6detail15normal_iteratorINS9_10device_ptrIyEEEESE_PNS0_10empty_typeENS0_5tupleIJSE_SF_EEENSH_IJSE_SG_EEENS0_18inequality_wrapperI22is_equal_div_10_uniqueIyEEEPmJSF_EEE10hipError_tPvRmT3_T4_T5_T6_T7_T9_mT8_P12ihipStream_tbDpT10_ENKUlT_T0_E_clISt17integral_constantIbLb1EES18_EEDaS13_S14_EUlS13_E_NS1_11comp_targetILNS1_3genE10ELNS1_11target_archE1200ELNS1_3gpuE4ELNS1_3repE0EEENS1_30default_config_static_selectorELNS0_4arch9wavefront6targetE0EEEvT1_
	.p2align	8
	.type	_ZN7rocprim17ROCPRIM_400000_NS6detail17trampoline_kernelINS0_14default_configENS1_25partition_config_selectorILNS1_17partition_subalgoE9EyybEEZZNS1_14partition_implILS5_9ELb0ES3_jN6thrust23THRUST_200600_302600_NS6detail15normal_iteratorINS9_10device_ptrIyEEEESE_PNS0_10empty_typeENS0_5tupleIJSE_SF_EEENSH_IJSE_SG_EEENS0_18inequality_wrapperI22is_equal_div_10_uniqueIyEEEPmJSF_EEE10hipError_tPvRmT3_T4_T5_T6_T7_T9_mT8_P12ihipStream_tbDpT10_ENKUlT_T0_E_clISt17integral_constantIbLb1EES18_EEDaS13_S14_EUlS13_E_NS1_11comp_targetILNS1_3genE10ELNS1_11target_archE1200ELNS1_3gpuE4ELNS1_3repE0EEENS1_30default_config_static_selectorELNS0_4arch9wavefront6targetE0EEEvT1_,@function
_ZN7rocprim17ROCPRIM_400000_NS6detail17trampoline_kernelINS0_14default_configENS1_25partition_config_selectorILNS1_17partition_subalgoE9EyybEEZZNS1_14partition_implILS5_9ELb0ES3_jN6thrust23THRUST_200600_302600_NS6detail15normal_iteratorINS9_10device_ptrIyEEEESE_PNS0_10empty_typeENS0_5tupleIJSE_SF_EEENSH_IJSE_SG_EEENS0_18inequality_wrapperI22is_equal_div_10_uniqueIyEEEPmJSF_EEE10hipError_tPvRmT3_T4_T5_T6_T7_T9_mT8_P12ihipStream_tbDpT10_ENKUlT_T0_E_clISt17integral_constantIbLb1EES18_EEDaS13_S14_EUlS13_E_NS1_11comp_targetILNS1_3genE10ELNS1_11target_archE1200ELNS1_3gpuE4ELNS1_3repE0EEENS1_30default_config_static_selectorELNS0_4arch9wavefront6targetE0EEEvT1_: ; @_ZN7rocprim17ROCPRIM_400000_NS6detail17trampoline_kernelINS0_14default_configENS1_25partition_config_selectorILNS1_17partition_subalgoE9EyybEEZZNS1_14partition_implILS5_9ELb0ES3_jN6thrust23THRUST_200600_302600_NS6detail15normal_iteratorINS9_10device_ptrIyEEEESE_PNS0_10empty_typeENS0_5tupleIJSE_SF_EEENSH_IJSE_SG_EEENS0_18inequality_wrapperI22is_equal_div_10_uniqueIyEEEPmJSF_EEE10hipError_tPvRmT3_T4_T5_T6_T7_T9_mT8_P12ihipStream_tbDpT10_ENKUlT_T0_E_clISt17integral_constantIbLb1EES18_EEDaS13_S14_EUlS13_E_NS1_11comp_targetILNS1_3genE10ELNS1_11target_archE1200ELNS1_3gpuE4ELNS1_3repE0EEENS1_30default_config_static_selectorELNS0_4arch9wavefront6targetE0EEEvT1_
; %bb.0:
	.section	.rodata,"a",@progbits
	.p2align	6, 0x0
	.amdhsa_kernel _ZN7rocprim17ROCPRIM_400000_NS6detail17trampoline_kernelINS0_14default_configENS1_25partition_config_selectorILNS1_17partition_subalgoE9EyybEEZZNS1_14partition_implILS5_9ELb0ES3_jN6thrust23THRUST_200600_302600_NS6detail15normal_iteratorINS9_10device_ptrIyEEEESE_PNS0_10empty_typeENS0_5tupleIJSE_SF_EEENSH_IJSE_SG_EEENS0_18inequality_wrapperI22is_equal_div_10_uniqueIyEEEPmJSF_EEE10hipError_tPvRmT3_T4_T5_T6_T7_T9_mT8_P12ihipStream_tbDpT10_ENKUlT_T0_E_clISt17integral_constantIbLb1EES18_EEDaS13_S14_EUlS13_E_NS1_11comp_targetILNS1_3genE10ELNS1_11target_archE1200ELNS1_3gpuE4ELNS1_3repE0EEENS1_30default_config_static_selectorELNS0_4arch9wavefront6targetE0EEEvT1_
		.amdhsa_group_segment_fixed_size 0
		.amdhsa_private_segment_fixed_size 0
		.amdhsa_kernarg_size 128
		.amdhsa_user_sgpr_count 15
		.amdhsa_user_sgpr_dispatch_ptr 0
		.amdhsa_user_sgpr_queue_ptr 0
		.amdhsa_user_sgpr_kernarg_segment_ptr 1
		.amdhsa_user_sgpr_dispatch_id 0
		.amdhsa_user_sgpr_private_segment_size 0
		.amdhsa_wavefront_size32 1
		.amdhsa_uses_dynamic_stack 0
		.amdhsa_enable_private_segment 0
		.amdhsa_system_sgpr_workgroup_id_x 1
		.amdhsa_system_sgpr_workgroup_id_y 0
		.amdhsa_system_sgpr_workgroup_id_z 0
		.amdhsa_system_sgpr_workgroup_info 0
		.amdhsa_system_vgpr_workitem_id 0
		.amdhsa_next_free_vgpr 1
		.amdhsa_next_free_sgpr 1
		.amdhsa_reserve_vcc 0
		.amdhsa_float_round_mode_32 0
		.amdhsa_float_round_mode_16_64 0
		.amdhsa_float_denorm_mode_32 3
		.amdhsa_float_denorm_mode_16_64 3
		.amdhsa_dx10_clamp 1
		.amdhsa_ieee_mode 1
		.amdhsa_fp16_overflow 0
		.amdhsa_workgroup_processor_mode 1
		.amdhsa_memory_ordered 1
		.amdhsa_forward_progress 0
		.amdhsa_shared_vgpr_count 0
		.amdhsa_exception_fp_ieee_invalid_op 0
		.amdhsa_exception_fp_denorm_src 0
		.amdhsa_exception_fp_ieee_div_zero 0
		.amdhsa_exception_fp_ieee_overflow 0
		.amdhsa_exception_fp_ieee_underflow 0
		.amdhsa_exception_fp_ieee_inexact 0
		.amdhsa_exception_int_div_zero 0
	.end_amdhsa_kernel
	.section	.text._ZN7rocprim17ROCPRIM_400000_NS6detail17trampoline_kernelINS0_14default_configENS1_25partition_config_selectorILNS1_17partition_subalgoE9EyybEEZZNS1_14partition_implILS5_9ELb0ES3_jN6thrust23THRUST_200600_302600_NS6detail15normal_iteratorINS9_10device_ptrIyEEEESE_PNS0_10empty_typeENS0_5tupleIJSE_SF_EEENSH_IJSE_SG_EEENS0_18inequality_wrapperI22is_equal_div_10_uniqueIyEEEPmJSF_EEE10hipError_tPvRmT3_T4_T5_T6_T7_T9_mT8_P12ihipStream_tbDpT10_ENKUlT_T0_E_clISt17integral_constantIbLb1EES18_EEDaS13_S14_EUlS13_E_NS1_11comp_targetILNS1_3genE10ELNS1_11target_archE1200ELNS1_3gpuE4ELNS1_3repE0EEENS1_30default_config_static_selectorELNS0_4arch9wavefront6targetE0EEEvT1_,"axG",@progbits,_ZN7rocprim17ROCPRIM_400000_NS6detail17trampoline_kernelINS0_14default_configENS1_25partition_config_selectorILNS1_17partition_subalgoE9EyybEEZZNS1_14partition_implILS5_9ELb0ES3_jN6thrust23THRUST_200600_302600_NS6detail15normal_iteratorINS9_10device_ptrIyEEEESE_PNS0_10empty_typeENS0_5tupleIJSE_SF_EEENSH_IJSE_SG_EEENS0_18inequality_wrapperI22is_equal_div_10_uniqueIyEEEPmJSF_EEE10hipError_tPvRmT3_T4_T5_T6_T7_T9_mT8_P12ihipStream_tbDpT10_ENKUlT_T0_E_clISt17integral_constantIbLb1EES18_EEDaS13_S14_EUlS13_E_NS1_11comp_targetILNS1_3genE10ELNS1_11target_archE1200ELNS1_3gpuE4ELNS1_3repE0EEENS1_30default_config_static_selectorELNS0_4arch9wavefront6targetE0EEEvT1_,comdat
.Lfunc_end190:
	.size	_ZN7rocprim17ROCPRIM_400000_NS6detail17trampoline_kernelINS0_14default_configENS1_25partition_config_selectorILNS1_17partition_subalgoE9EyybEEZZNS1_14partition_implILS5_9ELb0ES3_jN6thrust23THRUST_200600_302600_NS6detail15normal_iteratorINS9_10device_ptrIyEEEESE_PNS0_10empty_typeENS0_5tupleIJSE_SF_EEENSH_IJSE_SG_EEENS0_18inequality_wrapperI22is_equal_div_10_uniqueIyEEEPmJSF_EEE10hipError_tPvRmT3_T4_T5_T6_T7_T9_mT8_P12ihipStream_tbDpT10_ENKUlT_T0_E_clISt17integral_constantIbLb1EES18_EEDaS13_S14_EUlS13_E_NS1_11comp_targetILNS1_3genE10ELNS1_11target_archE1200ELNS1_3gpuE4ELNS1_3repE0EEENS1_30default_config_static_selectorELNS0_4arch9wavefront6targetE0EEEvT1_, .Lfunc_end190-_ZN7rocprim17ROCPRIM_400000_NS6detail17trampoline_kernelINS0_14default_configENS1_25partition_config_selectorILNS1_17partition_subalgoE9EyybEEZZNS1_14partition_implILS5_9ELb0ES3_jN6thrust23THRUST_200600_302600_NS6detail15normal_iteratorINS9_10device_ptrIyEEEESE_PNS0_10empty_typeENS0_5tupleIJSE_SF_EEENSH_IJSE_SG_EEENS0_18inequality_wrapperI22is_equal_div_10_uniqueIyEEEPmJSF_EEE10hipError_tPvRmT3_T4_T5_T6_T7_T9_mT8_P12ihipStream_tbDpT10_ENKUlT_T0_E_clISt17integral_constantIbLb1EES18_EEDaS13_S14_EUlS13_E_NS1_11comp_targetILNS1_3genE10ELNS1_11target_archE1200ELNS1_3gpuE4ELNS1_3repE0EEENS1_30default_config_static_selectorELNS0_4arch9wavefront6targetE0EEEvT1_
                                        ; -- End function
	.section	.AMDGPU.csdata,"",@progbits
; Kernel info:
; codeLenInByte = 0
; NumSgprs: 0
; NumVgprs: 0
; ScratchSize: 0
; MemoryBound: 0
; FloatMode: 240
; IeeeMode: 1
; LDSByteSize: 0 bytes/workgroup (compile time only)
; SGPRBlocks: 0
; VGPRBlocks: 0
; NumSGPRsForWavesPerEU: 1
; NumVGPRsForWavesPerEU: 1
; Occupancy: 15
; WaveLimiterHint : 0
; COMPUTE_PGM_RSRC2:SCRATCH_EN: 0
; COMPUTE_PGM_RSRC2:USER_SGPR: 15
; COMPUTE_PGM_RSRC2:TRAP_HANDLER: 0
; COMPUTE_PGM_RSRC2:TGID_X_EN: 1
; COMPUTE_PGM_RSRC2:TGID_Y_EN: 0
; COMPUTE_PGM_RSRC2:TGID_Z_EN: 0
; COMPUTE_PGM_RSRC2:TIDIG_COMP_CNT: 0
	.section	.text._ZN7rocprim17ROCPRIM_400000_NS6detail17trampoline_kernelINS0_14default_configENS1_25partition_config_selectorILNS1_17partition_subalgoE9EyybEEZZNS1_14partition_implILS5_9ELb0ES3_jN6thrust23THRUST_200600_302600_NS6detail15normal_iteratorINS9_10device_ptrIyEEEESE_PNS0_10empty_typeENS0_5tupleIJSE_SF_EEENSH_IJSE_SG_EEENS0_18inequality_wrapperI22is_equal_div_10_uniqueIyEEEPmJSF_EEE10hipError_tPvRmT3_T4_T5_T6_T7_T9_mT8_P12ihipStream_tbDpT10_ENKUlT_T0_E_clISt17integral_constantIbLb1EES18_EEDaS13_S14_EUlS13_E_NS1_11comp_targetILNS1_3genE9ELNS1_11target_archE1100ELNS1_3gpuE3ELNS1_3repE0EEENS1_30default_config_static_selectorELNS0_4arch9wavefront6targetE0EEEvT1_,"axG",@progbits,_ZN7rocprim17ROCPRIM_400000_NS6detail17trampoline_kernelINS0_14default_configENS1_25partition_config_selectorILNS1_17partition_subalgoE9EyybEEZZNS1_14partition_implILS5_9ELb0ES3_jN6thrust23THRUST_200600_302600_NS6detail15normal_iteratorINS9_10device_ptrIyEEEESE_PNS0_10empty_typeENS0_5tupleIJSE_SF_EEENSH_IJSE_SG_EEENS0_18inequality_wrapperI22is_equal_div_10_uniqueIyEEEPmJSF_EEE10hipError_tPvRmT3_T4_T5_T6_T7_T9_mT8_P12ihipStream_tbDpT10_ENKUlT_T0_E_clISt17integral_constantIbLb1EES18_EEDaS13_S14_EUlS13_E_NS1_11comp_targetILNS1_3genE9ELNS1_11target_archE1100ELNS1_3gpuE3ELNS1_3repE0EEENS1_30default_config_static_selectorELNS0_4arch9wavefront6targetE0EEEvT1_,comdat
	.protected	_ZN7rocprim17ROCPRIM_400000_NS6detail17trampoline_kernelINS0_14default_configENS1_25partition_config_selectorILNS1_17partition_subalgoE9EyybEEZZNS1_14partition_implILS5_9ELb0ES3_jN6thrust23THRUST_200600_302600_NS6detail15normal_iteratorINS9_10device_ptrIyEEEESE_PNS0_10empty_typeENS0_5tupleIJSE_SF_EEENSH_IJSE_SG_EEENS0_18inequality_wrapperI22is_equal_div_10_uniqueIyEEEPmJSF_EEE10hipError_tPvRmT3_T4_T5_T6_T7_T9_mT8_P12ihipStream_tbDpT10_ENKUlT_T0_E_clISt17integral_constantIbLb1EES18_EEDaS13_S14_EUlS13_E_NS1_11comp_targetILNS1_3genE9ELNS1_11target_archE1100ELNS1_3gpuE3ELNS1_3repE0EEENS1_30default_config_static_selectorELNS0_4arch9wavefront6targetE0EEEvT1_ ; -- Begin function _ZN7rocprim17ROCPRIM_400000_NS6detail17trampoline_kernelINS0_14default_configENS1_25partition_config_selectorILNS1_17partition_subalgoE9EyybEEZZNS1_14partition_implILS5_9ELb0ES3_jN6thrust23THRUST_200600_302600_NS6detail15normal_iteratorINS9_10device_ptrIyEEEESE_PNS0_10empty_typeENS0_5tupleIJSE_SF_EEENSH_IJSE_SG_EEENS0_18inequality_wrapperI22is_equal_div_10_uniqueIyEEEPmJSF_EEE10hipError_tPvRmT3_T4_T5_T6_T7_T9_mT8_P12ihipStream_tbDpT10_ENKUlT_T0_E_clISt17integral_constantIbLb1EES18_EEDaS13_S14_EUlS13_E_NS1_11comp_targetILNS1_3genE9ELNS1_11target_archE1100ELNS1_3gpuE3ELNS1_3repE0EEENS1_30default_config_static_selectorELNS0_4arch9wavefront6targetE0EEEvT1_
	.globl	_ZN7rocprim17ROCPRIM_400000_NS6detail17trampoline_kernelINS0_14default_configENS1_25partition_config_selectorILNS1_17partition_subalgoE9EyybEEZZNS1_14partition_implILS5_9ELb0ES3_jN6thrust23THRUST_200600_302600_NS6detail15normal_iteratorINS9_10device_ptrIyEEEESE_PNS0_10empty_typeENS0_5tupleIJSE_SF_EEENSH_IJSE_SG_EEENS0_18inequality_wrapperI22is_equal_div_10_uniqueIyEEEPmJSF_EEE10hipError_tPvRmT3_T4_T5_T6_T7_T9_mT8_P12ihipStream_tbDpT10_ENKUlT_T0_E_clISt17integral_constantIbLb1EES18_EEDaS13_S14_EUlS13_E_NS1_11comp_targetILNS1_3genE9ELNS1_11target_archE1100ELNS1_3gpuE3ELNS1_3repE0EEENS1_30default_config_static_selectorELNS0_4arch9wavefront6targetE0EEEvT1_
	.p2align	8
	.type	_ZN7rocprim17ROCPRIM_400000_NS6detail17trampoline_kernelINS0_14default_configENS1_25partition_config_selectorILNS1_17partition_subalgoE9EyybEEZZNS1_14partition_implILS5_9ELb0ES3_jN6thrust23THRUST_200600_302600_NS6detail15normal_iteratorINS9_10device_ptrIyEEEESE_PNS0_10empty_typeENS0_5tupleIJSE_SF_EEENSH_IJSE_SG_EEENS0_18inequality_wrapperI22is_equal_div_10_uniqueIyEEEPmJSF_EEE10hipError_tPvRmT3_T4_T5_T6_T7_T9_mT8_P12ihipStream_tbDpT10_ENKUlT_T0_E_clISt17integral_constantIbLb1EES18_EEDaS13_S14_EUlS13_E_NS1_11comp_targetILNS1_3genE9ELNS1_11target_archE1100ELNS1_3gpuE3ELNS1_3repE0EEENS1_30default_config_static_selectorELNS0_4arch9wavefront6targetE0EEEvT1_,@function
_ZN7rocprim17ROCPRIM_400000_NS6detail17trampoline_kernelINS0_14default_configENS1_25partition_config_selectorILNS1_17partition_subalgoE9EyybEEZZNS1_14partition_implILS5_9ELb0ES3_jN6thrust23THRUST_200600_302600_NS6detail15normal_iteratorINS9_10device_ptrIyEEEESE_PNS0_10empty_typeENS0_5tupleIJSE_SF_EEENSH_IJSE_SG_EEENS0_18inequality_wrapperI22is_equal_div_10_uniqueIyEEEPmJSF_EEE10hipError_tPvRmT3_T4_T5_T6_T7_T9_mT8_P12ihipStream_tbDpT10_ENKUlT_T0_E_clISt17integral_constantIbLb1EES18_EEDaS13_S14_EUlS13_E_NS1_11comp_targetILNS1_3genE9ELNS1_11target_archE1100ELNS1_3gpuE3ELNS1_3repE0EEENS1_30default_config_static_selectorELNS0_4arch9wavefront6targetE0EEEvT1_: ; @_ZN7rocprim17ROCPRIM_400000_NS6detail17trampoline_kernelINS0_14default_configENS1_25partition_config_selectorILNS1_17partition_subalgoE9EyybEEZZNS1_14partition_implILS5_9ELb0ES3_jN6thrust23THRUST_200600_302600_NS6detail15normal_iteratorINS9_10device_ptrIyEEEESE_PNS0_10empty_typeENS0_5tupleIJSE_SF_EEENSH_IJSE_SG_EEENS0_18inequality_wrapperI22is_equal_div_10_uniqueIyEEEPmJSF_EEE10hipError_tPvRmT3_T4_T5_T6_T7_T9_mT8_P12ihipStream_tbDpT10_ENKUlT_T0_E_clISt17integral_constantIbLb1EES18_EEDaS13_S14_EUlS13_E_NS1_11comp_targetILNS1_3genE9ELNS1_11target_archE1100ELNS1_3gpuE3ELNS1_3repE0EEENS1_30default_config_static_selectorELNS0_4arch9wavefront6targetE0EEEvT1_
; %bb.0:
	s_clause 0x4
	s_load_b128 s[4:7], s[0:1], 0x8
	s_load_b64 s[18:19], s[0:1], 0x18
	s_load_b128 s[8:11], s[0:1], 0x40
	s_load_b64 s[22:23], s[0:1], 0x50
	s_load_b64 s[16:17], s[0:1], 0x60
	v_cmp_ne_u32_e64 s3, 0, v0
	v_cmp_eq_u32_e64 s2, 0, v0
	s_delay_alu instid0(VALU_DEP_1)
	s_and_saveexec_b32 s12, s2
	s_cbranch_execz .LBB191_4
; %bb.1:
	s_mov_b32 s14, exec_lo
	s_mov_b32 s13, exec_lo
	v_mbcnt_lo_u32_b32 v1, s14, 0
                                        ; implicit-def: $vgpr2
	s_delay_alu instid0(VALU_DEP_1)
	v_cmpx_eq_u32_e32 0, v1
	s_cbranch_execz .LBB191_3
; %bb.2:
	s_load_b64 s[20:21], s[0:1], 0x70
	s_bcnt1_i32_b32 s14, s14
	s_delay_alu instid0(SALU_CYCLE_1)
	v_dual_mov_b32 v2, 0 :: v_dual_mov_b32 v3, s14
	s_waitcnt lgkmcnt(0)
	global_atomic_add_u32 v2, v2, v3, s[20:21] glc
.LBB191_3:
	s_or_b32 exec_lo, exec_lo, s13
	s_waitcnt vmcnt(0)
	v_readfirstlane_b32 s13, v2
	s_delay_alu instid0(VALU_DEP_1)
	v_dual_mov_b32 v2, 0 :: v_dual_add_nc_u32 v1, s13, v1
	ds_store_b32 v2, v1
.LBB191_4:
	s_or_b32 exec_lo, exec_lo, s12
	v_mov_b32_e32 v1, 0
	s_clause 0x1
	s_load_b128 s[12:15], s[0:1], 0x28
	s_load_b32 s0, s[0:1], 0x68
	s_waitcnt lgkmcnt(0)
	s_barrier
	buffer_gl0_inv
	ds_load_b32 v3, v1
	s_waitcnt lgkmcnt(0)
	s_barrier
	buffer_gl0_inv
	global_load_b64 v[1:2], v1, s[10:11]
	s_lshl_b64 s[20:21], s[6:7], 3
	s_mov_b32 s11, 0
	s_add_u32 s26, s4, s20
	s_addc_u32 s28, s5, s21
	v_lshlrev_b32_e32 v55, 3, v0
	v_lshrrev_b32_e32 v34, 2, v0
	v_or_b32_e32 v39, 0x200, v0
	v_or_b32_e32 v38, 0x400, v0
	;; [unrolled: 1-line block ×5, first 2 shown]
	s_add_i32 s4, s0, -1
	s_lshl_b32 s0, s0, 12
	s_lshl_b32 s1, s4, 12
	v_or_b32_e32 v33, 0xc00, v0
	v_readfirstlane_b32 s24, v3
	s_add_i32 s1, s6, s1
	v_or_b32_e32 v36, 0xe00, v0
	s_sub_i32 s25, s22, s1
	s_delay_alu instid0(VALU_DEP_2)
	s_lshl_b32 s10, s24, 12
	s_add_u32 s0, s6, s0
	s_addc_u32 s1, s7, 0
	s_cmp_eq_u32 s24, s4
	v_cmp_ge_u64_e64 s0, s[0:1], s[22:23]
	s_cselect_b32 s22, -1, 0
	s_lshl_b64 s[4:5], s[10:11], 3
	s_delay_alu instid0(VALU_DEP_1) | instskip(NEXT) | instid1(SALU_CYCLE_1)
	s_and_b32 s1, s0, s22
	s_xor_b32 s23, s1, -1
	s_add_u32 s27, s26, s4
	s_addc_u32 s26, s28, s5
	s_and_b32 vcc_lo, exec_lo, s23
	s_mov_b32 s28, -1
	s_waitcnt vmcnt(0)
	v_readfirstlane_b32 s10, v1
	v_readfirstlane_b32 s11, v2
	s_cbranch_vccz .LBB191_6
; %bb.5:
	v_add_co_u32 v1, s0, s27, v55
	s_delay_alu instid0(VALU_DEP_1) | instskip(SKIP_1) | instid1(VALU_DEP_3)
	v_add_co_ci_u32_e64 v2, null, s26, 0, s0
	v_lshrrev_b32_e32 v18, 2, v39
	v_add_co_u32 v3, vcc_lo, 0x1000, v1
	s_delay_alu instid0(VALU_DEP_3)
	v_add_co_ci_u32_e32 v4, vcc_lo, 0, v2, vcc_lo
	v_add_co_u32 v5, vcc_lo, 0x2000, v1
	v_add_co_ci_u32_e32 v6, vcc_lo, 0, v2, vcc_lo
	v_add_co_u32 v7, vcc_lo, 0x3000, v1
	;; [unrolled: 2-line block ×6, first 2 shown]
	v_add_co_ci_u32_e32 v16, vcc_lo, 0, v2, vcc_lo
	s_clause 0x7
	flat_load_b64 v[1:2], v[1:2]
	flat_load_b64 v[3:4], v[3:4]
	flat_load_b64 v[5:6], v[5:6]
	flat_load_b64 v[7:8], v[7:8]
	flat_load_b64 v[9:10], v[9:10]
	flat_load_b64 v[11:12], v[11:12]
	flat_load_b64 v[13:14], v[13:14]
	flat_load_b64 v[15:16], v[15:16]
	v_lshrrev_b32_e32 v19, 2, v38
	v_lshrrev_b32_e32 v20, 2, v40
	;; [unrolled: 1-line block ×3, first 2 shown]
	v_and_b32_e32 v17, 0x78, v34
	v_lshrrev_b32_e32 v22, 2, v35
	v_lshrrev_b32_e32 v23, 2, v33
	;; [unrolled: 1-line block ×3, first 2 shown]
	v_and_b32_e32 v18, 0xf8, v18
	v_and_b32_e32 v19, 0x178, v19
	;; [unrolled: 1-line block ×4, first 2 shown]
	v_add_nc_u32_e32 v17, v17, v55
	v_and_b32_e32 v22, 0x2f8, v22
	v_and_b32_e32 v23, 0x378, v23
	v_and_b32_e32 v24, 0x3f8, v24
	v_add_nc_u32_e32 v18, v18, v55
	v_add_nc_u32_e32 v19, v19, v55
	v_add_nc_u32_e32 v20, v20, v55
	v_add_nc_u32_e32 v21, v21, v55
	s_mov_b32 s28, 0
	v_add_nc_u32_e32 v22, v22, v55
	v_add_nc_u32_e32 v23, v23, v55
	v_add_nc_u32_e32 v24, v24, v55
	s_waitcnt vmcnt(7) lgkmcnt(7)
	ds_store_b64 v17, v[1:2]
	s_waitcnt vmcnt(6) lgkmcnt(7)
	ds_store_b64 v18, v[3:4] offset:4096
	s_waitcnt vmcnt(5) lgkmcnt(7)
	ds_store_b64 v19, v[5:6] offset:8192
	;; [unrolled: 2-line block ×7, first 2 shown]
	s_waitcnt lgkmcnt(0)
	s_barrier
.LBB191_6:
	v_cmp_gt_u32_e64 s0, s25, v0
	s_and_not1_b32 vcc_lo, exec_lo, s28
	s_cbranch_vccnz .LBB191_24
; %bb.7:
                                        ; implicit-def: $vgpr1_vgpr2_vgpr3_vgpr4_vgpr5_vgpr6_vgpr7_vgpr8_vgpr9_vgpr10_vgpr11_vgpr12_vgpr13_vgpr14_vgpr15_vgpr16
	s_delay_alu instid0(VALU_DEP_1)
	s_and_saveexec_b32 s28, s0
	s_cbranch_execz .LBB191_15
; %bb.8:
	v_add_co_u32 v1, s0, s27, v55
	s_delay_alu instid0(VALU_DEP_1) | instskip(SKIP_2) | instid1(SALU_CYCLE_1)
	v_add_co_ci_u32_e64 v2, null, s26, 0, s0
	flat_load_b64 v[1:2], v[1:2]
	s_or_b32 exec_lo, exec_lo, s28
	s_mov_b32 s0, exec_lo
	v_cmpx_gt_u32_e64 s25, v39
	s_cbranch_execnz .LBB191_16
.LBB191_9:
	s_or_b32 exec_lo, exec_lo, s0
	s_delay_alu instid0(SALU_CYCLE_1)
	s_mov_b32 s0, exec_lo
	v_cmpx_gt_u32_e64 s25, v38
	s_cbranch_execz .LBB191_17
.LBB191_10:
	v_lshlrev_b32_e32 v5, 3, v38
	s_delay_alu instid0(VALU_DEP_1) | instskip(NEXT) | instid1(VALU_DEP_1)
	v_add_co_u32 v5, s28, s27, v5
	v_add_co_ci_u32_e64 v6, null, s26, 0, s28
	flat_load_b64 v[5:6], v[5:6]
	s_or_b32 exec_lo, exec_lo, s0
	s_delay_alu instid0(SALU_CYCLE_1)
	s_mov_b32 s0, exec_lo
	v_cmpx_gt_u32_e64 s25, v40
	s_cbranch_execnz .LBB191_18
.LBB191_11:
	s_or_b32 exec_lo, exec_lo, s0
	s_delay_alu instid0(SALU_CYCLE_1)
	s_mov_b32 s0, exec_lo
	v_cmpx_gt_u32_e64 s25, v37
	s_cbranch_execz .LBB191_19
.LBB191_12:
	v_lshlrev_b32_e32 v9, 3, v37
	s_delay_alu instid0(VALU_DEP_1) | instskip(NEXT) | instid1(VALU_DEP_1)
	v_add_co_u32 v9, s28, s27, v9
	v_add_co_ci_u32_e64 v10, null, s26, 0, s28
	flat_load_b64 v[9:10], v[9:10]
	s_or_b32 exec_lo, exec_lo, s0
	s_delay_alu instid0(SALU_CYCLE_1)
	s_mov_b32 s0, exec_lo
	v_cmpx_gt_u32_e64 s25, v35
	s_cbranch_execnz .LBB191_20
.LBB191_13:
	s_or_b32 exec_lo, exec_lo, s0
	s_delay_alu instid0(SALU_CYCLE_1)
	s_mov_b32 s0, exec_lo
	v_cmpx_gt_u32_e64 s25, v33
	s_cbranch_execz .LBB191_21
.LBB191_14:
	v_lshlrev_b32_e32 v13, 3, v33
	s_delay_alu instid0(VALU_DEP_1) | instskip(NEXT) | instid1(VALU_DEP_1)
	v_add_co_u32 v13, s28, s27, v13
	v_add_co_ci_u32_e64 v14, null, s26, 0, s28
	flat_load_b64 v[13:14], v[13:14]
	s_or_b32 exec_lo, exec_lo, s0
	s_delay_alu instid0(SALU_CYCLE_1)
	s_mov_b32 s0, exec_lo
	v_cmpx_gt_u32_e64 s25, v36
	s_cbranch_execnz .LBB191_22
	s_branch .LBB191_23
.LBB191_15:
	s_or_b32 exec_lo, exec_lo, s28
	s_delay_alu instid0(SALU_CYCLE_1)
	s_mov_b32 s0, exec_lo
	v_cmpx_gt_u32_e64 s25, v39
	s_cbranch_execz .LBB191_9
.LBB191_16:
	v_lshlrev_b32_e32 v3, 3, v39
	s_delay_alu instid0(VALU_DEP_1) | instskip(NEXT) | instid1(VALU_DEP_1)
	v_add_co_u32 v3, s28, s27, v3
	v_add_co_ci_u32_e64 v4, null, s26, 0, s28
	flat_load_b64 v[3:4], v[3:4]
	s_or_b32 exec_lo, exec_lo, s0
	s_delay_alu instid0(SALU_CYCLE_1)
	s_mov_b32 s0, exec_lo
	v_cmpx_gt_u32_e64 s25, v38
	s_cbranch_execnz .LBB191_10
.LBB191_17:
	s_or_b32 exec_lo, exec_lo, s0
	s_delay_alu instid0(SALU_CYCLE_1)
	s_mov_b32 s0, exec_lo
	v_cmpx_gt_u32_e64 s25, v40
	s_cbranch_execz .LBB191_11
.LBB191_18:
	v_lshlrev_b32_e32 v7, 3, v40
	s_delay_alu instid0(VALU_DEP_1) | instskip(NEXT) | instid1(VALU_DEP_1)
	v_add_co_u32 v7, s28, s27, v7
	v_add_co_ci_u32_e64 v8, null, s26, 0, s28
	flat_load_b64 v[7:8], v[7:8]
	s_or_b32 exec_lo, exec_lo, s0
	s_delay_alu instid0(SALU_CYCLE_1)
	s_mov_b32 s0, exec_lo
	v_cmpx_gt_u32_e64 s25, v37
	s_cbranch_execnz .LBB191_12
.LBB191_19:
	s_or_b32 exec_lo, exec_lo, s0
	s_delay_alu instid0(SALU_CYCLE_1)
	s_mov_b32 s0, exec_lo
	v_cmpx_gt_u32_e64 s25, v35
	s_cbranch_execz .LBB191_13
.LBB191_20:
	v_lshlrev_b32_e32 v11, 3, v35
	s_delay_alu instid0(VALU_DEP_1) | instskip(NEXT) | instid1(VALU_DEP_1)
	v_add_co_u32 v11, s28, s27, v11
	v_add_co_ci_u32_e64 v12, null, s26, 0, s28
	flat_load_b64 v[11:12], v[11:12]
	s_or_b32 exec_lo, exec_lo, s0
	s_delay_alu instid0(SALU_CYCLE_1)
	s_mov_b32 s0, exec_lo
	v_cmpx_gt_u32_e64 s25, v33
	s_cbranch_execnz .LBB191_14
.LBB191_21:
	s_or_b32 exec_lo, exec_lo, s0
	s_delay_alu instid0(SALU_CYCLE_1)
	s_mov_b32 s0, exec_lo
	v_cmpx_gt_u32_e64 s25, v36
	s_cbranch_execz .LBB191_23
.LBB191_22:
	v_lshlrev_b32_e32 v15, 3, v36
	s_delay_alu instid0(VALU_DEP_1) | instskip(NEXT) | instid1(VALU_DEP_1)
	v_add_co_u32 v15, s28, s27, v15
	v_add_co_ci_u32_e64 v16, null, s26, 0, s28
	flat_load_b64 v[15:16], v[15:16]
.LBB191_23:
	s_or_b32 exec_lo, exec_lo, s0
	v_lshrrev_b32_e32 v17, 2, v39
	v_lshrrev_b32_e32 v18, 2, v38
	;; [unrolled: 1-line block ×4, first 2 shown]
	v_and_b32_e32 v19, 0x78, v34
	v_lshrrev_b32_e32 v22, 2, v35
	v_lshrrev_b32_e32 v23, 2, v33
	;; [unrolled: 1-line block ×3, first 2 shown]
	v_and_b32_e32 v17, 0xf8, v17
	v_and_b32_e32 v18, 0x1f8, v18
	;; [unrolled: 1-line block ×4, first 2 shown]
	v_add_nc_u32_e32 v19, v19, v55
	v_and_b32_e32 v22, 0x3f8, v22
	v_and_b32_e32 v23, 0x3f8, v23
	;; [unrolled: 1-line block ×3, first 2 shown]
	v_add_nc_u32_e32 v17, v17, v55
	v_add_nc_u32_e32 v18, v18, v55
	;; [unrolled: 1-line block ×7, first 2 shown]
	s_waitcnt vmcnt(0) lgkmcnt(0)
	ds_store_b64 v19, v[1:2]
	ds_store_b64 v17, v[3:4] offset:4096
	ds_store_b64 v18, v[5:6] offset:8192
	;; [unrolled: 1-line block ×7, first 2 shown]
	s_waitcnt lgkmcnt(0)
	s_barrier
.LBB191_24:
	v_add_lshl_u32 v41, v34, v55, 3
	buffer_gl0_inv
	s_add_u32 s0, s18, s20
	s_addc_u32 s18, s19, s21
	s_add_u32 s0, s0, s4
	ds_load_2addr_b64 v[29:32], v41 offset1:1
	ds_load_2addr_b64 v[25:28], v41 offset0:2 offset1:3
	ds_load_2addr_b64 v[21:24], v41 offset0:4 offset1:5
	;; [unrolled: 1-line block ×3, first 2 shown]
	s_addc_u32 s4, s18, s5
	s_and_b32 vcc_lo, exec_lo, s23
	s_mov_b32 s5, -1
	s_waitcnt lgkmcnt(0)
	s_barrier
	buffer_gl0_inv
	s_cbranch_vccz .LBB191_26
; %bb.25:
	v_add_co_u32 v1, s5, s0, v55
	s_delay_alu instid0(VALU_DEP_1) | instskip(SKIP_1) | instid1(VALU_DEP_3)
	v_add_co_ci_u32_e64 v2, null, s4, 0, s5
	v_lshrrev_b32_e32 v43, 2, v39
	v_add_co_u32 v3, vcc_lo, 0x1000, v1
	s_delay_alu instid0(VALU_DEP_3)
	v_add_co_ci_u32_e32 v4, vcc_lo, 0, v2, vcc_lo
	v_add_co_u32 v5, vcc_lo, 0x2000, v1
	v_add_co_ci_u32_e32 v6, vcc_lo, 0, v2, vcc_lo
	v_add_co_u32 v7, vcc_lo, 0x3000, v1
	;; [unrolled: 2-line block ×6, first 2 shown]
	v_add_co_ci_u32_e32 v16, vcc_lo, 0, v2, vcc_lo
	s_clause 0x7
	flat_load_b64 v[1:2], v[1:2]
	flat_load_b64 v[3:4], v[3:4]
	flat_load_b64 v[5:6], v[5:6]
	flat_load_b64 v[7:8], v[7:8]
	flat_load_b64 v[9:10], v[9:10]
	flat_load_b64 v[11:12], v[11:12]
	flat_load_b64 v[13:14], v[13:14]
	flat_load_b64 v[15:16], v[15:16]
	v_lshrrev_b32_e32 v44, 2, v38
	v_lshrrev_b32_e32 v45, 2, v40
	;; [unrolled: 1-line block ×3, first 2 shown]
	v_and_b32_e32 v42, 0x78, v34
	v_lshrrev_b32_e32 v47, 2, v35
	v_lshrrev_b32_e32 v48, 2, v33
	;; [unrolled: 1-line block ×3, first 2 shown]
	v_and_b32_e32 v43, 0xf8, v43
	v_and_b32_e32 v44, 0x178, v44
	;; [unrolled: 1-line block ×4, first 2 shown]
	v_add_nc_u32_e32 v42, v42, v55
	v_and_b32_e32 v47, 0x2f8, v47
	v_and_b32_e32 v48, 0x378, v48
	;; [unrolled: 1-line block ×3, first 2 shown]
	v_add_nc_u32_e32 v43, v43, v55
	v_add_nc_u32_e32 v44, v44, v55
	;; [unrolled: 1-line block ×4, first 2 shown]
	s_mov_b32 s5, 0
	v_add_nc_u32_e32 v47, v47, v55
	v_add_nc_u32_e32 v48, v48, v55
	v_add_nc_u32_e32 v49, v49, v55
	s_waitcnt vmcnt(7) lgkmcnt(7)
	ds_store_b64 v42, v[1:2]
	s_waitcnt vmcnt(6) lgkmcnt(7)
	ds_store_b64 v43, v[3:4] offset:4096
	s_waitcnt vmcnt(5) lgkmcnt(7)
	ds_store_b64 v44, v[5:6] offset:8192
	;; [unrolled: 2-line block ×7, first 2 shown]
	s_waitcnt lgkmcnt(0)
	s_barrier
.LBB191_26:
	s_and_not1_b32 vcc_lo, exec_lo, s5
	s_cbranch_vccnz .LBB191_44
; %bb.27:
	s_mov_b32 s5, exec_lo
                                        ; implicit-def: $vgpr1_vgpr2
	v_cmpx_gt_u32_e64 s25, v0
	s_cbranch_execz .LBB191_29
; %bb.28:
	v_add_co_u32 v1, s18, s0, v55
	s_delay_alu instid0(VALU_DEP_1)
	v_add_co_ci_u32_e64 v2, null, s4, 0, s18
	flat_load_b64 v[1:2], v[1:2]
.LBB191_29:
	s_or_b32 exec_lo, exec_lo, s5
	s_delay_alu instid0(SALU_CYCLE_1)
	s_mov_b32 s5, exec_lo
                                        ; implicit-def: $vgpr3_vgpr4
	v_cmpx_gt_u32_e64 s25, v39
	s_cbranch_execz .LBB191_31
; %bb.30:
	v_lshlrev_b32_e32 v3, 3, v39
	s_delay_alu instid0(VALU_DEP_1) | instskip(NEXT) | instid1(VALU_DEP_1)
	v_add_co_u32 v3, s18, s0, v3
	v_add_co_ci_u32_e64 v4, null, s4, 0, s18
	flat_load_b64 v[3:4], v[3:4]
.LBB191_31:
	s_or_b32 exec_lo, exec_lo, s5
	s_delay_alu instid0(SALU_CYCLE_1)
	s_mov_b32 s5, exec_lo
                                        ; implicit-def: $vgpr5_vgpr6
	v_cmpx_gt_u32_e64 s25, v38
	s_cbranch_execz .LBB191_33
; %bb.32:
	v_lshlrev_b32_e32 v5, 3, v38
	s_delay_alu instid0(VALU_DEP_1) | instskip(NEXT) | instid1(VALU_DEP_1)
	v_add_co_u32 v5, s18, s0, v5
	v_add_co_ci_u32_e64 v6, null, s4, 0, s18
	flat_load_b64 v[5:6], v[5:6]
.LBB191_33:
	s_or_b32 exec_lo, exec_lo, s5
	s_delay_alu instid0(SALU_CYCLE_1)
	s_mov_b32 s5, exec_lo
                                        ; implicit-def: $vgpr7_vgpr8
	v_cmpx_gt_u32_e64 s25, v40
	s_cbranch_execz .LBB191_35
; %bb.34:
	v_lshlrev_b32_e32 v7, 3, v40
	s_delay_alu instid0(VALU_DEP_1) | instskip(NEXT) | instid1(VALU_DEP_1)
	v_add_co_u32 v7, s18, s0, v7
	v_add_co_ci_u32_e64 v8, null, s4, 0, s18
	flat_load_b64 v[7:8], v[7:8]
.LBB191_35:
	s_or_b32 exec_lo, exec_lo, s5
	s_delay_alu instid0(SALU_CYCLE_1)
	s_mov_b32 s5, exec_lo
                                        ; implicit-def: $vgpr9_vgpr10
	v_cmpx_gt_u32_e64 s25, v37
	s_cbranch_execz .LBB191_37
; %bb.36:
	v_lshlrev_b32_e32 v9, 3, v37
	s_delay_alu instid0(VALU_DEP_1) | instskip(NEXT) | instid1(VALU_DEP_1)
	v_add_co_u32 v9, s18, s0, v9
	v_add_co_ci_u32_e64 v10, null, s4, 0, s18
	flat_load_b64 v[9:10], v[9:10]
.LBB191_37:
	s_or_b32 exec_lo, exec_lo, s5
	s_delay_alu instid0(SALU_CYCLE_1)
	s_mov_b32 s5, exec_lo
                                        ; implicit-def: $vgpr11_vgpr12
	v_cmpx_gt_u32_e64 s25, v35
	s_cbranch_execz .LBB191_39
; %bb.38:
	v_lshlrev_b32_e32 v11, 3, v35
	s_delay_alu instid0(VALU_DEP_1) | instskip(NEXT) | instid1(VALU_DEP_1)
	v_add_co_u32 v11, s18, s0, v11
	v_add_co_ci_u32_e64 v12, null, s4, 0, s18
	flat_load_b64 v[11:12], v[11:12]
.LBB191_39:
	s_or_b32 exec_lo, exec_lo, s5
	s_delay_alu instid0(SALU_CYCLE_1)
	s_mov_b32 s5, exec_lo
                                        ; implicit-def: $vgpr13_vgpr14
	v_cmpx_gt_u32_e64 s25, v33
	s_cbranch_execz .LBB191_41
; %bb.40:
	v_lshlrev_b32_e32 v13, 3, v33
	s_delay_alu instid0(VALU_DEP_1) | instskip(NEXT) | instid1(VALU_DEP_1)
	v_add_co_u32 v13, s18, s0, v13
	v_add_co_ci_u32_e64 v14, null, s4, 0, s18
	flat_load_b64 v[13:14], v[13:14]
.LBB191_41:
	s_or_b32 exec_lo, exec_lo, s5
	s_delay_alu instid0(SALU_CYCLE_1)
	s_mov_b32 s5, exec_lo
                                        ; implicit-def: $vgpr15_vgpr16
	v_cmpx_gt_u32_e64 s25, v36
	s_cbranch_execz .LBB191_43
; %bb.42:
	v_lshlrev_b32_e32 v15, 3, v36
	s_delay_alu instid0(VALU_DEP_1) | instskip(NEXT) | instid1(VALU_DEP_1)
	v_add_co_u32 v15, s0, s0, v15
	v_add_co_ci_u32_e64 v16, null, s4, 0, s0
	flat_load_b64 v[15:16], v[15:16]
.LBB191_43:
	s_or_b32 exec_lo, exec_lo, s5
	v_lshrrev_b32_e32 v39, 2, v39
	v_lshrrev_b32_e32 v38, 2, v38
	;; [unrolled: 1-line block ×4, first 2 shown]
	v_and_b32_e32 v34, 0x78, v34
	v_lshrrev_b32_e32 v35, 2, v35
	v_lshrrev_b32_e32 v33, 2, v33
	;; [unrolled: 1-line block ×3, first 2 shown]
	v_and_b32_e32 v39, 0xf8, v39
	v_and_b32_e32 v38, 0x1f8, v38
	;; [unrolled: 1-line block ×4, first 2 shown]
	v_add_nc_u32_e32 v34, v34, v55
	v_and_b32_e32 v35, 0x3f8, v35
	v_and_b32_e32 v33, 0x3f8, v33
	v_and_b32_e32 v36, 0x3f8, v36
	v_add_nc_u32_e32 v39, v39, v55
	v_add_nc_u32_e32 v38, v38, v55
	;; [unrolled: 1-line block ×7, first 2 shown]
	s_waitcnt vmcnt(0) lgkmcnt(0)
	ds_store_b64 v34, v[1:2]
	ds_store_b64 v39, v[3:4] offset:4096
	ds_store_b64 v38, v[5:6] offset:8192
	;; [unrolled: 1-line block ×7, first 2 shown]
	s_waitcnt lgkmcnt(0)
	s_barrier
.LBB191_44:
	buffer_gl0_inv
	ds_load_2addr_b64 v[13:16], v41 offset1:1
	ds_load_2addr_b64 v[9:12], v41 offset0:2 offset1:3
	ds_load_2addr_b64 v[5:8], v41 offset0:4 offset1:5
	;; [unrolled: 1-line block ×3, first 2 shown]
	s_cmp_lg_u32 s24, 0
	s_waitcnt lgkmcnt(0)
	s_cselect_b32 s18, -1, 0
	s_cmp_lg_u64 s[6:7], 0
	s_barrier
	s_cselect_b32 s0, -1, 0
	buffer_gl0_inv
	s_or_b32 s0, s0, s18
	s_delay_alu instid0(SALU_CYCLE_1)
	s_and_b32 vcc_lo, exec_lo, s0
	s_mov_b32 s0, 0
	s_cbranch_vccz .LBB191_49
; %bb.45:
	v_add_co_u32 v33, s0, -8, s27
	s_delay_alu instid0(VALU_DEP_1)
	v_add_co_ci_u32_e64 v34, null, -1, s26, s0
	s_mov_b32 s0, -1
	s_and_b32 vcc_lo, exec_lo, s23
	flat_load_b64 v[35:36], v[33:34]
	ds_store_b64 v55, v[19:20]
	s_cbranch_vccz .LBB191_50
; %bb.46:
	s_waitcnt vmcnt(0) lgkmcnt(1)
	v_dual_mov_b32 v33, v35 :: v_dual_mov_b32 v34, v36
	s_waitcnt lgkmcnt(0)
	s_barrier
	buffer_gl0_inv
	s_and_saveexec_b32 s0, s3
	s_cbranch_execz .LBB191_48
; %bb.47:
	v_add_nc_u32_e32 v33, -8, v55
	ds_load_b64 v[33:34], v33
.LBB191_48:
	s_or_b32 exec_lo, exec_lo, s0
	s_waitcnt lgkmcnt(0)
	v_mul_hi_i32 v34, 0x66666667, v17
	v_mul_hi_i32 v36, 0x66666667, v19
	;; [unrolled: 1-line block ×6, first 2 shown]
	v_lshrrev_b32_e32 v40, 31, v34
	v_ashrrev_i32_e32 v34, 2, v34
	v_lshrrev_b32_e32 v41, 31, v36
	v_ashrrev_i32_e32 v36, 2, v36
	;; [unrolled: 2-line block ×3, first 2 shown]
	v_add_nc_u32_e32 v34, v34, v40
	v_lshrrev_b32_e32 v43, 31, v38
	v_add_nc_u32_e32 v36, v36, v41
	v_ashrrev_i32_e32 v38, 2, v38
	v_add_nc_u32_e32 v37, v37, v42
	v_mul_hi_i32 v41, 0x66666667, v25
	v_lshrrev_b32_e32 v40, 31, v39
	v_cmp_ne_u32_e32 vcc_lo, v34, v36
	v_add_nc_u32_e32 v38, v38, v43
	v_ashrrev_i32_e32 v39, 2, v39
	v_mul_hi_i32 v42, 0x66666667, v31
	v_mul_hi_i32 v43, 0x66666667, v29
	v_cndmask_b32_e64 v36, 0, 1, vcc_lo
	v_cmp_ne_u32_e32 vcc_lo, v37, v34
	v_add_nc_u32_e32 v39, v39, v40
	v_lshrrev_b32_e32 v40, 31, v41
	v_ashrrev_i32_e32 v41, 2, v41
	v_lshlrev_b16 v36, 8, v36
	v_cndmask_b32_e64 v34, 0, 1, vcc_lo
	v_cmp_ne_u32_e32 vcc_lo, v38, v37
	v_lshrrev_b32_e32 v44, 31, v42
	v_ashrrev_i32_e32 v42, 2, v42
	v_add_nc_u32_e32 v40, v41, v40
	v_lshrrev_b32_e32 v45, 31, v43
	v_cndmask_b32_e64 v37, 0, 1, vcc_lo
	v_cmp_ne_u32_e32 vcc_lo, v39, v38
	v_ashrrev_i32_e32 v43, 2, v43
	v_add_nc_u32_e32 v41, v42, v44
	v_or_b32_e32 v34, v34, v36
	v_lshlrev_b16 v37, 8, v37
	v_cndmask_b32_e64 v38, 0, 1, vcc_lo
	v_cmp_ne_u32_e32 vcc_lo, v40, v39
	v_add_nc_u32_e32 v42, v43, v45
	v_lshrrev_b32_e32 v43, 31, v33
	v_ashrrev_i32_e32 v33, 2, v33
	v_or_b32_e32 v37, v38, v37
	v_cndmask_b32_e64 v39, 0, 1, vcc_lo
	v_cmp_ne_u32_e32 vcc_lo, v41, v40
	v_lshlrev_b32_e32 v34, 16, v34
	v_add_nc_u32_e32 v33, v33, v43
	v_and_b32_e32 v37, 0xffff, v37
	v_lshlrev_b16 v39, 8, v39
	v_cndmask_b32_e64 v40, 0, 1, vcc_lo
	v_cmp_ne_u32_e32 vcc_lo, v42, v41
	v_cmp_ne_u32_e64 s4, v33, v42
	v_or_b32_e32 v34, v37, v34
	s_delay_alu instid0(VALU_DEP_4) | instskip(SKIP_1) | instid1(VALU_DEP_2)
	v_or_b32_e32 v39, v40, v39
	v_cndmask_b32_e64 v41, 0, 1, vcc_lo
	v_lshlrev_b32_e32 v36, 16, v39
	s_delay_alu instid0(VALU_DEP_2) | instskip(NEXT) | instid1(VALU_DEP_1)
	v_lshlrev_b16 v40, 8, v41
	v_and_b32_e32 v38, 0xffff, v40
	s_delay_alu instid0(VALU_DEP_1)
	v_or_b32_e32 v33, v38, v36
	s_branch .LBB191_70
.LBB191_49:
                                        ; implicit-def: $sgpr4
                                        ; implicit-def: $vgpr34
	s_branch .LBB191_71
.LBB191_50:
                                        ; implicit-def: $sgpr4
                                        ; implicit-def: $vgpr34
	s_and_b32 vcc_lo, exec_lo, s0
	s_cbranch_vccz .LBB191_70
; %bb.51:
	v_or_b32_e32 v33, 7, v55
	s_mov_b32 s0, 0
	s_mov_b32 s4, 0
	s_mov_b32 s5, exec_lo
	s_delay_alu instid0(VALU_DEP_1)
	v_cmpx_gt_u32_e64 s25, v33
	s_cbranch_execz .LBB191_53
; %bb.52:
	v_mul_hi_i32 v33, 0x66666667, v17
	v_mul_hi_i32 v34, 0x66666667, v19
	s_waitcnt vmcnt(0) lgkmcnt(1)
	s_delay_alu instid0(VALU_DEP_2) | instskip(SKIP_1) | instid1(VALU_DEP_3)
	v_lshrrev_b32_e32 v36, 31, v33
	v_ashrrev_i32_e32 v33, 2, v33
	v_lshrrev_b32_e32 v37, 31, v34
	v_ashrrev_i32_e32 v34, 2, v34
	s_delay_alu instid0(VALU_DEP_3) | instskip(NEXT) | instid1(VALU_DEP_2)
	v_add_nc_u32_e32 v33, v33, v36
	v_add_nc_u32_e32 v34, v34, v37
	s_delay_alu instid0(VALU_DEP_1)
	v_cmp_ne_u32_e32 vcc_lo, v33, v34
	s_and_b32 s4, vcc_lo, exec_lo
.LBB191_53:
	s_or_b32 exec_lo, exec_lo, s5
	v_or_b32_e32 v33, 6, v55
	s_mov_b32 s5, exec_lo
	s_delay_alu instid0(VALU_DEP_1)
	v_cmpx_gt_u32_e64 s25, v33
	s_cbranch_execz .LBB191_55
; %bb.54:
	v_mul_hi_i32 v33, 0x66666667, v23
	v_mul_hi_i32 v34, 0x66666667, v17
	s_waitcnt vmcnt(0) lgkmcnt(1)
	s_delay_alu instid0(VALU_DEP_2) | instskip(SKIP_1) | instid1(VALU_DEP_3)
	v_lshrrev_b32_e32 v36, 31, v33
	v_ashrrev_i32_e32 v33, 2, v33
	v_lshrrev_b32_e32 v37, 31, v34
	v_ashrrev_i32_e32 v34, 2, v34
	s_delay_alu instid0(VALU_DEP_3) | instskip(NEXT) | instid1(VALU_DEP_2)
	v_add_nc_u32_e32 v33, v33, v36
	v_add_nc_u32_e32 v34, v34, v37
	s_delay_alu instid0(VALU_DEP_1)
	v_cmp_ne_u32_e32 vcc_lo, v33, v34
	s_and_b32 s0, vcc_lo, exec_lo
.LBB191_55:
	s_or_b32 exec_lo, exec_lo, s5
	v_or_b32_e32 v33, 5, v55
	s_mov_b32 s6, 0
	s_mov_b32 s5, 0
	s_mov_b32 s7, exec_lo
	s_delay_alu instid0(VALU_DEP_1)
	v_cmpx_gt_u32_e64 s25, v33
	s_cbranch_execz .LBB191_57
; %bb.56:
	v_mul_hi_i32 v33, 0x66666667, v21
	v_mul_hi_i32 v34, 0x66666667, v23
	s_waitcnt vmcnt(0) lgkmcnt(1)
	s_delay_alu instid0(VALU_DEP_2) | instskip(SKIP_1) | instid1(VALU_DEP_3)
	v_lshrrev_b32_e32 v36, 31, v33
	v_ashrrev_i32_e32 v33, 2, v33
	v_lshrrev_b32_e32 v37, 31, v34
	v_ashrrev_i32_e32 v34, 2, v34
	s_delay_alu instid0(VALU_DEP_3) | instskip(NEXT) | instid1(VALU_DEP_2)
	v_add_nc_u32_e32 v33, v33, v36
	v_add_nc_u32_e32 v34, v34, v37
	s_delay_alu instid0(VALU_DEP_1)
	v_cmp_ne_u32_e32 vcc_lo, v33, v34
	s_and_b32 s5, vcc_lo, exec_lo
.LBB191_57:
	s_or_b32 exec_lo, exec_lo, s7
	v_or_b32_e32 v33, 4, v55
	s_mov_b32 s7, exec_lo
	s_delay_alu instid0(VALU_DEP_1)
	v_cmpx_gt_u32_e64 s25, v33
	s_cbranch_execz .LBB191_59
; %bb.58:
	v_mul_hi_i32 v33, 0x66666667, v27
	v_mul_hi_i32 v34, 0x66666667, v21
	s_waitcnt vmcnt(0) lgkmcnt(1)
	s_delay_alu instid0(VALU_DEP_2) | instskip(SKIP_1) | instid1(VALU_DEP_3)
	v_lshrrev_b32_e32 v36, 31, v33
	v_ashrrev_i32_e32 v33, 2, v33
	v_lshrrev_b32_e32 v37, 31, v34
	v_ashrrev_i32_e32 v34, 2, v34
	s_delay_alu instid0(VALU_DEP_3) | instskip(NEXT) | instid1(VALU_DEP_2)
	v_add_nc_u32_e32 v33, v33, v36
	v_add_nc_u32_e32 v34, v34, v37
	s_delay_alu instid0(VALU_DEP_1)
	v_cmp_ne_u32_e32 vcc_lo, v33, v34
	s_and_b32 s6, vcc_lo, exec_lo
.LBB191_59:
	s_or_b32 exec_lo, exec_lo, s7
	;; [unrolled: 46-line block ×3, first 2 shown]
	v_or_b32_e32 v33, 1, v55
	s_mov_b32 s20, 0
	s_mov_b32 s21, exec_lo
	s_delay_alu instid0(VALU_DEP_1)
	v_cmpx_gt_u32_e64 s25, v33
	s_cbranch_execz .LBB191_65
; %bb.64:
	v_mul_hi_i32 v33, 0x66666667, v29
	v_mul_hi_i32 v34, 0x66666667, v31
	s_waitcnt vmcnt(0) lgkmcnt(1)
	s_delay_alu instid0(VALU_DEP_2) | instskip(SKIP_1) | instid1(VALU_DEP_3)
	v_lshrrev_b32_e32 v36, 31, v33
	v_ashrrev_i32_e32 v33, 2, v33
	v_lshrrev_b32_e32 v37, 31, v34
	v_ashrrev_i32_e32 v34, 2, v34
	s_delay_alu instid0(VALU_DEP_3) | instskip(NEXT) | instid1(VALU_DEP_2)
	v_add_nc_u32_e32 v33, v33, v36
	v_add_nc_u32_e32 v34, v34, v37
	s_delay_alu instid0(VALU_DEP_1)
	v_cmp_ne_u32_e32 vcc_lo, v33, v34
	s_and_b32 s20, vcc_lo, exec_lo
.LBB191_65:
	s_or_b32 exec_lo, exec_lo, s21
	s_waitcnt vmcnt(0) lgkmcnt(0)
	s_barrier
	buffer_gl0_inv
	s_and_saveexec_b32 s21, s3
	s_cbranch_execz .LBB191_67
; %bb.66:
	v_add_nc_u32_e32 v33, -8, v55
	ds_load_b64 v[35:36], v33
.LBB191_67:
	s_or_b32 exec_lo, exec_lo, s21
	v_cndmask_b32_e64 v34, 0, 1, s7
	v_cndmask_b32_e64 v37, 0, 1, s5
	v_cndmask_b32_e64 v38, 0, 1, s4
	v_cndmask_b32_e64 v33, 0, 1, s19
	s_waitcnt lgkmcnt(0)
	v_cndmask_b32_e64 v36, 0, 1, s6
	v_cndmask_b32_e64 v39, 0, 1, s0
	;; [unrolled: 1-line block ×3, first 2 shown]
	v_lshlrev_b16 v34, 8, v34
	v_lshlrev_b16 v37, 8, v37
	;; [unrolled: 1-line block ×3, first 2 shown]
	s_mov_b32 s4, 0
	v_lshlrev_b16 v40, 8, v40
	v_or_b32_e32 v34, v33, v34
	v_or_b32_e32 v36, v36, v37
	;; [unrolled: 1-line block ×3, first 2 shown]
	s_mov_b32 s0, exec_lo
	v_and_b32_e32 v33, 0xffff, v40
	v_lshlrev_b32_e32 v34, 16, v34
	v_and_b32_e32 v36, 0xffff, v36
	v_lshlrev_b32_e32 v37, 16, v37
	v_cmpx_gt_u32_e64 s25, v55
; %bb.68:
	v_mul_hi_i32 v35, 0x66666667, v35
	v_mul_hi_i32 v38, 0x66666667, v29
	s_delay_alu instid0(VALU_DEP_2) | instskip(SKIP_1) | instid1(VALU_DEP_3)
	v_lshrrev_b32_e32 v39, 31, v35
	v_ashrrev_i32_e32 v35, 2, v35
	v_lshrrev_b32_e32 v40, 31, v38
	v_ashrrev_i32_e32 v38, 2, v38
	s_delay_alu instid0(VALU_DEP_3) | instskip(NEXT) | instid1(VALU_DEP_2)
	v_add_nc_u32_e32 v35, v35, v39
	v_add_nc_u32_e32 v38, v38, v40
	s_delay_alu instid0(VALU_DEP_1)
	v_cmp_ne_u32_e32 vcc_lo, v35, v38
	s_and_b32 s4, vcc_lo, exec_lo
; %bb.69:
	s_or_b32 exec_lo, exec_lo, s0
	v_or_b32_e32 v33, v33, v34
	v_or_b32_e32 v34, v36, v37
.LBB191_70:
	s_mov_b32 s0, -1
	s_cbranch_execnz .LBB191_95
.LBB191_71:
	v_mul_hi_i32 v40, 0x66666667, v17
	v_mul_hi_i32 v39, 0x66666667, v23
	;; [unrolled: 1-line block ×4, first 2 shown]
	s_waitcnt vmcnt(0) lgkmcnt(1)
	v_mul_hi_i32 v36, 0x66666667, v25
	v_mul_hi_i32 v35, 0x66666667, v31
	s_and_b32 vcc_lo, exec_lo, s23
	ds_store_b64 v55, v[19:20]
	s_cbranch_vccz .LBB191_75
; %bb.72:
	v_mul_hi_i32 v33, 0x66666667, v19
	v_lshrrev_b32_e32 v34, 31, v40
	v_ashrrev_i32_e32 v41, 2, v40
	v_lshrrev_b32_e32 v42, 31, v39
	v_ashrrev_i32_e32 v43, 2, v39
	;; [unrolled: 2-line block ×3, first 2 shown]
	v_add_nc_u32_e32 v34, v41, v34
	v_lshrrev_b32_e32 v45, 31, v33
	v_ashrrev_i32_e32 v33, 2, v33
	v_add_nc_u32_e32 v41, v43, v42
	v_lshrrev_b32_e32 v42, 31, v37
	v_ashrrev_i32_e32 v43, 2, v37
	v_ashrrev_i32_e32 v48, 2, v35
	v_add_nc_u32_e32 v33, v33, v45
	v_cmp_ne_u32_e32 vcc_lo, v41, v34
	v_mul_hi_i32 v45, 0x66666667, v29
	v_add_nc_u32_e32 v42, v43, v42
	v_lshrrev_b32_e32 v43, 31, v36
	s_waitcnt lgkmcnt(0)
	v_cndmask_b32_e64 v47, 0, 1, vcc_lo
	v_cmp_ne_u32_e32 vcc_lo, v34, v33
	v_add_nc_u32_e32 v34, v46, v44
	v_ashrrev_i32_e32 v44, 2, v36
	v_lshrrev_b32_e32 v46, 31, v35
	v_lshrrev_b32_e32 v49, 31, v45
	v_cndmask_b32_e64 v33, 0, 1, vcc_lo
	v_cmp_ne_u32_e32 vcc_lo, v34, v41
	v_ashrrev_i32_e32 v45, 2, v45
	v_add_nc_u32_e32 v43, v44, v43
	v_add_nc_u32_e32 v44, v48, v46
	v_lshlrev_b16 v33, 8, v33
	v_cndmask_b32_e64 v50, 0, 1, vcc_lo
	v_cmp_ne_u32_e32 vcc_lo, v42, v34
	v_add_nc_u32_e32 v41, v45, v49
	s_barrier
	v_or_b32_e32 v33, v47, v33
	buffer_gl0_inv
	v_cndmask_b32_e64 v34, 0, 1, vcc_lo
	v_cmp_ne_u32_e32 vcc_lo, v43, v42
                                        ; implicit-def: $sgpr4
	v_lshlrev_b32_e32 v33, 16, v33
	v_cndmask_b32_e64 v42, 0, 1, vcc_lo
	v_cmp_ne_u32_e32 vcc_lo, v41, v44
	s_delay_alu instid0(VALU_DEP_2) | instskip(SKIP_3) | instid1(VALU_DEP_3)
	v_lshlrev_b16 v42, 8, v42
	v_cndmask_b32_e64 v45, 0, 1, vcc_lo
	v_cmp_ne_u32_e32 vcc_lo, v44, v43
	v_lshlrev_b16 v44, 8, v50
	v_lshlrev_b16 v45, 8, v45
	v_cndmask_b32_e64 v43, 0, 1, vcc_lo
	s_delay_alu instid0(VALU_DEP_3) | instskip(NEXT) | instid1(VALU_DEP_2)
	v_or_b32_e32 v34, v34, v44
	v_or_b32_e32 v42, v43, v42
	s_delay_alu instid0(VALU_DEP_4) | instskip(NEXT) | instid1(VALU_DEP_3)
	v_or_b32_e32 v43, 1, v45
	v_and_b32_e32 v34, 0xffff, v34
	s_delay_alu instid0(VALU_DEP_3) | instskip(NEXT) | instid1(VALU_DEP_3)
	v_lshlrev_b32_e32 v42, 16, v42
	v_and_b32_e32 v43, 0xffff, v43
	s_delay_alu instid0(VALU_DEP_3) | instskip(NEXT) | instid1(VALU_DEP_2)
	v_or_b32_e32 v34, v34, v33
	v_or_b32_e32 v33, v43, v42
	s_and_saveexec_b32 s5, s3
	s_delay_alu instid0(SALU_CYCLE_1)
	s_xor_b32 s5, exec_lo, s5
	s_cbranch_execz .LBB191_74
; %bb.73:
	v_add_nc_u32_e32 v42, -8, v55
	s_or_b32 s0, s0, exec_lo
	ds_load_b32 v42, v42
	s_waitcnt lgkmcnt(0)
	v_mul_hi_i32 v42, 0x66666667, v42
	s_delay_alu instid0(VALU_DEP_1) | instskip(SKIP_1) | instid1(VALU_DEP_1)
	v_lshrrev_b32_e32 v43, 31, v42
	v_ashrrev_i32_e32 v42, 2, v42
	v_add_nc_u32_e32 v42, v42, v43
	s_delay_alu instid0(VALU_DEP_1)
	v_cmp_ne_u32_e32 vcc_lo, v42, v41
	s_and_b32 s4, vcc_lo, exec_lo
.LBB191_74:
	s_or_b32 exec_lo, exec_lo, s5
	s_branch .LBB191_95
.LBB191_75:
                                        ; implicit-def: $sgpr4
                                        ; implicit-def: $vgpr34
	s_cbranch_execz .LBB191_95
; %bb.76:
	v_or_b32_e32 v33, 7, v55
	s_mov_b32 s4, 0
	s_mov_b32 s5, 0
	s_mov_b32 s6, exec_lo
	s_delay_alu instid0(VALU_DEP_1)
	v_cmpx_gt_u32_e64 s25, v33
; %bb.77:
	v_mul_hi_i32 v33, 0x66666667, v19
	v_lshrrev_b32_e32 v34, 31, v40
	v_ashrrev_i32_e32 v41, 2, v40
	s_delay_alu instid0(VALU_DEP_1) | instskip(NEXT) | instid1(VALU_DEP_4)
	v_add_nc_u32_e32 v34, v41, v34
	v_lshrrev_b32_e32 v42, 31, v33
	v_ashrrev_i32_e32 v33, 2, v33
	s_delay_alu instid0(VALU_DEP_1) | instskip(NEXT) | instid1(VALU_DEP_1)
	v_add_nc_u32_e32 v33, v33, v42
	v_cmp_ne_u32_e32 vcc_lo, v34, v33
	s_and_b32 s5, vcc_lo, exec_lo
; %bb.78:
	s_or_b32 exec_lo, exec_lo, s6
	v_or_b32_e32 v33, 6, v55
	s_mov_b32 s6, exec_lo
	s_delay_alu instid0(VALU_DEP_1)
	v_cmpx_gt_u32_e64 s25, v33
; %bb.79:
	v_lshrrev_b32_e32 v33, 31, v39
	v_ashrrev_i32_e32 v34, 2, v39
	v_lshrrev_b32_e32 v41, 31, v40
	v_ashrrev_i32_e32 v40, 2, v40
	s_delay_alu instid0(VALU_DEP_3) | instskip(NEXT) | instid1(VALU_DEP_2)
	v_add_nc_u32_e32 v33, v34, v33
	v_add_nc_u32_e32 v34, v40, v41
	s_delay_alu instid0(VALU_DEP_1)
	v_cmp_ne_u32_e32 vcc_lo, v33, v34
	s_and_b32 s4, vcc_lo, exec_lo
; %bb.80:
	s_or_b32 exec_lo, exec_lo, s6
	v_or_b32_e32 v33, 5, v55
	s_mov_b32 s6, 0
	s_mov_b32 s7, 0
	s_mov_b32 s19, exec_lo
	s_delay_alu instid0(VALU_DEP_1)
	v_cmpx_gt_u32_e64 s25, v33
; %bb.81:
	v_lshrrev_b32_e32 v33, 31, v38
	v_ashrrev_i32_e32 v34, 2, v38
	v_lshrrev_b32_e32 v40, 31, v39
	v_ashrrev_i32_e32 v39, 2, v39
	s_delay_alu instid0(VALU_DEP_3) | instskip(NEXT) | instid1(VALU_DEP_2)
	v_add_nc_u32_e32 v33, v34, v33
	v_add_nc_u32_e32 v34, v39, v40
	s_delay_alu instid0(VALU_DEP_1)
	v_cmp_ne_u32_e32 vcc_lo, v33, v34
	s_and_b32 s7, vcc_lo, exec_lo
; %bb.82:
	s_or_b32 exec_lo, exec_lo, s19
	v_or_b32_e32 v33, 4, v55
	s_mov_b32 s19, exec_lo
	s_delay_alu instid0(VALU_DEP_1)
	v_cmpx_gt_u32_e64 s25, v33
; %bb.83:
	v_lshrrev_b32_e32 v33, 31, v37
	v_ashrrev_i32_e32 v34, 2, v37
	v_lshrrev_b32_e32 v39, 31, v38
	v_ashrrev_i32_e32 v38, 2, v38
	s_delay_alu instid0(VALU_DEP_3) | instskip(NEXT) | instid1(VALU_DEP_2)
	v_add_nc_u32_e32 v33, v34, v33
	v_add_nc_u32_e32 v34, v38, v39
	s_delay_alu instid0(VALU_DEP_1)
	v_cmp_ne_u32_e32 vcc_lo, v33, v34
	s_and_b32 s6, vcc_lo, exec_lo
; %bb.84:
	s_or_b32 exec_lo, exec_lo, s19
	v_or_b32_e32 v33, 3, v55
	s_mov_b32 s20, 0
	s_mov_b32 s19, 0
	s_mov_b32 s21, exec_lo
	s_delay_alu instid0(VALU_DEP_1)
	v_cmpx_gt_u32_e64 s25, v33
; %bb.85:
	v_lshrrev_b32_e32 v33, 31, v36
	v_ashrrev_i32_e32 v34, 2, v36
	v_lshrrev_b32_e32 v38, 31, v37
	v_ashrrev_i32_e32 v37, 2, v37
	s_delay_alu instid0(VALU_DEP_3) | instskip(NEXT) | instid1(VALU_DEP_2)
	v_add_nc_u32_e32 v33, v34, v33
	v_add_nc_u32_e32 v34, v37, v38
	s_delay_alu instid0(VALU_DEP_1)
	v_cmp_ne_u32_e32 vcc_lo, v33, v34
	s_and_b32 s19, vcc_lo, exec_lo
; %bb.86:
	s_or_b32 exec_lo, exec_lo, s21
	v_or_b32_e32 v33, 2, v55
	s_mov_b32 s21, exec_lo
	s_delay_alu instid0(VALU_DEP_1)
	v_cmpx_gt_u32_e64 s25, v33
; %bb.87:
	v_lshrrev_b32_e32 v33, 31, v35
	v_ashrrev_i32_e32 v34, 2, v35
	v_lshrrev_b32_e32 v37, 31, v36
	v_ashrrev_i32_e32 v36, 2, v36
	s_delay_alu instid0(VALU_DEP_3) | instskip(NEXT) | instid1(VALU_DEP_2)
	v_add_nc_u32_e32 v33, v34, v33
	v_add_nc_u32_e32 v34, v36, v37
	s_delay_alu instid0(VALU_DEP_1)
	v_cmp_ne_u32_e32 vcc_lo, v33, v34
	s_and_b32 s20, vcc_lo, exec_lo
; %bb.88:
	s_or_b32 exec_lo, exec_lo, s21
	v_or_b32_e32 v33, 1, v55
	s_mov_b32 s26, 0
	s_mov_b32 s21, exec_lo
	s_delay_alu instid0(VALU_DEP_1)
	v_cmpx_gt_u32_e64 s25, v33
; %bb.89:
	v_mul_hi_i32 v33, 0x66666667, v29
	v_lshrrev_b32_e32 v34, 31, v35
	v_ashrrev_i32_e32 v35, 2, v35
	s_delay_alu instid0(VALU_DEP_1) | instskip(NEXT) | instid1(VALU_DEP_4)
	v_add_nc_u32_e32 v34, v35, v34
	v_lshrrev_b32_e32 v36, 31, v33
	v_ashrrev_i32_e32 v33, 2, v33
	s_delay_alu instid0(VALU_DEP_1) | instskip(NEXT) | instid1(VALU_DEP_1)
	v_add_nc_u32_e32 v33, v33, v36
	v_cmp_ne_u32_e32 vcc_lo, v33, v34
	s_and_b32 s26, vcc_lo, exec_lo
; %bb.90:
	s_or_b32 exec_lo, exec_lo, s21
	v_cndmask_b32_e64 v34, 0, 1, s19
	v_cndmask_b32_e64 v35, 0, 1, s7
	;; [unrolled: 1-line block ×7, first 2 shown]
	v_lshlrev_b16 v35, 8, v35
	v_lshlrev_b16 v36, 8, v36
	;; [unrolled: 1-line block ×4, first 2 shown]
	s_waitcnt lgkmcnt(0)
	v_or_b32_e32 v35, v38, v35
	v_or_b32_e32 v36, v39, v36
	;; [unrolled: 1-line block ×4, first 2 shown]
	s_barrier
	v_and_b32_e32 v34, 0xffff, v35
	v_lshlrev_b32_e32 v35, 16, v36
	v_and_b32_e32 v36, 0xffff, v37
	v_lshlrev_b32_e32 v33, 16, v33
	buffer_gl0_inv
                                        ; implicit-def: $sgpr4
	v_or_b32_e32 v34, v34, v35
	v_or_b32_e32 v33, v36, v33
	s_and_saveexec_b32 s5, s3
	s_cbranch_execz .LBB191_94
; %bb.91:
	s_mov_b32 s4, 0
	s_mov_b32 s3, exec_lo
	v_cmpx_gt_u32_e64 s25, v55
	s_cbranch_execz .LBB191_93
; %bb.92:
	v_add_nc_u32_e32 v35, -8, v55
	v_mul_hi_i32 v36, 0x66666667, v29
	ds_load_b32 v35, v35
	v_lshrrev_b32_e32 v37, 31, v36
	v_ashrrev_i32_e32 v36, 2, v36
	s_delay_alu instid0(VALU_DEP_1) | instskip(SKIP_2) | instid1(VALU_DEP_1)
	v_add_nc_u32_e32 v36, v36, v37
	s_waitcnt lgkmcnt(0)
	v_mul_hi_i32 v35, 0x66666667, v35
	v_lshrrev_b32_e32 v38, 31, v35
	v_ashrrev_i32_e32 v35, 2, v35
	s_delay_alu instid0(VALU_DEP_1) | instskip(NEXT) | instid1(VALU_DEP_1)
	v_add_nc_u32_e32 v35, v35, v38
	v_cmp_ne_u32_e32 vcc_lo, v35, v36
	s_and_b32 s4, vcc_lo, exec_lo
.LBB191_93:
	s_or_b32 exec_lo, exec_lo, s3
	s_delay_alu instid0(SALU_CYCLE_1)
	s_and_b32 s4, s4, exec_lo
	s_or_b32 s0, s0, exec_lo
.LBB191_94:
	s_or_b32 exec_lo, exec_lo, s5
.LBB191_95:
	s_and_saveexec_b32 s3, s0
	s_cbranch_execz .LBB191_97
; %bb.96:
	s_waitcnt vmcnt(0) lgkmcnt(1)
	v_and_b32_e32 v35, 0xffffff00, v33
	v_cndmask_b32_e64 v36, 0, 1, s4
	s_delay_alu instid0(VALU_DEP_1) | instskip(NEXT) | instid1(VALU_DEP_1)
	v_or_b32_e32 v35, v36, v35
	v_and_b32_e32 v35, 0xffff, v35
	s_delay_alu instid0(VALU_DEP_1)
	v_and_or_b32 v33, 0xffff0000, v33, v35
.LBB191_97:
	s_or_b32 exec_lo, exec_lo, s3
	s_delay_alu instid0(SALU_CYCLE_1)
	s_and_not1_b32 vcc_lo, exec_lo, s1
	s_cbranch_vccnz .LBB191_99
; %bb.98:
	v_cmp_gt_u32_e32 vcc_lo, s25, v55
	s_waitcnt vmcnt(0) lgkmcnt(1)
	v_or_b32_e32 v36, 1, v55
	v_and_b32_e32 v37, 0xffffff00, v34
	v_or_b32_e32 v38, 2, v55
	v_cndmask_b32_e32 v35, 0, v33, vcc_lo
	s_delay_alu instid0(VALU_DEP_4) | instskip(SKIP_1) | instid1(VALU_DEP_4)
	v_cmp_gt_u32_e32 vcc_lo, s25, v36
	v_or_b32_e32 v36, 4, v55
	v_cmp_gt_u32_e64 s0, s25, v38
	v_or_b32_e32 v38, 3, v55
	v_and_b32_e32 v35, 0xff, v35
	s_delay_alu instid0(VALU_DEP_2) | instskip(NEXT) | instid1(VALU_DEP_2)
	v_cmp_gt_u32_e64 s1, s25, v38
	v_cndmask_b32_e32 v35, v35, v33, vcc_lo
	v_cmp_gt_u32_e32 vcc_lo, s25, v36
	v_cndmask_b32_e32 v36, v37, v34, vcc_lo
	v_or_b32_e32 v37, 5, v55
	s_delay_alu instid0(VALU_DEP_2) | instskip(SKIP_1) | instid1(VALU_DEP_1)
	v_and_b32_e32 v36, 0xffff00ff, v36
	v_and_b32_e32 v35, 0xffff, v35
	v_cndmask_b32_e64 v35, v35, v33, s0
	s_delay_alu instid0(VALU_DEP_4) | instskip(SKIP_1) | instid1(VALU_DEP_3)
	v_cmp_gt_u32_e64 s0, s25, v37
	v_or_b32_e32 v37, 6, v55
	v_and_b32_e32 v35, 0xffffff, v35
	s_delay_alu instid0(VALU_DEP_3) | instskip(NEXT) | instid1(VALU_DEP_2)
	v_cndmask_b32_e64 v36, v36, v34, s0
	v_cndmask_b32_e64 v35, v35, v33, s1
	s_delay_alu instid0(VALU_DEP_1) | instskip(SKIP_2) | instid1(VALU_DEP_3)
	v_dual_cndmask_b32 v35, v35, v33 :: v_dual_and_b32 v36, 0xff00ffff, v36
	v_cmp_gt_u32_e32 vcc_lo, s25, v37
	v_or_b32_e32 v37, 7, v55
	v_cndmask_b32_e64 v35, v35, v33, s0
	s_delay_alu instid0(VALU_DEP_1) | instskip(NEXT) | instid1(VALU_DEP_1)
	v_dual_cndmask_b32 v36, v36, v34 :: v_dual_cndmask_b32 v35, v35, v33
	v_and_b32_e32 v36, 0xffffff, v36
	s_delay_alu instid0(VALU_DEP_4) | instskip(NEXT) | instid1(VALU_DEP_2)
	v_cmp_gt_u32_e32 vcc_lo, s25, v37
	v_dual_cndmask_b32 v34, v36, v34 :: v_dual_cndmask_b32 v33, v35, v33
.LBB191_99:
	s_delay_alu instid0(VALU_DEP_1) | instskip(SKIP_1) | instid1(VALU_DEP_2)
	v_and_b32_e32 v44, 0xff, v33
	s_waitcnt vmcnt(0) lgkmcnt(1)
	v_alignbit_b32 v35, v34, v33, 24
	v_bfe_u32 v46, v33, 8, 8
	v_bfe_u32 v48, v33, 16, 8
	v_and_b32_e32 v52, 0xff, v34
	v_bfe_u32 v54, v34, 8, 8
	v_and_b32_e32 v50, 0xff, v35
	v_add_nc_u32_e32 v35, v46, v44
	v_mbcnt_lo_u32_b32 v58, -1, 0
	v_bfe_u32 v57, v34, 16, 8
	v_lshrrev_b32_e32 v56, 24, v34
	v_lshrrev_b32_e32 v59, 5, v0
	v_add3_u32 v35, v35, v48, v50
	v_and_b32_e32 v36, 15, v58
	v_and_b32_e32 v37, 16, v58
	s_and_b32 vcc_lo, exec_lo, s18
	s_mov_b32 s7, -1
	v_add3_u32 v35, v35, v52, v54
	v_cmp_eq_u32_e64 s3, 0, v36
	v_cmp_lt_u32_e64 s0, 1, v36
	v_cmp_lt_u32_e64 s4, 3, v36
	;; [unrolled: 1-line block ×3, first 2 shown]
	v_add3_u32 v60, v35, v57, v56
	v_or_b32_e32 v35, 31, v0
	v_cmp_eq_u32_e64 s6, 0, v37
	s_waitcnt lgkmcnt(0)
	s_barrier
	buffer_gl0_inv
	v_cmp_eq_u32_e64 s5, v35, v0
	s_cbranch_vccz .LBB191_130
; %bb.100:
	v_mov_b32_dpp v35, v60 row_shr:1 row_mask:0xf bank_mask:0xf
	s_delay_alu instid0(VALU_DEP_1) | instskip(NEXT) | instid1(VALU_DEP_1)
	v_cndmask_b32_e64 v35, v35, 0, s3
	v_add_nc_u32_e32 v35, v35, v60
	s_delay_alu instid0(VALU_DEP_1) | instskip(NEXT) | instid1(VALU_DEP_1)
	v_mov_b32_dpp v36, v35 row_shr:2 row_mask:0xf bank_mask:0xf
	v_cndmask_b32_e64 v36, 0, v36, s0
	s_delay_alu instid0(VALU_DEP_1) | instskip(NEXT) | instid1(VALU_DEP_1)
	v_add_nc_u32_e32 v35, v35, v36
	v_mov_b32_dpp v36, v35 row_shr:4 row_mask:0xf bank_mask:0xf
	s_delay_alu instid0(VALU_DEP_1) | instskip(NEXT) | instid1(VALU_DEP_1)
	v_cndmask_b32_e64 v36, 0, v36, s4
	v_add_nc_u32_e32 v35, v35, v36
	s_delay_alu instid0(VALU_DEP_1) | instskip(NEXT) | instid1(VALU_DEP_1)
	v_mov_b32_dpp v36, v35 row_shr:8 row_mask:0xf bank_mask:0xf
	v_cndmask_b32_e64 v36, 0, v36, s1
	s_delay_alu instid0(VALU_DEP_1) | instskip(SKIP_3) | instid1(VALU_DEP_1)
	v_add_nc_u32_e32 v35, v35, v36
	ds_swizzle_b32 v36, v35 offset:swizzle(BROADCAST,32,15)
	s_waitcnt lgkmcnt(0)
	v_cndmask_b32_e64 v36, v36, 0, s6
	v_add_nc_u32_e32 v35, v35, v36
	s_and_saveexec_b32 s7, s5
	s_cbranch_execz .LBB191_102
; %bb.101:
	v_lshlrev_b32_e32 v36, 2, v59
	ds_store_b32 v36, v35
.LBB191_102:
	s_or_b32 exec_lo, exec_lo, s7
	s_delay_alu instid0(SALU_CYCLE_1)
	s_mov_b32 s7, exec_lo
	s_waitcnt lgkmcnt(0)
	s_barrier
	buffer_gl0_inv
	v_cmpx_gt_u32_e32 16, v0
	s_cbranch_execz .LBB191_104
; %bb.103:
	v_lshlrev_b32_e32 v36, 2, v0
	ds_load_b32 v37, v36
	s_waitcnt lgkmcnt(0)
	v_mov_b32_dpp v38, v37 row_shr:1 row_mask:0xf bank_mask:0xf
	s_delay_alu instid0(VALU_DEP_1) | instskip(NEXT) | instid1(VALU_DEP_1)
	v_cndmask_b32_e64 v38, v38, 0, s3
	v_add_nc_u32_e32 v37, v38, v37
	s_delay_alu instid0(VALU_DEP_1) | instskip(NEXT) | instid1(VALU_DEP_1)
	v_mov_b32_dpp v38, v37 row_shr:2 row_mask:0xf bank_mask:0xf
	v_cndmask_b32_e64 v38, 0, v38, s0
	s_delay_alu instid0(VALU_DEP_1) | instskip(NEXT) | instid1(VALU_DEP_1)
	v_add_nc_u32_e32 v37, v37, v38
	v_mov_b32_dpp v38, v37 row_shr:4 row_mask:0xf bank_mask:0xf
	s_delay_alu instid0(VALU_DEP_1) | instskip(NEXT) | instid1(VALU_DEP_1)
	v_cndmask_b32_e64 v38, 0, v38, s4
	v_add_nc_u32_e32 v37, v37, v38
	s_delay_alu instid0(VALU_DEP_1) | instskip(NEXT) | instid1(VALU_DEP_1)
	v_mov_b32_dpp v38, v37 row_shr:8 row_mask:0xf bank_mask:0xf
	v_cndmask_b32_e64 v38, 0, v38, s1
	s_delay_alu instid0(VALU_DEP_1)
	v_add_nc_u32_e32 v37, v37, v38
	ds_store_b32 v36, v37
.LBB191_104:
	s_or_b32 exec_lo, exec_lo, s7
	v_cmp_gt_u32_e32 vcc_lo, 32, v0
	s_mov_b32 s18, exec_lo
	s_waitcnt lgkmcnt(0)
	s_barrier
	buffer_gl0_inv
                                        ; implicit-def: $vgpr43
	v_cmpx_lt_u32_e32 31, v0
	s_cbranch_execz .LBB191_106
; %bb.105:
	v_lshl_add_u32 v36, v59, 2, -4
	ds_load_b32 v43, v36
	s_waitcnt lgkmcnt(0)
	v_add_nc_u32_e32 v35, v43, v35
.LBB191_106:
	s_or_b32 exec_lo, exec_lo, s18
	v_add_nc_u32_e32 v36, -1, v58
	s_delay_alu instid0(VALU_DEP_1) | instskip(NEXT) | instid1(VALU_DEP_1)
	v_cmp_gt_i32_e64 s7, 0, v36
	v_cndmask_b32_e64 v36, v36, v58, s7
	v_cmp_eq_u32_e64 s7, 0, v58
	s_delay_alu instid0(VALU_DEP_2)
	v_lshlrev_b32_e32 v36, 2, v36
	ds_bpermute_b32 v45, v36, v35
	s_and_saveexec_b32 s18, vcc_lo
	s_cbranch_execz .LBB191_129
; %bb.107:
	v_mov_b32_e32 v39, 0
	ds_load_b32 v35, v39 offset:60
	s_and_saveexec_b32 s19, s7
	s_cbranch_execz .LBB191_109
; %bb.108:
	s_add_i32 s20, s24, 32
	s_mov_b32 s21, 0
	v_mov_b32_e32 v36, 1
	s_lshl_b64 s[20:21], s[20:21], 3
	s_delay_alu instid0(SALU_CYCLE_1)
	s_add_u32 s20, s16, s20
	s_addc_u32 s21, s17, s21
	s_waitcnt lgkmcnt(0)
	global_store_b64 v39, v[35:36], s[20:21]
.LBB191_109:
	s_or_b32 exec_lo, exec_lo, s19
	v_xad_u32 v37, v58, -1, s24
	s_mov_b32 s20, 0
	s_mov_b32 s19, exec_lo
	s_delay_alu instid0(VALU_DEP_1) | instskip(NEXT) | instid1(VALU_DEP_1)
	v_add_nc_u32_e32 v38, 32, v37
	v_lshlrev_b64 v[38:39], 3, v[38:39]
	s_delay_alu instid0(VALU_DEP_1) | instskip(NEXT) | instid1(VALU_DEP_2)
	v_add_co_u32 v41, vcc_lo, s16, v38
	v_add_co_ci_u32_e32 v42, vcc_lo, s17, v39, vcc_lo
	global_load_b64 v[39:40], v[41:42], off glc
	s_waitcnt vmcnt(0)
	v_and_b32_e32 v36, 0xff, v40
	s_delay_alu instid0(VALU_DEP_1)
	v_cmpx_eq_u16_e32 0, v36
	s_cbranch_execz .LBB191_115
; %bb.110:
	s_mov_b32 s21, 1
	.p2align	6
.LBB191_111:                            ; =>This Loop Header: Depth=1
                                        ;     Child Loop BB191_112 Depth 2
	s_delay_alu instid0(SALU_CYCLE_1)
	s_max_u32 s25, s21, 1
.LBB191_112:                            ;   Parent Loop BB191_111 Depth=1
                                        ; =>  This Inner Loop Header: Depth=2
	s_delay_alu instid0(SALU_CYCLE_1)
	s_add_i32 s25, s25, -1
	s_sleep 1
	s_cmp_eq_u32 s25, 0
	s_cbranch_scc0 .LBB191_112
; %bb.113:                              ;   in Loop: Header=BB191_111 Depth=1
	global_load_b64 v[39:40], v[41:42], off glc
	s_cmp_lt_u32 s21, 32
	s_cselect_b32 s25, -1, 0
	s_delay_alu instid0(SALU_CYCLE_1) | instskip(SKIP_3) | instid1(VALU_DEP_1)
	s_cmp_lg_u32 s25, 0
	s_addc_u32 s21, s21, 0
	s_waitcnt vmcnt(0)
	v_and_b32_e32 v36, 0xff, v40
	v_cmp_ne_u16_e32 vcc_lo, 0, v36
	s_or_b32 s20, vcc_lo, s20
	s_delay_alu instid0(SALU_CYCLE_1)
	s_and_not1_b32 exec_lo, exec_lo, s20
	s_cbranch_execnz .LBB191_111
; %bb.114:
	s_or_b32 exec_lo, exec_lo, s20
.LBB191_115:
	s_delay_alu instid0(SALU_CYCLE_1)
	s_or_b32 exec_lo, exec_lo, s19
	v_cmp_ne_u32_e32 vcc_lo, 31, v58
	v_lshlrev_b32_e64 v49, v58, -1
	v_add_nc_u32_e32 v53, 2, v58
	v_add_nc_u32_e32 v66, 16, v58
	v_add_co_ci_u32_e32 v36, vcc_lo, 0, v58, vcc_lo
	s_delay_alu instid0(VALU_DEP_1)
	v_lshlrev_b32_e32 v47, 2, v36
	v_and_b32_e32 v36, 0xff, v40
	ds_bpermute_b32 v38, v47, v39
	v_cmp_eq_u16_e32 vcc_lo, 2, v36
	v_and_or_b32 v36, vcc_lo, v49, 0x80000000
	v_cmp_gt_u32_e32 vcc_lo, 30, v58
	s_delay_alu instid0(VALU_DEP_2) | instskip(SKIP_1) | instid1(VALU_DEP_2)
	v_ctz_i32_b32_e32 v36, v36
	v_cndmask_b32_e64 v41, 0, 1, vcc_lo
	v_cmp_lt_u32_e32 vcc_lo, v58, v36
	s_waitcnt lgkmcnt(0)
	s_delay_alu instid0(VALU_DEP_2) | instskip(NEXT) | instid1(VALU_DEP_1)
	v_dual_cndmask_b32 v38, 0, v38 :: v_dual_lshlrev_b32 v41, 1, v41
	v_add_lshl_u32 v51, v41, v58, 2
	v_cmp_gt_u32_e32 vcc_lo, 28, v58
	s_delay_alu instid0(VALU_DEP_3) | instskip(SKIP_4) | instid1(VALU_DEP_1)
	v_add_nc_u32_e32 v38, v38, v39
	v_cndmask_b32_e64 v41, 0, 1, vcc_lo
	v_cmp_le_u32_e32 vcc_lo, v53, v36
	ds_bpermute_b32 v39, v51, v38
	v_lshlrev_b32_e32 v41, 2, v41
	v_add_lshl_u32 v61, v41, v58, 2
	s_waitcnt lgkmcnt(0)
	v_cndmask_b32_e32 v39, 0, v39, vcc_lo
	v_cmp_gt_u32_e32 vcc_lo, 24, v58
	s_delay_alu instid0(VALU_DEP_2) | instskip(SKIP_4) | instid1(VALU_DEP_2)
	v_add_nc_u32_e32 v38, v38, v39
	v_cndmask_b32_e64 v41, 0, 1, vcc_lo
	ds_bpermute_b32 v39, v61, v38
	v_add_nc_u32_e32 v62, 4, v58
	v_lshlrev_b32_e32 v41, 3, v41
	v_cmp_le_u32_e32 vcc_lo, v62, v36
	s_delay_alu instid0(VALU_DEP_2) | instskip(SKIP_3) | instid1(VALU_DEP_2)
	v_add_lshl_u32 v63, v41, v58, 2
	s_waitcnt lgkmcnt(0)
	v_cndmask_b32_e32 v39, 0, v39, vcc_lo
	v_cmp_gt_u32_e32 vcc_lo, 16, v58
	v_add_nc_u32_e32 v38, v38, v39
	v_cndmask_b32_e64 v41, 0, 1, vcc_lo
	ds_bpermute_b32 v39, v63, v38
	v_add_nc_u32_e32 v64, 8, v58
	v_lshlrev_b32_e32 v41, 4, v41
	s_delay_alu instid0(VALU_DEP_2) | instskip(NEXT) | instid1(VALU_DEP_2)
	v_cmp_le_u32_e32 vcc_lo, v64, v36
	v_add_lshl_u32 v65, v41, v58, 2
	s_waitcnt lgkmcnt(0)
	v_cndmask_b32_e32 v39, 0, v39, vcc_lo
	v_cmp_le_u32_e32 vcc_lo, v66, v36
	s_delay_alu instid0(VALU_DEP_2) | instskip(SKIP_3) | instid1(VALU_DEP_1)
	v_add_nc_u32_e32 v38, v38, v39
	ds_bpermute_b32 v39, v65, v38
	s_waitcnt lgkmcnt(0)
	v_cndmask_b32_e32 v36, 0, v39, vcc_lo
	v_dual_mov_b32 v38, 0 :: v_dual_add_nc_u32 v39, v38, v36
	s_branch .LBB191_117
.LBB191_116:                            ;   in Loop: Header=BB191_117 Depth=1
	s_or_b32 exec_lo, exec_lo, s19
	ds_bpermute_b32 v42, v47, v39
	v_and_b32_e32 v41, 0xff, v40
	v_subrev_nc_u32_e32 v37, 32, v37
	s_delay_alu instid0(VALU_DEP_2) | instskip(SKIP_1) | instid1(VALU_DEP_1)
	v_cmp_eq_u16_e32 vcc_lo, 2, v41
	v_and_or_b32 v41, vcc_lo, v49, 0x80000000
	v_ctz_i32_b32_e32 v41, v41
	s_delay_alu instid0(VALU_DEP_1) | instskip(SKIP_3) | instid1(VALU_DEP_2)
	v_cmp_lt_u32_e32 vcc_lo, v58, v41
	s_waitcnt lgkmcnt(0)
	v_cndmask_b32_e32 v42, 0, v42, vcc_lo
	v_cmp_le_u32_e32 vcc_lo, v53, v41
	v_add_nc_u32_e32 v39, v42, v39
	ds_bpermute_b32 v42, v51, v39
	s_waitcnt lgkmcnt(0)
	v_cndmask_b32_e32 v42, 0, v42, vcc_lo
	v_cmp_le_u32_e32 vcc_lo, v62, v41
	s_delay_alu instid0(VALU_DEP_2) | instskip(SKIP_4) | instid1(VALU_DEP_2)
	v_add_nc_u32_e32 v39, v39, v42
	ds_bpermute_b32 v42, v61, v39
	s_waitcnt lgkmcnt(0)
	v_cndmask_b32_e32 v42, 0, v42, vcc_lo
	v_cmp_le_u32_e32 vcc_lo, v64, v41
	v_add_nc_u32_e32 v39, v39, v42
	ds_bpermute_b32 v42, v63, v39
	s_waitcnt lgkmcnt(0)
	v_cndmask_b32_e32 v42, 0, v42, vcc_lo
	v_cmp_le_u32_e32 vcc_lo, v66, v41
	s_delay_alu instid0(VALU_DEP_2) | instskip(SKIP_3) | instid1(VALU_DEP_1)
	v_add_nc_u32_e32 v39, v39, v42
	ds_bpermute_b32 v42, v65, v39
	s_waitcnt lgkmcnt(0)
	v_cndmask_b32_e32 v41, 0, v42, vcc_lo
	v_add3_u32 v39, v41, v36, v39
.LBB191_117:                            ; =>This Loop Header: Depth=1
                                        ;     Child Loop BB191_120 Depth 2
                                        ;       Child Loop BB191_121 Depth 3
	v_and_b32_e32 v36, 0xff, v40
	s_delay_alu instid0(VALU_DEP_1) | instskip(SKIP_2) | instid1(VALU_DEP_1)
	v_cmp_ne_u16_e32 vcc_lo, 2, v36
	v_cndmask_b32_e64 v36, 0, 1, vcc_lo
	;;#ASMSTART
	;;#ASMEND
	v_cmp_ne_u32_e32 vcc_lo, 0, v36
	v_mov_b32_e32 v36, v39
	s_cmp_lg_u32 vcc_lo, exec_lo
	s_cbranch_scc1 .LBB191_124
; %bb.118:                              ;   in Loop: Header=BB191_117 Depth=1
	v_lshlrev_b64 v[39:40], 3, v[37:38]
	s_mov_b32 s19, exec_lo
	s_delay_alu instid0(VALU_DEP_1) | instskip(NEXT) | instid1(VALU_DEP_2)
	v_add_co_u32 v41, vcc_lo, s16, v39
	v_add_co_ci_u32_e32 v42, vcc_lo, s17, v40, vcc_lo
	global_load_b64 v[39:40], v[41:42], off glc
	s_waitcnt vmcnt(0)
	v_and_b32_e32 v67, 0xff, v40
	s_delay_alu instid0(VALU_DEP_1)
	v_cmpx_eq_u16_e32 0, v67
	s_cbranch_execz .LBB191_116
; %bb.119:                              ;   in Loop: Header=BB191_117 Depth=1
	s_mov_b32 s21, 1
	s_mov_b32 s20, 0
	.p2align	6
.LBB191_120:                            ;   Parent Loop BB191_117 Depth=1
                                        ; =>  This Loop Header: Depth=2
                                        ;       Child Loop BB191_121 Depth 3
	s_max_u32 s25, s21, 1
.LBB191_121:                            ;   Parent Loop BB191_117 Depth=1
                                        ;     Parent Loop BB191_120 Depth=2
                                        ; =>    This Inner Loop Header: Depth=3
	s_delay_alu instid0(SALU_CYCLE_1)
	s_add_i32 s25, s25, -1
	s_sleep 1
	s_cmp_eq_u32 s25, 0
	s_cbranch_scc0 .LBB191_121
; %bb.122:                              ;   in Loop: Header=BB191_120 Depth=2
	global_load_b64 v[39:40], v[41:42], off glc
	s_cmp_lt_u32 s21, 32
	s_cselect_b32 s25, -1, 0
	s_delay_alu instid0(SALU_CYCLE_1) | instskip(SKIP_3) | instid1(VALU_DEP_1)
	s_cmp_lg_u32 s25, 0
	s_addc_u32 s21, s21, 0
	s_waitcnt vmcnt(0)
	v_and_b32_e32 v67, 0xff, v40
	v_cmp_ne_u16_e32 vcc_lo, 0, v67
	s_or_b32 s20, vcc_lo, s20
	s_delay_alu instid0(SALU_CYCLE_1)
	s_and_not1_b32 exec_lo, exec_lo, s20
	s_cbranch_execnz .LBB191_120
; %bb.123:                              ;   in Loop: Header=BB191_117 Depth=1
	s_or_b32 exec_lo, exec_lo, s20
	s_branch .LBB191_116
.LBB191_124:                            ;   in Loop: Header=BB191_117 Depth=1
                                        ; implicit-def: $vgpr39
                                        ; implicit-def: $vgpr40
	s_cbranch_execz .LBB191_117
; %bb.125:
	s_and_saveexec_b32 s19, s7
	s_cbranch_execz .LBB191_127
; %bb.126:
	s_add_i32 s20, s24, 32
	s_mov_b32 s21, 0
	v_dual_mov_b32 v38, 2 :: v_dual_add_nc_u32 v37, v36, v35
	s_lshl_b64 s[20:21], s[20:21], 3
	v_mov_b32_e32 v39, 0
	s_add_u32 s20, s16, s20
	s_addc_u32 s21, s17, s21
	global_store_b64 v39, v[37:38], s[20:21]
	ds_store_b64 v39, v[35:36] offset:33792
.LBB191_127:
	s_or_b32 exec_lo, exec_lo, s19
	s_delay_alu instid0(SALU_CYCLE_1)
	s_and_b32 exec_lo, exec_lo, s2
	s_cbranch_execz .LBB191_129
; %bb.128:
	v_mov_b32_e32 v35, 0
	ds_store_b32 v35, v36 offset:60
.LBB191_129:
	s_or_b32 exec_lo, exec_lo, s18
	v_mov_b32_e32 v35, 0
	s_waitcnt lgkmcnt(0)
	s_waitcnt_vscnt null, 0x0
	s_barrier
	buffer_gl0_inv
	v_cndmask_b32_e64 v37, v45, v43, s7
	ds_load_b32 v36, v35 offset:60
	s_waitcnt lgkmcnt(0)
	s_barrier
	buffer_gl0_inv
	v_cndmask_b32_e64 v37, v37, 0, s2
	s_delay_alu instid0(VALU_DEP_1) | instskip(SKIP_2) | instid1(VALU_DEP_1)
	v_add_nc_u32_e32 v53, v36, v37
	ds_load_b64 v[35:36], v35 offset:33792
	v_add_nc_u32_e32 v51, v53, v44
	v_add_nc_u32_e32 v49, v51, v46
	s_delay_alu instid0(VALU_DEP_1) | instskip(NEXT) | instid1(VALU_DEP_1)
	v_add_nc_u32_e32 v47, v49, v48
	v_add_nc_u32_e32 v45, v47, v50
	s_waitcnt lgkmcnt(0)
	v_readfirstlane_b32 s18, v36
	s_delay_alu instid0(VALU_DEP_2) | instskip(NEXT) | instid1(VALU_DEP_1)
	v_add_nc_u32_e32 v43, v45, v52
	v_add_nc_u32_e32 v41, v43, v54
	s_delay_alu instid0(VALU_DEP_1)
	v_add_nc_u32_e32 v39, v41, v57
	v_lshrrev_b64 v[37:38], 24, v[33:34]
	s_branch .LBB191_140
.LBB191_130:
                                        ; implicit-def: $vgpr39
                                        ; implicit-def: $vgpr41
                                        ; implicit-def: $vgpr43
                                        ; implicit-def: $vgpr45
                                        ; implicit-def: $vgpr47
                                        ; implicit-def: $vgpr49
                                        ; implicit-def: $vgpr51
                                        ; implicit-def: $vgpr53
                                        ; implicit-def: $sgpr18
                                        ; implicit-def: $vgpr35
	v_lshrrev_b64 v[37:38], 24, v[33:34]
	s_and_b32 vcc_lo, exec_lo, s7
	s_cbranch_vccz .LBB191_140
; %bb.131:
	v_mov_b32_dpp v35, v60 row_shr:1 row_mask:0xf bank_mask:0xf
	s_delay_alu instid0(VALU_DEP_1) | instskip(NEXT) | instid1(VALU_DEP_1)
	v_cndmask_b32_e64 v35, v35, 0, s3
	v_add_nc_u32_e32 v35, v35, v60
	s_delay_alu instid0(VALU_DEP_1) | instskip(NEXT) | instid1(VALU_DEP_1)
	v_mov_b32_dpp v36, v35 row_shr:2 row_mask:0xf bank_mask:0xf
	v_cndmask_b32_e64 v36, 0, v36, s0
	s_delay_alu instid0(VALU_DEP_1) | instskip(NEXT) | instid1(VALU_DEP_1)
	v_add_nc_u32_e32 v35, v35, v36
	v_mov_b32_dpp v36, v35 row_shr:4 row_mask:0xf bank_mask:0xf
	s_delay_alu instid0(VALU_DEP_1) | instskip(NEXT) | instid1(VALU_DEP_1)
	v_cndmask_b32_e64 v36, 0, v36, s4
	v_add_nc_u32_e32 v35, v35, v36
	s_delay_alu instid0(VALU_DEP_1) | instskip(NEXT) | instid1(VALU_DEP_1)
	v_mov_b32_dpp v36, v35 row_shr:8 row_mask:0xf bank_mask:0xf
	v_cndmask_b32_e64 v36, 0, v36, s1
	s_delay_alu instid0(VALU_DEP_1) | instskip(SKIP_3) | instid1(VALU_DEP_1)
	v_add_nc_u32_e32 v35, v35, v36
	ds_swizzle_b32 v36, v35 offset:swizzle(BROADCAST,32,15)
	s_waitcnt lgkmcnt(0)
	v_cndmask_b32_e64 v36, v36, 0, s6
	v_add_nc_u32_e32 v35, v35, v36
	s_and_saveexec_b32 s6, s5
	s_cbranch_execz .LBB191_133
; %bb.132:
	v_lshlrev_b32_e32 v36, 2, v59
	ds_store_b32 v36, v35
.LBB191_133:
	s_or_b32 exec_lo, exec_lo, s6
	s_delay_alu instid0(SALU_CYCLE_1)
	s_mov_b32 s5, exec_lo
	s_waitcnt lgkmcnt(0)
	s_barrier
	buffer_gl0_inv
	v_cmpx_gt_u32_e32 16, v0
	s_cbranch_execz .LBB191_135
; %bb.134:
	v_lshlrev_b32_e32 v36, 2, v0
	ds_load_b32 v38, v36
	s_waitcnt lgkmcnt(0)
	v_mov_b32_dpp v39, v38 row_shr:1 row_mask:0xf bank_mask:0xf
	s_delay_alu instid0(VALU_DEP_1) | instskip(NEXT) | instid1(VALU_DEP_1)
	v_cndmask_b32_e64 v39, v39, 0, s3
	v_add_nc_u32_e32 v38, v39, v38
	s_delay_alu instid0(VALU_DEP_1) | instskip(NEXT) | instid1(VALU_DEP_1)
	v_mov_b32_dpp v39, v38 row_shr:2 row_mask:0xf bank_mask:0xf
	v_cndmask_b32_e64 v39, 0, v39, s0
	s_delay_alu instid0(VALU_DEP_1) | instskip(NEXT) | instid1(VALU_DEP_1)
	v_add_nc_u32_e32 v38, v38, v39
	v_mov_b32_dpp v39, v38 row_shr:4 row_mask:0xf bank_mask:0xf
	s_delay_alu instid0(VALU_DEP_1) | instskip(NEXT) | instid1(VALU_DEP_1)
	v_cndmask_b32_e64 v39, 0, v39, s4
	v_add_nc_u32_e32 v38, v38, v39
	s_delay_alu instid0(VALU_DEP_1) | instskip(NEXT) | instid1(VALU_DEP_1)
	v_mov_b32_dpp v39, v38 row_shr:8 row_mask:0xf bank_mask:0xf
	v_cndmask_b32_e64 v39, 0, v39, s1
	s_delay_alu instid0(VALU_DEP_1)
	v_add_nc_u32_e32 v38, v38, v39
	ds_store_b32 v36, v38
.LBB191_135:
	s_or_b32 exec_lo, exec_lo, s5
	v_mov_b32_e32 v36, 0
	v_mov_b32_e32 v38, 0
	s_mov_b32 s0, exec_lo
	s_waitcnt lgkmcnt(0)
	s_barrier
	buffer_gl0_inv
	v_cmpx_lt_u32_e32 31, v0
	s_cbranch_execz .LBB191_137
; %bb.136:
	v_lshl_add_u32 v38, v59, 2, -4
	ds_load_b32 v38, v38
.LBB191_137:
	s_or_b32 exec_lo, exec_lo, s0
	v_add_nc_u32_e32 v39, -1, v58
	s_waitcnt lgkmcnt(0)
	v_add_nc_u32_e32 v35, v38, v35
	s_mov_b32 s18, 0
	s_delay_alu instid0(VALU_DEP_2) | instskip(SKIP_1) | instid1(VALU_DEP_1)
	v_cmp_gt_i32_e32 vcc_lo, 0, v39
	v_cndmask_b32_e32 v39, v39, v58, vcc_lo
	v_lshlrev_b32_e32 v39, 2, v39
	ds_bpermute_b32 v39, v39, v35
	ds_load_b32 v35, v36 offset:60
	s_and_saveexec_b32 s0, s2
	s_cbranch_execz .LBB191_139
; %bb.138:
	v_mov_b32_e32 v40, 0
	v_mov_b32_e32 v36, 2
	s_waitcnt lgkmcnt(0)
	global_store_b64 v40, v[35:36], s[16:17] offset:256
.LBB191_139:
	s_or_b32 exec_lo, exec_lo, s0
	v_cmp_eq_u32_e32 vcc_lo, 0, v58
	s_waitcnt lgkmcnt(0)
	s_waitcnt_vscnt null, 0x0
	s_barrier
	buffer_gl0_inv
	v_cndmask_b32_e32 v36, v39, v38, vcc_lo
	s_delay_alu instid0(VALU_DEP_1) | instskip(NEXT) | instid1(VALU_DEP_1)
	v_cndmask_b32_e64 v53, v36, 0, s2
	v_add_nc_u32_e32 v51, v53, v44
	s_delay_alu instid0(VALU_DEP_1) | instskip(NEXT) | instid1(VALU_DEP_1)
	v_add_nc_u32_e32 v49, v51, v46
	v_add_nc_u32_e32 v47, v49, v48
	s_delay_alu instid0(VALU_DEP_1) | instskip(NEXT) | instid1(VALU_DEP_1)
	v_add_nc_u32_e32 v45, v47, v50
	;; [unrolled: 3-line block ×3, first 2 shown]
	v_add_nc_u32_e32 v39, v41, v57
.LBB191_140:
	v_add_nc_u32_e32 v59, s18, v35
	v_cmp_gt_u32_e64 s0, 0x201, v35
	v_lshrrev_b32_e32 v58, 8, v33
	v_lshrrev_b32_e32 v57, 16, v33
	;; [unrolled: 1-line block ×4, first 2 shown]
	v_cmp_lt_u32_e64 s1, v53, v59
	s_and_b32 vcc_lo, exec_lo, s0
	s_mov_b32 s3, -1
	s_cbranch_vccz .LBB191_166
; %bb.141:
	s_lshl_b64 s[4:5], s[10:11], 3
	s_delay_alu instid0(SALU_CYCLE_1) | instskip(SKIP_2) | instid1(SALU_CYCLE_1)
	s_add_u32 s3, s12, s4
	s_addc_u32 s4, s13, s5
	s_or_b32 s5, s23, s1
	s_and_saveexec_b32 s1, s5
	s_cbranch_execz .LBB191_144
; %bb.142:
	v_and_b32_e32 v40, 1, v33
	s_delay_alu instid0(VALU_DEP_1)
	v_cmp_eq_u32_e32 vcc_lo, 1, v40
	s_and_b32 exec_lo, exec_lo, vcc_lo
	s_cbranch_execz .LBB191_144
; %bb.143:
	v_mov_b32_e32 v54, 0
	s_delay_alu instid0(VALU_DEP_1) | instskip(NEXT) | instid1(VALU_DEP_1)
	v_lshlrev_b64 v[60:61], 3, v[53:54]
	v_add_co_u32 v60, vcc_lo, s3, v60
	s_delay_alu instid0(VALU_DEP_2)
	v_add_co_ci_u32_e32 v61, vcc_lo, s4, v61, vcc_lo
	global_store_b64 v[60:61], v[29:30], off
.LBB191_144:
	s_or_b32 exec_lo, exec_lo, s1
	v_cmp_lt_u32_e32 vcc_lo, v51, v59
	s_or_b32 s5, s23, vcc_lo
	s_delay_alu instid0(SALU_CYCLE_1)
	s_and_saveexec_b32 s1, s5
	s_cbranch_execz .LBB191_147
; %bb.145:
	v_and_b32_e32 v40, 1, v58
	s_delay_alu instid0(VALU_DEP_1)
	v_cmp_eq_u32_e32 vcc_lo, 1, v40
	s_and_b32 exec_lo, exec_lo, vcc_lo
	s_cbranch_execz .LBB191_147
; %bb.146:
	v_mov_b32_e32 v52, 0
	s_delay_alu instid0(VALU_DEP_1) | instskip(NEXT) | instid1(VALU_DEP_1)
	v_lshlrev_b64 v[60:61], 3, v[51:52]
	v_add_co_u32 v60, vcc_lo, s3, v60
	s_delay_alu instid0(VALU_DEP_2)
	v_add_co_ci_u32_e32 v61, vcc_lo, s4, v61, vcc_lo
	global_store_b64 v[60:61], v[31:32], off
.LBB191_147:
	s_or_b32 exec_lo, exec_lo, s1
	v_cmp_lt_u32_e32 vcc_lo, v49, v59
	s_or_b32 s5, s23, vcc_lo
	s_delay_alu instid0(SALU_CYCLE_1)
	;; [unrolled: 21-line block ×7, first 2 shown]
	s_and_saveexec_b32 s1, s5
	s_cbranch_execz .LBB191_165
; %bb.163:
	v_and_b32_e32 v40, 1, v56
	s_delay_alu instid0(VALU_DEP_1)
	v_cmp_eq_u32_e32 vcc_lo, 1, v40
	s_and_b32 exec_lo, exec_lo, vcc_lo
	s_cbranch_execz .LBB191_165
; %bb.164:
	v_mov_b32_e32 v40, 0
	s_delay_alu instid0(VALU_DEP_1) | instskip(NEXT) | instid1(VALU_DEP_1)
	v_lshlrev_b64 v[60:61], 3, v[39:40]
	v_add_co_u32 v60, vcc_lo, s3, v60
	s_delay_alu instid0(VALU_DEP_2)
	v_add_co_ci_u32_e32 v61, vcc_lo, s4, v61, vcc_lo
	global_store_b64 v[60:61], v[19:20], off
.LBB191_165:
	s_or_b32 exec_lo, exec_lo, s1
	s_mov_b32 s3, 0
.LBB191_166:
	v_and_b32_e32 v33, 1, v33
	s_and_b32 vcc_lo, exec_lo, s3
	s_delay_alu instid0(VALU_DEP_1)
	v_cmp_eq_u32_e64 s1, 1, v33
	s_cbranch_vccz .LBB191_187
; %bb.167:
	s_delay_alu instid0(VALU_DEP_1)
	s_and_saveexec_b32 s3, s1
	s_cbranch_execz .LBB191_169
; %bb.168:
	v_subrev_nc_u32_e32 v40, s18, v53
	s_delay_alu instid0(VALU_DEP_1)
	v_lshlrev_b32_e32 v40, 3, v40
	ds_store_b64 v40, v[29:30]
.LBB191_169:
	s_or_b32 exec_lo, exec_lo, s3
	v_and_b32_e32 v29, 1, v58
	s_mov_b32 s1, exec_lo
	s_delay_alu instid0(VALU_DEP_1)
	v_cmpx_eq_u32_e32 1, v29
	s_cbranch_execz .LBB191_171
; %bb.170:
	v_subrev_nc_u32_e32 v29, s18, v51
	s_delay_alu instid0(VALU_DEP_1)
	v_lshlrev_b32_e32 v29, 3, v29
	ds_store_b64 v29, v[31:32]
.LBB191_171:
	s_or_b32 exec_lo, exec_lo, s1
	v_and_b32_e32 v29, 1, v57
	s_mov_b32 s1, exec_lo
	s_delay_alu instid0(VALU_DEP_1)
	v_cmpx_eq_u32_e32 1, v29
	;; [unrolled: 12-line block ×7, first 2 shown]
	s_cbranch_execz .LBB191_183
; %bb.182:
	v_subrev_nc_u32_e32 v17, s18, v39
	s_delay_alu instid0(VALU_DEP_1)
	v_lshlrev_b32_e32 v17, 3, v17
	ds_store_b64 v17, v[19:20]
.LBB191_183:
	s_or_b32 exec_lo, exec_lo, s1
	s_delay_alu instid0(SALU_CYCLE_1)
	s_mov_b32 s3, exec_lo
	s_waitcnt lgkmcnt(0)
	s_waitcnt_vscnt null, 0x0
	s_barrier
	buffer_gl0_inv
	v_cmpx_lt_u32_e64 v0, v35
	s_cbranch_execz .LBB191_186
; %bb.184:
	s_mov_b32 s19, 0
	s_lshl_b64 s[4:5], s[10:11], 3
	s_lshl_b64 s[6:7], s[18:19], 3
	v_dual_mov_b32 v19, v55 :: v_dual_mov_b32 v20, v0
	s_add_u32 s1, s4, s6
	s_addc_u32 s4, s5, s7
	s_add_u32 s1, s12, s1
	s_addc_u32 s4, s13, s4
	v_add_co_u32 v17, s1, s1, v55
	s_delay_alu instid0(VALU_DEP_1)
	v_add_co_ci_u32_e64 v18, null, s4, 0, s1
	.p2align	6
.LBB191_185:                            ; =>This Inner Loop Header: Depth=1
	ds_load_b64 v[21:22], v19
	v_add_nc_u32_e32 v20, 0x200, v20
	v_add_nc_u32_e32 v19, 0x1000, v19
	s_delay_alu instid0(VALU_DEP_2) | instskip(SKIP_4) | instid1(VALU_DEP_1)
	v_cmp_ge_u32_e32 vcc_lo, v20, v35
	s_or_b32 s19, vcc_lo, s19
	s_waitcnt lgkmcnt(0)
	global_store_b64 v[17:18], v[21:22], off
	v_add_co_u32 v17, s1, 0x1000, v17
	v_add_co_ci_u32_e64 v18, s1, 0, v18, s1
	s_and_not1_b32 exec_lo, exec_lo, s19
	s_cbranch_execnz .LBB191_185
.LBB191_186:
	s_or_b32 exec_lo, exec_lo, s3
.LBB191_187:
	s_delay_alu instid0(SALU_CYCLE_1)
	s_and_b32 vcc_lo, exec_lo, s0
	s_mov_b32 s0, -1
	s_waitcnt_vscnt null, 0x0
	s_barrier
	buffer_gl0_inv
	s_cbranch_vccz .LBB191_215
; %bb.188:
	v_cmp_lt_u32_e32 vcc_lo, v53, v59
	s_lshl_b64 s[0:1], s[10:11], 3
	s_delay_alu instid0(SALU_CYCLE_1) | instskip(SKIP_2) | instid1(SALU_CYCLE_1)
	s_add_u32 s0, s14, s0
	s_addc_u32 s1, s15, s1
	s_or_b32 s4, s23, vcc_lo
	s_and_saveexec_b32 s3, s4
	s_cbranch_execz .LBB191_191
; %bb.189:
	v_cmp_eq_u32_e32 vcc_lo, 1, v33
	s_and_b32 exec_lo, exec_lo, vcc_lo
	s_cbranch_execz .LBB191_191
; %bb.190:
	v_mov_b32_e32 v54, 0
	s_delay_alu instid0(VALU_DEP_1) | instskip(NEXT) | instid1(VALU_DEP_1)
	v_lshlrev_b64 v[17:18], 3, v[53:54]
	v_add_co_u32 v17, vcc_lo, s0, v17
	s_delay_alu instid0(VALU_DEP_2)
	v_add_co_ci_u32_e32 v18, vcc_lo, s1, v18, vcc_lo
	global_store_b64 v[17:18], v[13:14], off
.LBB191_191:
	s_or_b32 exec_lo, exec_lo, s3
	v_cmp_lt_u32_e32 vcc_lo, v51, v59
	s_or_b32 s4, s23, vcc_lo
	s_delay_alu instid0(SALU_CYCLE_1)
	s_and_saveexec_b32 s3, s4
	s_cbranch_execz .LBB191_194
; %bb.192:
	v_and_b32_e32 v17, 1, v58
	s_delay_alu instid0(VALU_DEP_1)
	v_cmp_eq_u32_e32 vcc_lo, 1, v17
	s_and_b32 exec_lo, exec_lo, vcc_lo
	s_cbranch_execz .LBB191_194
; %bb.193:
	v_mov_b32_e32 v52, 0
	s_delay_alu instid0(VALU_DEP_1) | instskip(NEXT) | instid1(VALU_DEP_1)
	v_lshlrev_b64 v[17:18], 3, v[51:52]
	v_add_co_u32 v17, vcc_lo, s0, v17
	s_delay_alu instid0(VALU_DEP_2)
	v_add_co_ci_u32_e32 v18, vcc_lo, s1, v18, vcc_lo
	global_store_b64 v[17:18], v[15:16], off
.LBB191_194:
	s_or_b32 exec_lo, exec_lo, s3
	v_cmp_lt_u32_e32 vcc_lo, v49, v59
	s_or_b32 s4, s23, vcc_lo
	s_delay_alu instid0(SALU_CYCLE_1)
	s_and_saveexec_b32 s3, s4
	s_cbranch_execz .LBB191_197
; %bb.195:
	v_and_b32_e32 v17, 1, v57
	s_delay_alu instid0(VALU_DEP_1)
	v_cmp_eq_u32_e32 vcc_lo, 1, v17
	s_and_b32 exec_lo, exec_lo, vcc_lo
	s_cbranch_execz .LBB191_197
; %bb.196:
	v_mov_b32_e32 v50, 0
	s_delay_alu instid0(VALU_DEP_1) | instskip(NEXT) | instid1(VALU_DEP_1)
	v_lshlrev_b64 v[17:18], 3, v[49:50]
	v_add_co_u32 v17, vcc_lo, s0, v17
	s_delay_alu instid0(VALU_DEP_2)
	v_add_co_ci_u32_e32 v18, vcc_lo, s1, v18, vcc_lo
	global_store_b64 v[17:18], v[9:10], off
.LBB191_197:
	;; [unrolled: 21-line block ×7, first 2 shown]
	s_or_b32 exec_lo, exec_lo, s3
.LBB191_213:
	s_and_b32 s0, s2, s22
	s_delay_alu instid0(SALU_CYCLE_1)
	s_and_saveexec_b32 s1, s0
	s_cbranch_execz .LBB191_236
.LBB191_214:
	v_add_co_u32 v0, s0, s10, v35
	s_delay_alu instid0(VALU_DEP_1) | instskip(SKIP_1) | instid1(VALU_DEP_3)
	v_add_co_ci_u32_e64 v1, null, s11, 0, s0
	v_mov_b32_e32 v2, 0
	v_add_co_u32 v0, vcc_lo, v0, s18
	s_delay_alu instid0(VALU_DEP_3)
	v_add_co_ci_u32_e32 v1, vcc_lo, 0, v1, vcc_lo
	global_store_b64 v2, v[0:1], s[8:9]
	s_nop 0
	s_sendmsg sendmsg(MSG_DEALLOC_VGPRS)
	s_endpgm
.LBB191_215:
	s_and_b32 vcc_lo, exec_lo, s0
	s_cbranch_vccz .LBB191_213
; %bb.216:
	s_mov_b32 s0, exec_lo
	v_cmpx_eq_u32_e32 1, v33
	s_cbranch_execz .LBB191_218
; %bb.217:
	v_subrev_nc_u32_e32 v17, s18, v53
	s_delay_alu instid0(VALU_DEP_1)
	v_lshlrev_b32_e32 v17, 3, v17
	ds_store_b64 v17, v[13:14]
.LBB191_218:
	s_or_b32 exec_lo, exec_lo, s0
	v_and_b32_e32 v13, 1, v58
	s_mov_b32 s0, exec_lo
	s_delay_alu instid0(VALU_DEP_1)
	v_cmpx_eq_u32_e32 1, v13
	s_cbranch_execz .LBB191_220
; %bb.219:
	v_subrev_nc_u32_e32 v13, s18, v51
	s_delay_alu instid0(VALU_DEP_1)
	v_lshlrev_b32_e32 v13, 3, v13
	ds_store_b64 v13, v[15:16]
.LBB191_220:
	s_or_b32 exec_lo, exec_lo, s0
	v_and_b32_e32 v13, 1, v57
	s_mov_b32 s0, exec_lo
	s_delay_alu instid0(VALU_DEP_1)
	;; [unrolled: 12-line block ×7, first 2 shown]
	v_cmpx_eq_u32_e32 1, v1
	s_cbranch_execz .LBB191_232
; %bb.231:
	v_subrev_nc_u32_e32 v1, s18, v39
	s_delay_alu instid0(VALU_DEP_1)
	v_lshlrev_b32_e32 v1, 3, v1
	ds_store_b64 v1, v[3:4]
.LBB191_232:
	s_or_b32 exec_lo, exec_lo, s0
	s_delay_alu instid0(SALU_CYCLE_1)
	s_mov_b32 s1, exec_lo
	s_waitcnt lgkmcnt(0)
	s_waitcnt_vscnt null, 0x0
	s_barrier
	buffer_gl0_inv
	v_cmpx_lt_u32_e64 v0, v35
	s_cbranch_execz .LBB191_235
; %bb.233:
	s_mov_b32 s19, 0
	s_lshl_b64 s[4:5], s[10:11], 3
	s_lshl_b64 s[6:7], s[18:19], 3
	s_delay_alu instid0(SALU_CYCLE_1) | instskip(SKIP_4) | instid1(VALU_DEP_1)
	s_add_u32 s0, s4, s6
	s_addc_u32 s3, s5, s7
	s_add_u32 s0, s14, s0
	s_addc_u32 s3, s15, s3
	v_add_co_u32 v1, s0, s0, v55
	v_add_co_ci_u32_e64 v2, null, s3, 0, s0
	.p2align	6
.LBB191_234:                            ; =>This Inner Loop Header: Depth=1
	ds_load_b64 v[3:4], v55
	v_add_nc_u32_e32 v0, 0x200, v0
	v_add_nc_u32_e32 v55, 0x1000, v55
	s_delay_alu instid0(VALU_DEP_2) | instskip(SKIP_4) | instid1(VALU_DEP_1)
	v_cmp_ge_u32_e32 vcc_lo, v0, v35
	s_or_b32 s19, vcc_lo, s19
	s_waitcnt lgkmcnt(0)
	global_store_b64 v[1:2], v[3:4], off
	v_add_co_u32 v1, s0, 0x1000, v1
	v_add_co_ci_u32_e64 v2, s0, 0, v2, s0
	s_and_not1_b32 exec_lo, exec_lo, s19
	s_cbranch_execnz .LBB191_234
.LBB191_235:
	s_or_b32 exec_lo, exec_lo, s1
	s_and_b32 s0, s2, s22
	s_delay_alu instid0(SALU_CYCLE_1)
	s_and_saveexec_b32 s1, s0
	s_cbranch_execnz .LBB191_214
.LBB191_236:
	s_nop 0
	s_sendmsg sendmsg(MSG_DEALLOC_VGPRS)
	s_endpgm
	.section	.rodata,"a",@progbits
	.p2align	6, 0x0
	.amdhsa_kernel _ZN7rocprim17ROCPRIM_400000_NS6detail17trampoline_kernelINS0_14default_configENS1_25partition_config_selectorILNS1_17partition_subalgoE9EyybEEZZNS1_14partition_implILS5_9ELb0ES3_jN6thrust23THRUST_200600_302600_NS6detail15normal_iteratorINS9_10device_ptrIyEEEESE_PNS0_10empty_typeENS0_5tupleIJSE_SF_EEENSH_IJSE_SG_EEENS0_18inequality_wrapperI22is_equal_div_10_uniqueIyEEEPmJSF_EEE10hipError_tPvRmT3_T4_T5_T6_T7_T9_mT8_P12ihipStream_tbDpT10_ENKUlT_T0_E_clISt17integral_constantIbLb1EES18_EEDaS13_S14_EUlS13_E_NS1_11comp_targetILNS1_3genE9ELNS1_11target_archE1100ELNS1_3gpuE3ELNS1_3repE0EEENS1_30default_config_static_selectorELNS0_4arch9wavefront6targetE0EEEvT1_
		.amdhsa_group_segment_fixed_size 33800
		.amdhsa_private_segment_fixed_size 0
		.amdhsa_kernarg_size 128
		.amdhsa_user_sgpr_count 15
		.amdhsa_user_sgpr_dispatch_ptr 0
		.amdhsa_user_sgpr_queue_ptr 0
		.amdhsa_user_sgpr_kernarg_segment_ptr 1
		.amdhsa_user_sgpr_dispatch_id 0
		.amdhsa_user_sgpr_private_segment_size 0
		.amdhsa_wavefront_size32 1
		.amdhsa_uses_dynamic_stack 0
		.amdhsa_enable_private_segment 0
		.amdhsa_system_sgpr_workgroup_id_x 1
		.amdhsa_system_sgpr_workgroup_id_y 0
		.amdhsa_system_sgpr_workgroup_id_z 0
		.amdhsa_system_sgpr_workgroup_info 0
		.amdhsa_system_vgpr_workitem_id 0
		.amdhsa_next_free_vgpr 68
		.amdhsa_next_free_sgpr 29
		.amdhsa_reserve_vcc 1
		.amdhsa_float_round_mode_32 0
		.amdhsa_float_round_mode_16_64 0
		.amdhsa_float_denorm_mode_32 3
		.amdhsa_float_denorm_mode_16_64 3
		.amdhsa_dx10_clamp 1
		.amdhsa_ieee_mode 1
		.amdhsa_fp16_overflow 0
		.amdhsa_workgroup_processor_mode 1
		.amdhsa_memory_ordered 1
		.amdhsa_forward_progress 0
		.amdhsa_shared_vgpr_count 0
		.amdhsa_exception_fp_ieee_invalid_op 0
		.amdhsa_exception_fp_denorm_src 0
		.amdhsa_exception_fp_ieee_div_zero 0
		.amdhsa_exception_fp_ieee_overflow 0
		.amdhsa_exception_fp_ieee_underflow 0
		.amdhsa_exception_fp_ieee_inexact 0
		.amdhsa_exception_int_div_zero 0
	.end_amdhsa_kernel
	.section	.text._ZN7rocprim17ROCPRIM_400000_NS6detail17trampoline_kernelINS0_14default_configENS1_25partition_config_selectorILNS1_17partition_subalgoE9EyybEEZZNS1_14partition_implILS5_9ELb0ES3_jN6thrust23THRUST_200600_302600_NS6detail15normal_iteratorINS9_10device_ptrIyEEEESE_PNS0_10empty_typeENS0_5tupleIJSE_SF_EEENSH_IJSE_SG_EEENS0_18inequality_wrapperI22is_equal_div_10_uniqueIyEEEPmJSF_EEE10hipError_tPvRmT3_T4_T5_T6_T7_T9_mT8_P12ihipStream_tbDpT10_ENKUlT_T0_E_clISt17integral_constantIbLb1EES18_EEDaS13_S14_EUlS13_E_NS1_11comp_targetILNS1_3genE9ELNS1_11target_archE1100ELNS1_3gpuE3ELNS1_3repE0EEENS1_30default_config_static_selectorELNS0_4arch9wavefront6targetE0EEEvT1_,"axG",@progbits,_ZN7rocprim17ROCPRIM_400000_NS6detail17trampoline_kernelINS0_14default_configENS1_25partition_config_selectorILNS1_17partition_subalgoE9EyybEEZZNS1_14partition_implILS5_9ELb0ES3_jN6thrust23THRUST_200600_302600_NS6detail15normal_iteratorINS9_10device_ptrIyEEEESE_PNS0_10empty_typeENS0_5tupleIJSE_SF_EEENSH_IJSE_SG_EEENS0_18inequality_wrapperI22is_equal_div_10_uniqueIyEEEPmJSF_EEE10hipError_tPvRmT3_T4_T5_T6_T7_T9_mT8_P12ihipStream_tbDpT10_ENKUlT_T0_E_clISt17integral_constantIbLb1EES18_EEDaS13_S14_EUlS13_E_NS1_11comp_targetILNS1_3genE9ELNS1_11target_archE1100ELNS1_3gpuE3ELNS1_3repE0EEENS1_30default_config_static_selectorELNS0_4arch9wavefront6targetE0EEEvT1_,comdat
.Lfunc_end191:
	.size	_ZN7rocprim17ROCPRIM_400000_NS6detail17trampoline_kernelINS0_14default_configENS1_25partition_config_selectorILNS1_17partition_subalgoE9EyybEEZZNS1_14partition_implILS5_9ELb0ES3_jN6thrust23THRUST_200600_302600_NS6detail15normal_iteratorINS9_10device_ptrIyEEEESE_PNS0_10empty_typeENS0_5tupleIJSE_SF_EEENSH_IJSE_SG_EEENS0_18inequality_wrapperI22is_equal_div_10_uniqueIyEEEPmJSF_EEE10hipError_tPvRmT3_T4_T5_T6_T7_T9_mT8_P12ihipStream_tbDpT10_ENKUlT_T0_E_clISt17integral_constantIbLb1EES18_EEDaS13_S14_EUlS13_E_NS1_11comp_targetILNS1_3genE9ELNS1_11target_archE1100ELNS1_3gpuE3ELNS1_3repE0EEENS1_30default_config_static_selectorELNS0_4arch9wavefront6targetE0EEEvT1_, .Lfunc_end191-_ZN7rocprim17ROCPRIM_400000_NS6detail17trampoline_kernelINS0_14default_configENS1_25partition_config_selectorILNS1_17partition_subalgoE9EyybEEZZNS1_14partition_implILS5_9ELb0ES3_jN6thrust23THRUST_200600_302600_NS6detail15normal_iteratorINS9_10device_ptrIyEEEESE_PNS0_10empty_typeENS0_5tupleIJSE_SF_EEENSH_IJSE_SG_EEENS0_18inequality_wrapperI22is_equal_div_10_uniqueIyEEEPmJSF_EEE10hipError_tPvRmT3_T4_T5_T6_T7_T9_mT8_P12ihipStream_tbDpT10_ENKUlT_T0_E_clISt17integral_constantIbLb1EES18_EEDaS13_S14_EUlS13_E_NS1_11comp_targetILNS1_3genE9ELNS1_11target_archE1100ELNS1_3gpuE3ELNS1_3repE0EEENS1_30default_config_static_selectorELNS0_4arch9wavefront6targetE0EEEvT1_
                                        ; -- End function
	.section	.AMDGPU.csdata,"",@progbits
; Kernel info:
; codeLenInByte = 11024
; NumSgprs: 31
; NumVgprs: 68
; ScratchSize: 0
; MemoryBound: 0
; FloatMode: 240
; IeeeMode: 1
; LDSByteSize: 33800 bytes/workgroup (compile time only)
; SGPRBlocks: 3
; VGPRBlocks: 8
; NumSGPRsForWavesPerEU: 31
; NumVGPRsForWavesPerEU: 68
; Occupancy: 12
; WaveLimiterHint : 1
; COMPUTE_PGM_RSRC2:SCRATCH_EN: 0
; COMPUTE_PGM_RSRC2:USER_SGPR: 15
; COMPUTE_PGM_RSRC2:TRAP_HANDLER: 0
; COMPUTE_PGM_RSRC2:TGID_X_EN: 1
; COMPUTE_PGM_RSRC2:TGID_Y_EN: 0
; COMPUTE_PGM_RSRC2:TGID_Z_EN: 0
; COMPUTE_PGM_RSRC2:TIDIG_COMP_CNT: 0
	.section	.text._ZN7rocprim17ROCPRIM_400000_NS6detail17trampoline_kernelINS0_14default_configENS1_25partition_config_selectorILNS1_17partition_subalgoE9EyybEEZZNS1_14partition_implILS5_9ELb0ES3_jN6thrust23THRUST_200600_302600_NS6detail15normal_iteratorINS9_10device_ptrIyEEEESE_PNS0_10empty_typeENS0_5tupleIJSE_SF_EEENSH_IJSE_SG_EEENS0_18inequality_wrapperI22is_equal_div_10_uniqueIyEEEPmJSF_EEE10hipError_tPvRmT3_T4_T5_T6_T7_T9_mT8_P12ihipStream_tbDpT10_ENKUlT_T0_E_clISt17integral_constantIbLb1EES18_EEDaS13_S14_EUlS13_E_NS1_11comp_targetILNS1_3genE8ELNS1_11target_archE1030ELNS1_3gpuE2ELNS1_3repE0EEENS1_30default_config_static_selectorELNS0_4arch9wavefront6targetE0EEEvT1_,"axG",@progbits,_ZN7rocprim17ROCPRIM_400000_NS6detail17trampoline_kernelINS0_14default_configENS1_25partition_config_selectorILNS1_17partition_subalgoE9EyybEEZZNS1_14partition_implILS5_9ELb0ES3_jN6thrust23THRUST_200600_302600_NS6detail15normal_iteratorINS9_10device_ptrIyEEEESE_PNS0_10empty_typeENS0_5tupleIJSE_SF_EEENSH_IJSE_SG_EEENS0_18inequality_wrapperI22is_equal_div_10_uniqueIyEEEPmJSF_EEE10hipError_tPvRmT3_T4_T5_T6_T7_T9_mT8_P12ihipStream_tbDpT10_ENKUlT_T0_E_clISt17integral_constantIbLb1EES18_EEDaS13_S14_EUlS13_E_NS1_11comp_targetILNS1_3genE8ELNS1_11target_archE1030ELNS1_3gpuE2ELNS1_3repE0EEENS1_30default_config_static_selectorELNS0_4arch9wavefront6targetE0EEEvT1_,comdat
	.protected	_ZN7rocprim17ROCPRIM_400000_NS6detail17trampoline_kernelINS0_14default_configENS1_25partition_config_selectorILNS1_17partition_subalgoE9EyybEEZZNS1_14partition_implILS5_9ELb0ES3_jN6thrust23THRUST_200600_302600_NS6detail15normal_iteratorINS9_10device_ptrIyEEEESE_PNS0_10empty_typeENS0_5tupleIJSE_SF_EEENSH_IJSE_SG_EEENS0_18inequality_wrapperI22is_equal_div_10_uniqueIyEEEPmJSF_EEE10hipError_tPvRmT3_T4_T5_T6_T7_T9_mT8_P12ihipStream_tbDpT10_ENKUlT_T0_E_clISt17integral_constantIbLb1EES18_EEDaS13_S14_EUlS13_E_NS1_11comp_targetILNS1_3genE8ELNS1_11target_archE1030ELNS1_3gpuE2ELNS1_3repE0EEENS1_30default_config_static_selectorELNS0_4arch9wavefront6targetE0EEEvT1_ ; -- Begin function _ZN7rocprim17ROCPRIM_400000_NS6detail17trampoline_kernelINS0_14default_configENS1_25partition_config_selectorILNS1_17partition_subalgoE9EyybEEZZNS1_14partition_implILS5_9ELb0ES3_jN6thrust23THRUST_200600_302600_NS6detail15normal_iteratorINS9_10device_ptrIyEEEESE_PNS0_10empty_typeENS0_5tupleIJSE_SF_EEENSH_IJSE_SG_EEENS0_18inequality_wrapperI22is_equal_div_10_uniqueIyEEEPmJSF_EEE10hipError_tPvRmT3_T4_T5_T6_T7_T9_mT8_P12ihipStream_tbDpT10_ENKUlT_T0_E_clISt17integral_constantIbLb1EES18_EEDaS13_S14_EUlS13_E_NS1_11comp_targetILNS1_3genE8ELNS1_11target_archE1030ELNS1_3gpuE2ELNS1_3repE0EEENS1_30default_config_static_selectorELNS0_4arch9wavefront6targetE0EEEvT1_
	.globl	_ZN7rocprim17ROCPRIM_400000_NS6detail17trampoline_kernelINS0_14default_configENS1_25partition_config_selectorILNS1_17partition_subalgoE9EyybEEZZNS1_14partition_implILS5_9ELb0ES3_jN6thrust23THRUST_200600_302600_NS6detail15normal_iteratorINS9_10device_ptrIyEEEESE_PNS0_10empty_typeENS0_5tupleIJSE_SF_EEENSH_IJSE_SG_EEENS0_18inequality_wrapperI22is_equal_div_10_uniqueIyEEEPmJSF_EEE10hipError_tPvRmT3_T4_T5_T6_T7_T9_mT8_P12ihipStream_tbDpT10_ENKUlT_T0_E_clISt17integral_constantIbLb1EES18_EEDaS13_S14_EUlS13_E_NS1_11comp_targetILNS1_3genE8ELNS1_11target_archE1030ELNS1_3gpuE2ELNS1_3repE0EEENS1_30default_config_static_selectorELNS0_4arch9wavefront6targetE0EEEvT1_
	.p2align	8
	.type	_ZN7rocprim17ROCPRIM_400000_NS6detail17trampoline_kernelINS0_14default_configENS1_25partition_config_selectorILNS1_17partition_subalgoE9EyybEEZZNS1_14partition_implILS5_9ELb0ES3_jN6thrust23THRUST_200600_302600_NS6detail15normal_iteratorINS9_10device_ptrIyEEEESE_PNS0_10empty_typeENS0_5tupleIJSE_SF_EEENSH_IJSE_SG_EEENS0_18inequality_wrapperI22is_equal_div_10_uniqueIyEEEPmJSF_EEE10hipError_tPvRmT3_T4_T5_T6_T7_T9_mT8_P12ihipStream_tbDpT10_ENKUlT_T0_E_clISt17integral_constantIbLb1EES18_EEDaS13_S14_EUlS13_E_NS1_11comp_targetILNS1_3genE8ELNS1_11target_archE1030ELNS1_3gpuE2ELNS1_3repE0EEENS1_30default_config_static_selectorELNS0_4arch9wavefront6targetE0EEEvT1_,@function
_ZN7rocprim17ROCPRIM_400000_NS6detail17trampoline_kernelINS0_14default_configENS1_25partition_config_selectorILNS1_17partition_subalgoE9EyybEEZZNS1_14partition_implILS5_9ELb0ES3_jN6thrust23THRUST_200600_302600_NS6detail15normal_iteratorINS9_10device_ptrIyEEEESE_PNS0_10empty_typeENS0_5tupleIJSE_SF_EEENSH_IJSE_SG_EEENS0_18inequality_wrapperI22is_equal_div_10_uniqueIyEEEPmJSF_EEE10hipError_tPvRmT3_T4_T5_T6_T7_T9_mT8_P12ihipStream_tbDpT10_ENKUlT_T0_E_clISt17integral_constantIbLb1EES18_EEDaS13_S14_EUlS13_E_NS1_11comp_targetILNS1_3genE8ELNS1_11target_archE1030ELNS1_3gpuE2ELNS1_3repE0EEENS1_30default_config_static_selectorELNS0_4arch9wavefront6targetE0EEEvT1_: ; @_ZN7rocprim17ROCPRIM_400000_NS6detail17trampoline_kernelINS0_14default_configENS1_25partition_config_selectorILNS1_17partition_subalgoE9EyybEEZZNS1_14partition_implILS5_9ELb0ES3_jN6thrust23THRUST_200600_302600_NS6detail15normal_iteratorINS9_10device_ptrIyEEEESE_PNS0_10empty_typeENS0_5tupleIJSE_SF_EEENSH_IJSE_SG_EEENS0_18inequality_wrapperI22is_equal_div_10_uniqueIyEEEPmJSF_EEE10hipError_tPvRmT3_T4_T5_T6_T7_T9_mT8_P12ihipStream_tbDpT10_ENKUlT_T0_E_clISt17integral_constantIbLb1EES18_EEDaS13_S14_EUlS13_E_NS1_11comp_targetILNS1_3genE8ELNS1_11target_archE1030ELNS1_3gpuE2ELNS1_3repE0EEENS1_30default_config_static_selectorELNS0_4arch9wavefront6targetE0EEEvT1_
; %bb.0:
	.section	.rodata,"a",@progbits
	.p2align	6, 0x0
	.amdhsa_kernel _ZN7rocprim17ROCPRIM_400000_NS6detail17trampoline_kernelINS0_14default_configENS1_25partition_config_selectorILNS1_17partition_subalgoE9EyybEEZZNS1_14partition_implILS5_9ELb0ES3_jN6thrust23THRUST_200600_302600_NS6detail15normal_iteratorINS9_10device_ptrIyEEEESE_PNS0_10empty_typeENS0_5tupleIJSE_SF_EEENSH_IJSE_SG_EEENS0_18inequality_wrapperI22is_equal_div_10_uniqueIyEEEPmJSF_EEE10hipError_tPvRmT3_T4_T5_T6_T7_T9_mT8_P12ihipStream_tbDpT10_ENKUlT_T0_E_clISt17integral_constantIbLb1EES18_EEDaS13_S14_EUlS13_E_NS1_11comp_targetILNS1_3genE8ELNS1_11target_archE1030ELNS1_3gpuE2ELNS1_3repE0EEENS1_30default_config_static_selectorELNS0_4arch9wavefront6targetE0EEEvT1_
		.amdhsa_group_segment_fixed_size 0
		.amdhsa_private_segment_fixed_size 0
		.amdhsa_kernarg_size 128
		.amdhsa_user_sgpr_count 15
		.amdhsa_user_sgpr_dispatch_ptr 0
		.amdhsa_user_sgpr_queue_ptr 0
		.amdhsa_user_sgpr_kernarg_segment_ptr 1
		.amdhsa_user_sgpr_dispatch_id 0
		.amdhsa_user_sgpr_private_segment_size 0
		.amdhsa_wavefront_size32 1
		.amdhsa_uses_dynamic_stack 0
		.amdhsa_enable_private_segment 0
		.amdhsa_system_sgpr_workgroup_id_x 1
		.amdhsa_system_sgpr_workgroup_id_y 0
		.amdhsa_system_sgpr_workgroup_id_z 0
		.amdhsa_system_sgpr_workgroup_info 0
		.amdhsa_system_vgpr_workitem_id 0
		.amdhsa_next_free_vgpr 1
		.amdhsa_next_free_sgpr 1
		.amdhsa_reserve_vcc 0
		.amdhsa_float_round_mode_32 0
		.amdhsa_float_round_mode_16_64 0
		.amdhsa_float_denorm_mode_32 3
		.amdhsa_float_denorm_mode_16_64 3
		.amdhsa_dx10_clamp 1
		.amdhsa_ieee_mode 1
		.amdhsa_fp16_overflow 0
		.amdhsa_workgroup_processor_mode 1
		.amdhsa_memory_ordered 1
		.amdhsa_forward_progress 0
		.amdhsa_shared_vgpr_count 0
		.amdhsa_exception_fp_ieee_invalid_op 0
		.amdhsa_exception_fp_denorm_src 0
		.amdhsa_exception_fp_ieee_div_zero 0
		.amdhsa_exception_fp_ieee_overflow 0
		.amdhsa_exception_fp_ieee_underflow 0
		.amdhsa_exception_fp_ieee_inexact 0
		.amdhsa_exception_int_div_zero 0
	.end_amdhsa_kernel
	.section	.text._ZN7rocprim17ROCPRIM_400000_NS6detail17trampoline_kernelINS0_14default_configENS1_25partition_config_selectorILNS1_17partition_subalgoE9EyybEEZZNS1_14partition_implILS5_9ELb0ES3_jN6thrust23THRUST_200600_302600_NS6detail15normal_iteratorINS9_10device_ptrIyEEEESE_PNS0_10empty_typeENS0_5tupleIJSE_SF_EEENSH_IJSE_SG_EEENS0_18inequality_wrapperI22is_equal_div_10_uniqueIyEEEPmJSF_EEE10hipError_tPvRmT3_T4_T5_T6_T7_T9_mT8_P12ihipStream_tbDpT10_ENKUlT_T0_E_clISt17integral_constantIbLb1EES18_EEDaS13_S14_EUlS13_E_NS1_11comp_targetILNS1_3genE8ELNS1_11target_archE1030ELNS1_3gpuE2ELNS1_3repE0EEENS1_30default_config_static_selectorELNS0_4arch9wavefront6targetE0EEEvT1_,"axG",@progbits,_ZN7rocprim17ROCPRIM_400000_NS6detail17trampoline_kernelINS0_14default_configENS1_25partition_config_selectorILNS1_17partition_subalgoE9EyybEEZZNS1_14partition_implILS5_9ELb0ES3_jN6thrust23THRUST_200600_302600_NS6detail15normal_iteratorINS9_10device_ptrIyEEEESE_PNS0_10empty_typeENS0_5tupleIJSE_SF_EEENSH_IJSE_SG_EEENS0_18inequality_wrapperI22is_equal_div_10_uniqueIyEEEPmJSF_EEE10hipError_tPvRmT3_T4_T5_T6_T7_T9_mT8_P12ihipStream_tbDpT10_ENKUlT_T0_E_clISt17integral_constantIbLb1EES18_EEDaS13_S14_EUlS13_E_NS1_11comp_targetILNS1_3genE8ELNS1_11target_archE1030ELNS1_3gpuE2ELNS1_3repE0EEENS1_30default_config_static_selectorELNS0_4arch9wavefront6targetE0EEEvT1_,comdat
.Lfunc_end192:
	.size	_ZN7rocprim17ROCPRIM_400000_NS6detail17trampoline_kernelINS0_14default_configENS1_25partition_config_selectorILNS1_17partition_subalgoE9EyybEEZZNS1_14partition_implILS5_9ELb0ES3_jN6thrust23THRUST_200600_302600_NS6detail15normal_iteratorINS9_10device_ptrIyEEEESE_PNS0_10empty_typeENS0_5tupleIJSE_SF_EEENSH_IJSE_SG_EEENS0_18inequality_wrapperI22is_equal_div_10_uniqueIyEEEPmJSF_EEE10hipError_tPvRmT3_T4_T5_T6_T7_T9_mT8_P12ihipStream_tbDpT10_ENKUlT_T0_E_clISt17integral_constantIbLb1EES18_EEDaS13_S14_EUlS13_E_NS1_11comp_targetILNS1_3genE8ELNS1_11target_archE1030ELNS1_3gpuE2ELNS1_3repE0EEENS1_30default_config_static_selectorELNS0_4arch9wavefront6targetE0EEEvT1_, .Lfunc_end192-_ZN7rocprim17ROCPRIM_400000_NS6detail17trampoline_kernelINS0_14default_configENS1_25partition_config_selectorILNS1_17partition_subalgoE9EyybEEZZNS1_14partition_implILS5_9ELb0ES3_jN6thrust23THRUST_200600_302600_NS6detail15normal_iteratorINS9_10device_ptrIyEEEESE_PNS0_10empty_typeENS0_5tupleIJSE_SF_EEENSH_IJSE_SG_EEENS0_18inequality_wrapperI22is_equal_div_10_uniqueIyEEEPmJSF_EEE10hipError_tPvRmT3_T4_T5_T6_T7_T9_mT8_P12ihipStream_tbDpT10_ENKUlT_T0_E_clISt17integral_constantIbLb1EES18_EEDaS13_S14_EUlS13_E_NS1_11comp_targetILNS1_3genE8ELNS1_11target_archE1030ELNS1_3gpuE2ELNS1_3repE0EEENS1_30default_config_static_selectorELNS0_4arch9wavefront6targetE0EEEvT1_
                                        ; -- End function
	.section	.AMDGPU.csdata,"",@progbits
; Kernel info:
; codeLenInByte = 0
; NumSgprs: 0
; NumVgprs: 0
; ScratchSize: 0
; MemoryBound: 0
; FloatMode: 240
; IeeeMode: 1
; LDSByteSize: 0 bytes/workgroup (compile time only)
; SGPRBlocks: 0
; VGPRBlocks: 0
; NumSGPRsForWavesPerEU: 1
; NumVGPRsForWavesPerEU: 1
; Occupancy: 16
; WaveLimiterHint : 0
; COMPUTE_PGM_RSRC2:SCRATCH_EN: 0
; COMPUTE_PGM_RSRC2:USER_SGPR: 15
; COMPUTE_PGM_RSRC2:TRAP_HANDLER: 0
; COMPUTE_PGM_RSRC2:TGID_X_EN: 1
; COMPUTE_PGM_RSRC2:TGID_Y_EN: 0
; COMPUTE_PGM_RSRC2:TGID_Z_EN: 0
; COMPUTE_PGM_RSRC2:TIDIG_COMP_CNT: 0
	.section	.text._ZN7rocprim17ROCPRIM_400000_NS6detail17trampoline_kernelINS0_14default_configENS1_25partition_config_selectorILNS1_17partition_subalgoE9EyybEEZZNS1_14partition_implILS5_9ELb0ES3_jN6thrust23THRUST_200600_302600_NS6detail15normal_iteratorINS9_10device_ptrIyEEEESE_PNS0_10empty_typeENS0_5tupleIJSE_SF_EEENSH_IJSE_SG_EEENS0_18inequality_wrapperI22is_equal_div_10_uniqueIyEEEPmJSF_EEE10hipError_tPvRmT3_T4_T5_T6_T7_T9_mT8_P12ihipStream_tbDpT10_ENKUlT_T0_E_clISt17integral_constantIbLb1EES17_IbLb0EEEEDaS13_S14_EUlS13_E_NS1_11comp_targetILNS1_3genE0ELNS1_11target_archE4294967295ELNS1_3gpuE0ELNS1_3repE0EEENS1_30default_config_static_selectorELNS0_4arch9wavefront6targetE0EEEvT1_,"axG",@progbits,_ZN7rocprim17ROCPRIM_400000_NS6detail17trampoline_kernelINS0_14default_configENS1_25partition_config_selectorILNS1_17partition_subalgoE9EyybEEZZNS1_14partition_implILS5_9ELb0ES3_jN6thrust23THRUST_200600_302600_NS6detail15normal_iteratorINS9_10device_ptrIyEEEESE_PNS0_10empty_typeENS0_5tupleIJSE_SF_EEENSH_IJSE_SG_EEENS0_18inequality_wrapperI22is_equal_div_10_uniqueIyEEEPmJSF_EEE10hipError_tPvRmT3_T4_T5_T6_T7_T9_mT8_P12ihipStream_tbDpT10_ENKUlT_T0_E_clISt17integral_constantIbLb1EES17_IbLb0EEEEDaS13_S14_EUlS13_E_NS1_11comp_targetILNS1_3genE0ELNS1_11target_archE4294967295ELNS1_3gpuE0ELNS1_3repE0EEENS1_30default_config_static_selectorELNS0_4arch9wavefront6targetE0EEEvT1_,comdat
	.protected	_ZN7rocprim17ROCPRIM_400000_NS6detail17trampoline_kernelINS0_14default_configENS1_25partition_config_selectorILNS1_17partition_subalgoE9EyybEEZZNS1_14partition_implILS5_9ELb0ES3_jN6thrust23THRUST_200600_302600_NS6detail15normal_iteratorINS9_10device_ptrIyEEEESE_PNS0_10empty_typeENS0_5tupleIJSE_SF_EEENSH_IJSE_SG_EEENS0_18inequality_wrapperI22is_equal_div_10_uniqueIyEEEPmJSF_EEE10hipError_tPvRmT3_T4_T5_T6_T7_T9_mT8_P12ihipStream_tbDpT10_ENKUlT_T0_E_clISt17integral_constantIbLb1EES17_IbLb0EEEEDaS13_S14_EUlS13_E_NS1_11comp_targetILNS1_3genE0ELNS1_11target_archE4294967295ELNS1_3gpuE0ELNS1_3repE0EEENS1_30default_config_static_selectorELNS0_4arch9wavefront6targetE0EEEvT1_ ; -- Begin function _ZN7rocprim17ROCPRIM_400000_NS6detail17trampoline_kernelINS0_14default_configENS1_25partition_config_selectorILNS1_17partition_subalgoE9EyybEEZZNS1_14partition_implILS5_9ELb0ES3_jN6thrust23THRUST_200600_302600_NS6detail15normal_iteratorINS9_10device_ptrIyEEEESE_PNS0_10empty_typeENS0_5tupleIJSE_SF_EEENSH_IJSE_SG_EEENS0_18inequality_wrapperI22is_equal_div_10_uniqueIyEEEPmJSF_EEE10hipError_tPvRmT3_T4_T5_T6_T7_T9_mT8_P12ihipStream_tbDpT10_ENKUlT_T0_E_clISt17integral_constantIbLb1EES17_IbLb0EEEEDaS13_S14_EUlS13_E_NS1_11comp_targetILNS1_3genE0ELNS1_11target_archE4294967295ELNS1_3gpuE0ELNS1_3repE0EEENS1_30default_config_static_selectorELNS0_4arch9wavefront6targetE0EEEvT1_
	.globl	_ZN7rocprim17ROCPRIM_400000_NS6detail17trampoline_kernelINS0_14default_configENS1_25partition_config_selectorILNS1_17partition_subalgoE9EyybEEZZNS1_14partition_implILS5_9ELb0ES3_jN6thrust23THRUST_200600_302600_NS6detail15normal_iteratorINS9_10device_ptrIyEEEESE_PNS0_10empty_typeENS0_5tupleIJSE_SF_EEENSH_IJSE_SG_EEENS0_18inequality_wrapperI22is_equal_div_10_uniqueIyEEEPmJSF_EEE10hipError_tPvRmT3_T4_T5_T6_T7_T9_mT8_P12ihipStream_tbDpT10_ENKUlT_T0_E_clISt17integral_constantIbLb1EES17_IbLb0EEEEDaS13_S14_EUlS13_E_NS1_11comp_targetILNS1_3genE0ELNS1_11target_archE4294967295ELNS1_3gpuE0ELNS1_3repE0EEENS1_30default_config_static_selectorELNS0_4arch9wavefront6targetE0EEEvT1_
	.p2align	8
	.type	_ZN7rocprim17ROCPRIM_400000_NS6detail17trampoline_kernelINS0_14default_configENS1_25partition_config_selectorILNS1_17partition_subalgoE9EyybEEZZNS1_14partition_implILS5_9ELb0ES3_jN6thrust23THRUST_200600_302600_NS6detail15normal_iteratorINS9_10device_ptrIyEEEESE_PNS0_10empty_typeENS0_5tupleIJSE_SF_EEENSH_IJSE_SG_EEENS0_18inequality_wrapperI22is_equal_div_10_uniqueIyEEEPmJSF_EEE10hipError_tPvRmT3_T4_T5_T6_T7_T9_mT8_P12ihipStream_tbDpT10_ENKUlT_T0_E_clISt17integral_constantIbLb1EES17_IbLb0EEEEDaS13_S14_EUlS13_E_NS1_11comp_targetILNS1_3genE0ELNS1_11target_archE4294967295ELNS1_3gpuE0ELNS1_3repE0EEENS1_30default_config_static_selectorELNS0_4arch9wavefront6targetE0EEEvT1_,@function
_ZN7rocprim17ROCPRIM_400000_NS6detail17trampoline_kernelINS0_14default_configENS1_25partition_config_selectorILNS1_17partition_subalgoE9EyybEEZZNS1_14partition_implILS5_9ELb0ES3_jN6thrust23THRUST_200600_302600_NS6detail15normal_iteratorINS9_10device_ptrIyEEEESE_PNS0_10empty_typeENS0_5tupleIJSE_SF_EEENSH_IJSE_SG_EEENS0_18inequality_wrapperI22is_equal_div_10_uniqueIyEEEPmJSF_EEE10hipError_tPvRmT3_T4_T5_T6_T7_T9_mT8_P12ihipStream_tbDpT10_ENKUlT_T0_E_clISt17integral_constantIbLb1EES17_IbLb0EEEEDaS13_S14_EUlS13_E_NS1_11comp_targetILNS1_3genE0ELNS1_11target_archE4294967295ELNS1_3gpuE0ELNS1_3repE0EEENS1_30default_config_static_selectorELNS0_4arch9wavefront6targetE0EEEvT1_: ; @_ZN7rocprim17ROCPRIM_400000_NS6detail17trampoline_kernelINS0_14default_configENS1_25partition_config_selectorILNS1_17partition_subalgoE9EyybEEZZNS1_14partition_implILS5_9ELb0ES3_jN6thrust23THRUST_200600_302600_NS6detail15normal_iteratorINS9_10device_ptrIyEEEESE_PNS0_10empty_typeENS0_5tupleIJSE_SF_EEENSH_IJSE_SG_EEENS0_18inequality_wrapperI22is_equal_div_10_uniqueIyEEEPmJSF_EEE10hipError_tPvRmT3_T4_T5_T6_T7_T9_mT8_P12ihipStream_tbDpT10_ENKUlT_T0_E_clISt17integral_constantIbLb1EES17_IbLb0EEEEDaS13_S14_EUlS13_E_NS1_11comp_targetILNS1_3genE0ELNS1_11target_archE4294967295ELNS1_3gpuE0ELNS1_3repE0EEENS1_30default_config_static_selectorELNS0_4arch9wavefront6targetE0EEEvT1_
; %bb.0:
	.section	.rodata,"a",@progbits
	.p2align	6, 0x0
	.amdhsa_kernel _ZN7rocprim17ROCPRIM_400000_NS6detail17trampoline_kernelINS0_14default_configENS1_25partition_config_selectorILNS1_17partition_subalgoE9EyybEEZZNS1_14partition_implILS5_9ELb0ES3_jN6thrust23THRUST_200600_302600_NS6detail15normal_iteratorINS9_10device_ptrIyEEEESE_PNS0_10empty_typeENS0_5tupleIJSE_SF_EEENSH_IJSE_SG_EEENS0_18inequality_wrapperI22is_equal_div_10_uniqueIyEEEPmJSF_EEE10hipError_tPvRmT3_T4_T5_T6_T7_T9_mT8_P12ihipStream_tbDpT10_ENKUlT_T0_E_clISt17integral_constantIbLb1EES17_IbLb0EEEEDaS13_S14_EUlS13_E_NS1_11comp_targetILNS1_3genE0ELNS1_11target_archE4294967295ELNS1_3gpuE0ELNS1_3repE0EEENS1_30default_config_static_selectorELNS0_4arch9wavefront6targetE0EEEvT1_
		.amdhsa_group_segment_fixed_size 0
		.amdhsa_private_segment_fixed_size 0
		.amdhsa_kernarg_size 112
		.amdhsa_user_sgpr_count 15
		.amdhsa_user_sgpr_dispatch_ptr 0
		.amdhsa_user_sgpr_queue_ptr 0
		.amdhsa_user_sgpr_kernarg_segment_ptr 1
		.amdhsa_user_sgpr_dispatch_id 0
		.amdhsa_user_sgpr_private_segment_size 0
		.amdhsa_wavefront_size32 1
		.amdhsa_uses_dynamic_stack 0
		.amdhsa_enable_private_segment 0
		.amdhsa_system_sgpr_workgroup_id_x 1
		.amdhsa_system_sgpr_workgroup_id_y 0
		.amdhsa_system_sgpr_workgroup_id_z 0
		.amdhsa_system_sgpr_workgroup_info 0
		.amdhsa_system_vgpr_workitem_id 0
		.amdhsa_next_free_vgpr 1
		.amdhsa_next_free_sgpr 1
		.amdhsa_reserve_vcc 0
		.amdhsa_float_round_mode_32 0
		.amdhsa_float_round_mode_16_64 0
		.amdhsa_float_denorm_mode_32 3
		.amdhsa_float_denorm_mode_16_64 3
		.amdhsa_dx10_clamp 1
		.amdhsa_ieee_mode 1
		.amdhsa_fp16_overflow 0
		.amdhsa_workgroup_processor_mode 1
		.amdhsa_memory_ordered 1
		.amdhsa_forward_progress 0
		.amdhsa_shared_vgpr_count 0
		.amdhsa_exception_fp_ieee_invalid_op 0
		.amdhsa_exception_fp_denorm_src 0
		.amdhsa_exception_fp_ieee_div_zero 0
		.amdhsa_exception_fp_ieee_overflow 0
		.amdhsa_exception_fp_ieee_underflow 0
		.amdhsa_exception_fp_ieee_inexact 0
		.amdhsa_exception_int_div_zero 0
	.end_amdhsa_kernel
	.section	.text._ZN7rocprim17ROCPRIM_400000_NS6detail17trampoline_kernelINS0_14default_configENS1_25partition_config_selectorILNS1_17partition_subalgoE9EyybEEZZNS1_14partition_implILS5_9ELb0ES3_jN6thrust23THRUST_200600_302600_NS6detail15normal_iteratorINS9_10device_ptrIyEEEESE_PNS0_10empty_typeENS0_5tupleIJSE_SF_EEENSH_IJSE_SG_EEENS0_18inequality_wrapperI22is_equal_div_10_uniqueIyEEEPmJSF_EEE10hipError_tPvRmT3_T4_T5_T6_T7_T9_mT8_P12ihipStream_tbDpT10_ENKUlT_T0_E_clISt17integral_constantIbLb1EES17_IbLb0EEEEDaS13_S14_EUlS13_E_NS1_11comp_targetILNS1_3genE0ELNS1_11target_archE4294967295ELNS1_3gpuE0ELNS1_3repE0EEENS1_30default_config_static_selectorELNS0_4arch9wavefront6targetE0EEEvT1_,"axG",@progbits,_ZN7rocprim17ROCPRIM_400000_NS6detail17trampoline_kernelINS0_14default_configENS1_25partition_config_selectorILNS1_17partition_subalgoE9EyybEEZZNS1_14partition_implILS5_9ELb0ES3_jN6thrust23THRUST_200600_302600_NS6detail15normal_iteratorINS9_10device_ptrIyEEEESE_PNS0_10empty_typeENS0_5tupleIJSE_SF_EEENSH_IJSE_SG_EEENS0_18inequality_wrapperI22is_equal_div_10_uniqueIyEEEPmJSF_EEE10hipError_tPvRmT3_T4_T5_T6_T7_T9_mT8_P12ihipStream_tbDpT10_ENKUlT_T0_E_clISt17integral_constantIbLb1EES17_IbLb0EEEEDaS13_S14_EUlS13_E_NS1_11comp_targetILNS1_3genE0ELNS1_11target_archE4294967295ELNS1_3gpuE0ELNS1_3repE0EEENS1_30default_config_static_selectorELNS0_4arch9wavefront6targetE0EEEvT1_,comdat
.Lfunc_end193:
	.size	_ZN7rocprim17ROCPRIM_400000_NS6detail17trampoline_kernelINS0_14default_configENS1_25partition_config_selectorILNS1_17partition_subalgoE9EyybEEZZNS1_14partition_implILS5_9ELb0ES3_jN6thrust23THRUST_200600_302600_NS6detail15normal_iteratorINS9_10device_ptrIyEEEESE_PNS0_10empty_typeENS0_5tupleIJSE_SF_EEENSH_IJSE_SG_EEENS0_18inequality_wrapperI22is_equal_div_10_uniqueIyEEEPmJSF_EEE10hipError_tPvRmT3_T4_T5_T6_T7_T9_mT8_P12ihipStream_tbDpT10_ENKUlT_T0_E_clISt17integral_constantIbLb1EES17_IbLb0EEEEDaS13_S14_EUlS13_E_NS1_11comp_targetILNS1_3genE0ELNS1_11target_archE4294967295ELNS1_3gpuE0ELNS1_3repE0EEENS1_30default_config_static_selectorELNS0_4arch9wavefront6targetE0EEEvT1_, .Lfunc_end193-_ZN7rocprim17ROCPRIM_400000_NS6detail17trampoline_kernelINS0_14default_configENS1_25partition_config_selectorILNS1_17partition_subalgoE9EyybEEZZNS1_14partition_implILS5_9ELb0ES3_jN6thrust23THRUST_200600_302600_NS6detail15normal_iteratorINS9_10device_ptrIyEEEESE_PNS0_10empty_typeENS0_5tupleIJSE_SF_EEENSH_IJSE_SG_EEENS0_18inequality_wrapperI22is_equal_div_10_uniqueIyEEEPmJSF_EEE10hipError_tPvRmT3_T4_T5_T6_T7_T9_mT8_P12ihipStream_tbDpT10_ENKUlT_T0_E_clISt17integral_constantIbLb1EES17_IbLb0EEEEDaS13_S14_EUlS13_E_NS1_11comp_targetILNS1_3genE0ELNS1_11target_archE4294967295ELNS1_3gpuE0ELNS1_3repE0EEENS1_30default_config_static_selectorELNS0_4arch9wavefront6targetE0EEEvT1_
                                        ; -- End function
	.section	.AMDGPU.csdata,"",@progbits
; Kernel info:
; codeLenInByte = 0
; NumSgprs: 0
; NumVgprs: 0
; ScratchSize: 0
; MemoryBound: 0
; FloatMode: 240
; IeeeMode: 1
; LDSByteSize: 0 bytes/workgroup (compile time only)
; SGPRBlocks: 0
; VGPRBlocks: 0
; NumSGPRsForWavesPerEU: 1
; NumVGPRsForWavesPerEU: 1
; Occupancy: 16
; WaveLimiterHint : 0
; COMPUTE_PGM_RSRC2:SCRATCH_EN: 0
; COMPUTE_PGM_RSRC2:USER_SGPR: 15
; COMPUTE_PGM_RSRC2:TRAP_HANDLER: 0
; COMPUTE_PGM_RSRC2:TGID_X_EN: 1
; COMPUTE_PGM_RSRC2:TGID_Y_EN: 0
; COMPUTE_PGM_RSRC2:TGID_Z_EN: 0
; COMPUTE_PGM_RSRC2:TIDIG_COMP_CNT: 0
	.section	.text._ZN7rocprim17ROCPRIM_400000_NS6detail17trampoline_kernelINS0_14default_configENS1_25partition_config_selectorILNS1_17partition_subalgoE9EyybEEZZNS1_14partition_implILS5_9ELb0ES3_jN6thrust23THRUST_200600_302600_NS6detail15normal_iteratorINS9_10device_ptrIyEEEESE_PNS0_10empty_typeENS0_5tupleIJSE_SF_EEENSH_IJSE_SG_EEENS0_18inequality_wrapperI22is_equal_div_10_uniqueIyEEEPmJSF_EEE10hipError_tPvRmT3_T4_T5_T6_T7_T9_mT8_P12ihipStream_tbDpT10_ENKUlT_T0_E_clISt17integral_constantIbLb1EES17_IbLb0EEEEDaS13_S14_EUlS13_E_NS1_11comp_targetILNS1_3genE5ELNS1_11target_archE942ELNS1_3gpuE9ELNS1_3repE0EEENS1_30default_config_static_selectorELNS0_4arch9wavefront6targetE0EEEvT1_,"axG",@progbits,_ZN7rocprim17ROCPRIM_400000_NS6detail17trampoline_kernelINS0_14default_configENS1_25partition_config_selectorILNS1_17partition_subalgoE9EyybEEZZNS1_14partition_implILS5_9ELb0ES3_jN6thrust23THRUST_200600_302600_NS6detail15normal_iteratorINS9_10device_ptrIyEEEESE_PNS0_10empty_typeENS0_5tupleIJSE_SF_EEENSH_IJSE_SG_EEENS0_18inequality_wrapperI22is_equal_div_10_uniqueIyEEEPmJSF_EEE10hipError_tPvRmT3_T4_T5_T6_T7_T9_mT8_P12ihipStream_tbDpT10_ENKUlT_T0_E_clISt17integral_constantIbLb1EES17_IbLb0EEEEDaS13_S14_EUlS13_E_NS1_11comp_targetILNS1_3genE5ELNS1_11target_archE942ELNS1_3gpuE9ELNS1_3repE0EEENS1_30default_config_static_selectorELNS0_4arch9wavefront6targetE0EEEvT1_,comdat
	.protected	_ZN7rocprim17ROCPRIM_400000_NS6detail17trampoline_kernelINS0_14default_configENS1_25partition_config_selectorILNS1_17partition_subalgoE9EyybEEZZNS1_14partition_implILS5_9ELb0ES3_jN6thrust23THRUST_200600_302600_NS6detail15normal_iteratorINS9_10device_ptrIyEEEESE_PNS0_10empty_typeENS0_5tupleIJSE_SF_EEENSH_IJSE_SG_EEENS0_18inequality_wrapperI22is_equal_div_10_uniqueIyEEEPmJSF_EEE10hipError_tPvRmT3_T4_T5_T6_T7_T9_mT8_P12ihipStream_tbDpT10_ENKUlT_T0_E_clISt17integral_constantIbLb1EES17_IbLb0EEEEDaS13_S14_EUlS13_E_NS1_11comp_targetILNS1_3genE5ELNS1_11target_archE942ELNS1_3gpuE9ELNS1_3repE0EEENS1_30default_config_static_selectorELNS0_4arch9wavefront6targetE0EEEvT1_ ; -- Begin function _ZN7rocprim17ROCPRIM_400000_NS6detail17trampoline_kernelINS0_14default_configENS1_25partition_config_selectorILNS1_17partition_subalgoE9EyybEEZZNS1_14partition_implILS5_9ELb0ES3_jN6thrust23THRUST_200600_302600_NS6detail15normal_iteratorINS9_10device_ptrIyEEEESE_PNS0_10empty_typeENS0_5tupleIJSE_SF_EEENSH_IJSE_SG_EEENS0_18inequality_wrapperI22is_equal_div_10_uniqueIyEEEPmJSF_EEE10hipError_tPvRmT3_T4_T5_T6_T7_T9_mT8_P12ihipStream_tbDpT10_ENKUlT_T0_E_clISt17integral_constantIbLb1EES17_IbLb0EEEEDaS13_S14_EUlS13_E_NS1_11comp_targetILNS1_3genE5ELNS1_11target_archE942ELNS1_3gpuE9ELNS1_3repE0EEENS1_30default_config_static_selectorELNS0_4arch9wavefront6targetE0EEEvT1_
	.globl	_ZN7rocprim17ROCPRIM_400000_NS6detail17trampoline_kernelINS0_14default_configENS1_25partition_config_selectorILNS1_17partition_subalgoE9EyybEEZZNS1_14partition_implILS5_9ELb0ES3_jN6thrust23THRUST_200600_302600_NS6detail15normal_iteratorINS9_10device_ptrIyEEEESE_PNS0_10empty_typeENS0_5tupleIJSE_SF_EEENSH_IJSE_SG_EEENS0_18inequality_wrapperI22is_equal_div_10_uniqueIyEEEPmJSF_EEE10hipError_tPvRmT3_T4_T5_T6_T7_T9_mT8_P12ihipStream_tbDpT10_ENKUlT_T0_E_clISt17integral_constantIbLb1EES17_IbLb0EEEEDaS13_S14_EUlS13_E_NS1_11comp_targetILNS1_3genE5ELNS1_11target_archE942ELNS1_3gpuE9ELNS1_3repE0EEENS1_30default_config_static_selectorELNS0_4arch9wavefront6targetE0EEEvT1_
	.p2align	8
	.type	_ZN7rocprim17ROCPRIM_400000_NS6detail17trampoline_kernelINS0_14default_configENS1_25partition_config_selectorILNS1_17partition_subalgoE9EyybEEZZNS1_14partition_implILS5_9ELb0ES3_jN6thrust23THRUST_200600_302600_NS6detail15normal_iteratorINS9_10device_ptrIyEEEESE_PNS0_10empty_typeENS0_5tupleIJSE_SF_EEENSH_IJSE_SG_EEENS0_18inequality_wrapperI22is_equal_div_10_uniqueIyEEEPmJSF_EEE10hipError_tPvRmT3_T4_T5_T6_T7_T9_mT8_P12ihipStream_tbDpT10_ENKUlT_T0_E_clISt17integral_constantIbLb1EES17_IbLb0EEEEDaS13_S14_EUlS13_E_NS1_11comp_targetILNS1_3genE5ELNS1_11target_archE942ELNS1_3gpuE9ELNS1_3repE0EEENS1_30default_config_static_selectorELNS0_4arch9wavefront6targetE0EEEvT1_,@function
_ZN7rocprim17ROCPRIM_400000_NS6detail17trampoline_kernelINS0_14default_configENS1_25partition_config_selectorILNS1_17partition_subalgoE9EyybEEZZNS1_14partition_implILS5_9ELb0ES3_jN6thrust23THRUST_200600_302600_NS6detail15normal_iteratorINS9_10device_ptrIyEEEESE_PNS0_10empty_typeENS0_5tupleIJSE_SF_EEENSH_IJSE_SG_EEENS0_18inequality_wrapperI22is_equal_div_10_uniqueIyEEEPmJSF_EEE10hipError_tPvRmT3_T4_T5_T6_T7_T9_mT8_P12ihipStream_tbDpT10_ENKUlT_T0_E_clISt17integral_constantIbLb1EES17_IbLb0EEEEDaS13_S14_EUlS13_E_NS1_11comp_targetILNS1_3genE5ELNS1_11target_archE942ELNS1_3gpuE9ELNS1_3repE0EEENS1_30default_config_static_selectorELNS0_4arch9wavefront6targetE0EEEvT1_: ; @_ZN7rocprim17ROCPRIM_400000_NS6detail17trampoline_kernelINS0_14default_configENS1_25partition_config_selectorILNS1_17partition_subalgoE9EyybEEZZNS1_14partition_implILS5_9ELb0ES3_jN6thrust23THRUST_200600_302600_NS6detail15normal_iteratorINS9_10device_ptrIyEEEESE_PNS0_10empty_typeENS0_5tupleIJSE_SF_EEENSH_IJSE_SG_EEENS0_18inequality_wrapperI22is_equal_div_10_uniqueIyEEEPmJSF_EEE10hipError_tPvRmT3_T4_T5_T6_T7_T9_mT8_P12ihipStream_tbDpT10_ENKUlT_T0_E_clISt17integral_constantIbLb1EES17_IbLb0EEEEDaS13_S14_EUlS13_E_NS1_11comp_targetILNS1_3genE5ELNS1_11target_archE942ELNS1_3gpuE9ELNS1_3repE0EEENS1_30default_config_static_selectorELNS0_4arch9wavefront6targetE0EEEvT1_
; %bb.0:
	.section	.rodata,"a",@progbits
	.p2align	6, 0x0
	.amdhsa_kernel _ZN7rocprim17ROCPRIM_400000_NS6detail17trampoline_kernelINS0_14default_configENS1_25partition_config_selectorILNS1_17partition_subalgoE9EyybEEZZNS1_14partition_implILS5_9ELb0ES3_jN6thrust23THRUST_200600_302600_NS6detail15normal_iteratorINS9_10device_ptrIyEEEESE_PNS0_10empty_typeENS0_5tupleIJSE_SF_EEENSH_IJSE_SG_EEENS0_18inequality_wrapperI22is_equal_div_10_uniqueIyEEEPmJSF_EEE10hipError_tPvRmT3_T4_T5_T6_T7_T9_mT8_P12ihipStream_tbDpT10_ENKUlT_T0_E_clISt17integral_constantIbLb1EES17_IbLb0EEEEDaS13_S14_EUlS13_E_NS1_11comp_targetILNS1_3genE5ELNS1_11target_archE942ELNS1_3gpuE9ELNS1_3repE0EEENS1_30default_config_static_selectorELNS0_4arch9wavefront6targetE0EEEvT1_
		.amdhsa_group_segment_fixed_size 0
		.amdhsa_private_segment_fixed_size 0
		.amdhsa_kernarg_size 112
		.amdhsa_user_sgpr_count 15
		.amdhsa_user_sgpr_dispatch_ptr 0
		.amdhsa_user_sgpr_queue_ptr 0
		.amdhsa_user_sgpr_kernarg_segment_ptr 1
		.amdhsa_user_sgpr_dispatch_id 0
		.amdhsa_user_sgpr_private_segment_size 0
		.amdhsa_wavefront_size32 1
		.amdhsa_uses_dynamic_stack 0
		.amdhsa_enable_private_segment 0
		.amdhsa_system_sgpr_workgroup_id_x 1
		.amdhsa_system_sgpr_workgroup_id_y 0
		.amdhsa_system_sgpr_workgroup_id_z 0
		.amdhsa_system_sgpr_workgroup_info 0
		.amdhsa_system_vgpr_workitem_id 0
		.amdhsa_next_free_vgpr 1
		.amdhsa_next_free_sgpr 1
		.amdhsa_reserve_vcc 0
		.amdhsa_float_round_mode_32 0
		.amdhsa_float_round_mode_16_64 0
		.amdhsa_float_denorm_mode_32 3
		.amdhsa_float_denorm_mode_16_64 3
		.amdhsa_dx10_clamp 1
		.amdhsa_ieee_mode 1
		.amdhsa_fp16_overflow 0
		.amdhsa_workgroup_processor_mode 1
		.amdhsa_memory_ordered 1
		.amdhsa_forward_progress 0
		.amdhsa_shared_vgpr_count 0
		.amdhsa_exception_fp_ieee_invalid_op 0
		.amdhsa_exception_fp_denorm_src 0
		.amdhsa_exception_fp_ieee_div_zero 0
		.amdhsa_exception_fp_ieee_overflow 0
		.amdhsa_exception_fp_ieee_underflow 0
		.amdhsa_exception_fp_ieee_inexact 0
		.amdhsa_exception_int_div_zero 0
	.end_amdhsa_kernel
	.section	.text._ZN7rocprim17ROCPRIM_400000_NS6detail17trampoline_kernelINS0_14default_configENS1_25partition_config_selectorILNS1_17partition_subalgoE9EyybEEZZNS1_14partition_implILS5_9ELb0ES3_jN6thrust23THRUST_200600_302600_NS6detail15normal_iteratorINS9_10device_ptrIyEEEESE_PNS0_10empty_typeENS0_5tupleIJSE_SF_EEENSH_IJSE_SG_EEENS0_18inequality_wrapperI22is_equal_div_10_uniqueIyEEEPmJSF_EEE10hipError_tPvRmT3_T4_T5_T6_T7_T9_mT8_P12ihipStream_tbDpT10_ENKUlT_T0_E_clISt17integral_constantIbLb1EES17_IbLb0EEEEDaS13_S14_EUlS13_E_NS1_11comp_targetILNS1_3genE5ELNS1_11target_archE942ELNS1_3gpuE9ELNS1_3repE0EEENS1_30default_config_static_selectorELNS0_4arch9wavefront6targetE0EEEvT1_,"axG",@progbits,_ZN7rocprim17ROCPRIM_400000_NS6detail17trampoline_kernelINS0_14default_configENS1_25partition_config_selectorILNS1_17partition_subalgoE9EyybEEZZNS1_14partition_implILS5_9ELb0ES3_jN6thrust23THRUST_200600_302600_NS6detail15normal_iteratorINS9_10device_ptrIyEEEESE_PNS0_10empty_typeENS0_5tupleIJSE_SF_EEENSH_IJSE_SG_EEENS0_18inequality_wrapperI22is_equal_div_10_uniqueIyEEEPmJSF_EEE10hipError_tPvRmT3_T4_T5_T6_T7_T9_mT8_P12ihipStream_tbDpT10_ENKUlT_T0_E_clISt17integral_constantIbLb1EES17_IbLb0EEEEDaS13_S14_EUlS13_E_NS1_11comp_targetILNS1_3genE5ELNS1_11target_archE942ELNS1_3gpuE9ELNS1_3repE0EEENS1_30default_config_static_selectorELNS0_4arch9wavefront6targetE0EEEvT1_,comdat
.Lfunc_end194:
	.size	_ZN7rocprim17ROCPRIM_400000_NS6detail17trampoline_kernelINS0_14default_configENS1_25partition_config_selectorILNS1_17partition_subalgoE9EyybEEZZNS1_14partition_implILS5_9ELb0ES3_jN6thrust23THRUST_200600_302600_NS6detail15normal_iteratorINS9_10device_ptrIyEEEESE_PNS0_10empty_typeENS0_5tupleIJSE_SF_EEENSH_IJSE_SG_EEENS0_18inequality_wrapperI22is_equal_div_10_uniqueIyEEEPmJSF_EEE10hipError_tPvRmT3_T4_T5_T6_T7_T9_mT8_P12ihipStream_tbDpT10_ENKUlT_T0_E_clISt17integral_constantIbLb1EES17_IbLb0EEEEDaS13_S14_EUlS13_E_NS1_11comp_targetILNS1_3genE5ELNS1_11target_archE942ELNS1_3gpuE9ELNS1_3repE0EEENS1_30default_config_static_selectorELNS0_4arch9wavefront6targetE0EEEvT1_, .Lfunc_end194-_ZN7rocprim17ROCPRIM_400000_NS6detail17trampoline_kernelINS0_14default_configENS1_25partition_config_selectorILNS1_17partition_subalgoE9EyybEEZZNS1_14partition_implILS5_9ELb0ES3_jN6thrust23THRUST_200600_302600_NS6detail15normal_iteratorINS9_10device_ptrIyEEEESE_PNS0_10empty_typeENS0_5tupleIJSE_SF_EEENSH_IJSE_SG_EEENS0_18inequality_wrapperI22is_equal_div_10_uniqueIyEEEPmJSF_EEE10hipError_tPvRmT3_T4_T5_T6_T7_T9_mT8_P12ihipStream_tbDpT10_ENKUlT_T0_E_clISt17integral_constantIbLb1EES17_IbLb0EEEEDaS13_S14_EUlS13_E_NS1_11comp_targetILNS1_3genE5ELNS1_11target_archE942ELNS1_3gpuE9ELNS1_3repE0EEENS1_30default_config_static_selectorELNS0_4arch9wavefront6targetE0EEEvT1_
                                        ; -- End function
	.section	.AMDGPU.csdata,"",@progbits
; Kernel info:
; codeLenInByte = 0
; NumSgprs: 0
; NumVgprs: 0
; ScratchSize: 0
; MemoryBound: 0
; FloatMode: 240
; IeeeMode: 1
; LDSByteSize: 0 bytes/workgroup (compile time only)
; SGPRBlocks: 0
; VGPRBlocks: 0
; NumSGPRsForWavesPerEU: 1
; NumVGPRsForWavesPerEU: 1
; Occupancy: 16
; WaveLimiterHint : 0
; COMPUTE_PGM_RSRC2:SCRATCH_EN: 0
; COMPUTE_PGM_RSRC2:USER_SGPR: 15
; COMPUTE_PGM_RSRC2:TRAP_HANDLER: 0
; COMPUTE_PGM_RSRC2:TGID_X_EN: 1
; COMPUTE_PGM_RSRC2:TGID_Y_EN: 0
; COMPUTE_PGM_RSRC2:TGID_Z_EN: 0
; COMPUTE_PGM_RSRC2:TIDIG_COMP_CNT: 0
	.section	.text._ZN7rocprim17ROCPRIM_400000_NS6detail17trampoline_kernelINS0_14default_configENS1_25partition_config_selectorILNS1_17partition_subalgoE9EyybEEZZNS1_14partition_implILS5_9ELb0ES3_jN6thrust23THRUST_200600_302600_NS6detail15normal_iteratorINS9_10device_ptrIyEEEESE_PNS0_10empty_typeENS0_5tupleIJSE_SF_EEENSH_IJSE_SG_EEENS0_18inequality_wrapperI22is_equal_div_10_uniqueIyEEEPmJSF_EEE10hipError_tPvRmT3_T4_T5_T6_T7_T9_mT8_P12ihipStream_tbDpT10_ENKUlT_T0_E_clISt17integral_constantIbLb1EES17_IbLb0EEEEDaS13_S14_EUlS13_E_NS1_11comp_targetILNS1_3genE4ELNS1_11target_archE910ELNS1_3gpuE8ELNS1_3repE0EEENS1_30default_config_static_selectorELNS0_4arch9wavefront6targetE0EEEvT1_,"axG",@progbits,_ZN7rocprim17ROCPRIM_400000_NS6detail17trampoline_kernelINS0_14default_configENS1_25partition_config_selectorILNS1_17partition_subalgoE9EyybEEZZNS1_14partition_implILS5_9ELb0ES3_jN6thrust23THRUST_200600_302600_NS6detail15normal_iteratorINS9_10device_ptrIyEEEESE_PNS0_10empty_typeENS0_5tupleIJSE_SF_EEENSH_IJSE_SG_EEENS0_18inequality_wrapperI22is_equal_div_10_uniqueIyEEEPmJSF_EEE10hipError_tPvRmT3_T4_T5_T6_T7_T9_mT8_P12ihipStream_tbDpT10_ENKUlT_T0_E_clISt17integral_constantIbLb1EES17_IbLb0EEEEDaS13_S14_EUlS13_E_NS1_11comp_targetILNS1_3genE4ELNS1_11target_archE910ELNS1_3gpuE8ELNS1_3repE0EEENS1_30default_config_static_selectorELNS0_4arch9wavefront6targetE0EEEvT1_,comdat
	.protected	_ZN7rocprim17ROCPRIM_400000_NS6detail17trampoline_kernelINS0_14default_configENS1_25partition_config_selectorILNS1_17partition_subalgoE9EyybEEZZNS1_14partition_implILS5_9ELb0ES3_jN6thrust23THRUST_200600_302600_NS6detail15normal_iteratorINS9_10device_ptrIyEEEESE_PNS0_10empty_typeENS0_5tupleIJSE_SF_EEENSH_IJSE_SG_EEENS0_18inequality_wrapperI22is_equal_div_10_uniqueIyEEEPmJSF_EEE10hipError_tPvRmT3_T4_T5_T6_T7_T9_mT8_P12ihipStream_tbDpT10_ENKUlT_T0_E_clISt17integral_constantIbLb1EES17_IbLb0EEEEDaS13_S14_EUlS13_E_NS1_11comp_targetILNS1_3genE4ELNS1_11target_archE910ELNS1_3gpuE8ELNS1_3repE0EEENS1_30default_config_static_selectorELNS0_4arch9wavefront6targetE0EEEvT1_ ; -- Begin function _ZN7rocprim17ROCPRIM_400000_NS6detail17trampoline_kernelINS0_14default_configENS1_25partition_config_selectorILNS1_17partition_subalgoE9EyybEEZZNS1_14partition_implILS5_9ELb0ES3_jN6thrust23THRUST_200600_302600_NS6detail15normal_iteratorINS9_10device_ptrIyEEEESE_PNS0_10empty_typeENS0_5tupleIJSE_SF_EEENSH_IJSE_SG_EEENS0_18inequality_wrapperI22is_equal_div_10_uniqueIyEEEPmJSF_EEE10hipError_tPvRmT3_T4_T5_T6_T7_T9_mT8_P12ihipStream_tbDpT10_ENKUlT_T0_E_clISt17integral_constantIbLb1EES17_IbLb0EEEEDaS13_S14_EUlS13_E_NS1_11comp_targetILNS1_3genE4ELNS1_11target_archE910ELNS1_3gpuE8ELNS1_3repE0EEENS1_30default_config_static_selectorELNS0_4arch9wavefront6targetE0EEEvT1_
	.globl	_ZN7rocprim17ROCPRIM_400000_NS6detail17trampoline_kernelINS0_14default_configENS1_25partition_config_selectorILNS1_17partition_subalgoE9EyybEEZZNS1_14partition_implILS5_9ELb0ES3_jN6thrust23THRUST_200600_302600_NS6detail15normal_iteratorINS9_10device_ptrIyEEEESE_PNS0_10empty_typeENS0_5tupleIJSE_SF_EEENSH_IJSE_SG_EEENS0_18inequality_wrapperI22is_equal_div_10_uniqueIyEEEPmJSF_EEE10hipError_tPvRmT3_T4_T5_T6_T7_T9_mT8_P12ihipStream_tbDpT10_ENKUlT_T0_E_clISt17integral_constantIbLb1EES17_IbLb0EEEEDaS13_S14_EUlS13_E_NS1_11comp_targetILNS1_3genE4ELNS1_11target_archE910ELNS1_3gpuE8ELNS1_3repE0EEENS1_30default_config_static_selectorELNS0_4arch9wavefront6targetE0EEEvT1_
	.p2align	8
	.type	_ZN7rocprim17ROCPRIM_400000_NS6detail17trampoline_kernelINS0_14default_configENS1_25partition_config_selectorILNS1_17partition_subalgoE9EyybEEZZNS1_14partition_implILS5_9ELb0ES3_jN6thrust23THRUST_200600_302600_NS6detail15normal_iteratorINS9_10device_ptrIyEEEESE_PNS0_10empty_typeENS0_5tupleIJSE_SF_EEENSH_IJSE_SG_EEENS0_18inequality_wrapperI22is_equal_div_10_uniqueIyEEEPmJSF_EEE10hipError_tPvRmT3_T4_T5_T6_T7_T9_mT8_P12ihipStream_tbDpT10_ENKUlT_T0_E_clISt17integral_constantIbLb1EES17_IbLb0EEEEDaS13_S14_EUlS13_E_NS1_11comp_targetILNS1_3genE4ELNS1_11target_archE910ELNS1_3gpuE8ELNS1_3repE0EEENS1_30default_config_static_selectorELNS0_4arch9wavefront6targetE0EEEvT1_,@function
_ZN7rocprim17ROCPRIM_400000_NS6detail17trampoline_kernelINS0_14default_configENS1_25partition_config_selectorILNS1_17partition_subalgoE9EyybEEZZNS1_14partition_implILS5_9ELb0ES3_jN6thrust23THRUST_200600_302600_NS6detail15normal_iteratorINS9_10device_ptrIyEEEESE_PNS0_10empty_typeENS0_5tupleIJSE_SF_EEENSH_IJSE_SG_EEENS0_18inequality_wrapperI22is_equal_div_10_uniqueIyEEEPmJSF_EEE10hipError_tPvRmT3_T4_T5_T6_T7_T9_mT8_P12ihipStream_tbDpT10_ENKUlT_T0_E_clISt17integral_constantIbLb1EES17_IbLb0EEEEDaS13_S14_EUlS13_E_NS1_11comp_targetILNS1_3genE4ELNS1_11target_archE910ELNS1_3gpuE8ELNS1_3repE0EEENS1_30default_config_static_selectorELNS0_4arch9wavefront6targetE0EEEvT1_: ; @_ZN7rocprim17ROCPRIM_400000_NS6detail17trampoline_kernelINS0_14default_configENS1_25partition_config_selectorILNS1_17partition_subalgoE9EyybEEZZNS1_14partition_implILS5_9ELb0ES3_jN6thrust23THRUST_200600_302600_NS6detail15normal_iteratorINS9_10device_ptrIyEEEESE_PNS0_10empty_typeENS0_5tupleIJSE_SF_EEENSH_IJSE_SG_EEENS0_18inequality_wrapperI22is_equal_div_10_uniqueIyEEEPmJSF_EEE10hipError_tPvRmT3_T4_T5_T6_T7_T9_mT8_P12ihipStream_tbDpT10_ENKUlT_T0_E_clISt17integral_constantIbLb1EES17_IbLb0EEEEDaS13_S14_EUlS13_E_NS1_11comp_targetILNS1_3genE4ELNS1_11target_archE910ELNS1_3gpuE8ELNS1_3repE0EEENS1_30default_config_static_selectorELNS0_4arch9wavefront6targetE0EEEvT1_
; %bb.0:
	.section	.rodata,"a",@progbits
	.p2align	6, 0x0
	.amdhsa_kernel _ZN7rocprim17ROCPRIM_400000_NS6detail17trampoline_kernelINS0_14default_configENS1_25partition_config_selectorILNS1_17partition_subalgoE9EyybEEZZNS1_14partition_implILS5_9ELb0ES3_jN6thrust23THRUST_200600_302600_NS6detail15normal_iteratorINS9_10device_ptrIyEEEESE_PNS0_10empty_typeENS0_5tupleIJSE_SF_EEENSH_IJSE_SG_EEENS0_18inequality_wrapperI22is_equal_div_10_uniqueIyEEEPmJSF_EEE10hipError_tPvRmT3_T4_T5_T6_T7_T9_mT8_P12ihipStream_tbDpT10_ENKUlT_T0_E_clISt17integral_constantIbLb1EES17_IbLb0EEEEDaS13_S14_EUlS13_E_NS1_11comp_targetILNS1_3genE4ELNS1_11target_archE910ELNS1_3gpuE8ELNS1_3repE0EEENS1_30default_config_static_selectorELNS0_4arch9wavefront6targetE0EEEvT1_
		.amdhsa_group_segment_fixed_size 0
		.amdhsa_private_segment_fixed_size 0
		.amdhsa_kernarg_size 112
		.amdhsa_user_sgpr_count 15
		.amdhsa_user_sgpr_dispatch_ptr 0
		.amdhsa_user_sgpr_queue_ptr 0
		.amdhsa_user_sgpr_kernarg_segment_ptr 1
		.amdhsa_user_sgpr_dispatch_id 0
		.amdhsa_user_sgpr_private_segment_size 0
		.amdhsa_wavefront_size32 1
		.amdhsa_uses_dynamic_stack 0
		.amdhsa_enable_private_segment 0
		.amdhsa_system_sgpr_workgroup_id_x 1
		.amdhsa_system_sgpr_workgroup_id_y 0
		.amdhsa_system_sgpr_workgroup_id_z 0
		.amdhsa_system_sgpr_workgroup_info 0
		.amdhsa_system_vgpr_workitem_id 0
		.amdhsa_next_free_vgpr 1
		.amdhsa_next_free_sgpr 1
		.amdhsa_reserve_vcc 0
		.amdhsa_float_round_mode_32 0
		.amdhsa_float_round_mode_16_64 0
		.amdhsa_float_denorm_mode_32 3
		.amdhsa_float_denorm_mode_16_64 3
		.amdhsa_dx10_clamp 1
		.amdhsa_ieee_mode 1
		.amdhsa_fp16_overflow 0
		.amdhsa_workgroup_processor_mode 1
		.amdhsa_memory_ordered 1
		.amdhsa_forward_progress 0
		.amdhsa_shared_vgpr_count 0
		.amdhsa_exception_fp_ieee_invalid_op 0
		.amdhsa_exception_fp_denorm_src 0
		.amdhsa_exception_fp_ieee_div_zero 0
		.amdhsa_exception_fp_ieee_overflow 0
		.amdhsa_exception_fp_ieee_underflow 0
		.amdhsa_exception_fp_ieee_inexact 0
		.amdhsa_exception_int_div_zero 0
	.end_amdhsa_kernel
	.section	.text._ZN7rocprim17ROCPRIM_400000_NS6detail17trampoline_kernelINS0_14default_configENS1_25partition_config_selectorILNS1_17partition_subalgoE9EyybEEZZNS1_14partition_implILS5_9ELb0ES3_jN6thrust23THRUST_200600_302600_NS6detail15normal_iteratorINS9_10device_ptrIyEEEESE_PNS0_10empty_typeENS0_5tupleIJSE_SF_EEENSH_IJSE_SG_EEENS0_18inequality_wrapperI22is_equal_div_10_uniqueIyEEEPmJSF_EEE10hipError_tPvRmT3_T4_T5_T6_T7_T9_mT8_P12ihipStream_tbDpT10_ENKUlT_T0_E_clISt17integral_constantIbLb1EES17_IbLb0EEEEDaS13_S14_EUlS13_E_NS1_11comp_targetILNS1_3genE4ELNS1_11target_archE910ELNS1_3gpuE8ELNS1_3repE0EEENS1_30default_config_static_selectorELNS0_4arch9wavefront6targetE0EEEvT1_,"axG",@progbits,_ZN7rocprim17ROCPRIM_400000_NS6detail17trampoline_kernelINS0_14default_configENS1_25partition_config_selectorILNS1_17partition_subalgoE9EyybEEZZNS1_14partition_implILS5_9ELb0ES3_jN6thrust23THRUST_200600_302600_NS6detail15normal_iteratorINS9_10device_ptrIyEEEESE_PNS0_10empty_typeENS0_5tupleIJSE_SF_EEENSH_IJSE_SG_EEENS0_18inequality_wrapperI22is_equal_div_10_uniqueIyEEEPmJSF_EEE10hipError_tPvRmT3_T4_T5_T6_T7_T9_mT8_P12ihipStream_tbDpT10_ENKUlT_T0_E_clISt17integral_constantIbLb1EES17_IbLb0EEEEDaS13_S14_EUlS13_E_NS1_11comp_targetILNS1_3genE4ELNS1_11target_archE910ELNS1_3gpuE8ELNS1_3repE0EEENS1_30default_config_static_selectorELNS0_4arch9wavefront6targetE0EEEvT1_,comdat
.Lfunc_end195:
	.size	_ZN7rocprim17ROCPRIM_400000_NS6detail17trampoline_kernelINS0_14default_configENS1_25partition_config_selectorILNS1_17partition_subalgoE9EyybEEZZNS1_14partition_implILS5_9ELb0ES3_jN6thrust23THRUST_200600_302600_NS6detail15normal_iteratorINS9_10device_ptrIyEEEESE_PNS0_10empty_typeENS0_5tupleIJSE_SF_EEENSH_IJSE_SG_EEENS0_18inequality_wrapperI22is_equal_div_10_uniqueIyEEEPmJSF_EEE10hipError_tPvRmT3_T4_T5_T6_T7_T9_mT8_P12ihipStream_tbDpT10_ENKUlT_T0_E_clISt17integral_constantIbLb1EES17_IbLb0EEEEDaS13_S14_EUlS13_E_NS1_11comp_targetILNS1_3genE4ELNS1_11target_archE910ELNS1_3gpuE8ELNS1_3repE0EEENS1_30default_config_static_selectorELNS0_4arch9wavefront6targetE0EEEvT1_, .Lfunc_end195-_ZN7rocprim17ROCPRIM_400000_NS6detail17trampoline_kernelINS0_14default_configENS1_25partition_config_selectorILNS1_17partition_subalgoE9EyybEEZZNS1_14partition_implILS5_9ELb0ES3_jN6thrust23THRUST_200600_302600_NS6detail15normal_iteratorINS9_10device_ptrIyEEEESE_PNS0_10empty_typeENS0_5tupleIJSE_SF_EEENSH_IJSE_SG_EEENS0_18inequality_wrapperI22is_equal_div_10_uniqueIyEEEPmJSF_EEE10hipError_tPvRmT3_T4_T5_T6_T7_T9_mT8_P12ihipStream_tbDpT10_ENKUlT_T0_E_clISt17integral_constantIbLb1EES17_IbLb0EEEEDaS13_S14_EUlS13_E_NS1_11comp_targetILNS1_3genE4ELNS1_11target_archE910ELNS1_3gpuE8ELNS1_3repE0EEENS1_30default_config_static_selectorELNS0_4arch9wavefront6targetE0EEEvT1_
                                        ; -- End function
	.section	.AMDGPU.csdata,"",@progbits
; Kernel info:
; codeLenInByte = 0
; NumSgprs: 0
; NumVgprs: 0
; ScratchSize: 0
; MemoryBound: 0
; FloatMode: 240
; IeeeMode: 1
; LDSByteSize: 0 bytes/workgroup (compile time only)
; SGPRBlocks: 0
; VGPRBlocks: 0
; NumSGPRsForWavesPerEU: 1
; NumVGPRsForWavesPerEU: 1
; Occupancy: 16
; WaveLimiterHint : 0
; COMPUTE_PGM_RSRC2:SCRATCH_EN: 0
; COMPUTE_PGM_RSRC2:USER_SGPR: 15
; COMPUTE_PGM_RSRC2:TRAP_HANDLER: 0
; COMPUTE_PGM_RSRC2:TGID_X_EN: 1
; COMPUTE_PGM_RSRC2:TGID_Y_EN: 0
; COMPUTE_PGM_RSRC2:TGID_Z_EN: 0
; COMPUTE_PGM_RSRC2:TIDIG_COMP_CNT: 0
	.section	.text._ZN7rocprim17ROCPRIM_400000_NS6detail17trampoline_kernelINS0_14default_configENS1_25partition_config_selectorILNS1_17partition_subalgoE9EyybEEZZNS1_14partition_implILS5_9ELb0ES3_jN6thrust23THRUST_200600_302600_NS6detail15normal_iteratorINS9_10device_ptrIyEEEESE_PNS0_10empty_typeENS0_5tupleIJSE_SF_EEENSH_IJSE_SG_EEENS0_18inequality_wrapperI22is_equal_div_10_uniqueIyEEEPmJSF_EEE10hipError_tPvRmT3_T4_T5_T6_T7_T9_mT8_P12ihipStream_tbDpT10_ENKUlT_T0_E_clISt17integral_constantIbLb1EES17_IbLb0EEEEDaS13_S14_EUlS13_E_NS1_11comp_targetILNS1_3genE3ELNS1_11target_archE908ELNS1_3gpuE7ELNS1_3repE0EEENS1_30default_config_static_selectorELNS0_4arch9wavefront6targetE0EEEvT1_,"axG",@progbits,_ZN7rocprim17ROCPRIM_400000_NS6detail17trampoline_kernelINS0_14default_configENS1_25partition_config_selectorILNS1_17partition_subalgoE9EyybEEZZNS1_14partition_implILS5_9ELb0ES3_jN6thrust23THRUST_200600_302600_NS6detail15normal_iteratorINS9_10device_ptrIyEEEESE_PNS0_10empty_typeENS0_5tupleIJSE_SF_EEENSH_IJSE_SG_EEENS0_18inequality_wrapperI22is_equal_div_10_uniqueIyEEEPmJSF_EEE10hipError_tPvRmT3_T4_T5_T6_T7_T9_mT8_P12ihipStream_tbDpT10_ENKUlT_T0_E_clISt17integral_constantIbLb1EES17_IbLb0EEEEDaS13_S14_EUlS13_E_NS1_11comp_targetILNS1_3genE3ELNS1_11target_archE908ELNS1_3gpuE7ELNS1_3repE0EEENS1_30default_config_static_selectorELNS0_4arch9wavefront6targetE0EEEvT1_,comdat
	.protected	_ZN7rocprim17ROCPRIM_400000_NS6detail17trampoline_kernelINS0_14default_configENS1_25partition_config_selectorILNS1_17partition_subalgoE9EyybEEZZNS1_14partition_implILS5_9ELb0ES3_jN6thrust23THRUST_200600_302600_NS6detail15normal_iteratorINS9_10device_ptrIyEEEESE_PNS0_10empty_typeENS0_5tupleIJSE_SF_EEENSH_IJSE_SG_EEENS0_18inequality_wrapperI22is_equal_div_10_uniqueIyEEEPmJSF_EEE10hipError_tPvRmT3_T4_T5_T6_T7_T9_mT8_P12ihipStream_tbDpT10_ENKUlT_T0_E_clISt17integral_constantIbLb1EES17_IbLb0EEEEDaS13_S14_EUlS13_E_NS1_11comp_targetILNS1_3genE3ELNS1_11target_archE908ELNS1_3gpuE7ELNS1_3repE0EEENS1_30default_config_static_selectorELNS0_4arch9wavefront6targetE0EEEvT1_ ; -- Begin function _ZN7rocprim17ROCPRIM_400000_NS6detail17trampoline_kernelINS0_14default_configENS1_25partition_config_selectorILNS1_17partition_subalgoE9EyybEEZZNS1_14partition_implILS5_9ELb0ES3_jN6thrust23THRUST_200600_302600_NS6detail15normal_iteratorINS9_10device_ptrIyEEEESE_PNS0_10empty_typeENS0_5tupleIJSE_SF_EEENSH_IJSE_SG_EEENS0_18inequality_wrapperI22is_equal_div_10_uniqueIyEEEPmJSF_EEE10hipError_tPvRmT3_T4_T5_T6_T7_T9_mT8_P12ihipStream_tbDpT10_ENKUlT_T0_E_clISt17integral_constantIbLb1EES17_IbLb0EEEEDaS13_S14_EUlS13_E_NS1_11comp_targetILNS1_3genE3ELNS1_11target_archE908ELNS1_3gpuE7ELNS1_3repE0EEENS1_30default_config_static_selectorELNS0_4arch9wavefront6targetE0EEEvT1_
	.globl	_ZN7rocprim17ROCPRIM_400000_NS6detail17trampoline_kernelINS0_14default_configENS1_25partition_config_selectorILNS1_17partition_subalgoE9EyybEEZZNS1_14partition_implILS5_9ELb0ES3_jN6thrust23THRUST_200600_302600_NS6detail15normal_iteratorINS9_10device_ptrIyEEEESE_PNS0_10empty_typeENS0_5tupleIJSE_SF_EEENSH_IJSE_SG_EEENS0_18inequality_wrapperI22is_equal_div_10_uniqueIyEEEPmJSF_EEE10hipError_tPvRmT3_T4_T5_T6_T7_T9_mT8_P12ihipStream_tbDpT10_ENKUlT_T0_E_clISt17integral_constantIbLb1EES17_IbLb0EEEEDaS13_S14_EUlS13_E_NS1_11comp_targetILNS1_3genE3ELNS1_11target_archE908ELNS1_3gpuE7ELNS1_3repE0EEENS1_30default_config_static_selectorELNS0_4arch9wavefront6targetE0EEEvT1_
	.p2align	8
	.type	_ZN7rocprim17ROCPRIM_400000_NS6detail17trampoline_kernelINS0_14default_configENS1_25partition_config_selectorILNS1_17partition_subalgoE9EyybEEZZNS1_14partition_implILS5_9ELb0ES3_jN6thrust23THRUST_200600_302600_NS6detail15normal_iteratorINS9_10device_ptrIyEEEESE_PNS0_10empty_typeENS0_5tupleIJSE_SF_EEENSH_IJSE_SG_EEENS0_18inequality_wrapperI22is_equal_div_10_uniqueIyEEEPmJSF_EEE10hipError_tPvRmT3_T4_T5_T6_T7_T9_mT8_P12ihipStream_tbDpT10_ENKUlT_T0_E_clISt17integral_constantIbLb1EES17_IbLb0EEEEDaS13_S14_EUlS13_E_NS1_11comp_targetILNS1_3genE3ELNS1_11target_archE908ELNS1_3gpuE7ELNS1_3repE0EEENS1_30default_config_static_selectorELNS0_4arch9wavefront6targetE0EEEvT1_,@function
_ZN7rocprim17ROCPRIM_400000_NS6detail17trampoline_kernelINS0_14default_configENS1_25partition_config_selectorILNS1_17partition_subalgoE9EyybEEZZNS1_14partition_implILS5_9ELb0ES3_jN6thrust23THRUST_200600_302600_NS6detail15normal_iteratorINS9_10device_ptrIyEEEESE_PNS0_10empty_typeENS0_5tupleIJSE_SF_EEENSH_IJSE_SG_EEENS0_18inequality_wrapperI22is_equal_div_10_uniqueIyEEEPmJSF_EEE10hipError_tPvRmT3_T4_T5_T6_T7_T9_mT8_P12ihipStream_tbDpT10_ENKUlT_T0_E_clISt17integral_constantIbLb1EES17_IbLb0EEEEDaS13_S14_EUlS13_E_NS1_11comp_targetILNS1_3genE3ELNS1_11target_archE908ELNS1_3gpuE7ELNS1_3repE0EEENS1_30default_config_static_selectorELNS0_4arch9wavefront6targetE0EEEvT1_: ; @_ZN7rocprim17ROCPRIM_400000_NS6detail17trampoline_kernelINS0_14default_configENS1_25partition_config_selectorILNS1_17partition_subalgoE9EyybEEZZNS1_14partition_implILS5_9ELb0ES3_jN6thrust23THRUST_200600_302600_NS6detail15normal_iteratorINS9_10device_ptrIyEEEESE_PNS0_10empty_typeENS0_5tupleIJSE_SF_EEENSH_IJSE_SG_EEENS0_18inequality_wrapperI22is_equal_div_10_uniqueIyEEEPmJSF_EEE10hipError_tPvRmT3_T4_T5_T6_T7_T9_mT8_P12ihipStream_tbDpT10_ENKUlT_T0_E_clISt17integral_constantIbLb1EES17_IbLb0EEEEDaS13_S14_EUlS13_E_NS1_11comp_targetILNS1_3genE3ELNS1_11target_archE908ELNS1_3gpuE7ELNS1_3repE0EEENS1_30default_config_static_selectorELNS0_4arch9wavefront6targetE0EEEvT1_
; %bb.0:
	.section	.rodata,"a",@progbits
	.p2align	6, 0x0
	.amdhsa_kernel _ZN7rocprim17ROCPRIM_400000_NS6detail17trampoline_kernelINS0_14default_configENS1_25partition_config_selectorILNS1_17partition_subalgoE9EyybEEZZNS1_14partition_implILS5_9ELb0ES3_jN6thrust23THRUST_200600_302600_NS6detail15normal_iteratorINS9_10device_ptrIyEEEESE_PNS0_10empty_typeENS0_5tupleIJSE_SF_EEENSH_IJSE_SG_EEENS0_18inequality_wrapperI22is_equal_div_10_uniqueIyEEEPmJSF_EEE10hipError_tPvRmT3_T4_T5_T6_T7_T9_mT8_P12ihipStream_tbDpT10_ENKUlT_T0_E_clISt17integral_constantIbLb1EES17_IbLb0EEEEDaS13_S14_EUlS13_E_NS1_11comp_targetILNS1_3genE3ELNS1_11target_archE908ELNS1_3gpuE7ELNS1_3repE0EEENS1_30default_config_static_selectorELNS0_4arch9wavefront6targetE0EEEvT1_
		.amdhsa_group_segment_fixed_size 0
		.amdhsa_private_segment_fixed_size 0
		.amdhsa_kernarg_size 112
		.amdhsa_user_sgpr_count 15
		.amdhsa_user_sgpr_dispatch_ptr 0
		.amdhsa_user_sgpr_queue_ptr 0
		.amdhsa_user_sgpr_kernarg_segment_ptr 1
		.amdhsa_user_sgpr_dispatch_id 0
		.amdhsa_user_sgpr_private_segment_size 0
		.amdhsa_wavefront_size32 1
		.amdhsa_uses_dynamic_stack 0
		.amdhsa_enable_private_segment 0
		.amdhsa_system_sgpr_workgroup_id_x 1
		.amdhsa_system_sgpr_workgroup_id_y 0
		.amdhsa_system_sgpr_workgroup_id_z 0
		.amdhsa_system_sgpr_workgroup_info 0
		.amdhsa_system_vgpr_workitem_id 0
		.amdhsa_next_free_vgpr 1
		.amdhsa_next_free_sgpr 1
		.amdhsa_reserve_vcc 0
		.amdhsa_float_round_mode_32 0
		.amdhsa_float_round_mode_16_64 0
		.amdhsa_float_denorm_mode_32 3
		.amdhsa_float_denorm_mode_16_64 3
		.amdhsa_dx10_clamp 1
		.amdhsa_ieee_mode 1
		.amdhsa_fp16_overflow 0
		.amdhsa_workgroup_processor_mode 1
		.amdhsa_memory_ordered 1
		.amdhsa_forward_progress 0
		.amdhsa_shared_vgpr_count 0
		.amdhsa_exception_fp_ieee_invalid_op 0
		.amdhsa_exception_fp_denorm_src 0
		.amdhsa_exception_fp_ieee_div_zero 0
		.amdhsa_exception_fp_ieee_overflow 0
		.amdhsa_exception_fp_ieee_underflow 0
		.amdhsa_exception_fp_ieee_inexact 0
		.amdhsa_exception_int_div_zero 0
	.end_amdhsa_kernel
	.section	.text._ZN7rocprim17ROCPRIM_400000_NS6detail17trampoline_kernelINS0_14default_configENS1_25partition_config_selectorILNS1_17partition_subalgoE9EyybEEZZNS1_14partition_implILS5_9ELb0ES3_jN6thrust23THRUST_200600_302600_NS6detail15normal_iteratorINS9_10device_ptrIyEEEESE_PNS0_10empty_typeENS0_5tupleIJSE_SF_EEENSH_IJSE_SG_EEENS0_18inequality_wrapperI22is_equal_div_10_uniqueIyEEEPmJSF_EEE10hipError_tPvRmT3_T4_T5_T6_T7_T9_mT8_P12ihipStream_tbDpT10_ENKUlT_T0_E_clISt17integral_constantIbLb1EES17_IbLb0EEEEDaS13_S14_EUlS13_E_NS1_11comp_targetILNS1_3genE3ELNS1_11target_archE908ELNS1_3gpuE7ELNS1_3repE0EEENS1_30default_config_static_selectorELNS0_4arch9wavefront6targetE0EEEvT1_,"axG",@progbits,_ZN7rocprim17ROCPRIM_400000_NS6detail17trampoline_kernelINS0_14default_configENS1_25partition_config_selectorILNS1_17partition_subalgoE9EyybEEZZNS1_14partition_implILS5_9ELb0ES3_jN6thrust23THRUST_200600_302600_NS6detail15normal_iteratorINS9_10device_ptrIyEEEESE_PNS0_10empty_typeENS0_5tupleIJSE_SF_EEENSH_IJSE_SG_EEENS0_18inequality_wrapperI22is_equal_div_10_uniqueIyEEEPmJSF_EEE10hipError_tPvRmT3_T4_T5_T6_T7_T9_mT8_P12ihipStream_tbDpT10_ENKUlT_T0_E_clISt17integral_constantIbLb1EES17_IbLb0EEEEDaS13_S14_EUlS13_E_NS1_11comp_targetILNS1_3genE3ELNS1_11target_archE908ELNS1_3gpuE7ELNS1_3repE0EEENS1_30default_config_static_selectorELNS0_4arch9wavefront6targetE0EEEvT1_,comdat
.Lfunc_end196:
	.size	_ZN7rocprim17ROCPRIM_400000_NS6detail17trampoline_kernelINS0_14default_configENS1_25partition_config_selectorILNS1_17partition_subalgoE9EyybEEZZNS1_14partition_implILS5_9ELb0ES3_jN6thrust23THRUST_200600_302600_NS6detail15normal_iteratorINS9_10device_ptrIyEEEESE_PNS0_10empty_typeENS0_5tupleIJSE_SF_EEENSH_IJSE_SG_EEENS0_18inequality_wrapperI22is_equal_div_10_uniqueIyEEEPmJSF_EEE10hipError_tPvRmT3_T4_T5_T6_T7_T9_mT8_P12ihipStream_tbDpT10_ENKUlT_T0_E_clISt17integral_constantIbLb1EES17_IbLb0EEEEDaS13_S14_EUlS13_E_NS1_11comp_targetILNS1_3genE3ELNS1_11target_archE908ELNS1_3gpuE7ELNS1_3repE0EEENS1_30default_config_static_selectorELNS0_4arch9wavefront6targetE0EEEvT1_, .Lfunc_end196-_ZN7rocprim17ROCPRIM_400000_NS6detail17trampoline_kernelINS0_14default_configENS1_25partition_config_selectorILNS1_17partition_subalgoE9EyybEEZZNS1_14partition_implILS5_9ELb0ES3_jN6thrust23THRUST_200600_302600_NS6detail15normal_iteratorINS9_10device_ptrIyEEEESE_PNS0_10empty_typeENS0_5tupleIJSE_SF_EEENSH_IJSE_SG_EEENS0_18inequality_wrapperI22is_equal_div_10_uniqueIyEEEPmJSF_EEE10hipError_tPvRmT3_T4_T5_T6_T7_T9_mT8_P12ihipStream_tbDpT10_ENKUlT_T0_E_clISt17integral_constantIbLb1EES17_IbLb0EEEEDaS13_S14_EUlS13_E_NS1_11comp_targetILNS1_3genE3ELNS1_11target_archE908ELNS1_3gpuE7ELNS1_3repE0EEENS1_30default_config_static_selectorELNS0_4arch9wavefront6targetE0EEEvT1_
                                        ; -- End function
	.section	.AMDGPU.csdata,"",@progbits
; Kernel info:
; codeLenInByte = 0
; NumSgprs: 0
; NumVgprs: 0
; ScratchSize: 0
; MemoryBound: 0
; FloatMode: 240
; IeeeMode: 1
; LDSByteSize: 0 bytes/workgroup (compile time only)
; SGPRBlocks: 0
; VGPRBlocks: 0
; NumSGPRsForWavesPerEU: 1
; NumVGPRsForWavesPerEU: 1
; Occupancy: 16
; WaveLimiterHint : 0
; COMPUTE_PGM_RSRC2:SCRATCH_EN: 0
; COMPUTE_PGM_RSRC2:USER_SGPR: 15
; COMPUTE_PGM_RSRC2:TRAP_HANDLER: 0
; COMPUTE_PGM_RSRC2:TGID_X_EN: 1
; COMPUTE_PGM_RSRC2:TGID_Y_EN: 0
; COMPUTE_PGM_RSRC2:TGID_Z_EN: 0
; COMPUTE_PGM_RSRC2:TIDIG_COMP_CNT: 0
	.section	.text._ZN7rocprim17ROCPRIM_400000_NS6detail17trampoline_kernelINS0_14default_configENS1_25partition_config_selectorILNS1_17partition_subalgoE9EyybEEZZNS1_14partition_implILS5_9ELb0ES3_jN6thrust23THRUST_200600_302600_NS6detail15normal_iteratorINS9_10device_ptrIyEEEESE_PNS0_10empty_typeENS0_5tupleIJSE_SF_EEENSH_IJSE_SG_EEENS0_18inequality_wrapperI22is_equal_div_10_uniqueIyEEEPmJSF_EEE10hipError_tPvRmT3_T4_T5_T6_T7_T9_mT8_P12ihipStream_tbDpT10_ENKUlT_T0_E_clISt17integral_constantIbLb1EES17_IbLb0EEEEDaS13_S14_EUlS13_E_NS1_11comp_targetILNS1_3genE2ELNS1_11target_archE906ELNS1_3gpuE6ELNS1_3repE0EEENS1_30default_config_static_selectorELNS0_4arch9wavefront6targetE0EEEvT1_,"axG",@progbits,_ZN7rocprim17ROCPRIM_400000_NS6detail17trampoline_kernelINS0_14default_configENS1_25partition_config_selectorILNS1_17partition_subalgoE9EyybEEZZNS1_14partition_implILS5_9ELb0ES3_jN6thrust23THRUST_200600_302600_NS6detail15normal_iteratorINS9_10device_ptrIyEEEESE_PNS0_10empty_typeENS0_5tupleIJSE_SF_EEENSH_IJSE_SG_EEENS0_18inequality_wrapperI22is_equal_div_10_uniqueIyEEEPmJSF_EEE10hipError_tPvRmT3_T4_T5_T6_T7_T9_mT8_P12ihipStream_tbDpT10_ENKUlT_T0_E_clISt17integral_constantIbLb1EES17_IbLb0EEEEDaS13_S14_EUlS13_E_NS1_11comp_targetILNS1_3genE2ELNS1_11target_archE906ELNS1_3gpuE6ELNS1_3repE0EEENS1_30default_config_static_selectorELNS0_4arch9wavefront6targetE0EEEvT1_,comdat
	.protected	_ZN7rocprim17ROCPRIM_400000_NS6detail17trampoline_kernelINS0_14default_configENS1_25partition_config_selectorILNS1_17partition_subalgoE9EyybEEZZNS1_14partition_implILS5_9ELb0ES3_jN6thrust23THRUST_200600_302600_NS6detail15normal_iteratorINS9_10device_ptrIyEEEESE_PNS0_10empty_typeENS0_5tupleIJSE_SF_EEENSH_IJSE_SG_EEENS0_18inequality_wrapperI22is_equal_div_10_uniqueIyEEEPmJSF_EEE10hipError_tPvRmT3_T4_T5_T6_T7_T9_mT8_P12ihipStream_tbDpT10_ENKUlT_T0_E_clISt17integral_constantIbLb1EES17_IbLb0EEEEDaS13_S14_EUlS13_E_NS1_11comp_targetILNS1_3genE2ELNS1_11target_archE906ELNS1_3gpuE6ELNS1_3repE0EEENS1_30default_config_static_selectorELNS0_4arch9wavefront6targetE0EEEvT1_ ; -- Begin function _ZN7rocprim17ROCPRIM_400000_NS6detail17trampoline_kernelINS0_14default_configENS1_25partition_config_selectorILNS1_17partition_subalgoE9EyybEEZZNS1_14partition_implILS5_9ELb0ES3_jN6thrust23THRUST_200600_302600_NS6detail15normal_iteratorINS9_10device_ptrIyEEEESE_PNS0_10empty_typeENS0_5tupleIJSE_SF_EEENSH_IJSE_SG_EEENS0_18inequality_wrapperI22is_equal_div_10_uniqueIyEEEPmJSF_EEE10hipError_tPvRmT3_T4_T5_T6_T7_T9_mT8_P12ihipStream_tbDpT10_ENKUlT_T0_E_clISt17integral_constantIbLb1EES17_IbLb0EEEEDaS13_S14_EUlS13_E_NS1_11comp_targetILNS1_3genE2ELNS1_11target_archE906ELNS1_3gpuE6ELNS1_3repE0EEENS1_30default_config_static_selectorELNS0_4arch9wavefront6targetE0EEEvT1_
	.globl	_ZN7rocprim17ROCPRIM_400000_NS6detail17trampoline_kernelINS0_14default_configENS1_25partition_config_selectorILNS1_17partition_subalgoE9EyybEEZZNS1_14partition_implILS5_9ELb0ES3_jN6thrust23THRUST_200600_302600_NS6detail15normal_iteratorINS9_10device_ptrIyEEEESE_PNS0_10empty_typeENS0_5tupleIJSE_SF_EEENSH_IJSE_SG_EEENS0_18inequality_wrapperI22is_equal_div_10_uniqueIyEEEPmJSF_EEE10hipError_tPvRmT3_T4_T5_T6_T7_T9_mT8_P12ihipStream_tbDpT10_ENKUlT_T0_E_clISt17integral_constantIbLb1EES17_IbLb0EEEEDaS13_S14_EUlS13_E_NS1_11comp_targetILNS1_3genE2ELNS1_11target_archE906ELNS1_3gpuE6ELNS1_3repE0EEENS1_30default_config_static_selectorELNS0_4arch9wavefront6targetE0EEEvT1_
	.p2align	8
	.type	_ZN7rocprim17ROCPRIM_400000_NS6detail17trampoline_kernelINS0_14default_configENS1_25partition_config_selectorILNS1_17partition_subalgoE9EyybEEZZNS1_14partition_implILS5_9ELb0ES3_jN6thrust23THRUST_200600_302600_NS6detail15normal_iteratorINS9_10device_ptrIyEEEESE_PNS0_10empty_typeENS0_5tupleIJSE_SF_EEENSH_IJSE_SG_EEENS0_18inequality_wrapperI22is_equal_div_10_uniqueIyEEEPmJSF_EEE10hipError_tPvRmT3_T4_T5_T6_T7_T9_mT8_P12ihipStream_tbDpT10_ENKUlT_T0_E_clISt17integral_constantIbLb1EES17_IbLb0EEEEDaS13_S14_EUlS13_E_NS1_11comp_targetILNS1_3genE2ELNS1_11target_archE906ELNS1_3gpuE6ELNS1_3repE0EEENS1_30default_config_static_selectorELNS0_4arch9wavefront6targetE0EEEvT1_,@function
_ZN7rocprim17ROCPRIM_400000_NS6detail17trampoline_kernelINS0_14default_configENS1_25partition_config_selectorILNS1_17partition_subalgoE9EyybEEZZNS1_14partition_implILS5_9ELb0ES3_jN6thrust23THRUST_200600_302600_NS6detail15normal_iteratorINS9_10device_ptrIyEEEESE_PNS0_10empty_typeENS0_5tupleIJSE_SF_EEENSH_IJSE_SG_EEENS0_18inequality_wrapperI22is_equal_div_10_uniqueIyEEEPmJSF_EEE10hipError_tPvRmT3_T4_T5_T6_T7_T9_mT8_P12ihipStream_tbDpT10_ENKUlT_T0_E_clISt17integral_constantIbLb1EES17_IbLb0EEEEDaS13_S14_EUlS13_E_NS1_11comp_targetILNS1_3genE2ELNS1_11target_archE906ELNS1_3gpuE6ELNS1_3repE0EEENS1_30default_config_static_selectorELNS0_4arch9wavefront6targetE0EEEvT1_: ; @_ZN7rocprim17ROCPRIM_400000_NS6detail17trampoline_kernelINS0_14default_configENS1_25partition_config_selectorILNS1_17partition_subalgoE9EyybEEZZNS1_14partition_implILS5_9ELb0ES3_jN6thrust23THRUST_200600_302600_NS6detail15normal_iteratorINS9_10device_ptrIyEEEESE_PNS0_10empty_typeENS0_5tupleIJSE_SF_EEENSH_IJSE_SG_EEENS0_18inequality_wrapperI22is_equal_div_10_uniqueIyEEEPmJSF_EEE10hipError_tPvRmT3_T4_T5_T6_T7_T9_mT8_P12ihipStream_tbDpT10_ENKUlT_T0_E_clISt17integral_constantIbLb1EES17_IbLb0EEEEDaS13_S14_EUlS13_E_NS1_11comp_targetILNS1_3genE2ELNS1_11target_archE906ELNS1_3gpuE6ELNS1_3repE0EEENS1_30default_config_static_selectorELNS0_4arch9wavefront6targetE0EEEvT1_
; %bb.0:
	.section	.rodata,"a",@progbits
	.p2align	6, 0x0
	.amdhsa_kernel _ZN7rocprim17ROCPRIM_400000_NS6detail17trampoline_kernelINS0_14default_configENS1_25partition_config_selectorILNS1_17partition_subalgoE9EyybEEZZNS1_14partition_implILS5_9ELb0ES3_jN6thrust23THRUST_200600_302600_NS6detail15normal_iteratorINS9_10device_ptrIyEEEESE_PNS0_10empty_typeENS0_5tupleIJSE_SF_EEENSH_IJSE_SG_EEENS0_18inequality_wrapperI22is_equal_div_10_uniqueIyEEEPmJSF_EEE10hipError_tPvRmT3_T4_T5_T6_T7_T9_mT8_P12ihipStream_tbDpT10_ENKUlT_T0_E_clISt17integral_constantIbLb1EES17_IbLb0EEEEDaS13_S14_EUlS13_E_NS1_11comp_targetILNS1_3genE2ELNS1_11target_archE906ELNS1_3gpuE6ELNS1_3repE0EEENS1_30default_config_static_selectorELNS0_4arch9wavefront6targetE0EEEvT1_
		.amdhsa_group_segment_fixed_size 0
		.amdhsa_private_segment_fixed_size 0
		.amdhsa_kernarg_size 112
		.amdhsa_user_sgpr_count 15
		.amdhsa_user_sgpr_dispatch_ptr 0
		.amdhsa_user_sgpr_queue_ptr 0
		.amdhsa_user_sgpr_kernarg_segment_ptr 1
		.amdhsa_user_sgpr_dispatch_id 0
		.amdhsa_user_sgpr_private_segment_size 0
		.amdhsa_wavefront_size32 1
		.amdhsa_uses_dynamic_stack 0
		.amdhsa_enable_private_segment 0
		.amdhsa_system_sgpr_workgroup_id_x 1
		.amdhsa_system_sgpr_workgroup_id_y 0
		.amdhsa_system_sgpr_workgroup_id_z 0
		.amdhsa_system_sgpr_workgroup_info 0
		.amdhsa_system_vgpr_workitem_id 0
		.amdhsa_next_free_vgpr 1
		.amdhsa_next_free_sgpr 1
		.amdhsa_reserve_vcc 0
		.amdhsa_float_round_mode_32 0
		.amdhsa_float_round_mode_16_64 0
		.amdhsa_float_denorm_mode_32 3
		.amdhsa_float_denorm_mode_16_64 3
		.amdhsa_dx10_clamp 1
		.amdhsa_ieee_mode 1
		.amdhsa_fp16_overflow 0
		.amdhsa_workgroup_processor_mode 1
		.amdhsa_memory_ordered 1
		.amdhsa_forward_progress 0
		.amdhsa_shared_vgpr_count 0
		.amdhsa_exception_fp_ieee_invalid_op 0
		.amdhsa_exception_fp_denorm_src 0
		.amdhsa_exception_fp_ieee_div_zero 0
		.amdhsa_exception_fp_ieee_overflow 0
		.amdhsa_exception_fp_ieee_underflow 0
		.amdhsa_exception_fp_ieee_inexact 0
		.amdhsa_exception_int_div_zero 0
	.end_amdhsa_kernel
	.section	.text._ZN7rocprim17ROCPRIM_400000_NS6detail17trampoline_kernelINS0_14default_configENS1_25partition_config_selectorILNS1_17partition_subalgoE9EyybEEZZNS1_14partition_implILS5_9ELb0ES3_jN6thrust23THRUST_200600_302600_NS6detail15normal_iteratorINS9_10device_ptrIyEEEESE_PNS0_10empty_typeENS0_5tupleIJSE_SF_EEENSH_IJSE_SG_EEENS0_18inequality_wrapperI22is_equal_div_10_uniqueIyEEEPmJSF_EEE10hipError_tPvRmT3_T4_T5_T6_T7_T9_mT8_P12ihipStream_tbDpT10_ENKUlT_T0_E_clISt17integral_constantIbLb1EES17_IbLb0EEEEDaS13_S14_EUlS13_E_NS1_11comp_targetILNS1_3genE2ELNS1_11target_archE906ELNS1_3gpuE6ELNS1_3repE0EEENS1_30default_config_static_selectorELNS0_4arch9wavefront6targetE0EEEvT1_,"axG",@progbits,_ZN7rocprim17ROCPRIM_400000_NS6detail17trampoline_kernelINS0_14default_configENS1_25partition_config_selectorILNS1_17partition_subalgoE9EyybEEZZNS1_14partition_implILS5_9ELb0ES3_jN6thrust23THRUST_200600_302600_NS6detail15normal_iteratorINS9_10device_ptrIyEEEESE_PNS0_10empty_typeENS0_5tupleIJSE_SF_EEENSH_IJSE_SG_EEENS0_18inequality_wrapperI22is_equal_div_10_uniqueIyEEEPmJSF_EEE10hipError_tPvRmT3_T4_T5_T6_T7_T9_mT8_P12ihipStream_tbDpT10_ENKUlT_T0_E_clISt17integral_constantIbLb1EES17_IbLb0EEEEDaS13_S14_EUlS13_E_NS1_11comp_targetILNS1_3genE2ELNS1_11target_archE906ELNS1_3gpuE6ELNS1_3repE0EEENS1_30default_config_static_selectorELNS0_4arch9wavefront6targetE0EEEvT1_,comdat
.Lfunc_end197:
	.size	_ZN7rocprim17ROCPRIM_400000_NS6detail17trampoline_kernelINS0_14default_configENS1_25partition_config_selectorILNS1_17partition_subalgoE9EyybEEZZNS1_14partition_implILS5_9ELb0ES3_jN6thrust23THRUST_200600_302600_NS6detail15normal_iteratorINS9_10device_ptrIyEEEESE_PNS0_10empty_typeENS0_5tupleIJSE_SF_EEENSH_IJSE_SG_EEENS0_18inequality_wrapperI22is_equal_div_10_uniqueIyEEEPmJSF_EEE10hipError_tPvRmT3_T4_T5_T6_T7_T9_mT8_P12ihipStream_tbDpT10_ENKUlT_T0_E_clISt17integral_constantIbLb1EES17_IbLb0EEEEDaS13_S14_EUlS13_E_NS1_11comp_targetILNS1_3genE2ELNS1_11target_archE906ELNS1_3gpuE6ELNS1_3repE0EEENS1_30default_config_static_selectorELNS0_4arch9wavefront6targetE0EEEvT1_, .Lfunc_end197-_ZN7rocprim17ROCPRIM_400000_NS6detail17trampoline_kernelINS0_14default_configENS1_25partition_config_selectorILNS1_17partition_subalgoE9EyybEEZZNS1_14partition_implILS5_9ELb0ES3_jN6thrust23THRUST_200600_302600_NS6detail15normal_iteratorINS9_10device_ptrIyEEEESE_PNS0_10empty_typeENS0_5tupleIJSE_SF_EEENSH_IJSE_SG_EEENS0_18inequality_wrapperI22is_equal_div_10_uniqueIyEEEPmJSF_EEE10hipError_tPvRmT3_T4_T5_T6_T7_T9_mT8_P12ihipStream_tbDpT10_ENKUlT_T0_E_clISt17integral_constantIbLb1EES17_IbLb0EEEEDaS13_S14_EUlS13_E_NS1_11comp_targetILNS1_3genE2ELNS1_11target_archE906ELNS1_3gpuE6ELNS1_3repE0EEENS1_30default_config_static_selectorELNS0_4arch9wavefront6targetE0EEEvT1_
                                        ; -- End function
	.section	.AMDGPU.csdata,"",@progbits
; Kernel info:
; codeLenInByte = 0
; NumSgprs: 0
; NumVgprs: 0
; ScratchSize: 0
; MemoryBound: 0
; FloatMode: 240
; IeeeMode: 1
; LDSByteSize: 0 bytes/workgroup (compile time only)
; SGPRBlocks: 0
; VGPRBlocks: 0
; NumSGPRsForWavesPerEU: 1
; NumVGPRsForWavesPerEU: 1
; Occupancy: 15
; WaveLimiterHint : 0
; COMPUTE_PGM_RSRC2:SCRATCH_EN: 0
; COMPUTE_PGM_RSRC2:USER_SGPR: 15
; COMPUTE_PGM_RSRC2:TRAP_HANDLER: 0
; COMPUTE_PGM_RSRC2:TGID_X_EN: 1
; COMPUTE_PGM_RSRC2:TGID_Y_EN: 0
; COMPUTE_PGM_RSRC2:TGID_Z_EN: 0
; COMPUTE_PGM_RSRC2:TIDIG_COMP_CNT: 0
	.section	.text._ZN7rocprim17ROCPRIM_400000_NS6detail17trampoline_kernelINS0_14default_configENS1_25partition_config_selectorILNS1_17partition_subalgoE9EyybEEZZNS1_14partition_implILS5_9ELb0ES3_jN6thrust23THRUST_200600_302600_NS6detail15normal_iteratorINS9_10device_ptrIyEEEESE_PNS0_10empty_typeENS0_5tupleIJSE_SF_EEENSH_IJSE_SG_EEENS0_18inequality_wrapperI22is_equal_div_10_uniqueIyEEEPmJSF_EEE10hipError_tPvRmT3_T4_T5_T6_T7_T9_mT8_P12ihipStream_tbDpT10_ENKUlT_T0_E_clISt17integral_constantIbLb1EES17_IbLb0EEEEDaS13_S14_EUlS13_E_NS1_11comp_targetILNS1_3genE10ELNS1_11target_archE1200ELNS1_3gpuE4ELNS1_3repE0EEENS1_30default_config_static_selectorELNS0_4arch9wavefront6targetE0EEEvT1_,"axG",@progbits,_ZN7rocprim17ROCPRIM_400000_NS6detail17trampoline_kernelINS0_14default_configENS1_25partition_config_selectorILNS1_17partition_subalgoE9EyybEEZZNS1_14partition_implILS5_9ELb0ES3_jN6thrust23THRUST_200600_302600_NS6detail15normal_iteratorINS9_10device_ptrIyEEEESE_PNS0_10empty_typeENS0_5tupleIJSE_SF_EEENSH_IJSE_SG_EEENS0_18inequality_wrapperI22is_equal_div_10_uniqueIyEEEPmJSF_EEE10hipError_tPvRmT3_T4_T5_T6_T7_T9_mT8_P12ihipStream_tbDpT10_ENKUlT_T0_E_clISt17integral_constantIbLb1EES17_IbLb0EEEEDaS13_S14_EUlS13_E_NS1_11comp_targetILNS1_3genE10ELNS1_11target_archE1200ELNS1_3gpuE4ELNS1_3repE0EEENS1_30default_config_static_selectorELNS0_4arch9wavefront6targetE0EEEvT1_,comdat
	.protected	_ZN7rocprim17ROCPRIM_400000_NS6detail17trampoline_kernelINS0_14default_configENS1_25partition_config_selectorILNS1_17partition_subalgoE9EyybEEZZNS1_14partition_implILS5_9ELb0ES3_jN6thrust23THRUST_200600_302600_NS6detail15normal_iteratorINS9_10device_ptrIyEEEESE_PNS0_10empty_typeENS0_5tupleIJSE_SF_EEENSH_IJSE_SG_EEENS0_18inequality_wrapperI22is_equal_div_10_uniqueIyEEEPmJSF_EEE10hipError_tPvRmT3_T4_T5_T6_T7_T9_mT8_P12ihipStream_tbDpT10_ENKUlT_T0_E_clISt17integral_constantIbLb1EES17_IbLb0EEEEDaS13_S14_EUlS13_E_NS1_11comp_targetILNS1_3genE10ELNS1_11target_archE1200ELNS1_3gpuE4ELNS1_3repE0EEENS1_30default_config_static_selectorELNS0_4arch9wavefront6targetE0EEEvT1_ ; -- Begin function _ZN7rocprim17ROCPRIM_400000_NS6detail17trampoline_kernelINS0_14default_configENS1_25partition_config_selectorILNS1_17partition_subalgoE9EyybEEZZNS1_14partition_implILS5_9ELb0ES3_jN6thrust23THRUST_200600_302600_NS6detail15normal_iteratorINS9_10device_ptrIyEEEESE_PNS0_10empty_typeENS0_5tupleIJSE_SF_EEENSH_IJSE_SG_EEENS0_18inequality_wrapperI22is_equal_div_10_uniqueIyEEEPmJSF_EEE10hipError_tPvRmT3_T4_T5_T6_T7_T9_mT8_P12ihipStream_tbDpT10_ENKUlT_T0_E_clISt17integral_constantIbLb1EES17_IbLb0EEEEDaS13_S14_EUlS13_E_NS1_11comp_targetILNS1_3genE10ELNS1_11target_archE1200ELNS1_3gpuE4ELNS1_3repE0EEENS1_30default_config_static_selectorELNS0_4arch9wavefront6targetE0EEEvT1_
	.globl	_ZN7rocprim17ROCPRIM_400000_NS6detail17trampoline_kernelINS0_14default_configENS1_25partition_config_selectorILNS1_17partition_subalgoE9EyybEEZZNS1_14partition_implILS5_9ELb0ES3_jN6thrust23THRUST_200600_302600_NS6detail15normal_iteratorINS9_10device_ptrIyEEEESE_PNS0_10empty_typeENS0_5tupleIJSE_SF_EEENSH_IJSE_SG_EEENS0_18inequality_wrapperI22is_equal_div_10_uniqueIyEEEPmJSF_EEE10hipError_tPvRmT3_T4_T5_T6_T7_T9_mT8_P12ihipStream_tbDpT10_ENKUlT_T0_E_clISt17integral_constantIbLb1EES17_IbLb0EEEEDaS13_S14_EUlS13_E_NS1_11comp_targetILNS1_3genE10ELNS1_11target_archE1200ELNS1_3gpuE4ELNS1_3repE0EEENS1_30default_config_static_selectorELNS0_4arch9wavefront6targetE0EEEvT1_
	.p2align	8
	.type	_ZN7rocprim17ROCPRIM_400000_NS6detail17trampoline_kernelINS0_14default_configENS1_25partition_config_selectorILNS1_17partition_subalgoE9EyybEEZZNS1_14partition_implILS5_9ELb0ES3_jN6thrust23THRUST_200600_302600_NS6detail15normal_iteratorINS9_10device_ptrIyEEEESE_PNS0_10empty_typeENS0_5tupleIJSE_SF_EEENSH_IJSE_SG_EEENS0_18inequality_wrapperI22is_equal_div_10_uniqueIyEEEPmJSF_EEE10hipError_tPvRmT3_T4_T5_T6_T7_T9_mT8_P12ihipStream_tbDpT10_ENKUlT_T0_E_clISt17integral_constantIbLb1EES17_IbLb0EEEEDaS13_S14_EUlS13_E_NS1_11comp_targetILNS1_3genE10ELNS1_11target_archE1200ELNS1_3gpuE4ELNS1_3repE0EEENS1_30default_config_static_selectorELNS0_4arch9wavefront6targetE0EEEvT1_,@function
_ZN7rocprim17ROCPRIM_400000_NS6detail17trampoline_kernelINS0_14default_configENS1_25partition_config_selectorILNS1_17partition_subalgoE9EyybEEZZNS1_14partition_implILS5_9ELb0ES3_jN6thrust23THRUST_200600_302600_NS6detail15normal_iteratorINS9_10device_ptrIyEEEESE_PNS0_10empty_typeENS0_5tupleIJSE_SF_EEENSH_IJSE_SG_EEENS0_18inequality_wrapperI22is_equal_div_10_uniqueIyEEEPmJSF_EEE10hipError_tPvRmT3_T4_T5_T6_T7_T9_mT8_P12ihipStream_tbDpT10_ENKUlT_T0_E_clISt17integral_constantIbLb1EES17_IbLb0EEEEDaS13_S14_EUlS13_E_NS1_11comp_targetILNS1_3genE10ELNS1_11target_archE1200ELNS1_3gpuE4ELNS1_3repE0EEENS1_30default_config_static_selectorELNS0_4arch9wavefront6targetE0EEEvT1_: ; @_ZN7rocprim17ROCPRIM_400000_NS6detail17trampoline_kernelINS0_14default_configENS1_25partition_config_selectorILNS1_17partition_subalgoE9EyybEEZZNS1_14partition_implILS5_9ELb0ES3_jN6thrust23THRUST_200600_302600_NS6detail15normal_iteratorINS9_10device_ptrIyEEEESE_PNS0_10empty_typeENS0_5tupleIJSE_SF_EEENSH_IJSE_SG_EEENS0_18inequality_wrapperI22is_equal_div_10_uniqueIyEEEPmJSF_EEE10hipError_tPvRmT3_T4_T5_T6_T7_T9_mT8_P12ihipStream_tbDpT10_ENKUlT_T0_E_clISt17integral_constantIbLb1EES17_IbLb0EEEEDaS13_S14_EUlS13_E_NS1_11comp_targetILNS1_3genE10ELNS1_11target_archE1200ELNS1_3gpuE4ELNS1_3repE0EEENS1_30default_config_static_selectorELNS0_4arch9wavefront6targetE0EEEvT1_
; %bb.0:
	.section	.rodata,"a",@progbits
	.p2align	6, 0x0
	.amdhsa_kernel _ZN7rocprim17ROCPRIM_400000_NS6detail17trampoline_kernelINS0_14default_configENS1_25partition_config_selectorILNS1_17partition_subalgoE9EyybEEZZNS1_14partition_implILS5_9ELb0ES3_jN6thrust23THRUST_200600_302600_NS6detail15normal_iteratorINS9_10device_ptrIyEEEESE_PNS0_10empty_typeENS0_5tupleIJSE_SF_EEENSH_IJSE_SG_EEENS0_18inequality_wrapperI22is_equal_div_10_uniqueIyEEEPmJSF_EEE10hipError_tPvRmT3_T4_T5_T6_T7_T9_mT8_P12ihipStream_tbDpT10_ENKUlT_T0_E_clISt17integral_constantIbLb1EES17_IbLb0EEEEDaS13_S14_EUlS13_E_NS1_11comp_targetILNS1_3genE10ELNS1_11target_archE1200ELNS1_3gpuE4ELNS1_3repE0EEENS1_30default_config_static_selectorELNS0_4arch9wavefront6targetE0EEEvT1_
		.amdhsa_group_segment_fixed_size 0
		.amdhsa_private_segment_fixed_size 0
		.amdhsa_kernarg_size 112
		.amdhsa_user_sgpr_count 15
		.amdhsa_user_sgpr_dispatch_ptr 0
		.amdhsa_user_sgpr_queue_ptr 0
		.amdhsa_user_sgpr_kernarg_segment_ptr 1
		.amdhsa_user_sgpr_dispatch_id 0
		.amdhsa_user_sgpr_private_segment_size 0
		.amdhsa_wavefront_size32 1
		.amdhsa_uses_dynamic_stack 0
		.amdhsa_enable_private_segment 0
		.amdhsa_system_sgpr_workgroup_id_x 1
		.amdhsa_system_sgpr_workgroup_id_y 0
		.amdhsa_system_sgpr_workgroup_id_z 0
		.amdhsa_system_sgpr_workgroup_info 0
		.amdhsa_system_vgpr_workitem_id 0
		.amdhsa_next_free_vgpr 1
		.amdhsa_next_free_sgpr 1
		.amdhsa_reserve_vcc 0
		.amdhsa_float_round_mode_32 0
		.amdhsa_float_round_mode_16_64 0
		.amdhsa_float_denorm_mode_32 3
		.amdhsa_float_denorm_mode_16_64 3
		.amdhsa_dx10_clamp 1
		.amdhsa_ieee_mode 1
		.amdhsa_fp16_overflow 0
		.amdhsa_workgroup_processor_mode 1
		.amdhsa_memory_ordered 1
		.amdhsa_forward_progress 0
		.amdhsa_shared_vgpr_count 0
		.amdhsa_exception_fp_ieee_invalid_op 0
		.amdhsa_exception_fp_denorm_src 0
		.amdhsa_exception_fp_ieee_div_zero 0
		.amdhsa_exception_fp_ieee_overflow 0
		.amdhsa_exception_fp_ieee_underflow 0
		.amdhsa_exception_fp_ieee_inexact 0
		.amdhsa_exception_int_div_zero 0
	.end_amdhsa_kernel
	.section	.text._ZN7rocprim17ROCPRIM_400000_NS6detail17trampoline_kernelINS0_14default_configENS1_25partition_config_selectorILNS1_17partition_subalgoE9EyybEEZZNS1_14partition_implILS5_9ELb0ES3_jN6thrust23THRUST_200600_302600_NS6detail15normal_iteratorINS9_10device_ptrIyEEEESE_PNS0_10empty_typeENS0_5tupleIJSE_SF_EEENSH_IJSE_SG_EEENS0_18inequality_wrapperI22is_equal_div_10_uniqueIyEEEPmJSF_EEE10hipError_tPvRmT3_T4_T5_T6_T7_T9_mT8_P12ihipStream_tbDpT10_ENKUlT_T0_E_clISt17integral_constantIbLb1EES17_IbLb0EEEEDaS13_S14_EUlS13_E_NS1_11comp_targetILNS1_3genE10ELNS1_11target_archE1200ELNS1_3gpuE4ELNS1_3repE0EEENS1_30default_config_static_selectorELNS0_4arch9wavefront6targetE0EEEvT1_,"axG",@progbits,_ZN7rocprim17ROCPRIM_400000_NS6detail17trampoline_kernelINS0_14default_configENS1_25partition_config_selectorILNS1_17partition_subalgoE9EyybEEZZNS1_14partition_implILS5_9ELb0ES3_jN6thrust23THRUST_200600_302600_NS6detail15normal_iteratorINS9_10device_ptrIyEEEESE_PNS0_10empty_typeENS0_5tupleIJSE_SF_EEENSH_IJSE_SG_EEENS0_18inequality_wrapperI22is_equal_div_10_uniqueIyEEEPmJSF_EEE10hipError_tPvRmT3_T4_T5_T6_T7_T9_mT8_P12ihipStream_tbDpT10_ENKUlT_T0_E_clISt17integral_constantIbLb1EES17_IbLb0EEEEDaS13_S14_EUlS13_E_NS1_11comp_targetILNS1_3genE10ELNS1_11target_archE1200ELNS1_3gpuE4ELNS1_3repE0EEENS1_30default_config_static_selectorELNS0_4arch9wavefront6targetE0EEEvT1_,comdat
.Lfunc_end198:
	.size	_ZN7rocprim17ROCPRIM_400000_NS6detail17trampoline_kernelINS0_14default_configENS1_25partition_config_selectorILNS1_17partition_subalgoE9EyybEEZZNS1_14partition_implILS5_9ELb0ES3_jN6thrust23THRUST_200600_302600_NS6detail15normal_iteratorINS9_10device_ptrIyEEEESE_PNS0_10empty_typeENS0_5tupleIJSE_SF_EEENSH_IJSE_SG_EEENS0_18inequality_wrapperI22is_equal_div_10_uniqueIyEEEPmJSF_EEE10hipError_tPvRmT3_T4_T5_T6_T7_T9_mT8_P12ihipStream_tbDpT10_ENKUlT_T0_E_clISt17integral_constantIbLb1EES17_IbLb0EEEEDaS13_S14_EUlS13_E_NS1_11comp_targetILNS1_3genE10ELNS1_11target_archE1200ELNS1_3gpuE4ELNS1_3repE0EEENS1_30default_config_static_selectorELNS0_4arch9wavefront6targetE0EEEvT1_, .Lfunc_end198-_ZN7rocprim17ROCPRIM_400000_NS6detail17trampoline_kernelINS0_14default_configENS1_25partition_config_selectorILNS1_17partition_subalgoE9EyybEEZZNS1_14partition_implILS5_9ELb0ES3_jN6thrust23THRUST_200600_302600_NS6detail15normal_iteratorINS9_10device_ptrIyEEEESE_PNS0_10empty_typeENS0_5tupleIJSE_SF_EEENSH_IJSE_SG_EEENS0_18inequality_wrapperI22is_equal_div_10_uniqueIyEEEPmJSF_EEE10hipError_tPvRmT3_T4_T5_T6_T7_T9_mT8_P12ihipStream_tbDpT10_ENKUlT_T0_E_clISt17integral_constantIbLb1EES17_IbLb0EEEEDaS13_S14_EUlS13_E_NS1_11comp_targetILNS1_3genE10ELNS1_11target_archE1200ELNS1_3gpuE4ELNS1_3repE0EEENS1_30default_config_static_selectorELNS0_4arch9wavefront6targetE0EEEvT1_
                                        ; -- End function
	.section	.AMDGPU.csdata,"",@progbits
; Kernel info:
; codeLenInByte = 0
; NumSgprs: 0
; NumVgprs: 0
; ScratchSize: 0
; MemoryBound: 0
; FloatMode: 240
; IeeeMode: 1
; LDSByteSize: 0 bytes/workgroup (compile time only)
; SGPRBlocks: 0
; VGPRBlocks: 0
; NumSGPRsForWavesPerEU: 1
; NumVGPRsForWavesPerEU: 1
; Occupancy: 15
; WaveLimiterHint : 0
; COMPUTE_PGM_RSRC2:SCRATCH_EN: 0
; COMPUTE_PGM_RSRC2:USER_SGPR: 15
; COMPUTE_PGM_RSRC2:TRAP_HANDLER: 0
; COMPUTE_PGM_RSRC2:TGID_X_EN: 1
; COMPUTE_PGM_RSRC2:TGID_Y_EN: 0
; COMPUTE_PGM_RSRC2:TGID_Z_EN: 0
; COMPUTE_PGM_RSRC2:TIDIG_COMP_CNT: 0
	.section	.text._ZN7rocprim17ROCPRIM_400000_NS6detail17trampoline_kernelINS0_14default_configENS1_25partition_config_selectorILNS1_17partition_subalgoE9EyybEEZZNS1_14partition_implILS5_9ELb0ES3_jN6thrust23THRUST_200600_302600_NS6detail15normal_iteratorINS9_10device_ptrIyEEEESE_PNS0_10empty_typeENS0_5tupleIJSE_SF_EEENSH_IJSE_SG_EEENS0_18inequality_wrapperI22is_equal_div_10_uniqueIyEEEPmJSF_EEE10hipError_tPvRmT3_T4_T5_T6_T7_T9_mT8_P12ihipStream_tbDpT10_ENKUlT_T0_E_clISt17integral_constantIbLb1EES17_IbLb0EEEEDaS13_S14_EUlS13_E_NS1_11comp_targetILNS1_3genE9ELNS1_11target_archE1100ELNS1_3gpuE3ELNS1_3repE0EEENS1_30default_config_static_selectorELNS0_4arch9wavefront6targetE0EEEvT1_,"axG",@progbits,_ZN7rocprim17ROCPRIM_400000_NS6detail17trampoline_kernelINS0_14default_configENS1_25partition_config_selectorILNS1_17partition_subalgoE9EyybEEZZNS1_14partition_implILS5_9ELb0ES3_jN6thrust23THRUST_200600_302600_NS6detail15normal_iteratorINS9_10device_ptrIyEEEESE_PNS0_10empty_typeENS0_5tupleIJSE_SF_EEENSH_IJSE_SG_EEENS0_18inequality_wrapperI22is_equal_div_10_uniqueIyEEEPmJSF_EEE10hipError_tPvRmT3_T4_T5_T6_T7_T9_mT8_P12ihipStream_tbDpT10_ENKUlT_T0_E_clISt17integral_constantIbLb1EES17_IbLb0EEEEDaS13_S14_EUlS13_E_NS1_11comp_targetILNS1_3genE9ELNS1_11target_archE1100ELNS1_3gpuE3ELNS1_3repE0EEENS1_30default_config_static_selectorELNS0_4arch9wavefront6targetE0EEEvT1_,comdat
	.protected	_ZN7rocprim17ROCPRIM_400000_NS6detail17trampoline_kernelINS0_14default_configENS1_25partition_config_selectorILNS1_17partition_subalgoE9EyybEEZZNS1_14partition_implILS5_9ELb0ES3_jN6thrust23THRUST_200600_302600_NS6detail15normal_iteratorINS9_10device_ptrIyEEEESE_PNS0_10empty_typeENS0_5tupleIJSE_SF_EEENSH_IJSE_SG_EEENS0_18inequality_wrapperI22is_equal_div_10_uniqueIyEEEPmJSF_EEE10hipError_tPvRmT3_T4_T5_T6_T7_T9_mT8_P12ihipStream_tbDpT10_ENKUlT_T0_E_clISt17integral_constantIbLb1EES17_IbLb0EEEEDaS13_S14_EUlS13_E_NS1_11comp_targetILNS1_3genE9ELNS1_11target_archE1100ELNS1_3gpuE3ELNS1_3repE0EEENS1_30default_config_static_selectorELNS0_4arch9wavefront6targetE0EEEvT1_ ; -- Begin function _ZN7rocprim17ROCPRIM_400000_NS6detail17trampoline_kernelINS0_14default_configENS1_25partition_config_selectorILNS1_17partition_subalgoE9EyybEEZZNS1_14partition_implILS5_9ELb0ES3_jN6thrust23THRUST_200600_302600_NS6detail15normal_iteratorINS9_10device_ptrIyEEEESE_PNS0_10empty_typeENS0_5tupleIJSE_SF_EEENSH_IJSE_SG_EEENS0_18inequality_wrapperI22is_equal_div_10_uniqueIyEEEPmJSF_EEE10hipError_tPvRmT3_T4_T5_T6_T7_T9_mT8_P12ihipStream_tbDpT10_ENKUlT_T0_E_clISt17integral_constantIbLb1EES17_IbLb0EEEEDaS13_S14_EUlS13_E_NS1_11comp_targetILNS1_3genE9ELNS1_11target_archE1100ELNS1_3gpuE3ELNS1_3repE0EEENS1_30default_config_static_selectorELNS0_4arch9wavefront6targetE0EEEvT1_
	.globl	_ZN7rocprim17ROCPRIM_400000_NS6detail17trampoline_kernelINS0_14default_configENS1_25partition_config_selectorILNS1_17partition_subalgoE9EyybEEZZNS1_14partition_implILS5_9ELb0ES3_jN6thrust23THRUST_200600_302600_NS6detail15normal_iteratorINS9_10device_ptrIyEEEESE_PNS0_10empty_typeENS0_5tupleIJSE_SF_EEENSH_IJSE_SG_EEENS0_18inequality_wrapperI22is_equal_div_10_uniqueIyEEEPmJSF_EEE10hipError_tPvRmT3_T4_T5_T6_T7_T9_mT8_P12ihipStream_tbDpT10_ENKUlT_T0_E_clISt17integral_constantIbLb1EES17_IbLb0EEEEDaS13_S14_EUlS13_E_NS1_11comp_targetILNS1_3genE9ELNS1_11target_archE1100ELNS1_3gpuE3ELNS1_3repE0EEENS1_30default_config_static_selectorELNS0_4arch9wavefront6targetE0EEEvT1_
	.p2align	8
	.type	_ZN7rocprim17ROCPRIM_400000_NS6detail17trampoline_kernelINS0_14default_configENS1_25partition_config_selectorILNS1_17partition_subalgoE9EyybEEZZNS1_14partition_implILS5_9ELb0ES3_jN6thrust23THRUST_200600_302600_NS6detail15normal_iteratorINS9_10device_ptrIyEEEESE_PNS0_10empty_typeENS0_5tupleIJSE_SF_EEENSH_IJSE_SG_EEENS0_18inequality_wrapperI22is_equal_div_10_uniqueIyEEEPmJSF_EEE10hipError_tPvRmT3_T4_T5_T6_T7_T9_mT8_P12ihipStream_tbDpT10_ENKUlT_T0_E_clISt17integral_constantIbLb1EES17_IbLb0EEEEDaS13_S14_EUlS13_E_NS1_11comp_targetILNS1_3genE9ELNS1_11target_archE1100ELNS1_3gpuE3ELNS1_3repE0EEENS1_30default_config_static_selectorELNS0_4arch9wavefront6targetE0EEEvT1_,@function
_ZN7rocprim17ROCPRIM_400000_NS6detail17trampoline_kernelINS0_14default_configENS1_25partition_config_selectorILNS1_17partition_subalgoE9EyybEEZZNS1_14partition_implILS5_9ELb0ES3_jN6thrust23THRUST_200600_302600_NS6detail15normal_iteratorINS9_10device_ptrIyEEEESE_PNS0_10empty_typeENS0_5tupleIJSE_SF_EEENSH_IJSE_SG_EEENS0_18inequality_wrapperI22is_equal_div_10_uniqueIyEEEPmJSF_EEE10hipError_tPvRmT3_T4_T5_T6_T7_T9_mT8_P12ihipStream_tbDpT10_ENKUlT_T0_E_clISt17integral_constantIbLb1EES17_IbLb0EEEEDaS13_S14_EUlS13_E_NS1_11comp_targetILNS1_3genE9ELNS1_11target_archE1100ELNS1_3gpuE3ELNS1_3repE0EEENS1_30default_config_static_selectorELNS0_4arch9wavefront6targetE0EEEvT1_: ; @_ZN7rocprim17ROCPRIM_400000_NS6detail17trampoline_kernelINS0_14default_configENS1_25partition_config_selectorILNS1_17partition_subalgoE9EyybEEZZNS1_14partition_implILS5_9ELb0ES3_jN6thrust23THRUST_200600_302600_NS6detail15normal_iteratorINS9_10device_ptrIyEEEESE_PNS0_10empty_typeENS0_5tupleIJSE_SF_EEENSH_IJSE_SG_EEENS0_18inequality_wrapperI22is_equal_div_10_uniqueIyEEEPmJSF_EEE10hipError_tPvRmT3_T4_T5_T6_T7_T9_mT8_P12ihipStream_tbDpT10_ENKUlT_T0_E_clISt17integral_constantIbLb1EES17_IbLb0EEEEDaS13_S14_EUlS13_E_NS1_11comp_targetILNS1_3genE9ELNS1_11target_archE1100ELNS1_3gpuE3ELNS1_3repE0EEENS1_30default_config_static_selectorELNS0_4arch9wavefront6targetE0EEEvT1_
; %bb.0:
	s_clause 0x4
	s_load_b128 s[4:7], s[0:1], 0x8
	s_load_b32 s14, s[0:1], 0x68
	s_load_b128 s[16:19], s[0:1], 0x40
	s_load_b64 s[2:3], s[0:1], 0x50
	s_load_b64 s[8:9], s[0:1], 0x18
	s_mov_b32 s21, 0
	v_lshlrev_b32_e32 v55, 3, v0
	v_lshrrev_b32_e32 v33, 2, v0
	v_or_b32_e32 v38, 0x200, v0
	v_or_b32_e32 v36, 0x400, v0
	;; [unrolled: 1-line block ×7, first 2 shown]
	s_waitcnt lgkmcnt(0)
	s_lshl_b64 s[12:13], s[6:7], 3
	s_delay_alu instid0(SALU_CYCLE_1)
	s_add_u32 s22, s4, s12
	s_addc_u32 s23, s5, s13
	s_add_i32 s24, s14, -1
	s_load_b64 s[10:11], s[18:19], 0x0
	s_lshl_b32 s4, s24, 12
	s_lshl_b32 s5, s14, 12
	s_add_i32 s4, s6, s4
	s_lshl_b32 s20, s15, 12
	s_sub_i32 s19, s2, s4
	s_add_u32 s4, s6, s5
	s_addc_u32 s5, s7, 0
	s_cmp_eq_u32 s15, s24
	v_cmp_ge_u64_e64 s2, s[4:5], s[2:3]
	s_cselect_b32 s14, -1, 0
	s_lshl_b64 s[4:5], s[20:21], 3
	s_delay_alu instid0(VALU_DEP_1) | instskip(NEXT) | instid1(SALU_CYCLE_1)
	s_and_b32 s3, s14, s2
	s_xor_b32 s18, s3, -1
	s_add_u32 s21, s22, s4
	s_addc_u32 s20, s23, s5
	s_and_b32 vcc_lo, exec_lo, s18
	s_mov_b32 s22, -1
	s_cbranch_vccz .LBB199_2
; %bb.1:
	v_add_co_u32 v1, s2, s21, v55
	s_delay_alu instid0(VALU_DEP_1) | instskip(SKIP_1) | instid1(VALU_DEP_3)
	v_add_co_ci_u32_e64 v2, null, s20, 0, s2
	v_lshrrev_b32_e32 v18, 2, v38
	v_add_co_u32 v3, vcc_lo, 0x1000, v1
	s_delay_alu instid0(VALU_DEP_3)
	v_add_co_ci_u32_e32 v4, vcc_lo, 0, v2, vcc_lo
	v_add_co_u32 v5, vcc_lo, 0x2000, v1
	v_add_co_ci_u32_e32 v6, vcc_lo, 0, v2, vcc_lo
	v_add_co_u32 v7, vcc_lo, 0x3000, v1
	;; [unrolled: 2-line block ×6, first 2 shown]
	v_add_co_ci_u32_e32 v16, vcc_lo, 0, v2, vcc_lo
	s_clause 0x7
	flat_load_b64 v[1:2], v[1:2]
	flat_load_b64 v[3:4], v[3:4]
	;; [unrolled: 1-line block ×8, first 2 shown]
	v_lshrrev_b32_e32 v19, 2, v36
	v_lshrrev_b32_e32 v20, 2, v40
	;; [unrolled: 1-line block ×3, first 2 shown]
	v_and_b32_e32 v17, 0x78, v33
	v_lshrrev_b32_e32 v22, 2, v37
	v_lshrrev_b32_e32 v23, 2, v34
	;; [unrolled: 1-line block ×3, first 2 shown]
	v_and_b32_e32 v18, 0xf8, v18
	v_and_b32_e32 v19, 0x178, v19
	;; [unrolled: 1-line block ×4, first 2 shown]
	v_add_nc_u32_e32 v17, v17, v55
	v_and_b32_e32 v22, 0x2f8, v22
	v_and_b32_e32 v23, 0x378, v23
	;; [unrolled: 1-line block ×3, first 2 shown]
	v_add_nc_u32_e32 v18, v18, v55
	v_add_nc_u32_e32 v19, v19, v55
	;; [unrolled: 1-line block ×4, first 2 shown]
	s_mov_b32 s22, 0
	v_add_nc_u32_e32 v22, v22, v55
	v_add_nc_u32_e32 v23, v23, v55
	;; [unrolled: 1-line block ×3, first 2 shown]
	s_waitcnt vmcnt(7) lgkmcnt(0)
	ds_store_b64 v17, v[1:2]
	s_waitcnt vmcnt(6)
	ds_store_b64 v18, v[3:4] offset:4096
	s_waitcnt vmcnt(5)
	ds_store_b64 v19, v[5:6] offset:8192
	;; [unrolled: 2-line block ×7, first 2 shown]
	s_waitcnt lgkmcnt(0)
	s_barrier
.LBB199_2:
	v_cmp_gt_u32_e64 s2, s19, v0
	s_and_not1_b32 vcc_lo, exec_lo, s22
	s_cbranch_vccnz .LBB199_20
; %bb.3:
                                        ; implicit-def: $vgpr1_vgpr2_vgpr3_vgpr4_vgpr5_vgpr6_vgpr7_vgpr8_vgpr9_vgpr10_vgpr11_vgpr12_vgpr13_vgpr14_vgpr15_vgpr16
	s_delay_alu instid0(VALU_DEP_1)
	s_and_saveexec_b32 s22, s2
	s_cbranch_execz .LBB199_11
; %bb.4:
	v_add_co_u32 v1, s2, s21, v55
	s_delay_alu instid0(VALU_DEP_1) | instskip(SKIP_2) | instid1(SALU_CYCLE_1)
	v_add_co_ci_u32_e64 v2, null, s20, 0, s2
	flat_load_b64 v[1:2], v[1:2]
	s_or_b32 exec_lo, exec_lo, s22
	s_mov_b32 s2, exec_lo
	v_cmpx_gt_u32_e64 s19, v38
	s_cbranch_execnz .LBB199_12
.LBB199_5:
	s_or_b32 exec_lo, exec_lo, s2
	s_delay_alu instid0(SALU_CYCLE_1)
	s_mov_b32 s2, exec_lo
	v_cmpx_gt_u32_e64 s19, v36
	s_cbranch_execz .LBB199_13
.LBB199_6:
	v_lshlrev_b32_e32 v5, 3, v36
	s_delay_alu instid0(VALU_DEP_1) | instskip(NEXT) | instid1(VALU_DEP_1)
	v_add_co_u32 v5, s22, s21, v5
	v_add_co_ci_u32_e64 v6, null, s20, 0, s22
	flat_load_b64 v[5:6], v[5:6]
	s_or_b32 exec_lo, exec_lo, s2
	s_delay_alu instid0(SALU_CYCLE_1)
	s_mov_b32 s2, exec_lo
	v_cmpx_gt_u32_e64 s19, v40
	s_cbranch_execnz .LBB199_14
.LBB199_7:
	s_or_b32 exec_lo, exec_lo, s2
	s_delay_alu instid0(SALU_CYCLE_1)
	s_mov_b32 s2, exec_lo
	v_cmpx_gt_u32_e64 s19, v39
	s_cbranch_execz .LBB199_15
.LBB199_8:
	v_lshlrev_b32_e32 v9, 3, v39
	s_delay_alu instid0(VALU_DEP_1) | instskip(NEXT) | instid1(VALU_DEP_1)
	v_add_co_u32 v9, s22, s21, v9
	v_add_co_ci_u32_e64 v10, null, s20, 0, s22
	flat_load_b64 v[9:10], v[9:10]
	s_or_b32 exec_lo, exec_lo, s2
	s_delay_alu instid0(SALU_CYCLE_1)
	s_mov_b32 s2, exec_lo
	v_cmpx_gt_u32_e64 s19, v37
	s_cbranch_execnz .LBB199_16
.LBB199_9:
	s_or_b32 exec_lo, exec_lo, s2
	s_delay_alu instid0(SALU_CYCLE_1)
	s_mov_b32 s2, exec_lo
	v_cmpx_gt_u32_e64 s19, v34
	s_cbranch_execz .LBB199_17
.LBB199_10:
	v_lshlrev_b32_e32 v13, 3, v34
	s_delay_alu instid0(VALU_DEP_1) | instskip(NEXT) | instid1(VALU_DEP_1)
	v_add_co_u32 v13, s22, s21, v13
	v_add_co_ci_u32_e64 v14, null, s20, 0, s22
	flat_load_b64 v[13:14], v[13:14]
	s_or_b32 exec_lo, exec_lo, s2
	s_delay_alu instid0(SALU_CYCLE_1)
	s_mov_b32 s2, exec_lo
	v_cmpx_gt_u32_e64 s19, v35
	s_cbranch_execnz .LBB199_18
	s_branch .LBB199_19
.LBB199_11:
	s_or_b32 exec_lo, exec_lo, s22
	s_delay_alu instid0(SALU_CYCLE_1)
	s_mov_b32 s2, exec_lo
	v_cmpx_gt_u32_e64 s19, v38
	s_cbranch_execz .LBB199_5
.LBB199_12:
	v_lshlrev_b32_e32 v3, 3, v38
	s_delay_alu instid0(VALU_DEP_1) | instskip(NEXT) | instid1(VALU_DEP_1)
	v_add_co_u32 v3, s22, s21, v3
	v_add_co_ci_u32_e64 v4, null, s20, 0, s22
	flat_load_b64 v[3:4], v[3:4]
	s_or_b32 exec_lo, exec_lo, s2
	s_delay_alu instid0(SALU_CYCLE_1)
	s_mov_b32 s2, exec_lo
	v_cmpx_gt_u32_e64 s19, v36
	s_cbranch_execnz .LBB199_6
.LBB199_13:
	s_or_b32 exec_lo, exec_lo, s2
	s_delay_alu instid0(SALU_CYCLE_1)
	s_mov_b32 s2, exec_lo
	v_cmpx_gt_u32_e64 s19, v40
	s_cbranch_execz .LBB199_7
.LBB199_14:
	v_lshlrev_b32_e32 v7, 3, v40
	s_delay_alu instid0(VALU_DEP_1) | instskip(NEXT) | instid1(VALU_DEP_1)
	v_add_co_u32 v7, s22, s21, v7
	v_add_co_ci_u32_e64 v8, null, s20, 0, s22
	flat_load_b64 v[7:8], v[7:8]
	s_or_b32 exec_lo, exec_lo, s2
	s_delay_alu instid0(SALU_CYCLE_1)
	s_mov_b32 s2, exec_lo
	v_cmpx_gt_u32_e64 s19, v39
	s_cbranch_execnz .LBB199_8
.LBB199_15:
	s_or_b32 exec_lo, exec_lo, s2
	s_delay_alu instid0(SALU_CYCLE_1)
	s_mov_b32 s2, exec_lo
	v_cmpx_gt_u32_e64 s19, v37
	s_cbranch_execz .LBB199_9
.LBB199_16:
	v_lshlrev_b32_e32 v11, 3, v37
	s_delay_alu instid0(VALU_DEP_1) | instskip(NEXT) | instid1(VALU_DEP_1)
	v_add_co_u32 v11, s22, s21, v11
	v_add_co_ci_u32_e64 v12, null, s20, 0, s22
	flat_load_b64 v[11:12], v[11:12]
	s_or_b32 exec_lo, exec_lo, s2
	s_delay_alu instid0(SALU_CYCLE_1)
	s_mov_b32 s2, exec_lo
	v_cmpx_gt_u32_e64 s19, v34
	s_cbranch_execnz .LBB199_10
.LBB199_17:
	s_or_b32 exec_lo, exec_lo, s2
	s_delay_alu instid0(SALU_CYCLE_1)
	s_mov_b32 s2, exec_lo
	v_cmpx_gt_u32_e64 s19, v35
	s_cbranch_execz .LBB199_19
.LBB199_18:
	v_lshlrev_b32_e32 v15, 3, v35
	s_delay_alu instid0(VALU_DEP_1) | instskip(NEXT) | instid1(VALU_DEP_1)
	v_add_co_u32 v15, s22, s21, v15
	v_add_co_ci_u32_e64 v16, null, s20, 0, s22
	flat_load_b64 v[15:16], v[15:16]
.LBB199_19:
	s_or_b32 exec_lo, exec_lo, s2
	v_lshrrev_b32_e32 v17, 2, v38
	v_lshrrev_b32_e32 v18, 2, v36
	;; [unrolled: 1-line block ×4, first 2 shown]
	v_and_b32_e32 v19, 0x78, v33
	v_lshrrev_b32_e32 v22, 2, v37
	v_lshrrev_b32_e32 v23, 2, v34
	v_lshrrev_b32_e32 v24, 2, v35
	v_and_b32_e32 v17, 0xf8, v17
	v_and_b32_e32 v18, 0x1f8, v18
	;; [unrolled: 1-line block ×4, first 2 shown]
	v_add_nc_u32_e32 v19, v19, v55
	v_and_b32_e32 v22, 0x3f8, v22
	v_and_b32_e32 v23, 0x3f8, v23
	;; [unrolled: 1-line block ×3, first 2 shown]
	v_add_nc_u32_e32 v17, v17, v55
	v_add_nc_u32_e32 v18, v18, v55
	v_add_nc_u32_e32 v20, v20, v55
	v_add_nc_u32_e32 v21, v21, v55
	v_add_nc_u32_e32 v22, v22, v55
	v_add_nc_u32_e32 v23, v23, v55
	v_add_nc_u32_e32 v24, v24, v55
	s_waitcnt vmcnt(0) lgkmcnt(0)
	ds_store_b64 v19, v[1:2]
	ds_store_b64 v17, v[3:4] offset:4096
	ds_store_b64 v18, v[5:6] offset:8192
	;; [unrolled: 1-line block ×7, first 2 shown]
	s_waitcnt lgkmcnt(0)
	s_barrier
.LBB199_20:
	v_add_lshl_u32 v41, v33, v55, 3
	s_waitcnt lgkmcnt(0)
	buffer_gl0_inv
	s_add_u32 s2, s8, s12
	s_addc_u32 s8, s9, s13
	s_add_u32 s2, s2, s4
	ds_load_2addr_b64 v[29:32], v41 offset1:1
	ds_load_2addr_b64 v[25:28], v41 offset0:2 offset1:3
	ds_load_2addr_b64 v[21:24], v41 offset0:4 offset1:5
	;; [unrolled: 1-line block ×3, first 2 shown]
	s_addc_u32 s4, s8, s5
	s_and_b32 vcc_lo, exec_lo, s18
	s_mov_b32 s5, -1
	s_waitcnt lgkmcnt(0)
	s_barrier
	buffer_gl0_inv
	s_cbranch_vccz .LBB199_22
; %bb.21:
	v_add_co_u32 v1, s5, s2, v55
	s_delay_alu instid0(VALU_DEP_1) | instskip(SKIP_1) | instid1(VALU_DEP_3)
	v_add_co_ci_u32_e64 v2, null, s4, 0, s5
	v_lshrrev_b32_e32 v43, 2, v38
	v_add_co_u32 v3, vcc_lo, 0x1000, v1
	s_delay_alu instid0(VALU_DEP_3)
	v_add_co_ci_u32_e32 v4, vcc_lo, 0, v2, vcc_lo
	v_add_co_u32 v5, vcc_lo, 0x2000, v1
	v_add_co_ci_u32_e32 v6, vcc_lo, 0, v2, vcc_lo
	v_add_co_u32 v7, vcc_lo, 0x3000, v1
	;; [unrolled: 2-line block ×6, first 2 shown]
	v_add_co_ci_u32_e32 v16, vcc_lo, 0, v2, vcc_lo
	s_clause 0x7
	flat_load_b64 v[1:2], v[1:2]
	flat_load_b64 v[3:4], v[3:4]
	;; [unrolled: 1-line block ×8, first 2 shown]
	v_lshrrev_b32_e32 v44, 2, v36
	v_lshrrev_b32_e32 v45, 2, v40
	v_lshrrev_b32_e32 v46, 2, v39
	v_and_b32_e32 v42, 0x78, v33
	v_lshrrev_b32_e32 v47, 2, v37
	v_lshrrev_b32_e32 v48, 2, v34
	;; [unrolled: 1-line block ×3, first 2 shown]
	v_and_b32_e32 v43, 0xf8, v43
	v_and_b32_e32 v44, 0x178, v44
	;; [unrolled: 1-line block ×4, first 2 shown]
	v_add_nc_u32_e32 v42, v42, v55
	v_and_b32_e32 v47, 0x2f8, v47
	v_and_b32_e32 v48, 0x378, v48
	;; [unrolled: 1-line block ×3, first 2 shown]
	v_add_nc_u32_e32 v43, v43, v55
	v_add_nc_u32_e32 v44, v44, v55
	;; [unrolled: 1-line block ×4, first 2 shown]
	s_mov_b32 s5, 0
	v_add_nc_u32_e32 v47, v47, v55
	v_add_nc_u32_e32 v48, v48, v55
	;; [unrolled: 1-line block ×3, first 2 shown]
	s_waitcnt vmcnt(7) lgkmcnt(7)
	ds_store_b64 v42, v[1:2]
	s_waitcnt vmcnt(6) lgkmcnt(7)
	ds_store_b64 v43, v[3:4] offset:4096
	s_waitcnt vmcnt(5) lgkmcnt(7)
	ds_store_b64 v44, v[5:6] offset:8192
	;; [unrolled: 2-line block ×7, first 2 shown]
	s_waitcnt lgkmcnt(0)
	s_barrier
.LBB199_22:
	s_and_not1_b32 vcc_lo, exec_lo, s5
	s_cbranch_vccnz .LBB199_40
; %bb.23:
	s_mov_b32 s5, exec_lo
                                        ; implicit-def: $vgpr1_vgpr2
	v_cmpx_gt_u32_e64 s19, v0
	s_cbranch_execz .LBB199_25
; %bb.24:
	v_add_co_u32 v1, s8, s2, v55
	s_delay_alu instid0(VALU_DEP_1)
	v_add_co_ci_u32_e64 v2, null, s4, 0, s8
	flat_load_b64 v[1:2], v[1:2]
.LBB199_25:
	s_or_b32 exec_lo, exec_lo, s5
	s_delay_alu instid0(SALU_CYCLE_1)
	s_mov_b32 s5, exec_lo
                                        ; implicit-def: $vgpr3_vgpr4
	v_cmpx_gt_u32_e64 s19, v38
	s_cbranch_execz .LBB199_27
; %bb.26:
	v_lshlrev_b32_e32 v3, 3, v38
	s_delay_alu instid0(VALU_DEP_1) | instskip(NEXT) | instid1(VALU_DEP_1)
	v_add_co_u32 v3, s8, s2, v3
	v_add_co_ci_u32_e64 v4, null, s4, 0, s8
	flat_load_b64 v[3:4], v[3:4]
.LBB199_27:
	s_or_b32 exec_lo, exec_lo, s5
	s_delay_alu instid0(SALU_CYCLE_1)
	s_mov_b32 s5, exec_lo
                                        ; implicit-def: $vgpr5_vgpr6
	v_cmpx_gt_u32_e64 s19, v36
	s_cbranch_execz .LBB199_29
; %bb.28:
	v_lshlrev_b32_e32 v5, 3, v36
	s_delay_alu instid0(VALU_DEP_1) | instskip(NEXT) | instid1(VALU_DEP_1)
	v_add_co_u32 v5, s8, s2, v5
	v_add_co_ci_u32_e64 v6, null, s4, 0, s8
	flat_load_b64 v[5:6], v[5:6]
.LBB199_29:
	s_or_b32 exec_lo, exec_lo, s5
	s_delay_alu instid0(SALU_CYCLE_1)
	s_mov_b32 s5, exec_lo
                                        ; implicit-def: $vgpr7_vgpr8
	v_cmpx_gt_u32_e64 s19, v40
	s_cbranch_execz .LBB199_31
; %bb.30:
	v_lshlrev_b32_e32 v7, 3, v40
	s_delay_alu instid0(VALU_DEP_1) | instskip(NEXT) | instid1(VALU_DEP_1)
	v_add_co_u32 v7, s8, s2, v7
	v_add_co_ci_u32_e64 v8, null, s4, 0, s8
	flat_load_b64 v[7:8], v[7:8]
.LBB199_31:
	s_or_b32 exec_lo, exec_lo, s5
	s_delay_alu instid0(SALU_CYCLE_1)
	s_mov_b32 s5, exec_lo
                                        ; implicit-def: $vgpr9_vgpr10
	v_cmpx_gt_u32_e64 s19, v39
	s_cbranch_execz .LBB199_33
; %bb.32:
	v_lshlrev_b32_e32 v9, 3, v39
	s_delay_alu instid0(VALU_DEP_1) | instskip(NEXT) | instid1(VALU_DEP_1)
	v_add_co_u32 v9, s8, s2, v9
	v_add_co_ci_u32_e64 v10, null, s4, 0, s8
	flat_load_b64 v[9:10], v[9:10]
.LBB199_33:
	s_or_b32 exec_lo, exec_lo, s5
	s_delay_alu instid0(SALU_CYCLE_1)
	s_mov_b32 s5, exec_lo
                                        ; implicit-def: $vgpr11_vgpr12
	v_cmpx_gt_u32_e64 s19, v37
	s_cbranch_execz .LBB199_35
; %bb.34:
	v_lshlrev_b32_e32 v11, 3, v37
	s_delay_alu instid0(VALU_DEP_1) | instskip(NEXT) | instid1(VALU_DEP_1)
	v_add_co_u32 v11, s8, s2, v11
	v_add_co_ci_u32_e64 v12, null, s4, 0, s8
	flat_load_b64 v[11:12], v[11:12]
.LBB199_35:
	s_or_b32 exec_lo, exec_lo, s5
	s_delay_alu instid0(SALU_CYCLE_1)
	s_mov_b32 s5, exec_lo
                                        ; implicit-def: $vgpr13_vgpr14
	v_cmpx_gt_u32_e64 s19, v34
	s_cbranch_execz .LBB199_37
; %bb.36:
	v_lshlrev_b32_e32 v13, 3, v34
	s_delay_alu instid0(VALU_DEP_1) | instskip(NEXT) | instid1(VALU_DEP_1)
	v_add_co_u32 v13, s8, s2, v13
	v_add_co_ci_u32_e64 v14, null, s4, 0, s8
	flat_load_b64 v[13:14], v[13:14]
.LBB199_37:
	s_or_b32 exec_lo, exec_lo, s5
	s_delay_alu instid0(SALU_CYCLE_1)
	s_mov_b32 s5, exec_lo
                                        ; implicit-def: $vgpr15_vgpr16
	v_cmpx_gt_u32_e64 s19, v35
	s_cbranch_execz .LBB199_39
; %bb.38:
	v_lshlrev_b32_e32 v15, 3, v35
	s_delay_alu instid0(VALU_DEP_1) | instskip(NEXT) | instid1(VALU_DEP_1)
	v_add_co_u32 v15, s2, s2, v15
	v_add_co_ci_u32_e64 v16, null, s4, 0, s2
	flat_load_b64 v[15:16], v[15:16]
.LBB199_39:
	s_or_b32 exec_lo, exec_lo, s5
	v_lshrrev_b32_e32 v38, 2, v38
	v_lshrrev_b32_e32 v36, 2, v36
	;; [unrolled: 1-line block ×4, first 2 shown]
	v_and_b32_e32 v33, 0x78, v33
	v_lshrrev_b32_e32 v37, 2, v37
	v_lshrrev_b32_e32 v34, 2, v34
	;; [unrolled: 1-line block ×3, first 2 shown]
	v_and_b32_e32 v38, 0xf8, v38
	v_and_b32_e32 v36, 0x1f8, v36
	;; [unrolled: 1-line block ×4, first 2 shown]
	v_add_nc_u32_e32 v33, v33, v55
	v_and_b32_e32 v37, 0x3f8, v37
	v_and_b32_e32 v34, 0x3f8, v34
	;; [unrolled: 1-line block ×3, first 2 shown]
	v_add_nc_u32_e32 v38, v38, v55
	v_add_nc_u32_e32 v36, v36, v55
	;; [unrolled: 1-line block ×7, first 2 shown]
	s_waitcnt vmcnt(0) lgkmcnt(0)
	ds_store_b64 v33, v[1:2]
	ds_store_b64 v38, v[3:4] offset:4096
	ds_store_b64 v36, v[5:6] offset:8192
	;; [unrolled: 1-line block ×7, first 2 shown]
	s_waitcnt lgkmcnt(0)
	s_barrier
.LBB199_40:
	buffer_gl0_inv
	ds_load_2addr_b64 v[13:16], v41 offset1:1
	ds_load_2addr_b64 v[9:12], v41 offset0:2 offset1:3
	ds_load_2addr_b64 v[5:8], v41 offset0:4 offset1:5
	;; [unrolled: 1-line block ×3, first 2 shown]
	s_cmp_lg_u32 s15, 0
	s_waitcnt lgkmcnt(0)
	s_cselect_b32 s8, -1, 0
	s_cmp_lg_u64 s[6:7], 0
	s_barrier
	s_cselect_b32 s2, -1, 0
	buffer_gl0_inv
	s_or_b32 s2, s8, s2
	s_delay_alu instid0(SALU_CYCLE_1)
	s_and_b32 vcc_lo, exec_lo, s2
	s_mov_b32 s2, 0
	s_cbranch_vccz .LBB199_45
; %bb.41:
	v_add_co_u32 v33, s2, -8, s21
	s_delay_alu instid0(VALU_DEP_1)
	v_add_co_ci_u32_e64 v34, null, -1, s20, s2
	s_mov_b32 s2, -1
	s_and_b32 vcc_lo, exec_lo, s18
	flat_load_b64 v[35:36], v[33:34]
	ds_store_b64 v55, v[19:20]
	s_cbranch_vccz .LBB199_46
; %bb.42:
	s_waitcnt vmcnt(0) lgkmcnt(1)
	v_dual_mov_b32 v33, v35 :: v_dual_mov_b32 v34, v36
	s_mov_b32 s2, 0
	s_mov_b32 s4, exec_lo
	s_waitcnt lgkmcnt(0)
	s_barrier
	buffer_gl0_inv
	v_cmpx_ne_u32_e32 0, v0
	s_cbranch_execz .LBB199_44
; %bb.43:
	v_add_nc_u32_e32 v33, -8, v55
	ds_load_b64 v[33:34], v33
.LBB199_44:
	s_or_b32 exec_lo, exec_lo, s4
	s_waitcnt lgkmcnt(0)
	v_mul_hi_i32 v34, 0x66666667, v17
	v_mul_hi_i32 v36, 0x66666667, v19
	;; [unrolled: 1-line block ×6, first 2 shown]
	v_lshrrev_b32_e32 v40, 31, v34
	v_ashrrev_i32_e32 v34, 2, v34
	v_lshrrev_b32_e32 v41, 31, v36
	v_ashrrev_i32_e32 v36, 2, v36
	;; [unrolled: 2-line block ×3, first 2 shown]
	v_add_nc_u32_e32 v34, v34, v40
	v_lshrrev_b32_e32 v43, 31, v38
	v_add_nc_u32_e32 v36, v36, v41
	v_ashrrev_i32_e32 v38, 2, v38
	v_add_nc_u32_e32 v37, v37, v42
	v_mul_hi_i32 v41, 0x66666667, v25
	v_lshrrev_b32_e32 v40, 31, v39
	v_cmp_ne_u32_e32 vcc_lo, v34, v36
	v_add_nc_u32_e32 v38, v38, v43
	v_ashrrev_i32_e32 v39, 2, v39
	v_mul_hi_i32 v42, 0x66666667, v31
	v_mul_hi_i32 v43, 0x66666667, v29
	v_cndmask_b32_e64 v36, 0, 1, vcc_lo
	v_cmp_ne_u32_e32 vcc_lo, v37, v34
	v_add_nc_u32_e32 v39, v39, v40
	v_lshrrev_b32_e32 v40, 31, v41
	v_ashrrev_i32_e32 v41, 2, v41
	v_lshlrev_b16 v36, 8, v36
	v_cndmask_b32_e64 v34, 0, 1, vcc_lo
	v_cmp_ne_u32_e32 vcc_lo, v38, v37
	v_lshrrev_b32_e32 v44, 31, v42
	v_ashrrev_i32_e32 v42, 2, v42
	v_add_nc_u32_e32 v40, v41, v40
	v_lshrrev_b32_e32 v45, 31, v43
	v_cndmask_b32_e64 v37, 0, 1, vcc_lo
	v_cmp_ne_u32_e32 vcc_lo, v39, v38
	v_ashrrev_i32_e32 v43, 2, v43
	v_add_nc_u32_e32 v41, v42, v44
	v_or_b32_e32 v34, v34, v36
	v_lshlrev_b16 v37, 8, v37
	v_cndmask_b32_e64 v38, 0, 1, vcc_lo
	v_cmp_ne_u32_e32 vcc_lo, v40, v39
	v_add_nc_u32_e32 v42, v43, v45
	v_lshrrev_b32_e32 v43, 31, v33
	v_ashrrev_i32_e32 v33, 2, v33
	v_or_b32_e32 v37, v38, v37
	v_cndmask_b32_e64 v39, 0, 1, vcc_lo
	v_cmp_ne_u32_e32 vcc_lo, v41, v40
	v_lshlrev_b32_e32 v34, 16, v34
	v_add_nc_u32_e32 v33, v33, v43
	v_and_b32_e32 v37, 0xffff, v37
	v_lshlrev_b16 v39, 8, v39
	v_cndmask_b32_e64 v40, 0, 1, vcc_lo
	v_cmp_ne_u32_e32 vcc_lo, v42, v41
	v_cmp_ne_u32_e64 s4, v33, v42
	v_or_b32_e32 v34, v37, v34
	s_delay_alu instid0(VALU_DEP_4) | instskip(SKIP_1) | instid1(VALU_DEP_2)
	v_or_b32_e32 v39, v40, v39
	v_cndmask_b32_e64 v41, 0, 1, vcc_lo
	v_lshlrev_b32_e32 v36, 16, v39
	s_delay_alu instid0(VALU_DEP_2) | instskip(NEXT) | instid1(VALU_DEP_1)
	v_lshlrev_b16 v40, 8, v41
	v_and_b32_e32 v38, 0xffff, v40
	s_delay_alu instid0(VALU_DEP_1)
	v_or_b32_e32 v33, v38, v36
	s_and_b32 vcc_lo, exec_lo, s2
	s_cbranch_vccnz .LBB199_47
	s_branch .LBB199_66
.LBB199_45:
                                        ; implicit-def: $sgpr4
                                        ; implicit-def: $vgpr34
	s_branch .LBB199_67
.LBB199_46:
                                        ; implicit-def: $sgpr4
                                        ; implicit-def: $vgpr34
	s_and_b32 vcc_lo, exec_lo, s2
	s_cbranch_vccz .LBB199_66
.LBB199_47:
	v_or_b32_e32 v33, 7, v55
	s_mov_b32 s2, 0
	s_mov_b32 s4, 0
	s_mov_b32 s5, exec_lo
	s_delay_alu instid0(VALU_DEP_1)
	v_cmpx_gt_u32_e64 s19, v33
	s_cbranch_execz .LBB199_49
; %bb.48:
	v_mul_hi_i32 v33, 0x66666667, v17
	v_mul_hi_i32 v34, 0x66666667, v19
	s_waitcnt vmcnt(0) lgkmcnt(1)
	s_delay_alu instid0(VALU_DEP_2) | instskip(SKIP_1) | instid1(VALU_DEP_3)
	v_lshrrev_b32_e32 v36, 31, v33
	v_ashrrev_i32_e32 v33, 2, v33
	v_lshrrev_b32_e32 v37, 31, v34
	v_ashrrev_i32_e32 v34, 2, v34
	s_delay_alu instid0(VALU_DEP_3) | instskip(NEXT) | instid1(VALU_DEP_2)
	v_add_nc_u32_e32 v33, v33, v36
	v_add_nc_u32_e32 v34, v34, v37
	s_delay_alu instid0(VALU_DEP_1)
	v_cmp_ne_u32_e32 vcc_lo, v33, v34
	s_and_b32 s4, vcc_lo, exec_lo
.LBB199_49:
	s_or_b32 exec_lo, exec_lo, s5
	v_or_b32_e32 v33, 6, v55
	s_mov_b32 s5, exec_lo
	s_delay_alu instid0(VALU_DEP_1)
	v_cmpx_gt_u32_e64 s19, v33
	s_cbranch_execz .LBB199_51
; %bb.50:
	v_mul_hi_i32 v33, 0x66666667, v23
	v_mul_hi_i32 v34, 0x66666667, v17
	s_waitcnt vmcnt(0) lgkmcnt(1)
	s_delay_alu instid0(VALU_DEP_2) | instskip(SKIP_1) | instid1(VALU_DEP_3)
	v_lshrrev_b32_e32 v36, 31, v33
	v_ashrrev_i32_e32 v33, 2, v33
	v_lshrrev_b32_e32 v37, 31, v34
	v_ashrrev_i32_e32 v34, 2, v34
	s_delay_alu instid0(VALU_DEP_3) | instskip(NEXT) | instid1(VALU_DEP_2)
	v_add_nc_u32_e32 v33, v33, v36
	v_add_nc_u32_e32 v34, v34, v37
	s_delay_alu instid0(VALU_DEP_1)
	v_cmp_ne_u32_e32 vcc_lo, v33, v34
	s_and_b32 s2, vcc_lo, exec_lo
.LBB199_51:
	s_or_b32 exec_lo, exec_lo, s5
	v_or_b32_e32 v33, 5, v55
	s_mov_b32 s6, 0
	s_mov_b32 s5, 0
	s_mov_b32 s7, exec_lo
	s_delay_alu instid0(VALU_DEP_1)
	v_cmpx_gt_u32_e64 s19, v33
	s_cbranch_execz .LBB199_53
; %bb.52:
	v_mul_hi_i32 v33, 0x66666667, v21
	v_mul_hi_i32 v34, 0x66666667, v23
	s_waitcnt vmcnt(0) lgkmcnt(1)
	s_delay_alu instid0(VALU_DEP_2) | instskip(SKIP_1) | instid1(VALU_DEP_3)
	v_lshrrev_b32_e32 v36, 31, v33
	v_ashrrev_i32_e32 v33, 2, v33
	v_lshrrev_b32_e32 v37, 31, v34
	v_ashrrev_i32_e32 v34, 2, v34
	s_delay_alu instid0(VALU_DEP_3) | instskip(NEXT) | instid1(VALU_DEP_2)
	v_add_nc_u32_e32 v33, v33, v36
	v_add_nc_u32_e32 v34, v34, v37
	s_delay_alu instid0(VALU_DEP_1)
	v_cmp_ne_u32_e32 vcc_lo, v33, v34
	s_and_b32 s5, vcc_lo, exec_lo
.LBB199_53:
	s_or_b32 exec_lo, exec_lo, s7
	v_or_b32_e32 v33, 4, v55
	s_mov_b32 s7, exec_lo
	s_delay_alu instid0(VALU_DEP_1)
	v_cmpx_gt_u32_e64 s19, v33
	s_cbranch_execz .LBB199_55
; %bb.54:
	v_mul_hi_i32 v33, 0x66666667, v27
	v_mul_hi_i32 v34, 0x66666667, v21
	s_waitcnt vmcnt(0) lgkmcnt(1)
	s_delay_alu instid0(VALU_DEP_2) | instskip(SKIP_1) | instid1(VALU_DEP_3)
	v_lshrrev_b32_e32 v36, 31, v33
	v_ashrrev_i32_e32 v33, 2, v33
	v_lshrrev_b32_e32 v37, 31, v34
	v_ashrrev_i32_e32 v34, 2, v34
	s_delay_alu instid0(VALU_DEP_3) | instskip(NEXT) | instid1(VALU_DEP_2)
	v_add_nc_u32_e32 v33, v33, v36
	v_add_nc_u32_e32 v34, v34, v37
	s_delay_alu instid0(VALU_DEP_1)
	v_cmp_ne_u32_e32 vcc_lo, v33, v34
	s_and_b32 s6, vcc_lo, exec_lo
.LBB199_55:
	s_or_b32 exec_lo, exec_lo, s7
	;; [unrolled: 46-line block ×3, first 2 shown]
	v_or_b32_e32 v33, 1, v55
	s_mov_b32 s12, 0
	s_mov_b32 s13, exec_lo
	s_delay_alu instid0(VALU_DEP_1)
	v_cmpx_gt_u32_e64 s19, v33
	s_cbranch_execz .LBB199_61
; %bb.60:
	v_mul_hi_i32 v33, 0x66666667, v29
	v_mul_hi_i32 v34, 0x66666667, v31
	s_waitcnt vmcnt(0) lgkmcnt(1)
	s_delay_alu instid0(VALU_DEP_2) | instskip(SKIP_1) | instid1(VALU_DEP_3)
	v_lshrrev_b32_e32 v36, 31, v33
	v_ashrrev_i32_e32 v33, 2, v33
	v_lshrrev_b32_e32 v37, 31, v34
	v_ashrrev_i32_e32 v34, 2, v34
	s_delay_alu instid0(VALU_DEP_3) | instskip(NEXT) | instid1(VALU_DEP_2)
	v_add_nc_u32_e32 v33, v33, v36
	v_add_nc_u32_e32 v34, v34, v37
	s_delay_alu instid0(VALU_DEP_1)
	v_cmp_ne_u32_e32 vcc_lo, v33, v34
	s_and_b32 s12, vcc_lo, exec_lo
.LBB199_61:
	s_or_b32 exec_lo, exec_lo, s13
	s_delay_alu instid0(SALU_CYCLE_1)
	s_mov_b32 s13, exec_lo
	s_waitcnt vmcnt(0) lgkmcnt(0)
	s_barrier
	buffer_gl0_inv
	v_cmpx_ne_u32_e32 0, v0
	s_cbranch_execz .LBB199_63
; %bb.62:
	v_add_nc_u32_e32 v33, -8, v55
	ds_load_b64 v[35:36], v33
.LBB199_63:
	s_or_b32 exec_lo, exec_lo, s13
	v_cndmask_b32_e64 v34, 0, 1, s7
	v_cndmask_b32_e64 v37, 0, 1, s5
	;; [unrolled: 1-line block ×4, first 2 shown]
	s_waitcnt lgkmcnt(0)
	v_cndmask_b32_e64 v36, 0, 1, s6
	v_cndmask_b32_e64 v39, 0, 1, s2
	v_cndmask_b32_e64 v40, 0, 1, s12
	v_lshlrev_b16 v34, 8, v34
	v_lshlrev_b16 v37, 8, v37
	v_lshlrev_b16 v38, 8, v38
	s_mov_b32 s4, 0
	v_lshlrev_b16 v40, 8, v40
	v_or_b32_e32 v34, v33, v34
	v_or_b32_e32 v36, v36, v37
	v_or_b32_e32 v37, v39, v38
	s_mov_b32 s2, exec_lo
	v_and_b32_e32 v33, 0xffff, v40
	v_lshlrev_b32_e32 v34, 16, v34
	v_and_b32_e32 v36, 0xffff, v36
	v_lshlrev_b32_e32 v37, 16, v37
	v_cmpx_gt_u32_e64 s19, v55
; %bb.64:
	v_mul_hi_i32 v35, 0x66666667, v35
	v_mul_hi_i32 v38, 0x66666667, v29
	s_delay_alu instid0(VALU_DEP_2) | instskip(SKIP_1) | instid1(VALU_DEP_3)
	v_lshrrev_b32_e32 v39, 31, v35
	v_ashrrev_i32_e32 v35, 2, v35
	v_lshrrev_b32_e32 v40, 31, v38
	v_ashrrev_i32_e32 v38, 2, v38
	s_delay_alu instid0(VALU_DEP_3) | instskip(NEXT) | instid1(VALU_DEP_2)
	v_add_nc_u32_e32 v35, v35, v39
	v_add_nc_u32_e32 v38, v38, v40
	s_delay_alu instid0(VALU_DEP_1)
	v_cmp_ne_u32_e32 vcc_lo, v35, v38
	s_and_b32 s4, vcc_lo, exec_lo
; %bb.65:
	s_or_b32 exec_lo, exec_lo, s2
	v_or_b32_e32 v33, v33, v34
	v_or_b32_e32 v34, v36, v37
.LBB199_66:
	s_mov_b32 s2, -1
	s_cbranch_execnz .LBB199_91
.LBB199_67:
	v_mul_hi_i32 v40, 0x66666667, v17
	v_mul_hi_i32 v39, 0x66666667, v23
	;; [unrolled: 1-line block ×4, first 2 shown]
	s_waitcnt vmcnt(0) lgkmcnt(1)
	v_mul_hi_i32 v36, 0x66666667, v25
	v_mul_hi_i32 v35, 0x66666667, v31
	s_and_b32 vcc_lo, exec_lo, s18
	ds_store_b64 v55, v[19:20]
	s_cbranch_vccz .LBB199_71
; %bb.68:
	v_mul_hi_i32 v33, 0x66666667, v19
	v_lshrrev_b32_e32 v34, 31, v40
	v_ashrrev_i32_e32 v41, 2, v40
	v_lshrrev_b32_e32 v42, 31, v39
	v_ashrrev_i32_e32 v43, 2, v39
	;; [unrolled: 2-line block ×3, first 2 shown]
	v_add_nc_u32_e32 v34, v41, v34
	v_lshrrev_b32_e32 v45, 31, v33
	v_ashrrev_i32_e32 v33, 2, v33
	v_add_nc_u32_e32 v41, v43, v42
	v_lshrrev_b32_e32 v42, 31, v37
	v_ashrrev_i32_e32 v43, 2, v37
	v_ashrrev_i32_e32 v48, 2, v35
	v_add_nc_u32_e32 v33, v33, v45
	v_cmp_ne_u32_e32 vcc_lo, v41, v34
	v_mul_hi_i32 v45, 0x66666667, v29
	v_add_nc_u32_e32 v42, v43, v42
	v_lshrrev_b32_e32 v43, 31, v36
	s_mov_b32 s5, 0
	v_cndmask_b32_e64 v47, 0, 1, vcc_lo
	v_cmp_ne_u32_e32 vcc_lo, v34, v33
	v_add_nc_u32_e32 v34, v46, v44
	v_ashrrev_i32_e32 v44, 2, v36
	v_lshrrev_b32_e32 v46, 31, v35
	v_lshrrev_b32_e32 v49, 31, v45
	v_cndmask_b32_e64 v33, 0, 1, vcc_lo
	v_cmp_ne_u32_e32 vcc_lo, v34, v41
	v_ashrrev_i32_e32 v45, 2, v45
	v_add_nc_u32_e32 v43, v44, v43
	v_add_nc_u32_e32 v44, v48, v46
	v_lshlrev_b16 v33, 8, v33
	v_cndmask_b32_e64 v50, 0, 1, vcc_lo
	v_cmp_ne_u32_e32 vcc_lo, v42, v34
	v_add_nc_u32_e32 v41, v45, v49
	s_mov_b32 s6, exec_lo
	v_or_b32_e32 v33, v47, v33
	s_waitcnt lgkmcnt(0)
	v_cndmask_b32_e64 v34, 0, 1, vcc_lo
	v_cmp_ne_u32_e32 vcc_lo, v43, v42
	s_barrier
	v_lshlrev_b32_e32 v33, 16, v33
	buffer_gl0_inv
                                        ; implicit-def: $sgpr4
	v_cndmask_b32_e64 v42, 0, 1, vcc_lo
	v_cmp_ne_u32_e32 vcc_lo, v41, v44
	s_delay_alu instid0(VALU_DEP_2) | instskip(SKIP_3) | instid1(VALU_DEP_3)
	v_lshlrev_b16 v42, 8, v42
	v_cndmask_b32_e64 v45, 0, 1, vcc_lo
	v_cmp_ne_u32_e32 vcc_lo, v44, v43
	v_lshlrev_b16 v44, 8, v50
	v_lshlrev_b16 v45, 8, v45
	v_cndmask_b32_e64 v43, 0, 1, vcc_lo
	s_delay_alu instid0(VALU_DEP_3) | instskip(NEXT) | instid1(VALU_DEP_2)
	v_or_b32_e32 v34, v34, v44
	v_or_b32_e32 v42, v43, v42
	s_delay_alu instid0(VALU_DEP_4) | instskip(NEXT) | instid1(VALU_DEP_3)
	v_or_b32_e32 v43, 1, v45
	v_and_b32_e32 v34, 0xffff, v34
	s_delay_alu instid0(VALU_DEP_3) | instskip(NEXT) | instid1(VALU_DEP_3)
	v_lshlrev_b32_e32 v42, 16, v42
	v_and_b32_e32 v43, 0xffff, v43
	s_delay_alu instid0(VALU_DEP_3) | instskip(NEXT) | instid1(VALU_DEP_2)
	v_or_b32_e32 v34, v34, v33
	v_or_b32_e32 v33, v43, v42
	v_cmpx_ne_u32_e32 0, v0
	s_xor_b32 s6, exec_lo, s6
	s_cbranch_execz .LBB199_70
; %bb.69:
	v_add_nc_u32_e32 v42, -8, v55
	s_or_b32 s2, s2, exec_lo
	ds_load_b32 v42, v42
	s_waitcnt lgkmcnt(0)
	v_mul_hi_i32 v42, 0x66666667, v42
	s_delay_alu instid0(VALU_DEP_1) | instskip(SKIP_1) | instid1(VALU_DEP_1)
	v_lshrrev_b32_e32 v43, 31, v42
	v_ashrrev_i32_e32 v42, 2, v42
	v_add_nc_u32_e32 v42, v42, v43
	s_delay_alu instid0(VALU_DEP_1)
	v_cmp_ne_u32_e32 vcc_lo, v42, v41
	s_and_b32 s4, vcc_lo, exec_lo
.LBB199_70:
	s_or_b32 exec_lo, exec_lo, s6
	s_delay_alu instid0(SALU_CYCLE_1)
	s_and_b32 vcc_lo, exec_lo, s5
	s_cbranch_vccnz .LBB199_72
	s_branch .LBB199_91
.LBB199_71:
                                        ; implicit-def: $sgpr4
                                        ; implicit-def: $vgpr34
	s_cbranch_execz .LBB199_91
.LBB199_72:
	v_or_b32_e32 v33, 7, v55
	s_mov_b32 s4, 0
	s_mov_b32 s5, 0
	s_mov_b32 s6, exec_lo
	s_delay_alu instid0(VALU_DEP_1)
	v_cmpx_gt_u32_e64 s19, v33
; %bb.73:
	v_mul_hi_i32 v33, 0x66666667, v19
	v_lshrrev_b32_e32 v34, 31, v40
	v_ashrrev_i32_e32 v41, 2, v40
	s_delay_alu instid0(VALU_DEP_1) | instskip(NEXT) | instid1(VALU_DEP_4)
	v_add_nc_u32_e32 v34, v41, v34
	v_lshrrev_b32_e32 v42, 31, v33
	v_ashrrev_i32_e32 v33, 2, v33
	s_delay_alu instid0(VALU_DEP_1) | instskip(NEXT) | instid1(VALU_DEP_1)
	v_add_nc_u32_e32 v33, v33, v42
	v_cmp_ne_u32_e32 vcc_lo, v34, v33
	s_and_b32 s5, vcc_lo, exec_lo
; %bb.74:
	s_or_b32 exec_lo, exec_lo, s6
	v_or_b32_e32 v33, 6, v55
	s_mov_b32 s6, exec_lo
	s_delay_alu instid0(VALU_DEP_1)
	v_cmpx_gt_u32_e64 s19, v33
; %bb.75:
	v_lshrrev_b32_e32 v33, 31, v39
	v_ashrrev_i32_e32 v34, 2, v39
	v_lshrrev_b32_e32 v41, 31, v40
	v_ashrrev_i32_e32 v40, 2, v40
	s_delay_alu instid0(VALU_DEP_3) | instskip(NEXT) | instid1(VALU_DEP_2)
	v_add_nc_u32_e32 v33, v34, v33
	v_add_nc_u32_e32 v34, v40, v41
	s_delay_alu instid0(VALU_DEP_1)
	v_cmp_ne_u32_e32 vcc_lo, v33, v34
	s_and_b32 s4, vcc_lo, exec_lo
; %bb.76:
	s_or_b32 exec_lo, exec_lo, s6
	v_or_b32_e32 v33, 5, v55
	s_mov_b32 s6, 0
	s_mov_b32 s7, 0
	s_mov_b32 s9, exec_lo
	s_delay_alu instid0(VALU_DEP_1)
	v_cmpx_gt_u32_e64 s19, v33
; %bb.77:
	v_lshrrev_b32_e32 v33, 31, v38
	v_ashrrev_i32_e32 v34, 2, v38
	v_lshrrev_b32_e32 v40, 31, v39
	v_ashrrev_i32_e32 v39, 2, v39
	s_delay_alu instid0(VALU_DEP_3) | instskip(NEXT) | instid1(VALU_DEP_2)
	v_add_nc_u32_e32 v33, v34, v33
	v_add_nc_u32_e32 v34, v39, v40
	s_delay_alu instid0(VALU_DEP_1)
	v_cmp_ne_u32_e32 vcc_lo, v33, v34
	s_and_b32 s7, vcc_lo, exec_lo
; %bb.78:
	s_or_b32 exec_lo, exec_lo, s9
	v_or_b32_e32 v33, 4, v55
	s_mov_b32 s9, exec_lo
	s_delay_alu instid0(VALU_DEP_1)
	v_cmpx_gt_u32_e64 s19, v33
; %bb.79:
	v_lshrrev_b32_e32 v33, 31, v37
	v_ashrrev_i32_e32 v34, 2, v37
	v_lshrrev_b32_e32 v39, 31, v38
	v_ashrrev_i32_e32 v38, 2, v38
	s_delay_alu instid0(VALU_DEP_3) | instskip(NEXT) | instid1(VALU_DEP_2)
	v_add_nc_u32_e32 v33, v34, v33
	v_add_nc_u32_e32 v34, v38, v39
	s_delay_alu instid0(VALU_DEP_1)
	v_cmp_ne_u32_e32 vcc_lo, v33, v34
	s_and_b32 s6, vcc_lo, exec_lo
; %bb.80:
	s_or_b32 exec_lo, exec_lo, s9
	v_or_b32_e32 v33, 3, v55
	s_mov_b32 s12, 0
	s_mov_b32 s9, 0
	s_mov_b32 s13, exec_lo
	s_delay_alu instid0(VALU_DEP_1)
	v_cmpx_gt_u32_e64 s19, v33
; %bb.81:
	v_lshrrev_b32_e32 v33, 31, v36
	v_ashrrev_i32_e32 v34, 2, v36
	v_lshrrev_b32_e32 v38, 31, v37
	v_ashrrev_i32_e32 v37, 2, v37
	s_delay_alu instid0(VALU_DEP_3) | instskip(NEXT) | instid1(VALU_DEP_2)
	v_add_nc_u32_e32 v33, v34, v33
	v_add_nc_u32_e32 v34, v37, v38
	s_delay_alu instid0(VALU_DEP_1)
	v_cmp_ne_u32_e32 vcc_lo, v33, v34
	s_and_b32 s9, vcc_lo, exec_lo
; %bb.82:
	s_or_b32 exec_lo, exec_lo, s13
	v_or_b32_e32 v33, 2, v55
	s_mov_b32 s13, exec_lo
	s_delay_alu instid0(VALU_DEP_1)
	v_cmpx_gt_u32_e64 s19, v33
; %bb.83:
	v_lshrrev_b32_e32 v33, 31, v35
	v_ashrrev_i32_e32 v34, 2, v35
	v_lshrrev_b32_e32 v37, 31, v36
	v_ashrrev_i32_e32 v36, 2, v36
	s_delay_alu instid0(VALU_DEP_3) | instskip(NEXT) | instid1(VALU_DEP_2)
	v_add_nc_u32_e32 v33, v34, v33
	v_add_nc_u32_e32 v34, v36, v37
	s_delay_alu instid0(VALU_DEP_1)
	v_cmp_ne_u32_e32 vcc_lo, v33, v34
	s_and_b32 s12, vcc_lo, exec_lo
; %bb.84:
	s_or_b32 exec_lo, exec_lo, s13
	v_or_b32_e32 v33, 1, v55
	s_mov_b32 s20, 0
	s_mov_b32 s13, exec_lo
	s_delay_alu instid0(VALU_DEP_1)
	v_cmpx_gt_u32_e64 s19, v33
; %bb.85:
	v_mul_hi_i32 v33, 0x66666667, v29
	v_lshrrev_b32_e32 v34, 31, v35
	v_ashrrev_i32_e32 v35, 2, v35
	s_delay_alu instid0(VALU_DEP_1) | instskip(NEXT) | instid1(VALU_DEP_4)
	v_add_nc_u32_e32 v34, v35, v34
	v_lshrrev_b32_e32 v36, 31, v33
	v_ashrrev_i32_e32 v33, 2, v33
	s_delay_alu instid0(VALU_DEP_1) | instskip(NEXT) | instid1(VALU_DEP_1)
	v_add_nc_u32_e32 v33, v33, v36
	v_cmp_ne_u32_e32 vcc_lo, v33, v34
	s_and_b32 s20, vcc_lo, exec_lo
; %bb.86:
	s_or_b32 exec_lo, exec_lo, s13
	v_cndmask_b32_e64 v34, 0, 1, s9
	v_cndmask_b32_e64 v35, 0, 1, s7
	;; [unrolled: 1-line block ×7, first 2 shown]
	v_lshlrev_b16 v35, 8, v35
	v_lshlrev_b16 v36, 8, v36
	;; [unrolled: 1-line block ×4, first 2 shown]
	s_mov_b32 s5, exec_lo
	v_or_b32_e32 v35, v38, v35
	v_or_b32_e32 v36, v39, v36
	;; [unrolled: 1-line block ×4, first 2 shown]
	s_waitcnt lgkmcnt(0)
	v_and_b32_e32 v34, 0xffff, v35
	v_lshlrev_b32_e32 v35, 16, v36
	v_and_b32_e32 v36, 0xffff, v37
	v_lshlrev_b32_e32 v33, 16, v33
	s_barrier
	buffer_gl0_inv
	v_or_b32_e32 v34, v34, v35
                                        ; implicit-def: $sgpr4
	v_or_b32_e32 v33, v36, v33
	v_cmpx_ne_u32_e32 0, v0
	s_cbranch_execz .LBB199_90
; %bb.87:
	s_mov_b32 s6, 0
	s_mov_b32 s4, exec_lo
	v_cmpx_gt_u32_e64 s19, v55
	s_cbranch_execz .LBB199_89
; %bb.88:
	v_add_nc_u32_e32 v35, -8, v55
	v_mul_hi_i32 v36, 0x66666667, v29
	ds_load_b32 v35, v35
	v_lshrrev_b32_e32 v37, 31, v36
	v_ashrrev_i32_e32 v36, 2, v36
	s_delay_alu instid0(VALU_DEP_1) | instskip(SKIP_2) | instid1(VALU_DEP_1)
	v_add_nc_u32_e32 v36, v36, v37
	s_waitcnt lgkmcnt(0)
	v_mul_hi_i32 v35, 0x66666667, v35
	v_lshrrev_b32_e32 v38, 31, v35
	v_ashrrev_i32_e32 v35, 2, v35
	s_delay_alu instid0(VALU_DEP_1) | instskip(NEXT) | instid1(VALU_DEP_1)
	v_add_nc_u32_e32 v35, v35, v38
	v_cmp_ne_u32_e32 vcc_lo, v35, v36
	s_and_b32 s6, vcc_lo, exec_lo
.LBB199_89:
	s_or_b32 exec_lo, exec_lo, s4
	s_delay_alu instid0(SALU_CYCLE_1)
	s_and_b32 s4, s6, exec_lo
	s_or_b32 s2, s2, exec_lo
.LBB199_90:
	s_or_b32 exec_lo, exec_lo, s5
.LBB199_91:
	s_and_saveexec_b32 s5, s2
	s_cbranch_execz .LBB199_93
; %bb.92:
	s_waitcnt vmcnt(0) lgkmcnt(1)
	v_and_b32_e32 v35, 0xffffff00, v33
	v_cndmask_b32_e64 v36, 0, 1, s4
	s_delay_alu instid0(VALU_DEP_1) | instskip(NEXT) | instid1(VALU_DEP_1)
	v_or_b32_e32 v35, v36, v35
	v_and_b32_e32 v35, 0xffff, v35
	s_delay_alu instid0(VALU_DEP_1)
	v_and_or_b32 v33, 0xffff0000, v33, v35
.LBB199_93:
	s_or_b32 exec_lo, exec_lo, s5
	s_load_b64 s[12:13], s[0:1], 0x60
	s_and_not1_b32 vcc_lo, exec_lo, s3
	s_cbranch_vccnz .LBB199_95
; %bb.94:
	v_cmp_gt_u32_e32 vcc_lo, s19, v55
	s_waitcnt vmcnt(0) lgkmcnt(0)
	v_or_b32_e32 v36, 1, v55
	v_and_b32_e32 v37, 0xffffff00, v34
	v_or_b32_e32 v38, 2, v55
	v_cndmask_b32_e32 v35, 0, v33, vcc_lo
	s_delay_alu instid0(VALU_DEP_4) | instskip(SKIP_1) | instid1(VALU_DEP_4)
	v_cmp_gt_u32_e32 vcc_lo, s19, v36
	v_or_b32_e32 v36, 4, v55
	v_cmp_gt_u32_e64 s2, s19, v38
	v_or_b32_e32 v38, 3, v55
	v_and_b32_e32 v35, 0xff, v35
	s_delay_alu instid0(VALU_DEP_2) | instskip(NEXT) | instid1(VALU_DEP_2)
	v_cmp_gt_u32_e64 s3, s19, v38
	v_cndmask_b32_e32 v35, v35, v33, vcc_lo
	v_cmp_gt_u32_e32 vcc_lo, s19, v36
	v_cndmask_b32_e32 v36, v37, v34, vcc_lo
	v_or_b32_e32 v37, 5, v55
	s_delay_alu instid0(VALU_DEP_2) | instskip(SKIP_1) | instid1(VALU_DEP_1)
	v_and_b32_e32 v36, 0xffff00ff, v36
	v_and_b32_e32 v35, 0xffff, v35
	v_cndmask_b32_e64 v35, v35, v33, s2
	s_delay_alu instid0(VALU_DEP_4) | instskip(SKIP_1) | instid1(VALU_DEP_3)
	v_cmp_gt_u32_e64 s2, s19, v37
	v_or_b32_e32 v37, 6, v55
	v_and_b32_e32 v35, 0xffffff, v35
	s_delay_alu instid0(VALU_DEP_3) | instskip(NEXT) | instid1(VALU_DEP_2)
	v_cndmask_b32_e64 v36, v36, v34, s2
	v_cndmask_b32_e64 v35, v35, v33, s3
	s_delay_alu instid0(VALU_DEP_1) | instskip(SKIP_2) | instid1(VALU_DEP_3)
	v_dual_cndmask_b32 v35, v35, v33 :: v_dual_and_b32 v36, 0xff00ffff, v36
	v_cmp_gt_u32_e32 vcc_lo, s19, v37
	v_or_b32_e32 v37, 7, v55
	v_cndmask_b32_e64 v35, v35, v33, s2
	s_delay_alu instid0(VALU_DEP_1) | instskip(NEXT) | instid1(VALU_DEP_1)
	v_dual_cndmask_b32 v36, v36, v34 :: v_dual_cndmask_b32 v35, v35, v33
	v_and_b32_e32 v36, 0xffffff, v36
	s_delay_alu instid0(VALU_DEP_4) | instskip(NEXT) | instid1(VALU_DEP_2)
	v_cmp_gt_u32_e32 vcc_lo, s19, v37
	v_dual_cndmask_b32 v34, v36, v34 :: v_dual_cndmask_b32 v33, v35, v33
.LBB199_95:
	s_delay_alu instid0(VALU_DEP_1) | instskip(SKIP_1) | instid1(VALU_DEP_2)
	v_and_b32_e32 v44, 0xff, v33
	s_waitcnt vmcnt(0) lgkmcnt(0)
	v_alignbit_b32 v35, v34, v33, 24
	v_bfe_u32 v46, v33, 8, 8
	v_bfe_u32 v48, v33, 16, 8
	v_and_b32_e32 v52, 0xff, v34
	v_bfe_u32 v54, v34, 8, 8
	v_and_b32_e32 v50, 0xff, v35
	v_add_nc_u32_e32 v35, v46, v44
	v_mbcnt_lo_u32_b32 v58, -1, 0
	v_bfe_u32 v57, v34, 16, 8
	v_lshrrev_b32_e32 v56, 24, v34
	v_lshrrev_b32_e32 v59, 5, v0
	v_add3_u32 v35, v35, v48, v50
	v_and_b32_e32 v36, 15, v58
	v_and_b32_e32 v37, 16, v58
	s_and_b32 vcc_lo, exec_lo, s8
	s_mov_b32 s9, -1
	v_add3_u32 v35, v35, v52, v54
	v_cmp_eq_u32_e64 s4, 0, v36
	v_cmp_lt_u32_e64 s2, 1, v36
	v_cmp_lt_u32_e64 s5, 3, v36
	;; [unrolled: 1-line block ×3, first 2 shown]
	v_add3_u32 v60, v35, v57, v56
	v_or_b32_e32 v35, 31, v0
	v_cmp_eq_u32_e64 s7, 0, v37
	s_barrier
	buffer_gl0_inv
	v_cmp_eq_u32_e64 s6, v35, v0
	s_cbranch_vccz .LBB199_126
; %bb.96:
	v_mov_b32_dpp v35, v60 row_shr:1 row_mask:0xf bank_mask:0xf
	s_delay_alu instid0(VALU_DEP_1) | instskip(NEXT) | instid1(VALU_DEP_1)
	v_cndmask_b32_e64 v35, v35, 0, s4
	v_add_nc_u32_e32 v35, v35, v60
	s_delay_alu instid0(VALU_DEP_1) | instskip(NEXT) | instid1(VALU_DEP_1)
	v_mov_b32_dpp v36, v35 row_shr:2 row_mask:0xf bank_mask:0xf
	v_cndmask_b32_e64 v36, 0, v36, s2
	s_delay_alu instid0(VALU_DEP_1) | instskip(NEXT) | instid1(VALU_DEP_1)
	v_add_nc_u32_e32 v35, v35, v36
	v_mov_b32_dpp v36, v35 row_shr:4 row_mask:0xf bank_mask:0xf
	s_delay_alu instid0(VALU_DEP_1) | instskip(NEXT) | instid1(VALU_DEP_1)
	v_cndmask_b32_e64 v36, 0, v36, s5
	v_add_nc_u32_e32 v35, v35, v36
	s_delay_alu instid0(VALU_DEP_1) | instskip(NEXT) | instid1(VALU_DEP_1)
	v_mov_b32_dpp v36, v35 row_shr:8 row_mask:0xf bank_mask:0xf
	v_cndmask_b32_e64 v36, 0, v36, s3
	s_delay_alu instid0(VALU_DEP_1) | instskip(SKIP_3) | instid1(VALU_DEP_1)
	v_add_nc_u32_e32 v35, v35, v36
	ds_swizzle_b32 v36, v35 offset:swizzle(BROADCAST,32,15)
	s_waitcnt lgkmcnt(0)
	v_cndmask_b32_e64 v36, v36, 0, s7
	v_add_nc_u32_e32 v35, v35, v36
	s_and_saveexec_b32 s8, s6
	s_cbranch_execz .LBB199_98
; %bb.97:
	v_lshlrev_b32_e32 v36, 2, v59
	ds_store_b32 v36, v35
.LBB199_98:
	s_or_b32 exec_lo, exec_lo, s8
	s_delay_alu instid0(SALU_CYCLE_1)
	s_mov_b32 s8, exec_lo
	s_waitcnt lgkmcnt(0)
	s_barrier
	buffer_gl0_inv
	v_cmpx_gt_u32_e32 16, v0
	s_cbranch_execz .LBB199_100
; %bb.99:
	v_lshlrev_b32_e32 v36, 2, v0
	ds_load_b32 v37, v36
	s_waitcnt lgkmcnt(0)
	v_mov_b32_dpp v38, v37 row_shr:1 row_mask:0xf bank_mask:0xf
	s_delay_alu instid0(VALU_DEP_1) | instskip(NEXT) | instid1(VALU_DEP_1)
	v_cndmask_b32_e64 v38, v38, 0, s4
	v_add_nc_u32_e32 v37, v38, v37
	s_delay_alu instid0(VALU_DEP_1) | instskip(NEXT) | instid1(VALU_DEP_1)
	v_mov_b32_dpp v38, v37 row_shr:2 row_mask:0xf bank_mask:0xf
	v_cndmask_b32_e64 v38, 0, v38, s2
	s_delay_alu instid0(VALU_DEP_1) | instskip(NEXT) | instid1(VALU_DEP_1)
	v_add_nc_u32_e32 v37, v37, v38
	v_mov_b32_dpp v38, v37 row_shr:4 row_mask:0xf bank_mask:0xf
	s_delay_alu instid0(VALU_DEP_1) | instskip(NEXT) | instid1(VALU_DEP_1)
	v_cndmask_b32_e64 v38, 0, v38, s5
	v_add_nc_u32_e32 v37, v37, v38
	s_delay_alu instid0(VALU_DEP_1) | instskip(NEXT) | instid1(VALU_DEP_1)
	v_mov_b32_dpp v38, v37 row_shr:8 row_mask:0xf bank_mask:0xf
	v_cndmask_b32_e64 v38, 0, v38, s3
	s_delay_alu instid0(VALU_DEP_1)
	v_add_nc_u32_e32 v37, v37, v38
	ds_store_b32 v36, v37
.LBB199_100:
	s_or_b32 exec_lo, exec_lo, s8
	v_cmp_gt_u32_e32 vcc_lo, 32, v0
	s_mov_b32 s9, exec_lo
	s_waitcnt lgkmcnt(0)
	s_barrier
	buffer_gl0_inv
                                        ; implicit-def: $vgpr43
	v_cmpx_lt_u32_e32 31, v0
	s_cbranch_execz .LBB199_102
; %bb.101:
	v_lshl_add_u32 v36, v59, 2, -4
	ds_load_b32 v43, v36
	s_waitcnt lgkmcnt(0)
	v_add_nc_u32_e32 v35, v43, v35
.LBB199_102:
	s_or_b32 exec_lo, exec_lo, s9
	v_add_nc_u32_e32 v36, -1, v58
	s_delay_alu instid0(VALU_DEP_1) | instskip(NEXT) | instid1(VALU_DEP_1)
	v_cmp_gt_i32_e64 s8, 0, v36
	v_cndmask_b32_e64 v36, v36, v58, s8
	v_cmp_eq_u32_e64 s8, 0, v58
	s_delay_alu instid0(VALU_DEP_2)
	v_lshlrev_b32_e32 v36, 2, v36
	ds_bpermute_b32 v45, v36, v35
	s_and_saveexec_b32 s9, vcc_lo
	s_cbranch_execz .LBB199_125
; %bb.103:
	v_mov_b32_e32 v39, 0
	ds_load_b32 v35, v39 offset:60
	s_and_saveexec_b32 s19, s8
	s_cbranch_execz .LBB199_105
; %bb.104:
	s_add_i32 s20, s15, 32
	s_mov_b32 s21, 0
	v_mov_b32_e32 v36, 1
	s_lshl_b64 s[20:21], s[20:21], 3
	s_delay_alu instid0(SALU_CYCLE_1)
	s_add_u32 s20, s12, s20
	s_addc_u32 s21, s13, s21
	s_waitcnt lgkmcnt(0)
	global_store_b64 v39, v[35:36], s[20:21]
.LBB199_105:
	s_or_b32 exec_lo, exec_lo, s19
	v_xad_u32 v37, v58, -1, s15
	s_mov_b32 s20, 0
	s_mov_b32 s19, exec_lo
	s_delay_alu instid0(VALU_DEP_1) | instskip(NEXT) | instid1(VALU_DEP_1)
	v_add_nc_u32_e32 v38, 32, v37
	v_lshlrev_b64 v[38:39], 3, v[38:39]
	s_delay_alu instid0(VALU_DEP_1) | instskip(NEXT) | instid1(VALU_DEP_2)
	v_add_co_u32 v41, vcc_lo, s12, v38
	v_add_co_ci_u32_e32 v42, vcc_lo, s13, v39, vcc_lo
	global_load_b64 v[39:40], v[41:42], off glc
	s_waitcnt vmcnt(0)
	v_and_b32_e32 v36, 0xff, v40
	s_delay_alu instid0(VALU_DEP_1)
	v_cmpx_eq_u16_e32 0, v36
	s_cbranch_execz .LBB199_111
; %bb.106:
	s_mov_b32 s21, 1
	.p2align	6
.LBB199_107:                            ; =>This Loop Header: Depth=1
                                        ;     Child Loop BB199_108 Depth 2
	s_delay_alu instid0(SALU_CYCLE_1)
	s_max_u32 s22, s21, 1
.LBB199_108:                            ;   Parent Loop BB199_107 Depth=1
                                        ; =>  This Inner Loop Header: Depth=2
	s_delay_alu instid0(SALU_CYCLE_1)
	s_add_i32 s22, s22, -1
	s_sleep 1
	s_cmp_eq_u32 s22, 0
	s_cbranch_scc0 .LBB199_108
; %bb.109:                              ;   in Loop: Header=BB199_107 Depth=1
	global_load_b64 v[39:40], v[41:42], off glc
	s_cmp_lt_u32 s21, 32
	s_cselect_b32 s22, -1, 0
	s_delay_alu instid0(SALU_CYCLE_1) | instskip(SKIP_3) | instid1(VALU_DEP_1)
	s_cmp_lg_u32 s22, 0
	s_addc_u32 s21, s21, 0
	s_waitcnt vmcnt(0)
	v_and_b32_e32 v36, 0xff, v40
	v_cmp_ne_u16_e32 vcc_lo, 0, v36
	s_or_b32 s20, vcc_lo, s20
	s_delay_alu instid0(SALU_CYCLE_1)
	s_and_not1_b32 exec_lo, exec_lo, s20
	s_cbranch_execnz .LBB199_107
; %bb.110:
	s_or_b32 exec_lo, exec_lo, s20
.LBB199_111:
	s_delay_alu instid0(SALU_CYCLE_1)
	s_or_b32 exec_lo, exec_lo, s19
	v_cmp_ne_u32_e32 vcc_lo, 31, v58
	v_lshlrev_b32_e64 v49, v58, -1
	v_add_nc_u32_e32 v53, 2, v58
	v_add_nc_u32_e32 v66, 16, v58
	v_add_co_ci_u32_e32 v36, vcc_lo, 0, v58, vcc_lo
	s_delay_alu instid0(VALU_DEP_1)
	v_lshlrev_b32_e32 v47, 2, v36
	v_and_b32_e32 v36, 0xff, v40
	ds_bpermute_b32 v38, v47, v39
	v_cmp_eq_u16_e32 vcc_lo, 2, v36
	v_and_or_b32 v36, vcc_lo, v49, 0x80000000
	v_cmp_gt_u32_e32 vcc_lo, 30, v58
	s_delay_alu instid0(VALU_DEP_2) | instskip(SKIP_1) | instid1(VALU_DEP_2)
	v_ctz_i32_b32_e32 v36, v36
	v_cndmask_b32_e64 v41, 0, 1, vcc_lo
	v_cmp_lt_u32_e32 vcc_lo, v58, v36
	s_waitcnt lgkmcnt(0)
	s_delay_alu instid0(VALU_DEP_2) | instskip(NEXT) | instid1(VALU_DEP_1)
	v_dual_cndmask_b32 v38, 0, v38 :: v_dual_lshlrev_b32 v41, 1, v41
	v_add_lshl_u32 v51, v41, v58, 2
	v_cmp_gt_u32_e32 vcc_lo, 28, v58
	s_delay_alu instid0(VALU_DEP_3) | instskip(SKIP_4) | instid1(VALU_DEP_1)
	v_add_nc_u32_e32 v38, v38, v39
	v_cndmask_b32_e64 v41, 0, 1, vcc_lo
	v_cmp_le_u32_e32 vcc_lo, v53, v36
	ds_bpermute_b32 v39, v51, v38
	v_lshlrev_b32_e32 v41, 2, v41
	v_add_lshl_u32 v61, v41, v58, 2
	s_waitcnt lgkmcnt(0)
	v_cndmask_b32_e32 v39, 0, v39, vcc_lo
	v_cmp_gt_u32_e32 vcc_lo, 24, v58
	s_delay_alu instid0(VALU_DEP_2) | instskip(SKIP_4) | instid1(VALU_DEP_2)
	v_add_nc_u32_e32 v38, v38, v39
	v_cndmask_b32_e64 v41, 0, 1, vcc_lo
	ds_bpermute_b32 v39, v61, v38
	v_add_nc_u32_e32 v62, 4, v58
	v_lshlrev_b32_e32 v41, 3, v41
	v_cmp_le_u32_e32 vcc_lo, v62, v36
	s_delay_alu instid0(VALU_DEP_2) | instskip(SKIP_3) | instid1(VALU_DEP_2)
	v_add_lshl_u32 v63, v41, v58, 2
	s_waitcnt lgkmcnt(0)
	v_cndmask_b32_e32 v39, 0, v39, vcc_lo
	v_cmp_gt_u32_e32 vcc_lo, 16, v58
	v_add_nc_u32_e32 v38, v38, v39
	v_cndmask_b32_e64 v41, 0, 1, vcc_lo
	ds_bpermute_b32 v39, v63, v38
	v_add_nc_u32_e32 v64, 8, v58
	v_lshlrev_b32_e32 v41, 4, v41
	s_delay_alu instid0(VALU_DEP_2) | instskip(NEXT) | instid1(VALU_DEP_2)
	v_cmp_le_u32_e32 vcc_lo, v64, v36
	v_add_lshl_u32 v65, v41, v58, 2
	s_waitcnt lgkmcnt(0)
	v_cndmask_b32_e32 v39, 0, v39, vcc_lo
	v_cmp_le_u32_e32 vcc_lo, v66, v36
	s_delay_alu instid0(VALU_DEP_2) | instskip(SKIP_3) | instid1(VALU_DEP_1)
	v_add_nc_u32_e32 v38, v38, v39
	ds_bpermute_b32 v39, v65, v38
	s_waitcnt lgkmcnt(0)
	v_cndmask_b32_e32 v36, 0, v39, vcc_lo
	v_dual_mov_b32 v38, 0 :: v_dual_add_nc_u32 v39, v38, v36
	s_branch .LBB199_113
.LBB199_112:                            ;   in Loop: Header=BB199_113 Depth=1
	s_or_b32 exec_lo, exec_lo, s19
	ds_bpermute_b32 v42, v47, v39
	v_and_b32_e32 v41, 0xff, v40
	v_subrev_nc_u32_e32 v37, 32, v37
	s_delay_alu instid0(VALU_DEP_2) | instskip(SKIP_1) | instid1(VALU_DEP_1)
	v_cmp_eq_u16_e32 vcc_lo, 2, v41
	v_and_or_b32 v41, vcc_lo, v49, 0x80000000
	v_ctz_i32_b32_e32 v41, v41
	s_delay_alu instid0(VALU_DEP_1) | instskip(SKIP_3) | instid1(VALU_DEP_2)
	v_cmp_lt_u32_e32 vcc_lo, v58, v41
	s_waitcnt lgkmcnt(0)
	v_cndmask_b32_e32 v42, 0, v42, vcc_lo
	v_cmp_le_u32_e32 vcc_lo, v53, v41
	v_add_nc_u32_e32 v39, v42, v39
	ds_bpermute_b32 v42, v51, v39
	s_waitcnt lgkmcnt(0)
	v_cndmask_b32_e32 v42, 0, v42, vcc_lo
	v_cmp_le_u32_e32 vcc_lo, v62, v41
	s_delay_alu instid0(VALU_DEP_2) | instskip(SKIP_4) | instid1(VALU_DEP_2)
	v_add_nc_u32_e32 v39, v39, v42
	ds_bpermute_b32 v42, v61, v39
	s_waitcnt lgkmcnt(0)
	v_cndmask_b32_e32 v42, 0, v42, vcc_lo
	v_cmp_le_u32_e32 vcc_lo, v64, v41
	v_add_nc_u32_e32 v39, v39, v42
	ds_bpermute_b32 v42, v63, v39
	s_waitcnt lgkmcnt(0)
	v_cndmask_b32_e32 v42, 0, v42, vcc_lo
	v_cmp_le_u32_e32 vcc_lo, v66, v41
	s_delay_alu instid0(VALU_DEP_2) | instskip(SKIP_3) | instid1(VALU_DEP_1)
	v_add_nc_u32_e32 v39, v39, v42
	ds_bpermute_b32 v42, v65, v39
	s_waitcnt lgkmcnt(0)
	v_cndmask_b32_e32 v41, 0, v42, vcc_lo
	v_add3_u32 v39, v41, v36, v39
.LBB199_113:                            ; =>This Loop Header: Depth=1
                                        ;     Child Loop BB199_116 Depth 2
                                        ;       Child Loop BB199_117 Depth 3
	v_and_b32_e32 v36, 0xff, v40
	s_delay_alu instid0(VALU_DEP_1) | instskip(SKIP_2) | instid1(VALU_DEP_1)
	v_cmp_ne_u16_e32 vcc_lo, 2, v36
	v_cndmask_b32_e64 v36, 0, 1, vcc_lo
	;;#ASMSTART
	;;#ASMEND
	v_cmp_ne_u32_e32 vcc_lo, 0, v36
	v_mov_b32_e32 v36, v39
	s_cmp_lg_u32 vcc_lo, exec_lo
	s_cbranch_scc1 .LBB199_120
; %bb.114:                              ;   in Loop: Header=BB199_113 Depth=1
	v_lshlrev_b64 v[39:40], 3, v[37:38]
	s_mov_b32 s19, exec_lo
	s_delay_alu instid0(VALU_DEP_1) | instskip(NEXT) | instid1(VALU_DEP_2)
	v_add_co_u32 v41, vcc_lo, s12, v39
	v_add_co_ci_u32_e32 v42, vcc_lo, s13, v40, vcc_lo
	global_load_b64 v[39:40], v[41:42], off glc
	s_waitcnt vmcnt(0)
	v_and_b32_e32 v67, 0xff, v40
	s_delay_alu instid0(VALU_DEP_1)
	v_cmpx_eq_u16_e32 0, v67
	s_cbranch_execz .LBB199_112
; %bb.115:                              ;   in Loop: Header=BB199_113 Depth=1
	s_mov_b32 s21, 1
	s_mov_b32 s20, 0
	.p2align	6
.LBB199_116:                            ;   Parent Loop BB199_113 Depth=1
                                        ; =>  This Loop Header: Depth=2
                                        ;       Child Loop BB199_117 Depth 3
	s_max_u32 s22, s21, 1
.LBB199_117:                            ;   Parent Loop BB199_113 Depth=1
                                        ;     Parent Loop BB199_116 Depth=2
                                        ; =>    This Inner Loop Header: Depth=3
	s_delay_alu instid0(SALU_CYCLE_1)
	s_add_i32 s22, s22, -1
	s_sleep 1
	s_cmp_eq_u32 s22, 0
	s_cbranch_scc0 .LBB199_117
; %bb.118:                              ;   in Loop: Header=BB199_116 Depth=2
	global_load_b64 v[39:40], v[41:42], off glc
	s_cmp_lt_u32 s21, 32
	s_cselect_b32 s22, -1, 0
	s_delay_alu instid0(SALU_CYCLE_1) | instskip(SKIP_3) | instid1(VALU_DEP_1)
	s_cmp_lg_u32 s22, 0
	s_addc_u32 s21, s21, 0
	s_waitcnt vmcnt(0)
	v_and_b32_e32 v67, 0xff, v40
	v_cmp_ne_u16_e32 vcc_lo, 0, v67
	s_or_b32 s20, vcc_lo, s20
	s_delay_alu instid0(SALU_CYCLE_1)
	s_and_not1_b32 exec_lo, exec_lo, s20
	s_cbranch_execnz .LBB199_116
; %bb.119:                              ;   in Loop: Header=BB199_113 Depth=1
	s_or_b32 exec_lo, exec_lo, s20
	s_branch .LBB199_112
.LBB199_120:                            ;   in Loop: Header=BB199_113 Depth=1
                                        ; implicit-def: $vgpr39
                                        ; implicit-def: $vgpr40
	s_cbranch_execz .LBB199_113
; %bb.121:
	s_and_saveexec_b32 s19, s8
	s_cbranch_execz .LBB199_123
; %bb.122:
	s_add_i32 s20, s15, 32
	s_mov_b32 s21, 0
	v_dual_mov_b32 v38, 2 :: v_dual_add_nc_u32 v37, v36, v35
	s_lshl_b64 s[20:21], s[20:21], 3
	v_mov_b32_e32 v39, 0
	s_add_u32 s20, s12, s20
	s_addc_u32 s21, s13, s21
	global_store_b64 v39, v[37:38], s[20:21]
	ds_store_b64 v39, v[35:36] offset:33792
.LBB199_123:
	s_or_b32 exec_lo, exec_lo, s19
	v_cmp_eq_u32_e32 vcc_lo, 0, v0
	s_and_b32 exec_lo, exec_lo, vcc_lo
	s_cbranch_execz .LBB199_125
; %bb.124:
	v_mov_b32_e32 v35, 0
	ds_store_b32 v35, v36 offset:60
.LBB199_125:
	s_or_b32 exec_lo, exec_lo, s9
	v_mov_b32_e32 v35, 0
	s_waitcnt lgkmcnt(0)
	s_waitcnt_vscnt null, 0x0
	s_barrier
	buffer_gl0_inv
	v_cndmask_b32_e64 v37, v45, v43, s8
	ds_load_b32 v36, v35 offset:60
	v_cmp_ne_u32_e32 vcc_lo, 0, v0
	s_waitcnt lgkmcnt(0)
	s_barrier
	buffer_gl0_inv
	v_cndmask_b32_e32 v37, 0, v37, vcc_lo
	s_delay_alu instid0(VALU_DEP_1) | instskip(SKIP_2) | instid1(VALU_DEP_1)
	v_add_nc_u32_e32 v53, v36, v37
	ds_load_b64 v[35:36], v35 offset:33792
	v_add_nc_u32_e32 v51, v53, v44
	v_add_nc_u32_e32 v49, v51, v46
	s_delay_alu instid0(VALU_DEP_1) | instskip(NEXT) | instid1(VALU_DEP_1)
	v_add_nc_u32_e32 v47, v49, v48
	v_add_nc_u32_e32 v45, v47, v50
	s_waitcnt lgkmcnt(0)
	v_readfirstlane_b32 s8, v36
	s_delay_alu instid0(VALU_DEP_2) | instskip(NEXT) | instid1(VALU_DEP_1)
	v_add_nc_u32_e32 v43, v45, v52
	v_add_nc_u32_e32 v41, v43, v54
	s_delay_alu instid0(VALU_DEP_1)
	v_add_nc_u32_e32 v39, v41, v57
	v_lshrrev_b64 v[37:38], 24, v[33:34]
	s_branch .LBB199_136
.LBB199_126:
                                        ; implicit-def: $vgpr39
                                        ; implicit-def: $vgpr41
                                        ; implicit-def: $vgpr43
                                        ; implicit-def: $vgpr45
                                        ; implicit-def: $vgpr47
                                        ; implicit-def: $vgpr49
                                        ; implicit-def: $vgpr51
                                        ; implicit-def: $vgpr53
                                        ; implicit-def: $sgpr8
                                        ; implicit-def: $vgpr35
	v_lshrrev_b64 v[37:38], 24, v[33:34]
	s_and_b32 vcc_lo, exec_lo, s9
	s_cbranch_vccz .LBB199_136
; %bb.127:
	v_mov_b32_dpp v35, v60 row_shr:1 row_mask:0xf bank_mask:0xf
	s_delay_alu instid0(VALU_DEP_1) | instskip(NEXT) | instid1(VALU_DEP_1)
	v_cndmask_b32_e64 v35, v35, 0, s4
	v_add_nc_u32_e32 v35, v35, v60
	s_delay_alu instid0(VALU_DEP_1) | instskip(NEXT) | instid1(VALU_DEP_1)
	v_mov_b32_dpp v36, v35 row_shr:2 row_mask:0xf bank_mask:0xf
	v_cndmask_b32_e64 v36, 0, v36, s2
	s_delay_alu instid0(VALU_DEP_1) | instskip(NEXT) | instid1(VALU_DEP_1)
	v_add_nc_u32_e32 v35, v35, v36
	v_mov_b32_dpp v36, v35 row_shr:4 row_mask:0xf bank_mask:0xf
	s_delay_alu instid0(VALU_DEP_1) | instskip(NEXT) | instid1(VALU_DEP_1)
	v_cndmask_b32_e64 v36, 0, v36, s5
	v_add_nc_u32_e32 v35, v35, v36
	s_delay_alu instid0(VALU_DEP_1) | instskip(NEXT) | instid1(VALU_DEP_1)
	v_mov_b32_dpp v36, v35 row_shr:8 row_mask:0xf bank_mask:0xf
	v_cndmask_b32_e64 v36, 0, v36, s3
	s_delay_alu instid0(VALU_DEP_1) | instskip(SKIP_3) | instid1(VALU_DEP_1)
	v_add_nc_u32_e32 v35, v35, v36
	ds_swizzle_b32 v36, v35 offset:swizzle(BROADCAST,32,15)
	s_waitcnt lgkmcnt(0)
	v_cndmask_b32_e64 v36, v36, 0, s7
	v_add_nc_u32_e32 v35, v35, v36
	s_and_saveexec_b32 s7, s6
	s_cbranch_execz .LBB199_129
; %bb.128:
	v_lshlrev_b32_e32 v36, 2, v59
	ds_store_b32 v36, v35
.LBB199_129:
	s_or_b32 exec_lo, exec_lo, s7
	s_delay_alu instid0(SALU_CYCLE_1)
	s_mov_b32 s6, exec_lo
	s_waitcnt lgkmcnt(0)
	s_barrier
	buffer_gl0_inv
	v_cmpx_gt_u32_e32 16, v0
	s_cbranch_execz .LBB199_131
; %bb.130:
	v_lshlrev_b32_e32 v36, 2, v0
	ds_load_b32 v38, v36
	s_waitcnt lgkmcnt(0)
	v_mov_b32_dpp v39, v38 row_shr:1 row_mask:0xf bank_mask:0xf
	s_delay_alu instid0(VALU_DEP_1) | instskip(NEXT) | instid1(VALU_DEP_1)
	v_cndmask_b32_e64 v39, v39, 0, s4
	v_add_nc_u32_e32 v38, v39, v38
	s_delay_alu instid0(VALU_DEP_1) | instskip(NEXT) | instid1(VALU_DEP_1)
	v_mov_b32_dpp v39, v38 row_shr:2 row_mask:0xf bank_mask:0xf
	v_cndmask_b32_e64 v39, 0, v39, s2
	s_delay_alu instid0(VALU_DEP_1) | instskip(NEXT) | instid1(VALU_DEP_1)
	v_add_nc_u32_e32 v38, v38, v39
	v_mov_b32_dpp v39, v38 row_shr:4 row_mask:0xf bank_mask:0xf
	s_delay_alu instid0(VALU_DEP_1) | instskip(NEXT) | instid1(VALU_DEP_1)
	v_cndmask_b32_e64 v39, 0, v39, s5
	v_add_nc_u32_e32 v38, v38, v39
	s_delay_alu instid0(VALU_DEP_1) | instskip(NEXT) | instid1(VALU_DEP_1)
	v_mov_b32_dpp v39, v38 row_shr:8 row_mask:0xf bank_mask:0xf
	v_cndmask_b32_e64 v39, 0, v39, s3
	s_delay_alu instid0(VALU_DEP_1)
	v_add_nc_u32_e32 v38, v38, v39
	ds_store_b32 v36, v38
.LBB199_131:
	s_or_b32 exec_lo, exec_lo, s6
	v_mov_b32_e32 v36, 0
	v_mov_b32_e32 v38, 0
	s_mov_b32 s2, exec_lo
	s_waitcnt lgkmcnt(0)
	s_barrier
	buffer_gl0_inv
	v_cmpx_lt_u32_e32 31, v0
	s_cbranch_execz .LBB199_133
; %bb.132:
	v_lshl_add_u32 v38, v59, 2, -4
	ds_load_b32 v38, v38
.LBB199_133:
	s_or_b32 exec_lo, exec_lo, s2
	v_add_nc_u32_e32 v39, -1, v58
	s_waitcnt lgkmcnt(0)
	v_add_nc_u32_e32 v35, v38, v35
	s_mov_b32 s8, 0
	s_delay_alu instid0(VALU_DEP_2) | instskip(SKIP_2) | instid1(VALU_DEP_2)
	v_cmp_gt_i32_e32 vcc_lo, 0, v39
	v_cndmask_b32_e32 v39, v39, v58, vcc_lo
	v_cmp_eq_u32_e32 vcc_lo, 0, v0
	v_lshlrev_b32_e32 v39, 2, v39
	ds_bpermute_b32 v39, v39, v35
	ds_load_b32 v35, v36 offset:60
	s_and_saveexec_b32 s2, vcc_lo
	s_cbranch_execz .LBB199_135
; %bb.134:
	v_mov_b32_e32 v40, 0
	v_mov_b32_e32 v36, 2
	s_waitcnt lgkmcnt(0)
	global_store_b64 v40, v[35:36], s[12:13] offset:256
.LBB199_135:
	s_or_b32 exec_lo, exec_lo, s2
	v_cmp_eq_u32_e64 s2, 0, v58
	s_waitcnt lgkmcnt(0)
	s_waitcnt_vscnt null, 0x0
	s_barrier
	buffer_gl0_inv
	v_cndmask_b32_e64 v36, v39, v38, s2
	s_delay_alu instid0(VALU_DEP_1) | instskip(NEXT) | instid1(VALU_DEP_1)
	v_cndmask_b32_e64 v53, v36, 0, vcc_lo
	v_add_nc_u32_e32 v51, v53, v44
	s_delay_alu instid0(VALU_DEP_1) | instskip(NEXT) | instid1(VALU_DEP_1)
	v_add_nc_u32_e32 v49, v51, v46
	v_add_nc_u32_e32 v47, v49, v48
	s_delay_alu instid0(VALU_DEP_1) | instskip(NEXT) | instid1(VALU_DEP_1)
	v_add_nc_u32_e32 v45, v47, v50
	;; [unrolled: 3-line block ×3, first 2 shown]
	v_add_nc_u32_e32 v39, v41, v57
.LBB199_136:
	s_load_b128 s[4:7], s[0:1], 0x28
	v_add_nc_u32_e32 v59, s8, v35
	v_cmp_gt_u32_e64 s0, 0x201, v35
	v_lshrrev_b32_e32 v58, 8, v33
	v_lshrrev_b32_e32 v57, 16, v33
	;; [unrolled: 1-line block ×4, first 2 shown]
	v_cmp_lt_u32_e64 s1, v53, v59
	s_and_b32 vcc_lo, exec_lo, s0
	s_mov_b32 s2, -1
	s_cbranch_vccz .LBB199_162
; %bb.137:
	s_lshl_b64 s[2:3], s[10:11], 3
	s_waitcnt lgkmcnt(0)
	s_add_u32 s2, s4, s2
	s_addc_u32 s3, s5, s3
	s_or_b32 s9, s18, s1
	s_delay_alu instid0(SALU_CYCLE_1)
	s_and_saveexec_b32 s1, s9
	s_cbranch_execz .LBB199_140
; %bb.138:
	v_and_b32_e32 v40, 1, v33
	s_delay_alu instid0(VALU_DEP_1)
	v_cmp_eq_u32_e32 vcc_lo, 1, v40
	s_and_b32 exec_lo, exec_lo, vcc_lo
	s_cbranch_execz .LBB199_140
; %bb.139:
	v_mov_b32_e32 v54, 0
	s_delay_alu instid0(VALU_DEP_1) | instskip(NEXT) | instid1(VALU_DEP_1)
	v_lshlrev_b64 v[60:61], 3, v[53:54]
	v_add_co_u32 v60, vcc_lo, s2, v60
	s_delay_alu instid0(VALU_DEP_2)
	v_add_co_ci_u32_e32 v61, vcc_lo, s3, v61, vcc_lo
	global_store_b64 v[60:61], v[29:30], off
.LBB199_140:
	s_or_b32 exec_lo, exec_lo, s1
	v_cmp_lt_u32_e32 vcc_lo, v51, v59
	s_or_b32 s9, s18, vcc_lo
	s_delay_alu instid0(SALU_CYCLE_1)
	s_and_saveexec_b32 s1, s9
	s_cbranch_execz .LBB199_143
; %bb.141:
	v_and_b32_e32 v40, 1, v58
	s_delay_alu instid0(VALU_DEP_1)
	v_cmp_eq_u32_e32 vcc_lo, 1, v40
	s_and_b32 exec_lo, exec_lo, vcc_lo
	s_cbranch_execz .LBB199_143
; %bb.142:
	v_mov_b32_e32 v52, 0
	s_delay_alu instid0(VALU_DEP_1) | instskip(NEXT) | instid1(VALU_DEP_1)
	v_lshlrev_b64 v[60:61], 3, v[51:52]
	v_add_co_u32 v60, vcc_lo, s2, v60
	s_delay_alu instid0(VALU_DEP_2)
	v_add_co_ci_u32_e32 v61, vcc_lo, s3, v61, vcc_lo
	global_store_b64 v[60:61], v[31:32], off
.LBB199_143:
	s_or_b32 exec_lo, exec_lo, s1
	v_cmp_lt_u32_e32 vcc_lo, v49, v59
	s_or_b32 s9, s18, vcc_lo
	s_delay_alu instid0(SALU_CYCLE_1)
	s_and_saveexec_b32 s1, s9
	s_cbranch_execz .LBB199_146
; %bb.144:
	v_and_b32_e32 v40, 1, v57
	s_delay_alu instid0(VALU_DEP_1)
	v_cmp_eq_u32_e32 vcc_lo, 1, v40
	s_and_b32 exec_lo, exec_lo, vcc_lo
	s_cbranch_execz .LBB199_146
; %bb.145:
	v_mov_b32_e32 v50, 0
	s_delay_alu instid0(VALU_DEP_1) | instskip(NEXT) | instid1(VALU_DEP_1)
	v_lshlrev_b64 v[60:61], 3, v[49:50]
	v_add_co_u32 v60, vcc_lo, s2, v60
	s_delay_alu instid0(VALU_DEP_2)
	v_add_co_ci_u32_e32 v61, vcc_lo, s3, v61, vcc_lo
	global_store_b64 v[60:61], v[25:26], off
.LBB199_146:
	s_or_b32 exec_lo, exec_lo, s1
	v_cmp_lt_u32_e32 vcc_lo, v47, v59
	s_or_b32 s9, s18, vcc_lo
	s_delay_alu instid0(SALU_CYCLE_1)
	s_and_saveexec_b32 s1, s9
	s_cbranch_execz .LBB199_149
; %bb.147:
	v_and_b32_e32 v40, 1, v37
	s_delay_alu instid0(VALU_DEP_1)
	v_cmp_eq_u32_e32 vcc_lo, 1, v40
	s_and_b32 exec_lo, exec_lo, vcc_lo
	s_cbranch_execz .LBB199_149
; %bb.148:
	v_mov_b32_e32 v48, 0
	s_delay_alu instid0(VALU_DEP_1) | instskip(NEXT) | instid1(VALU_DEP_1)
	v_lshlrev_b64 v[60:61], 3, v[47:48]
	v_add_co_u32 v60, vcc_lo, s2, v60
	s_delay_alu instid0(VALU_DEP_2)
	v_add_co_ci_u32_e32 v61, vcc_lo, s3, v61, vcc_lo
	global_store_b64 v[60:61], v[27:28], off
.LBB199_149:
	s_or_b32 exec_lo, exec_lo, s1
	v_cmp_lt_u32_e32 vcc_lo, v45, v59
	s_or_b32 s9, s18, vcc_lo
	s_delay_alu instid0(SALU_CYCLE_1)
	s_and_saveexec_b32 s1, s9
	s_cbranch_execz .LBB199_152
; %bb.150:
	v_and_b32_e32 v40, 1, v34
	s_delay_alu instid0(VALU_DEP_1)
	v_cmp_eq_u32_e32 vcc_lo, 1, v40
	s_and_b32 exec_lo, exec_lo, vcc_lo
	s_cbranch_execz .LBB199_152
; %bb.151:
	v_mov_b32_e32 v46, 0
	s_delay_alu instid0(VALU_DEP_1) | instskip(NEXT) | instid1(VALU_DEP_1)
	v_lshlrev_b64 v[60:61], 3, v[45:46]
	v_add_co_u32 v60, vcc_lo, s2, v60
	s_delay_alu instid0(VALU_DEP_2)
	v_add_co_ci_u32_e32 v61, vcc_lo, s3, v61, vcc_lo
	global_store_b64 v[60:61], v[21:22], off
.LBB199_152:
	s_or_b32 exec_lo, exec_lo, s1
	v_cmp_lt_u32_e32 vcc_lo, v43, v59
	s_or_b32 s9, s18, vcc_lo
	s_delay_alu instid0(SALU_CYCLE_1)
	s_and_saveexec_b32 s1, s9
	s_cbranch_execz .LBB199_155
; %bb.153:
	v_and_b32_e32 v40, 1, v38
	s_delay_alu instid0(VALU_DEP_1)
	v_cmp_eq_u32_e32 vcc_lo, 1, v40
	s_and_b32 exec_lo, exec_lo, vcc_lo
	s_cbranch_execz .LBB199_155
; %bb.154:
	v_mov_b32_e32 v44, 0
	s_delay_alu instid0(VALU_DEP_1) | instskip(NEXT) | instid1(VALU_DEP_1)
	v_lshlrev_b64 v[60:61], 3, v[43:44]
	v_add_co_u32 v60, vcc_lo, s2, v60
	s_delay_alu instid0(VALU_DEP_2)
	v_add_co_ci_u32_e32 v61, vcc_lo, s3, v61, vcc_lo
	global_store_b64 v[60:61], v[23:24], off
.LBB199_155:
	s_or_b32 exec_lo, exec_lo, s1
	v_cmp_lt_u32_e32 vcc_lo, v41, v59
	s_or_b32 s9, s18, vcc_lo
	s_delay_alu instid0(SALU_CYCLE_1)
	s_and_saveexec_b32 s1, s9
	s_cbranch_execz .LBB199_158
; %bb.156:
	v_and_b32_e32 v40, 1, v36
	s_delay_alu instid0(VALU_DEP_1)
	v_cmp_eq_u32_e32 vcc_lo, 1, v40
	s_and_b32 exec_lo, exec_lo, vcc_lo
	s_cbranch_execz .LBB199_158
; %bb.157:
	v_mov_b32_e32 v42, 0
	s_delay_alu instid0(VALU_DEP_1) | instskip(NEXT) | instid1(VALU_DEP_1)
	v_lshlrev_b64 v[60:61], 3, v[41:42]
	v_add_co_u32 v60, vcc_lo, s2, v60
	s_delay_alu instid0(VALU_DEP_2)
	v_add_co_ci_u32_e32 v61, vcc_lo, s3, v61, vcc_lo
	global_store_b64 v[60:61], v[17:18], off
.LBB199_158:
	s_or_b32 exec_lo, exec_lo, s1
	v_cmp_lt_u32_e32 vcc_lo, v39, v59
	s_or_b32 s9, s18, vcc_lo
	s_delay_alu instid0(SALU_CYCLE_1)
	s_and_saveexec_b32 s1, s9
	s_cbranch_execz .LBB199_161
; %bb.159:
	v_and_b32_e32 v40, 1, v56
	s_delay_alu instid0(VALU_DEP_1)
	v_cmp_eq_u32_e32 vcc_lo, 1, v40
	s_and_b32 exec_lo, exec_lo, vcc_lo
	s_cbranch_execz .LBB199_161
; %bb.160:
	v_mov_b32_e32 v40, 0
	s_delay_alu instid0(VALU_DEP_1) | instskip(NEXT) | instid1(VALU_DEP_1)
	v_lshlrev_b64 v[60:61], 3, v[39:40]
	v_add_co_u32 v60, vcc_lo, s2, v60
	s_delay_alu instid0(VALU_DEP_2)
	v_add_co_ci_u32_e32 v61, vcc_lo, s3, v61, vcc_lo
	global_store_b64 v[60:61], v[19:20], off
.LBB199_161:
	s_or_b32 exec_lo, exec_lo, s1
	s_mov_b32 s2, 0
.LBB199_162:
	v_and_b32_e32 v33, 1, v33
	s_and_b32 vcc_lo, exec_lo, s2
	s_delay_alu instid0(VALU_DEP_1)
	v_cmp_eq_u32_e64 s1, 1, v33
	s_cbranch_vccz .LBB199_183
; %bb.163:
	s_delay_alu instid0(VALU_DEP_1)
	s_and_saveexec_b32 s2, s1
	s_cbranch_execz .LBB199_165
; %bb.164:
	v_subrev_nc_u32_e32 v40, s8, v53
	s_delay_alu instid0(VALU_DEP_1)
	v_lshlrev_b32_e32 v40, 3, v40
	ds_store_b64 v40, v[29:30]
.LBB199_165:
	s_or_b32 exec_lo, exec_lo, s2
	v_and_b32_e32 v29, 1, v58
	s_mov_b32 s1, exec_lo
	s_delay_alu instid0(VALU_DEP_1)
	v_cmpx_eq_u32_e32 1, v29
	s_cbranch_execz .LBB199_167
; %bb.166:
	v_subrev_nc_u32_e32 v29, s8, v51
	s_delay_alu instid0(VALU_DEP_1)
	v_lshlrev_b32_e32 v29, 3, v29
	ds_store_b64 v29, v[31:32]
.LBB199_167:
	s_or_b32 exec_lo, exec_lo, s1
	v_and_b32_e32 v29, 1, v57
	s_mov_b32 s1, exec_lo
	s_delay_alu instid0(VALU_DEP_1)
	v_cmpx_eq_u32_e32 1, v29
	;; [unrolled: 12-line block ×7, first 2 shown]
	s_cbranch_execz .LBB199_179
; %bb.178:
	v_subrev_nc_u32_e32 v17, s8, v39
	s_delay_alu instid0(VALU_DEP_1)
	v_lshlrev_b32_e32 v17, 3, v17
	ds_store_b64 v17, v[19:20]
.LBB199_179:
	s_or_b32 exec_lo, exec_lo, s1
	s_delay_alu instid0(SALU_CYCLE_1)
	s_mov_b32 s2, exec_lo
	s_waitcnt lgkmcnt(0)
	s_waitcnt_vscnt null, 0x0
	s_barrier
	buffer_gl0_inv
	v_cmpx_lt_u32_e64 v0, v35
	s_cbranch_execz .LBB199_182
; %bb.180:
	s_mov_b32 s9, 0
	s_lshl_b64 s[12:13], s[10:11], 3
	s_lshl_b64 s[20:21], s[8:9], 3
	v_dual_mov_b32 v19, v55 :: v_dual_mov_b32 v20, v0
	s_add_u32 s1, s12, s20
	s_addc_u32 s3, s13, s21
	s_add_u32 s1, s4, s1
	s_addc_u32 s3, s5, s3
	v_add_co_u32 v17, s1, s1, v55
	s_delay_alu instid0(VALU_DEP_1)
	v_add_co_ci_u32_e64 v18, null, s3, 0, s1
	.p2align	6
.LBB199_181:                            ; =>This Inner Loop Header: Depth=1
	ds_load_b64 v[21:22], v19
	v_add_nc_u32_e32 v20, 0x200, v20
	v_add_nc_u32_e32 v19, 0x1000, v19
	s_delay_alu instid0(VALU_DEP_2) | instskip(SKIP_4) | instid1(VALU_DEP_1)
	v_cmp_ge_u32_e32 vcc_lo, v20, v35
	s_or_b32 s9, vcc_lo, s9
	s_waitcnt lgkmcnt(0)
	global_store_b64 v[17:18], v[21:22], off
	v_add_co_u32 v17, s1, 0x1000, v17
	v_add_co_ci_u32_e64 v18, s1, 0, v18, s1
	s_and_not1_b32 exec_lo, exec_lo, s9
	s_cbranch_execnz .LBB199_181
.LBB199_182:
	s_or_b32 exec_lo, exec_lo, s2
.LBB199_183:
	s_delay_alu instid0(SALU_CYCLE_1)
	s_and_b32 vcc_lo, exec_lo, s0
	s_mov_b32 s0, -1
	s_waitcnt lgkmcnt(0)
	s_waitcnt_vscnt null, 0x0
	s_barrier
	buffer_gl0_inv
	s_cbranch_vccz .LBB199_211
; %bb.184:
	v_cmp_lt_u32_e32 vcc_lo, v53, v59
	s_lshl_b64 s[0:1], s[10:11], 3
	s_delay_alu instid0(SALU_CYCLE_1) | instskip(SKIP_2) | instid1(SALU_CYCLE_1)
	s_add_u32 s0, s6, s0
	s_addc_u32 s1, s7, s1
	s_or_b32 s3, s18, vcc_lo
	s_and_saveexec_b32 s2, s3
	s_cbranch_execz .LBB199_187
; %bb.185:
	v_cmp_eq_u32_e32 vcc_lo, 1, v33
	s_and_b32 exec_lo, exec_lo, vcc_lo
	s_cbranch_execz .LBB199_187
; %bb.186:
	v_mov_b32_e32 v54, 0
	s_delay_alu instid0(VALU_DEP_1) | instskip(NEXT) | instid1(VALU_DEP_1)
	v_lshlrev_b64 v[17:18], 3, v[53:54]
	v_add_co_u32 v17, vcc_lo, s0, v17
	s_delay_alu instid0(VALU_DEP_2)
	v_add_co_ci_u32_e32 v18, vcc_lo, s1, v18, vcc_lo
	global_store_b64 v[17:18], v[13:14], off
.LBB199_187:
	s_or_b32 exec_lo, exec_lo, s2
	v_cmp_lt_u32_e32 vcc_lo, v51, v59
	s_or_b32 s3, s18, vcc_lo
	s_delay_alu instid0(SALU_CYCLE_1)
	s_and_saveexec_b32 s2, s3
	s_cbranch_execz .LBB199_190
; %bb.188:
	v_and_b32_e32 v17, 1, v58
	s_delay_alu instid0(VALU_DEP_1)
	v_cmp_eq_u32_e32 vcc_lo, 1, v17
	s_and_b32 exec_lo, exec_lo, vcc_lo
	s_cbranch_execz .LBB199_190
; %bb.189:
	v_mov_b32_e32 v52, 0
	s_delay_alu instid0(VALU_DEP_1) | instskip(NEXT) | instid1(VALU_DEP_1)
	v_lshlrev_b64 v[17:18], 3, v[51:52]
	v_add_co_u32 v17, vcc_lo, s0, v17
	s_delay_alu instid0(VALU_DEP_2)
	v_add_co_ci_u32_e32 v18, vcc_lo, s1, v18, vcc_lo
	global_store_b64 v[17:18], v[15:16], off
.LBB199_190:
	s_or_b32 exec_lo, exec_lo, s2
	v_cmp_lt_u32_e32 vcc_lo, v49, v59
	s_or_b32 s3, s18, vcc_lo
	s_delay_alu instid0(SALU_CYCLE_1)
	s_and_saveexec_b32 s2, s3
	s_cbranch_execz .LBB199_193
; %bb.191:
	v_and_b32_e32 v17, 1, v57
	s_delay_alu instid0(VALU_DEP_1)
	v_cmp_eq_u32_e32 vcc_lo, 1, v17
	s_and_b32 exec_lo, exec_lo, vcc_lo
	s_cbranch_execz .LBB199_193
; %bb.192:
	v_mov_b32_e32 v50, 0
	s_delay_alu instid0(VALU_DEP_1) | instskip(NEXT) | instid1(VALU_DEP_1)
	v_lshlrev_b64 v[17:18], 3, v[49:50]
	v_add_co_u32 v17, vcc_lo, s0, v17
	s_delay_alu instid0(VALU_DEP_2)
	v_add_co_ci_u32_e32 v18, vcc_lo, s1, v18, vcc_lo
	global_store_b64 v[17:18], v[9:10], off
.LBB199_193:
	;; [unrolled: 21-line block ×7, first 2 shown]
	s_or_b32 exec_lo, exec_lo, s2
.LBB199_209:
	v_cmp_eq_u32_e32 vcc_lo, 0, v0
	s_and_b32 s0, vcc_lo, s14
	s_delay_alu instid0(SALU_CYCLE_1)
	s_and_saveexec_b32 s1, s0
	s_cbranch_execz .LBB199_232
.LBB199_210:
	v_add_co_u32 v0, s0, s10, v35
	s_delay_alu instid0(VALU_DEP_1) | instskip(SKIP_1) | instid1(VALU_DEP_3)
	v_add_co_ci_u32_e64 v1, null, s11, 0, s0
	v_mov_b32_e32 v2, 0
	v_add_co_u32 v0, vcc_lo, v0, s8
	s_delay_alu instid0(VALU_DEP_3)
	v_add_co_ci_u32_e32 v1, vcc_lo, 0, v1, vcc_lo
	global_store_b64 v2, v[0:1], s[16:17]
	s_nop 0
	s_sendmsg sendmsg(MSG_DEALLOC_VGPRS)
	s_endpgm
.LBB199_211:
	s_and_b32 vcc_lo, exec_lo, s0
	s_cbranch_vccz .LBB199_209
; %bb.212:
	s_mov_b32 s0, exec_lo
	v_cmpx_eq_u32_e32 1, v33
	s_cbranch_execz .LBB199_214
; %bb.213:
	v_subrev_nc_u32_e32 v17, s8, v53
	s_delay_alu instid0(VALU_DEP_1)
	v_lshlrev_b32_e32 v17, 3, v17
	ds_store_b64 v17, v[13:14]
.LBB199_214:
	s_or_b32 exec_lo, exec_lo, s0
	v_and_b32_e32 v13, 1, v58
	s_mov_b32 s0, exec_lo
	s_delay_alu instid0(VALU_DEP_1)
	v_cmpx_eq_u32_e32 1, v13
	s_cbranch_execz .LBB199_216
; %bb.215:
	v_subrev_nc_u32_e32 v13, s8, v51
	s_delay_alu instid0(VALU_DEP_1)
	v_lshlrev_b32_e32 v13, 3, v13
	ds_store_b64 v13, v[15:16]
.LBB199_216:
	s_or_b32 exec_lo, exec_lo, s0
	v_and_b32_e32 v13, 1, v57
	s_mov_b32 s0, exec_lo
	s_delay_alu instid0(VALU_DEP_1)
	;; [unrolled: 12-line block ×7, first 2 shown]
	v_cmpx_eq_u32_e32 1, v1
	s_cbranch_execz .LBB199_228
; %bb.227:
	v_subrev_nc_u32_e32 v1, s8, v39
	s_delay_alu instid0(VALU_DEP_1)
	v_lshlrev_b32_e32 v1, 3, v1
	ds_store_b64 v1, v[3:4]
.LBB199_228:
	s_or_b32 exec_lo, exec_lo, s0
	s_delay_alu instid0(SALU_CYCLE_1)
	s_mov_b32 s1, exec_lo
	s_waitcnt lgkmcnt(0)
	s_waitcnt_vscnt null, 0x0
	s_barrier
	buffer_gl0_inv
	v_cmpx_lt_u32_e64 v0, v35
	s_cbranch_execz .LBB199_231
; %bb.229:
	s_mov_b32 s9, 0
	s_lshl_b64 s[2:3], s[10:11], 3
	s_lshl_b64 s[4:5], s[8:9], 3
	v_mov_b32_e32 v3, v0
	s_add_u32 s0, s2, s4
	s_addc_u32 s2, s3, s5
	s_add_u32 s0, s6, s0
	s_addc_u32 s2, s7, s2
	v_add_co_u32 v1, s0, s0, v55
	s_delay_alu instid0(VALU_DEP_1)
	v_add_co_ci_u32_e64 v2, null, s2, 0, s0
	.p2align	6
.LBB199_230:                            ; =>This Inner Loop Header: Depth=1
	ds_load_b64 v[4:5], v55
	v_add_nc_u32_e32 v3, 0x200, v3
	v_add_nc_u32_e32 v55, 0x1000, v55
	s_delay_alu instid0(VALU_DEP_2) | instskip(SKIP_4) | instid1(VALU_DEP_1)
	v_cmp_ge_u32_e32 vcc_lo, v3, v35
	s_or_b32 s9, vcc_lo, s9
	s_waitcnt lgkmcnt(0)
	global_store_b64 v[1:2], v[4:5], off
	v_add_co_u32 v1, s0, 0x1000, v1
	v_add_co_ci_u32_e64 v2, s0, 0, v2, s0
	s_and_not1_b32 exec_lo, exec_lo, s9
	s_cbranch_execnz .LBB199_230
.LBB199_231:
	s_or_b32 exec_lo, exec_lo, s1
	v_cmp_eq_u32_e32 vcc_lo, 0, v0
	s_and_b32 s0, vcc_lo, s14
	s_delay_alu instid0(SALU_CYCLE_1)
	s_and_saveexec_b32 s1, s0
	s_cbranch_execnz .LBB199_210
.LBB199_232:
	s_nop 0
	s_sendmsg sendmsg(MSG_DEALLOC_VGPRS)
	s_endpgm
	.section	.rodata,"a",@progbits
	.p2align	6, 0x0
	.amdhsa_kernel _ZN7rocprim17ROCPRIM_400000_NS6detail17trampoline_kernelINS0_14default_configENS1_25partition_config_selectorILNS1_17partition_subalgoE9EyybEEZZNS1_14partition_implILS5_9ELb0ES3_jN6thrust23THRUST_200600_302600_NS6detail15normal_iteratorINS9_10device_ptrIyEEEESE_PNS0_10empty_typeENS0_5tupleIJSE_SF_EEENSH_IJSE_SG_EEENS0_18inequality_wrapperI22is_equal_div_10_uniqueIyEEEPmJSF_EEE10hipError_tPvRmT3_T4_T5_T6_T7_T9_mT8_P12ihipStream_tbDpT10_ENKUlT_T0_E_clISt17integral_constantIbLb1EES17_IbLb0EEEEDaS13_S14_EUlS13_E_NS1_11comp_targetILNS1_3genE9ELNS1_11target_archE1100ELNS1_3gpuE3ELNS1_3repE0EEENS1_30default_config_static_selectorELNS0_4arch9wavefront6targetE0EEEvT1_
		.amdhsa_group_segment_fixed_size 33800
		.amdhsa_private_segment_fixed_size 0
		.amdhsa_kernarg_size 112
		.amdhsa_user_sgpr_count 15
		.amdhsa_user_sgpr_dispatch_ptr 0
		.amdhsa_user_sgpr_queue_ptr 0
		.amdhsa_user_sgpr_kernarg_segment_ptr 1
		.amdhsa_user_sgpr_dispatch_id 0
		.amdhsa_user_sgpr_private_segment_size 0
		.amdhsa_wavefront_size32 1
		.amdhsa_uses_dynamic_stack 0
		.amdhsa_enable_private_segment 0
		.amdhsa_system_sgpr_workgroup_id_x 1
		.amdhsa_system_sgpr_workgroup_id_y 0
		.amdhsa_system_sgpr_workgroup_id_z 0
		.amdhsa_system_sgpr_workgroup_info 0
		.amdhsa_system_vgpr_workitem_id 0
		.amdhsa_next_free_vgpr 68
		.amdhsa_next_free_sgpr 25
		.amdhsa_reserve_vcc 1
		.amdhsa_float_round_mode_32 0
		.amdhsa_float_round_mode_16_64 0
		.amdhsa_float_denorm_mode_32 3
		.amdhsa_float_denorm_mode_16_64 3
		.amdhsa_dx10_clamp 1
		.amdhsa_ieee_mode 1
		.amdhsa_fp16_overflow 0
		.amdhsa_workgroup_processor_mode 1
		.amdhsa_memory_ordered 1
		.amdhsa_forward_progress 0
		.amdhsa_shared_vgpr_count 0
		.amdhsa_exception_fp_ieee_invalid_op 0
		.amdhsa_exception_fp_denorm_src 0
		.amdhsa_exception_fp_ieee_div_zero 0
		.amdhsa_exception_fp_ieee_overflow 0
		.amdhsa_exception_fp_ieee_underflow 0
		.amdhsa_exception_fp_ieee_inexact 0
		.amdhsa_exception_int_div_zero 0
	.end_amdhsa_kernel
	.section	.text._ZN7rocprim17ROCPRIM_400000_NS6detail17trampoline_kernelINS0_14default_configENS1_25partition_config_selectorILNS1_17partition_subalgoE9EyybEEZZNS1_14partition_implILS5_9ELb0ES3_jN6thrust23THRUST_200600_302600_NS6detail15normal_iteratorINS9_10device_ptrIyEEEESE_PNS0_10empty_typeENS0_5tupleIJSE_SF_EEENSH_IJSE_SG_EEENS0_18inequality_wrapperI22is_equal_div_10_uniqueIyEEEPmJSF_EEE10hipError_tPvRmT3_T4_T5_T6_T7_T9_mT8_P12ihipStream_tbDpT10_ENKUlT_T0_E_clISt17integral_constantIbLb1EES17_IbLb0EEEEDaS13_S14_EUlS13_E_NS1_11comp_targetILNS1_3genE9ELNS1_11target_archE1100ELNS1_3gpuE3ELNS1_3repE0EEENS1_30default_config_static_selectorELNS0_4arch9wavefront6targetE0EEEvT1_,"axG",@progbits,_ZN7rocprim17ROCPRIM_400000_NS6detail17trampoline_kernelINS0_14default_configENS1_25partition_config_selectorILNS1_17partition_subalgoE9EyybEEZZNS1_14partition_implILS5_9ELb0ES3_jN6thrust23THRUST_200600_302600_NS6detail15normal_iteratorINS9_10device_ptrIyEEEESE_PNS0_10empty_typeENS0_5tupleIJSE_SF_EEENSH_IJSE_SG_EEENS0_18inequality_wrapperI22is_equal_div_10_uniqueIyEEEPmJSF_EEE10hipError_tPvRmT3_T4_T5_T6_T7_T9_mT8_P12ihipStream_tbDpT10_ENKUlT_T0_E_clISt17integral_constantIbLb1EES17_IbLb0EEEEDaS13_S14_EUlS13_E_NS1_11comp_targetILNS1_3genE9ELNS1_11target_archE1100ELNS1_3gpuE3ELNS1_3repE0EEENS1_30default_config_static_selectorELNS0_4arch9wavefront6targetE0EEEvT1_,comdat
.Lfunc_end199:
	.size	_ZN7rocprim17ROCPRIM_400000_NS6detail17trampoline_kernelINS0_14default_configENS1_25partition_config_selectorILNS1_17partition_subalgoE9EyybEEZZNS1_14partition_implILS5_9ELb0ES3_jN6thrust23THRUST_200600_302600_NS6detail15normal_iteratorINS9_10device_ptrIyEEEESE_PNS0_10empty_typeENS0_5tupleIJSE_SF_EEENSH_IJSE_SG_EEENS0_18inequality_wrapperI22is_equal_div_10_uniqueIyEEEPmJSF_EEE10hipError_tPvRmT3_T4_T5_T6_T7_T9_mT8_P12ihipStream_tbDpT10_ENKUlT_T0_E_clISt17integral_constantIbLb1EES17_IbLb0EEEEDaS13_S14_EUlS13_E_NS1_11comp_targetILNS1_3genE9ELNS1_11target_archE1100ELNS1_3gpuE3ELNS1_3repE0EEENS1_30default_config_static_selectorELNS0_4arch9wavefront6targetE0EEEvT1_, .Lfunc_end199-_ZN7rocprim17ROCPRIM_400000_NS6detail17trampoline_kernelINS0_14default_configENS1_25partition_config_selectorILNS1_17partition_subalgoE9EyybEEZZNS1_14partition_implILS5_9ELb0ES3_jN6thrust23THRUST_200600_302600_NS6detail15normal_iteratorINS9_10device_ptrIyEEEESE_PNS0_10empty_typeENS0_5tupleIJSE_SF_EEENSH_IJSE_SG_EEENS0_18inequality_wrapperI22is_equal_div_10_uniqueIyEEEPmJSF_EEE10hipError_tPvRmT3_T4_T5_T6_T7_T9_mT8_P12ihipStream_tbDpT10_ENKUlT_T0_E_clISt17integral_constantIbLb1EES17_IbLb0EEEEDaS13_S14_EUlS13_E_NS1_11comp_targetILNS1_3genE9ELNS1_11target_archE1100ELNS1_3gpuE3ELNS1_3repE0EEENS1_30default_config_static_selectorELNS0_4arch9wavefront6targetE0EEEvT1_
                                        ; -- End function
	.section	.AMDGPU.csdata,"",@progbits
; Kernel info:
; codeLenInByte = 10908
; NumSgprs: 27
; NumVgprs: 68
; ScratchSize: 0
; MemoryBound: 0
; FloatMode: 240
; IeeeMode: 1
; LDSByteSize: 33800 bytes/workgroup (compile time only)
; SGPRBlocks: 3
; VGPRBlocks: 8
; NumSGPRsForWavesPerEU: 27
; NumVGPRsForWavesPerEU: 68
; Occupancy: 12
; WaveLimiterHint : 1
; COMPUTE_PGM_RSRC2:SCRATCH_EN: 0
; COMPUTE_PGM_RSRC2:USER_SGPR: 15
; COMPUTE_PGM_RSRC2:TRAP_HANDLER: 0
; COMPUTE_PGM_RSRC2:TGID_X_EN: 1
; COMPUTE_PGM_RSRC2:TGID_Y_EN: 0
; COMPUTE_PGM_RSRC2:TGID_Z_EN: 0
; COMPUTE_PGM_RSRC2:TIDIG_COMP_CNT: 0
	.section	.text._ZN7rocprim17ROCPRIM_400000_NS6detail17trampoline_kernelINS0_14default_configENS1_25partition_config_selectorILNS1_17partition_subalgoE9EyybEEZZNS1_14partition_implILS5_9ELb0ES3_jN6thrust23THRUST_200600_302600_NS6detail15normal_iteratorINS9_10device_ptrIyEEEESE_PNS0_10empty_typeENS0_5tupleIJSE_SF_EEENSH_IJSE_SG_EEENS0_18inequality_wrapperI22is_equal_div_10_uniqueIyEEEPmJSF_EEE10hipError_tPvRmT3_T4_T5_T6_T7_T9_mT8_P12ihipStream_tbDpT10_ENKUlT_T0_E_clISt17integral_constantIbLb1EES17_IbLb0EEEEDaS13_S14_EUlS13_E_NS1_11comp_targetILNS1_3genE8ELNS1_11target_archE1030ELNS1_3gpuE2ELNS1_3repE0EEENS1_30default_config_static_selectorELNS0_4arch9wavefront6targetE0EEEvT1_,"axG",@progbits,_ZN7rocprim17ROCPRIM_400000_NS6detail17trampoline_kernelINS0_14default_configENS1_25partition_config_selectorILNS1_17partition_subalgoE9EyybEEZZNS1_14partition_implILS5_9ELb0ES3_jN6thrust23THRUST_200600_302600_NS6detail15normal_iteratorINS9_10device_ptrIyEEEESE_PNS0_10empty_typeENS0_5tupleIJSE_SF_EEENSH_IJSE_SG_EEENS0_18inequality_wrapperI22is_equal_div_10_uniqueIyEEEPmJSF_EEE10hipError_tPvRmT3_T4_T5_T6_T7_T9_mT8_P12ihipStream_tbDpT10_ENKUlT_T0_E_clISt17integral_constantIbLb1EES17_IbLb0EEEEDaS13_S14_EUlS13_E_NS1_11comp_targetILNS1_3genE8ELNS1_11target_archE1030ELNS1_3gpuE2ELNS1_3repE0EEENS1_30default_config_static_selectorELNS0_4arch9wavefront6targetE0EEEvT1_,comdat
	.protected	_ZN7rocprim17ROCPRIM_400000_NS6detail17trampoline_kernelINS0_14default_configENS1_25partition_config_selectorILNS1_17partition_subalgoE9EyybEEZZNS1_14partition_implILS5_9ELb0ES3_jN6thrust23THRUST_200600_302600_NS6detail15normal_iteratorINS9_10device_ptrIyEEEESE_PNS0_10empty_typeENS0_5tupleIJSE_SF_EEENSH_IJSE_SG_EEENS0_18inequality_wrapperI22is_equal_div_10_uniqueIyEEEPmJSF_EEE10hipError_tPvRmT3_T4_T5_T6_T7_T9_mT8_P12ihipStream_tbDpT10_ENKUlT_T0_E_clISt17integral_constantIbLb1EES17_IbLb0EEEEDaS13_S14_EUlS13_E_NS1_11comp_targetILNS1_3genE8ELNS1_11target_archE1030ELNS1_3gpuE2ELNS1_3repE0EEENS1_30default_config_static_selectorELNS0_4arch9wavefront6targetE0EEEvT1_ ; -- Begin function _ZN7rocprim17ROCPRIM_400000_NS6detail17trampoline_kernelINS0_14default_configENS1_25partition_config_selectorILNS1_17partition_subalgoE9EyybEEZZNS1_14partition_implILS5_9ELb0ES3_jN6thrust23THRUST_200600_302600_NS6detail15normal_iteratorINS9_10device_ptrIyEEEESE_PNS0_10empty_typeENS0_5tupleIJSE_SF_EEENSH_IJSE_SG_EEENS0_18inequality_wrapperI22is_equal_div_10_uniqueIyEEEPmJSF_EEE10hipError_tPvRmT3_T4_T5_T6_T7_T9_mT8_P12ihipStream_tbDpT10_ENKUlT_T0_E_clISt17integral_constantIbLb1EES17_IbLb0EEEEDaS13_S14_EUlS13_E_NS1_11comp_targetILNS1_3genE8ELNS1_11target_archE1030ELNS1_3gpuE2ELNS1_3repE0EEENS1_30default_config_static_selectorELNS0_4arch9wavefront6targetE0EEEvT1_
	.globl	_ZN7rocprim17ROCPRIM_400000_NS6detail17trampoline_kernelINS0_14default_configENS1_25partition_config_selectorILNS1_17partition_subalgoE9EyybEEZZNS1_14partition_implILS5_9ELb0ES3_jN6thrust23THRUST_200600_302600_NS6detail15normal_iteratorINS9_10device_ptrIyEEEESE_PNS0_10empty_typeENS0_5tupleIJSE_SF_EEENSH_IJSE_SG_EEENS0_18inequality_wrapperI22is_equal_div_10_uniqueIyEEEPmJSF_EEE10hipError_tPvRmT3_T4_T5_T6_T7_T9_mT8_P12ihipStream_tbDpT10_ENKUlT_T0_E_clISt17integral_constantIbLb1EES17_IbLb0EEEEDaS13_S14_EUlS13_E_NS1_11comp_targetILNS1_3genE8ELNS1_11target_archE1030ELNS1_3gpuE2ELNS1_3repE0EEENS1_30default_config_static_selectorELNS0_4arch9wavefront6targetE0EEEvT1_
	.p2align	8
	.type	_ZN7rocprim17ROCPRIM_400000_NS6detail17trampoline_kernelINS0_14default_configENS1_25partition_config_selectorILNS1_17partition_subalgoE9EyybEEZZNS1_14partition_implILS5_9ELb0ES3_jN6thrust23THRUST_200600_302600_NS6detail15normal_iteratorINS9_10device_ptrIyEEEESE_PNS0_10empty_typeENS0_5tupleIJSE_SF_EEENSH_IJSE_SG_EEENS0_18inequality_wrapperI22is_equal_div_10_uniqueIyEEEPmJSF_EEE10hipError_tPvRmT3_T4_T5_T6_T7_T9_mT8_P12ihipStream_tbDpT10_ENKUlT_T0_E_clISt17integral_constantIbLb1EES17_IbLb0EEEEDaS13_S14_EUlS13_E_NS1_11comp_targetILNS1_3genE8ELNS1_11target_archE1030ELNS1_3gpuE2ELNS1_3repE0EEENS1_30default_config_static_selectorELNS0_4arch9wavefront6targetE0EEEvT1_,@function
_ZN7rocprim17ROCPRIM_400000_NS6detail17trampoline_kernelINS0_14default_configENS1_25partition_config_selectorILNS1_17partition_subalgoE9EyybEEZZNS1_14partition_implILS5_9ELb0ES3_jN6thrust23THRUST_200600_302600_NS6detail15normal_iteratorINS9_10device_ptrIyEEEESE_PNS0_10empty_typeENS0_5tupleIJSE_SF_EEENSH_IJSE_SG_EEENS0_18inequality_wrapperI22is_equal_div_10_uniqueIyEEEPmJSF_EEE10hipError_tPvRmT3_T4_T5_T6_T7_T9_mT8_P12ihipStream_tbDpT10_ENKUlT_T0_E_clISt17integral_constantIbLb1EES17_IbLb0EEEEDaS13_S14_EUlS13_E_NS1_11comp_targetILNS1_3genE8ELNS1_11target_archE1030ELNS1_3gpuE2ELNS1_3repE0EEENS1_30default_config_static_selectorELNS0_4arch9wavefront6targetE0EEEvT1_: ; @_ZN7rocprim17ROCPRIM_400000_NS6detail17trampoline_kernelINS0_14default_configENS1_25partition_config_selectorILNS1_17partition_subalgoE9EyybEEZZNS1_14partition_implILS5_9ELb0ES3_jN6thrust23THRUST_200600_302600_NS6detail15normal_iteratorINS9_10device_ptrIyEEEESE_PNS0_10empty_typeENS0_5tupleIJSE_SF_EEENSH_IJSE_SG_EEENS0_18inequality_wrapperI22is_equal_div_10_uniqueIyEEEPmJSF_EEE10hipError_tPvRmT3_T4_T5_T6_T7_T9_mT8_P12ihipStream_tbDpT10_ENKUlT_T0_E_clISt17integral_constantIbLb1EES17_IbLb0EEEEDaS13_S14_EUlS13_E_NS1_11comp_targetILNS1_3genE8ELNS1_11target_archE1030ELNS1_3gpuE2ELNS1_3repE0EEENS1_30default_config_static_selectorELNS0_4arch9wavefront6targetE0EEEvT1_
; %bb.0:
	.section	.rodata,"a",@progbits
	.p2align	6, 0x0
	.amdhsa_kernel _ZN7rocprim17ROCPRIM_400000_NS6detail17trampoline_kernelINS0_14default_configENS1_25partition_config_selectorILNS1_17partition_subalgoE9EyybEEZZNS1_14partition_implILS5_9ELb0ES3_jN6thrust23THRUST_200600_302600_NS6detail15normal_iteratorINS9_10device_ptrIyEEEESE_PNS0_10empty_typeENS0_5tupleIJSE_SF_EEENSH_IJSE_SG_EEENS0_18inequality_wrapperI22is_equal_div_10_uniqueIyEEEPmJSF_EEE10hipError_tPvRmT3_T4_T5_T6_T7_T9_mT8_P12ihipStream_tbDpT10_ENKUlT_T0_E_clISt17integral_constantIbLb1EES17_IbLb0EEEEDaS13_S14_EUlS13_E_NS1_11comp_targetILNS1_3genE8ELNS1_11target_archE1030ELNS1_3gpuE2ELNS1_3repE0EEENS1_30default_config_static_selectorELNS0_4arch9wavefront6targetE0EEEvT1_
		.amdhsa_group_segment_fixed_size 0
		.amdhsa_private_segment_fixed_size 0
		.amdhsa_kernarg_size 112
		.amdhsa_user_sgpr_count 15
		.amdhsa_user_sgpr_dispatch_ptr 0
		.amdhsa_user_sgpr_queue_ptr 0
		.amdhsa_user_sgpr_kernarg_segment_ptr 1
		.amdhsa_user_sgpr_dispatch_id 0
		.amdhsa_user_sgpr_private_segment_size 0
		.amdhsa_wavefront_size32 1
		.amdhsa_uses_dynamic_stack 0
		.amdhsa_enable_private_segment 0
		.amdhsa_system_sgpr_workgroup_id_x 1
		.amdhsa_system_sgpr_workgroup_id_y 0
		.amdhsa_system_sgpr_workgroup_id_z 0
		.amdhsa_system_sgpr_workgroup_info 0
		.amdhsa_system_vgpr_workitem_id 0
		.amdhsa_next_free_vgpr 1
		.amdhsa_next_free_sgpr 1
		.amdhsa_reserve_vcc 0
		.amdhsa_float_round_mode_32 0
		.amdhsa_float_round_mode_16_64 0
		.amdhsa_float_denorm_mode_32 3
		.amdhsa_float_denorm_mode_16_64 3
		.amdhsa_dx10_clamp 1
		.amdhsa_ieee_mode 1
		.amdhsa_fp16_overflow 0
		.amdhsa_workgroup_processor_mode 1
		.amdhsa_memory_ordered 1
		.amdhsa_forward_progress 0
		.amdhsa_shared_vgpr_count 0
		.amdhsa_exception_fp_ieee_invalid_op 0
		.amdhsa_exception_fp_denorm_src 0
		.amdhsa_exception_fp_ieee_div_zero 0
		.amdhsa_exception_fp_ieee_overflow 0
		.amdhsa_exception_fp_ieee_underflow 0
		.amdhsa_exception_fp_ieee_inexact 0
		.amdhsa_exception_int_div_zero 0
	.end_amdhsa_kernel
	.section	.text._ZN7rocprim17ROCPRIM_400000_NS6detail17trampoline_kernelINS0_14default_configENS1_25partition_config_selectorILNS1_17partition_subalgoE9EyybEEZZNS1_14partition_implILS5_9ELb0ES3_jN6thrust23THRUST_200600_302600_NS6detail15normal_iteratorINS9_10device_ptrIyEEEESE_PNS0_10empty_typeENS0_5tupleIJSE_SF_EEENSH_IJSE_SG_EEENS0_18inequality_wrapperI22is_equal_div_10_uniqueIyEEEPmJSF_EEE10hipError_tPvRmT3_T4_T5_T6_T7_T9_mT8_P12ihipStream_tbDpT10_ENKUlT_T0_E_clISt17integral_constantIbLb1EES17_IbLb0EEEEDaS13_S14_EUlS13_E_NS1_11comp_targetILNS1_3genE8ELNS1_11target_archE1030ELNS1_3gpuE2ELNS1_3repE0EEENS1_30default_config_static_selectorELNS0_4arch9wavefront6targetE0EEEvT1_,"axG",@progbits,_ZN7rocprim17ROCPRIM_400000_NS6detail17trampoline_kernelINS0_14default_configENS1_25partition_config_selectorILNS1_17partition_subalgoE9EyybEEZZNS1_14partition_implILS5_9ELb0ES3_jN6thrust23THRUST_200600_302600_NS6detail15normal_iteratorINS9_10device_ptrIyEEEESE_PNS0_10empty_typeENS0_5tupleIJSE_SF_EEENSH_IJSE_SG_EEENS0_18inequality_wrapperI22is_equal_div_10_uniqueIyEEEPmJSF_EEE10hipError_tPvRmT3_T4_T5_T6_T7_T9_mT8_P12ihipStream_tbDpT10_ENKUlT_T0_E_clISt17integral_constantIbLb1EES17_IbLb0EEEEDaS13_S14_EUlS13_E_NS1_11comp_targetILNS1_3genE8ELNS1_11target_archE1030ELNS1_3gpuE2ELNS1_3repE0EEENS1_30default_config_static_selectorELNS0_4arch9wavefront6targetE0EEEvT1_,comdat
.Lfunc_end200:
	.size	_ZN7rocprim17ROCPRIM_400000_NS6detail17trampoline_kernelINS0_14default_configENS1_25partition_config_selectorILNS1_17partition_subalgoE9EyybEEZZNS1_14partition_implILS5_9ELb0ES3_jN6thrust23THRUST_200600_302600_NS6detail15normal_iteratorINS9_10device_ptrIyEEEESE_PNS0_10empty_typeENS0_5tupleIJSE_SF_EEENSH_IJSE_SG_EEENS0_18inequality_wrapperI22is_equal_div_10_uniqueIyEEEPmJSF_EEE10hipError_tPvRmT3_T4_T5_T6_T7_T9_mT8_P12ihipStream_tbDpT10_ENKUlT_T0_E_clISt17integral_constantIbLb1EES17_IbLb0EEEEDaS13_S14_EUlS13_E_NS1_11comp_targetILNS1_3genE8ELNS1_11target_archE1030ELNS1_3gpuE2ELNS1_3repE0EEENS1_30default_config_static_selectorELNS0_4arch9wavefront6targetE0EEEvT1_, .Lfunc_end200-_ZN7rocprim17ROCPRIM_400000_NS6detail17trampoline_kernelINS0_14default_configENS1_25partition_config_selectorILNS1_17partition_subalgoE9EyybEEZZNS1_14partition_implILS5_9ELb0ES3_jN6thrust23THRUST_200600_302600_NS6detail15normal_iteratorINS9_10device_ptrIyEEEESE_PNS0_10empty_typeENS0_5tupleIJSE_SF_EEENSH_IJSE_SG_EEENS0_18inequality_wrapperI22is_equal_div_10_uniqueIyEEEPmJSF_EEE10hipError_tPvRmT3_T4_T5_T6_T7_T9_mT8_P12ihipStream_tbDpT10_ENKUlT_T0_E_clISt17integral_constantIbLb1EES17_IbLb0EEEEDaS13_S14_EUlS13_E_NS1_11comp_targetILNS1_3genE8ELNS1_11target_archE1030ELNS1_3gpuE2ELNS1_3repE0EEENS1_30default_config_static_selectorELNS0_4arch9wavefront6targetE0EEEvT1_
                                        ; -- End function
	.section	.AMDGPU.csdata,"",@progbits
; Kernel info:
; codeLenInByte = 0
; NumSgprs: 0
; NumVgprs: 0
; ScratchSize: 0
; MemoryBound: 0
; FloatMode: 240
; IeeeMode: 1
; LDSByteSize: 0 bytes/workgroup (compile time only)
; SGPRBlocks: 0
; VGPRBlocks: 0
; NumSGPRsForWavesPerEU: 1
; NumVGPRsForWavesPerEU: 1
; Occupancy: 16
; WaveLimiterHint : 0
; COMPUTE_PGM_RSRC2:SCRATCH_EN: 0
; COMPUTE_PGM_RSRC2:USER_SGPR: 15
; COMPUTE_PGM_RSRC2:TRAP_HANDLER: 0
; COMPUTE_PGM_RSRC2:TGID_X_EN: 1
; COMPUTE_PGM_RSRC2:TGID_Y_EN: 0
; COMPUTE_PGM_RSRC2:TGID_Z_EN: 0
; COMPUTE_PGM_RSRC2:TIDIG_COMP_CNT: 0
	.section	.text._ZN7rocprim17ROCPRIM_400000_NS6detail17trampoline_kernelINS0_14default_configENS1_25partition_config_selectorILNS1_17partition_subalgoE9EyybEEZZNS1_14partition_implILS5_9ELb0ES3_jN6thrust23THRUST_200600_302600_NS6detail15normal_iteratorINS9_10device_ptrIyEEEESE_PNS0_10empty_typeENS0_5tupleIJSE_SF_EEENSH_IJSE_SG_EEENS0_18inequality_wrapperI22is_equal_div_10_uniqueIyEEEPmJSF_EEE10hipError_tPvRmT3_T4_T5_T6_T7_T9_mT8_P12ihipStream_tbDpT10_ENKUlT_T0_E_clISt17integral_constantIbLb0EES17_IbLb1EEEEDaS13_S14_EUlS13_E_NS1_11comp_targetILNS1_3genE0ELNS1_11target_archE4294967295ELNS1_3gpuE0ELNS1_3repE0EEENS1_30default_config_static_selectorELNS0_4arch9wavefront6targetE0EEEvT1_,"axG",@progbits,_ZN7rocprim17ROCPRIM_400000_NS6detail17trampoline_kernelINS0_14default_configENS1_25partition_config_selectorILNS1_17partition_subalgoE9EyybEEZZNS1_14partition_implILS5_9ELb0ES3_jN6thrust23THRUST_200600_302600_NS6detail15normal_iteratorINS9_10device_ptrIyEEEESE_PNS0_10empty_typeENS0_5tupleIJSE_SF_EEENSH_IJSE_SG_EEENS0_18inequality_wrapperI22is_equal_div_10_uniqueIyEEEPmJSF_EEE10hipError_tPvRmT3_T4_T5_T6_T7_T9_mT8_P12ihipStream_tbDpT10_ENKUlT_T0_E_clISt17integral_constantIbLb0EES17_IbLb1EEEEDaS13_S14_EUlS13_E_NS1_11comp_targetILNS1_3genE0ELNS1_11target_archE4294967295ELNS1_3gpuE0ELNS1_3repE0EEENS1_30default_config_static_selectorELNS0_4arch9wavefront6targetE0EEEvT1_,comdat
	.protected	_ZN7rocprim17ROCPRIM_400000_NS6detail17trampoline_kernelINS0_14default_configENS1_25partition_config_selectorILNS1_17partition_subalgoE9EyybEEZZNS1_14partition_implILS5_9ELb0ES3_jN6thrust23THRUST_200600_302600_NS6detail15normal_iteratorINS9_10device_ptrIyEEEESE_PNS0_10empty_typeENS0_5tupleIJSE_SF_EEENSH_IJSE_SG_EEENS0_18inequality_wrapperI22is_equal_div_10_uniqueIyEEEPmJSF_EEE10hipError_tPvRmT3_T4_T5_T6_T7_T9_mT8_P12ihipStream_tbDpT10_ENKUlT_T0_E_clISt17integral_constantIbLb0EES17_IbLb1EEEEDaS13_S14_EUlS13_E_NS1_11comp_targetILNS1_3genE0ELNS1_11target_archE4294967295ELNS1_3gpuE0ELNS1_3repE0EEENS1_30default_config_static_selectorELNS0_4arch9wavefront6targetE0EEEvT1_ ; -- Begin function _ZN7rocprim17ROCPRIM_400000_NS6detail17trampoline_kernelINS0_14default_configENS1_25partition_config_selectorILNS1_17partition_subalgoE9EyybEEZZNS1_14partition_implILS5_9ELb0ES3_jN6thrust23THRUST_200600_302600_NS6detail15normal_iteratorINS9_10device_ptrIyEEEESE_PNS0_10empty_typeENS0_5tupleIJSE_SF_EEENSH_IJSE_SG_EEENS0_18inequality_wrapperI22is_equal_div_10_uniqueIyEEEPmJSF_EEE10hipError_tPvRmT3_T4_T5_T6_T7_T9_mT8_P12ihipStream_tbDpT10_ENKUlT_T0_E_clISt17integral_constantIbLb0EES17_IbLb1EEEEDaS13_S14_EUlS13_E_NS1_11comp_targetILNS1_3genE0ELNS1_11target_archE4294967295ELNS1_3gpuE0ELNS1_3repE0EEENS1_30default_config_static_selectorELNS0_4arch9wavefront6targetE0EEEvT1_
	.globl	_ZN7rocprim17ROCPRIM_400000_NS6detail17trampoline_kernelINS0_14default_configENS1_25partition_config_selectorILNS1_17partition_subalgoE9EyybEEZZNS1_14partition_implILS5_9ELb0ES3_jN6thrust23THRUST_200600_302600_NS6detail15normal_iteratorINS9_10device_ptrIyEEEESE_PNS0_10empty_typeENS0_5tupleIJSE_SF_EEENSH_IJSE_SG_EEENS0_18inequality_wrapperI22is_equal_div_10_uniqueIyEEEPmJSF_EEE10hipError_tPvRmT3_T4_T5_T6_T7_T9_mT8_P12ihipStream_tbDpT10_ENKUlT_T0_E_clISt17integral_constantIbLb0EES17_IbLb1EEEEDaS13_S14_EUlS13_E_NS1_11comp_targetILNS1_3genE0ELNS1_11target_archE4294967295ELNS1_3gpuE0ELNS1_3repE0EEENS1_30default_config_static_selectorELNS0_4arch9wavefront6targetE0EEEvT1_
	.p2align	8
	.type	_ZN7rocprim17ROCPRIM_400000_NS6detail17trampoline_kernelINS0_14default_configENS1_25partition_config_selectorILNS1_17partition_subalgoE9EyybEEZZNS1_14partition_implILS5_9ELb0ES3_jN6thrust23THRUST_200600_302600_NS6detail15normal_iteratorINS9_10device_ptrIyEEEESE_PNS0_10empty_typeENS0_5tupleIJSE_SF_EEENSH_IJSE_SG_EEENS0_18inequality_wrapperI22is_equal_div_10_uniqueIyEEEPmJSF_EEE10hipError_tPvRmT3_T4_T5_T6_T7_T9_mT8_P12ihipStream_tbDpT10_ENKUlT_T0_E_clISt17integral_constantIbLb0EES17_IbLb1EEEEDaS13_S14_EUlS13_E_NS1_11comp_targetILNS1_3genE0ELNS1_11target_archE4294967295ELNS1_3gpuE0ELNS1_3repE0EEENS1_30default_config_static_selectorELNS0_4arch9wavefront6targetE0EEEvT1_,@function
_ZN7rocprim17ROCPRIM_400000_NS6detail17trampoline_kernelINS0_14default_configENS1_25partition_config_selectorILNS1_17partition_subalgoE9EyybEEZZNS1_14partition_implILS5_9ELb0ES3_jN6thrust23THRUST_200600_302600_NS6detail15normal_iteratorINS9_10device_ptrIyEEEESE_PNS0_10empty_typeENS0_5tupleIJSE_SF_EEENSH_IJSE_SG_EEENS0_18inequality_wrapperI22is_equal_div_10_uniqueIyEEEPmJSF_EEE10hipError_tPvRmT3_T4_T5_T6_T7_T9_mT8_P12ihipStream_tbDpT10_ENKUlT_T0_E_clISt17integral_constantIbLb0EES17_IbLb1EEEEDaS13_S14_EUlS13_E_NS1_11comp_targetILNS1_3genE0ELNS1_11target_archE4294967295ELNS1_3gpuE0ELNS1_3repE0EEENS1_30default_config_static_selectorELNS0_4arch9wavefront6targetE0EEEvT1_: ; @_ZN7rocprim17ROCPRIM_400000_NS6detail17trampoline_kernelINS0_14default_configENS1_25partition_config_selectorILNS1_17partition_subalgoE9EyybEEZZNS1_14partition_implILS5_9ELb0ES3_jN6thrust23THRUST_200600_302600_NS6detail15normal_iteratorINS9_10device_ptrIyEEEESE_PNS0_10empty_typeENS0_5tupleIJSE_SF_EEENSH_IJSE_SG_EEENS0_18inequality_wrapperI22is_equal_div_10_uniqueIyEEEPmJSF_EEE10hipError_tPvRmT3_T4_T5_T6_T7_T9_mT8_P12ihipStream_tbDpT10_ENKUlT_T0_E_clISt17integral_constantIbLb0EES17_IbLb1EEEEDaS13_S14_EUlS13_E_NS1_11comp_targetILNS1_3genE0ELNS1_11target_archE4294967295ELNS1_3gpuE0ELNS1_3repE0EEENS1_30default_config_static_selectorELNS0_4arch9wavefront6targetE0EEEvT1_
; %bb.0:
	.section	.rodata,"a",@progbits
	.p2align	6, 0x0
	.amdhsa_kernel _ZN7rocprim17ROCPRIM_400000_NS6detail17trampoline_kernelINS0_14default_configENS1_25partition_config_selectorILNS1_17partition_subalgoE9EyybEEZZNS1_14partition_implILS5_9ELb0ES3_jN6thrust23THRUST_200600_302600_NS6detail15normal_iteratorINS9_10device_ptrIyEEEESE_PNS0_10empty_typeENS0_5tupleIJSE_SF_EEENSH_IJSE_SG_EEENS0_18inequality_wrapperI22is_equal_div_10_uniqueIyEEEPmJSF_EEE10hipError_tPvRmT3_T4_T5_T6_T7_T9_mT8_P12ihipStream_tbDpT10_ENKUlT_T0_E_clISt17integral_constantIbLb0EES17_IbLb1EEEEDaS13_S14_EUlS13_E_NS1_11comp_targetILNS1_3genE0ELNS1_11target_archE4294967295ELNS1_3gpuE0ELNS1_3repE0EEENS1_30default_config_static_selectorELNS0_4arch9wavefront6targetE0EEEvT1_
		.amdhsa_group_segment_fixed_size 0
		.amdhsa_private_segment_fixed_size 0
		.amdhsa_kernarg_size 128
		.amdhsa_user_sgpr_count 15
		.amdhsa_user_sgpr_dispatch_ptr 0
		.amdhsa_user_sgpr_queue_ptr 0
		.amdhsa_user_sgpr_kernarg_segment_ptr 1
		.amdhsa_user_sgpr_dispatch_id 0
		.amdhsa_user_sgpr_private_segment_size 0
		.amdhsa_wavefront_size32 1
		.amdhsa_uses_dynamic_stack 0
		.amdhsa_enable_private_segment 0
		.amdhsa_system_sgpr_workgroup_id_x 1
		.amdhsa_system_sgpr_workgroup_id_y 0
		.amdhsa_system_sgpr_workgroup_id_z 0
		.amdhsa_system_sgpr_workgroup_info 0
		.amdhsa_system_vgpr_workitem_id 0
		.amdhsa_next_free_vgpr 1
		.amdhsa_next_free_sgpr 1
		.amdhsa_reserve_vcc 0
		.amdhsa_float_round_mode_32 0
		.amdhsa_float_round_mode_16_64 0
		.amdhsa_float_denorm_mode_32 3
		.amdhsa_float_denorm_mode_16_64 3
		.amdhsa_dx10_clamp 1
		.amdhsa_ieee_mode 1
		.amdhsa_fp16_overflow 0
		.amdhsa_workgroup_processor_mode 1
		.amdhsa_memory_ordered 1
		.amdhsa_forward_progress 0
		.amdhsa_shared_vgpr_count 0
		.amdhsa_exception_fp_ieee_invalid_op 0
		.amdhsa_exception_fp_denorm_src 0
		.amdhsa_exception_fp_ieee_div_zero 0
		.amdhsa_exception_fp_ieee_overflow 0
		.amdhsa_exception_fp_ieee_underflow 0
		.amdhsa_exception_fp_ieee_inexact 0
		.amdhsa_exception_int_div_zero 0
	.end_amdhsa_kernel
	.section	.text._ZN7rocprim17ROCPRIM_400000_NS6detail17trampoline_kernelINS0_14default_configENS1_25partition_config_selectorILNS1_17partition_subalgoE9EyybEEZZNS1_14partition_implILS5_9ELb0ES3_jN6thrust23THRUST_200600_302600_NS6detail15normal_iteratorINS9_10device_ptrIyEEEESE_PNS0_10empty_typeENS0_5tupleIJSE_SF_EEENSH_IJSE_SG_EEENS0_18inequality_wrapperI22is_equal_div_10_uniqueIyEEEPmJSF_EEE10hipError_tPvRmT3_T4_T5_T6_T7_T9_mT8_P12ihipStream_tbDpT10_ENKUlT_T0_E_clISt17integral_constantIbLb0EES17_IbLb1EEEEDaS13_S14_EUlS13_E_NS1_11comp_targetILNS1_3genE0ELNS1_11target_archE4294967295ELNS1_3gpuE0ELNS1_3repE0EEENS1_30default_config_static_selectorELNS0_4arch9wavefront6targetE0EEEvT1_,"axG",@progbits,_ZN7rocprim17ROCPRIM_400000_NS6detail17trampoline_kernelINS0_14default_configENS1_25partition_config_selectorILNS1_17partition_subalgoE9EyybEEZZNS1_14partition_implILS5_9ELb0ES3_jN6thrust23THRUST_200600_302600_NS6detail15normal_iteratorINS9_10device_ptrIyEEEESE_PNS0_10empty_typeENS0_5tupleIJSE_SF_EEENSH_IJSE_SG_EEENS0_18inequality_wrapperI22is_equal_div_10_uniqueIyEEEPmJSF_EEE10hipError_tPvRmT3_T4_T5_T6_T7_T9_mT8_P12ihipStream_tbDpT10_ENKUlT_T0_E_clISt17integral_constantIbLb0EES17_IbLb1EEEEDaS13_S14_EUlS13_E_NS1_11comp_targetILNS1_3genE0ELNS1_11target_archE4294967295ELNS1_3gpuE0ELNS1_3repE0EEENS1_30default_config_static_selectorELNS0_4arch9wavefront6targetE0EEEvT1_,comdat
.Lfunc_end201:
	.size	_ZN7rocprim17ROCPRIM_400000_NS6detail17trampoline_kernelINS0_14default_configENS1_25partition_config_selectorILNS1_17partition_subalgoE9EyybEEZZNS1_14partition_implILS5_9ELb0ES3_jN6thrust23THRUST_200600_302600_NS6detail15normal_iteratorINS9_10device_ptrIyEEEESE_PNS0_10empty_typeENS0_5tupleIJSE_SF_EEENSH_IJSE_SG_EEENS0_18inequality_wrapperI22is_equal_div_10_uniqueIyEEEPmJSF_EEE10hipError_tPvRmT3_T4_T5_T6_T7_T9_mT8_P12ihipStream_tbDpT10_ENKUlT_T0_E_clISt17integral_constantIbLb0EES17_IbLb1EEEEDaS13_S14_EUlS13_E_NS1_11comp_targetILNS1_3genE0ELNS1_11target_archE4294967295ELNS1_3gpuE0ELNS1_3repE0EEENS1_30default_config_static_selectorELNS0_4arch9wavefront6targetE0EEEvT1_, .Lfunc_end201-_ZN7rocprim17ROCPRIM_400000_NS6detail17trampoline_kernelINS0_14default_configENS1_25partition_config_selectorILNS1_17partition_subalgoE9EyybEEZZNS1_14partition_implILS5_9ELb0ES3_jN6thrust23THRUST_200600_302600_NS6detail15normal_iteratorINS9_10device_ptrIyEEEESE_PNS0_10empty_typeENS0_5tupleIJSE_SF_EEENSH_IJSE_SG_EEENS0_18inequality_wrapperI22is_equal_div_10_uniqueIyEEEPmJSF_EEE10hipError_tPvRmT3_T4_T5_T6_T7_T9_mT8_P12ihipStream_tbDpT10_ENKUlT_T0_E_clISt17integral_constantIbLb0EES17_IbLb1EEEEDaS13_S14_EUlS13_E_NS1_11comp_targetILNS1_3genE0ELNS1_11target_archE4294967295ELNS1_3gpuE0ELNS1_3repE0EEENS1_30default_config_static_selectorELNS0_4arch9wavefront6targetE0EEEvT1_
                                        ; -- End function
	.section	.AMDGPU.csdata,"",@progbits
; Kernel info:
; codeLenInByte = 0
; NumSgprs: 0
; NumVgprs: 0
; ScratchSize: 0
; MemoryBound: 0
; FloatMode: 240
; IeeeMode: 1
; LDSByteSize: 0 bytes/workgroup (compile time only)
; SGPRBlocks: 0
; VGPRBlocks: 0
; NumSGPRsForWavesPerEU: 1
; NumVGPRsForWavesPerEU: 1
; Occupancy: 16
; WaveLimiterHint : 0
; COMPUTE_PGM_RSRC2:SCRATCH_EN: 0
; COMPUTE_PGM_RSRC2:USER_SGPR: 15
; COMPUTE_PGM_RSRC2:TRAP_HANDLER: 0
; COMPUTE_PGM_RSRC2:TGID_X_EN: 1
; COMPUTE_PGM_RSRC2:TGID_Y_EN: 0
; COMPUTE_PGM_RSRC2:TGID_Z_EN: 0
; COMPUTE_PGM_RSRC2:TIDIG_COMP_CNT: 0
	.section	.text._ZN7rocprim17ROCPRIM_400000_NS6detail17trampoline_kernelINS0_14default_configENS1_25partition_config_selectorILNS1_17partition_subalgoE9EyybEEZZNS1_14partition_implILS5_9ELb0ES3_jN6thrust23THRUST_200600_302600_NS6detail15normal_iteratorINS9_10device_ptrIyEEEESE_PNS0_10empty_typeENS0_5tupleIJSE_SF_EEENSH_IJSE_SG_EEENS0_18inequality_wrapperI22is_equal_div_10_uniqueIyEEEPmJSF_EEE10hipError_tPvRmT3_T4_T5_T6_T7_T9_mT8_P12ihipStream_tbDpT10_ENKUlT_T0_E_clISt17integral_constantIbLb0EES17_IbLb1EEEEDaS13_S14_EUlS13_E_NS1_11comp_targetILNS1_3genE5ELNS1_11target_archE942ELNS1_3gpuE9ELNS1_3repE0EEENS1_30default_config_static_selectorELNS0_4arch9wavefront6targetE0EEEvT1_,"axG",@progbits,_ZN7rocprim17ROCPRIM_400000_NS6detail17trampoline_kernelINS0_14default_configENS1_25partition_config_selectorILNS1_17partition_subalgoE9EyybEEZZNS1_14partition_implILS5_9ELb0ES3_jN6thrust23THRUST_200600_302600_NS6detail15normal_iteratorINS9_10device_ptrIyEEEESE_PNS0_10empty_typeENS0_5tupleIJSE_SF_EEENSH_IJSE_SG_EEENS0_18inequality_wrapperI22is_equal_div_10_uniqueIyEEEPmJSF_EEE10hipError_tPvRmT3_T4_T5_T6_T7_T9_mT8_P12ihipStream_tbDpT10_ENKUlT_T0_E_clISt17integral_constantIbLb0EES17_IbLb1EEEEDaS13_S14_EUlS13_E_NS1_11comp_targetILNS1_3genE5ELNS1_11target_archE942ELNS1_3gpuE9ELNS1_3repE0EEENS1_30default_config_static_selectorELNS0_4arch9wavefront6targetE0EEEvT1_,comdat
	.protected	_ZN7rocprim17ROCPRIM_400000_NS6detail17trampoline_kernelINS0_14default_configENS1_25partition_config_selectorILNS1_17partition_subalgoE9EyybEEZZNS1_14partition_implILS5_9ELb0ES3_jN6thrust23THRUST_200600_302600_NS6detail15normal_iteratorINS9_10device_ptrIyEEEESE_PNS0_10empty_typeENS0_5tupleIJSE_SF_EEENSH_IJSE_SG_EEENS0_18inequality_wrapperI22is_equal_div_10_uniqueIyEEEPmJSF_EEE10hipError_tPvRmT3_T4_T5_T6_T7_T9_mT8_P12ihipStream_tbDpT10_ENKUlT_T0_E_clISt17integral_constantIbLb0EES17_IbLb1EEEEDaS13_S14_EUlS13_E_NS1_11comp_targetILNS1_3genE5ELNS1_11target_archE942ELNS1_3gpuE9ELNS1_3repE0EEENS1_30default_config_static_selectorELNS0_4arch9wavefront6targetE0EEEvT1_ ; -- Begin function _ZN7rocprim17ROCPRIM_400000_NS6detail17trampoline_kernelINS0_14default_configENS1_25partition_config_selectorILNS1_17partition_subalgoE9EyybEEZZNS1_14partition_implILS5_9ELb0ES3_jN6thrust23THRUST_200600_302600_NS6detail15normal_iteratorINS9_10device_ptrIyEEEESE_PNS0_10empty_typeENS0_5tupleIJSE_SF_EEENSH_IJSE_SG_EEENS0_18inequality_wrapperI22is_equal_div_10_uniqueIyEEEPmJSF_EEE10hipError_tPvRmT3_T4_T5_T6_T7_T9_mT8_P12ihipStream_tbDpT10_ENKUlT_T0_E_clISt17integral_constantIbLb0EES17_IbLb1EEEEDaS13_S14_EUlS13_E_NS1_11comp_targetILNS1_3genE5ELNS1_11target_archE942ELNS1_3gpuE9ELNS1_3repE0EEENS1_30default_config_static_selectorELNS0_4arch9wavefront6targetE0EEEvT1_
	.globl	_ZN7rocprim17ROCPRIM_400000_NS6detail17trampoline_kernelINS0_14default_configENS1_25partition_config_selectorILNS1_17partition_subalgoE9EyybEEZZNS1_14partition_implILS5_9ELb0ES3_jN6thrust23THRUST_200600_302600_NS6detail15normal_iteratorINS9_10device_ptrIyEEEESE_PNS0_10empty_typeENS0_5tupleIJSE_SF_EEENSH_IJSE_SG_EEENS0_18inequality_wrapperI22is_equal_div_10_uniqueIyEEEPmJSF_EEE10hipError_tPvRmT3_T4_T5_T6_T7_T9_mT8_P12ihipStream_tbDpT10_ENKUlT_T0_E_clISt17integral_constantIbLb0EES17_IbLb1EEEEDaS13_S14_EUlS13_E_NS1_11comp_targetILNS1_3genE5ELNS1_11target_archE942ELNS1_3gpuE9ELNS1_3repE0EEENS1_30default_config_static_selectorELNS0_4arch9wavefront6targetE0EEEvT1_
	.p2align	8
	.type	_ZN7rocprim17ROCPRIM_400000_NS6detail17trampoline_kernelINS0_14default_configENS1_25partition_config_selectorILNS1_17partition_subalgoE9EyybEEZZNS1_14partition_implILS5_9ELb0ES3_jN6thrust23THRUST_200600_302600_NS6detail15normal_iteratorINS9_10device_ptrIyEEEESE_PNS0_10empty_typeENS0_5tupleIJSE_SF_EEENSH_IJSE_SG_EEENS0_18inequality_wrapperI22is_equal_div_10_uniqueIyEEEPmJSF_EEE10hipError_tPvRmT3_T4_T5_T6_T7_T9_mT8_P12ihipStream_tbDpT10_ENKUlT_T0_E_clISt17integral_constantIbLb0EES17_IbLb1EEEEDaS13_S14_EUlS13_E_NS1_11comp_targetILNS1_3genE5ELNS1_11target_archE942ELNS1_3gpuE9ELNS1_3repE0EEENS1_30default_config_static_selectorELNS0_4arch9wavefront6targetE0EEEvT1_,@function
_ZN7rocprim17ROCPRIM_400000_NS6detail17trampoline_kernelINS0_14default_configENS1_25partition_config_selectorILNS1_17partition_subalgoE9EyybEEZZNS1_14partition_implILS5_9ELb0ES3_jN6thrust23THRUST_200600_302600_NS6detail15normal_iteratorINS9_10device_ptrIyEEEESE_PNS0_10empty_typeENS0_5tupleIJSE_SF_EEENSH_IJSE_SG_EEENS0_18inequality_wrapperI22is_equal_div_10_uniqueIyEEEPmJSF_EEE10hipError_tPvRmT3_T4_T5_T6_T7_T9_mT8_P12ihipStream_tbDpT10_ENKUlT_T0_E_clISt17integral_constantIbLb0EES17_IbLb1EEEEDaS13_S14_EUlS13_E_NS1_11comp_targetILNS1_3genE5ELNS1_11target_archE942ELNS1_3gpuE9ELNS1_3repE0EEENS1_30default_config_static_selectorELNS0_4arch9wavefront6targetE0EEEvT1_: ; @_ZN7rocprim17ROCPRIM_400000_NS6detail17trampoline_kernelINS0_14default_configENS1_25partition_config_selectorILNS1_17partition_subalgoE9EyybEEZZNS1_14partition_implILS5_9ELb0ES3_jN6thrust23THRUST_200600_302600_NS6detail15normal_iteratorINS9_10device_ptrIyEEEESE_PNS0_10empty_typeENS0_5tupleIJSE_SF_EEENSH_IJSE_SG_EEENS0_18inequality_wrapperI22is_equal_div_10_uniqueIyEEEPmJSF_EEE10hipError_tPvRmT3_T4_T5_T6_T7_T9_mT8_P12ihipStream_tbDpT10_ENKUlT_T0_E_clISt17integral_constantIbLb0EES17_IbLb1EEEEDaS13_S14_EUlS13_E_NS1_11comp_targetILNS1_3genE5ELNS1_11target_archE942ELNS1_3gpuE9ELNS1_3repE0EEENS1_30default_config_static_selectorELNS0_4arch9wavefront6targetE0EEEvT1_
; %bb.0:
	.section	.rodata,"a",@progbits
	.p2align	6, 0x0
	.amdhsa_kernel _ZN7rocprim17ROCPRIM_400000_NS6detail17trampoline_kernelINS0_14default_configENS1_25partition_config_selectorILNS1_17partition_subalgoE9EyybEEZZNS1_14partition_implILS5_9ELb0ES3_jN6thrust23THRUST_200600_302600_NS6detail15normal_iteratorINS9_10device_ptrIyEEEESE_PNS0_10empty_typeENS0_5tupleIJSE_SF_EEENSH_IJSE_SG_EEENS0_18inequality_wrapperI22is_equal_div_10_uniqueIyEEEPmJSF_EEE10hipError_tPvRmT3_T4_T5_T6_T7_T9_mT8_P12ihipStream_tbDpT10_ENKUlT_T0_E_clISt17integral_constantIbLb0EES17_IbLb1EEEEDaS13_S14_EUlS13_E_NS1_11comp_targetILNS1_3genE5ELNS1_11target_archE942ELNS1_3gpuE9ELNS1_3repE0EEENS1_30default_config_static_selectorELNS0_4arch9wavefront6targetE0EEEvT1_
		.amdhsa_group_segment_fixed_size 0
		.amdhsa_private_segment_fixed_size 0
		.amdhsa_kernarg_size 128
		.amdhsa_user_sgpr_count 15
		.amdhsa_user_sgpr_dispatch_ptr 0
		.amdhsa_user_sgpr_queue_ptr 0
		.amdhsa_user_sgpr_kernarg_segment_ptr 1
		.amdhsa_user_sgpr_dispatch_id 0
		.amdhsa_user_sgpr_private_segment_size 0
		.amdhsa_wavefront_size32 1
		.amdhsa_uses_dynamic_stack 0
		.amdhsa_enable_private_segment 0
		.amdhsa_system_sgpr_workgroup_id_x 1
		.amdhsa_system_sgpr_workgroup_id_y 0
		.amdhsa_system_sgpr_workgroup_id_z 0
		.amdhsa_system_sgpr_workgroup_info 0
		.amdhsa_system_vgpr_workitem_id 0
		.amdhsa_next_free_vgpr 1
		.amdhsa_next_free_sgpr 1
		.amdhsa_reserve_vcc 0
		.amdhsa_float_round_mode_32 0
		.amdhsa_float_round_mode_16_64 0
		.amdhsa_float_denorm_mode_32 3
		.amdhsa_float_denorm_mode_16_64 3
		.amdhsa_dx10_clamp 1
		.amdhsa_ieee_mode 1
		.amdhsa_fp16_overflow 0
		.amdhsa_workgroup_processor_mode 1
		.amdhsa_memory_ordered 1
		.amdhsa_forward_progress 0
		.amdhsa_shared_vgpr_count 0
		.amdhsa_exception_fp_ieee_invalid_op 0
		.amdhsa_exception_fp_denorm_src 0
		.amdhsa_exception_fp_ieee_div_zero 0
		.amdhsa_exception_fp_ieee_overflow 0
		.amdhsa_exception_fp_ieee_underflow 0
		.amdhsa_exception_fp_ieee_inexact 0
		.amdhsa_exception_int_div_zero 0
	.end_amdhsa_kernel
	.section	.text._ZN7rocprim17ROCPRIM_400000_NS6detail17trampoline_kernelINS0_14default_configENS1_25partition_config_selectorILNS1_17partition_subalgoE9EyybEEZZNS1_14partition_implILS5_9ELb0ES3_jN6thrust23THRUST_200600_302600_NS6detail15normal_iteratorINS9_10device_ptrIyEEEESE_PNS0_10empty_typeENS0_5tupleIJSE_SF_EEENSH_IJSE_SG_EEENS0_18inequality_wrapperI22is_equal_div_10_uniqueIyEEEPmJSF_EEE10hipError_tPvRmT3_T4_T5_T6_T7_T9_mT8_P12ihipStream_tbDpT10_ENKUlT_T0_E_clISt17integral_constantIbLb0EES17_IbLb1EEEEDaS13_S14_EUlS13_E_NS1_11comp_targetILNS1_3genE5ELNS1_11target_archE942ELNS1_3gpuE9ELNS1_3repE0EEENS1_30default_config_static_selectorELNS0_4arch9wavefront6targetE0EEEvT1_,"axG",@progbits,_ZN7rocprim17ROCPRIM_400000_NS6detail17trampoline_kernelINS0_14default_configENS1_25partition_config_selectorILNS1_17partition_subalgoE9EyybEEZZNS1_14partition_implILS5_9ELb0ES3_jN6thrust23THRUST_200600_302600_NS6detail15normal_iteratorINS9_10device_ptrIyEEEESE_PNS0_10empty_typeENS0_5tupleIJSE_SF_EEENSH_IJSE_SG_EEENS0_18inequality_wrapperI22is_equal_div_10_uniqueIyEEEPmJSF_EEE10hipError_tPvRmT3_T4_T5_T6_T7_T9_mT8_P12ihipStream_tbDpT10_ENKUlT_T0_E_clISt17integral_constantIbLb0EES17_IbLb1EEEEDaS13_S14_EUlS13_E_NS1_11comp_targetILNS1_3genE5ELNS1_11target_archE942ELNS1_3gpuE9ELNS1_3repE0EEENS1_30default_config_static_selectorELNS0_4arch9wavefront6targetE0EEEvT1_,comdat
.Lfunc_end202:
	.size	_ZN7rocprim17ROCPRIM_400000_NS6detail17trampoline_kernelINS0_14default_configENS1_25partition_config_selectorILNS1_17partition_subalgoE9EyybEEZZNS1_14partition_implILS5_9ELb0ES3_jN6thrust23THRUST_200600_302600_NS6detail15normal_iteratorINS9_10device_ptrIyEEEESE_PNS0_10empty_typeENS0_5tupleIJSE_SF_EEENSH_IJSE_SG_EEENS0_18inequality_wrapperI22is_equal_div_10_uniqueIyEEEPmJSF_EEE10hipError_tPvRmT3_T4_T5_T6_T7_T9_mT8_P12ihipStream_tbDpT10_ENKUlT_T0_E_clISt17integral_constantIbLb0EES17_IbLb1EEEEDaS13_S14_EUlS13_E_NS1_11comp_targetILNS1_3genE5ELNS1_11target_archE942ELNS1_3gpuE9ELNS1_3repE0EEENS1_30default_config_static_selectorELNS0_4arch9wavefront6targetE0EEEvT1_, .Lfunc_end202-_ZN7rocprim17ROCPRIM_400000_NS6detail17trampoline_kernelINS0_14default_configENS1_25partition_config_selectorILNS1_17partition_subalgoE9EyybEEZZNS1_14partition_implILS5_9ELb0ES3_jN6thrust23THRUST_200600_302600_NS6detail15normal_iteratorINS9_10device_ptrIyEEEESE_PNS0_10empty_typeENS0_5tupleIJSE_SF_EEENSH_IJSE_SG_EEENS0_18inequality_wrapperI22is_equal_div_10_uniqueIyEEEPmJSF_EEE10hipError_tPvRmT3_T4_T5_T6_T7_T9_mT8_P12ihipStream_tbDpT10_ENKUlT_T0_E_clISt17integral_constantIbLb0EES17_IbLb1EEEEDaS13_S14_EUlS13_E_NS1_11comp_targetILNS1_3genE5ELNS1_11target_archE942ELNS1_3gpuE9ELNS1_3repE0EEENS1_30default_config_static_selectorELNS0_4arch9wavefront6targetE0EEEvT1_
                                        ; -- End function
	.section	.AMDGPU.csdata,"",@progbits
; Kernel info:
; codeLenInByte = 0
; NumSgprs: 0
; NumVgprs: 0
; ScratchSize: 0
; MemoryBound: 0
; FloatMode: 240
; IeeeMode: 1
; LDSByteSize: 0 bytes/workgroup (compile time only)
; SGPRBlocks: 0
; VGPRBlocks: 0
; NumSGPRsForWavesPerEU: 1
; NumVGPRsForWavesPerEU: 1
; Occupancy: 16
; WaveLimiterHint : 0
; COMPUTE_PGM_RSRC2:SCRATCH_EN: 0
; COMPUTE_PGM_RSRC2:USER_SGPR: 15
; COMPUTE_PGM_RSRC2:TRAP_HANDLER: 0
; COMPUTE_PGM_RSRC2:TGID_X_EN: 1
; COMPUTE_PGM_RSRC2:TGID_Y_EN: 0
; COMPUTE_PGM_RSRC2:TGID_Z_EN: 0
; COMPUTE_PGM_RSRC2:TIDIG_COMP_CNT: 0
	.section	.text._ZN7rocprim17ROCPRIM_400000_NS6detail17trampoline_kernelINS0_14default_configENS1_25partition_config_selectorILNS1_17partition_subalgoE9EyybEEZZNS1_14partition_implILS5_9ELb0ES3_jN6thrust23THRUST_200600_302600_NS6detail15normal_iteratorINS9_10device_ptrIyEEEESE_PNS0_10empty_typeENS0_5tupleIJSE_SF_EEENSH_IJSE_SG_EEENS0_18inequality_wrapperI22is_equal_div_10_uniqueIyEEEPmJSF_EEE10hipError_tPvRmT3_T4_T5_T6_T7_T9_mT8_P12ihipStream_tbDpT10_ENKUlT_T0_E_clISt17integral_constantIbLb0EES17_IbLb1EEEEDaS13_S14_EUlS13_E_NS1_11comp_targetILNS1_3genE4ELNS1_11target_archE910ELNS1_3gpuE8ELNS1_3repE0EEENS1_30default_config_static_selectorELNS0_4arch9wavefront6targetE0EEEvT1_,"axG",@progbits,_ZN7rocprim17ROCPRIM_400000_NS6detail17trampoline_kernelINS0_14default_configENS1_25partition_config_selectorILNS1_17partition_subalgoE9EyybEEZZNS1_14partition_implILS5_9ELb0ES3_jN6thrust23THRUST_200600_302600_NS6detail15normal_iteratorINS9_10device_ptrIyEEEESE_PNS0_10empty_typeENS0_5tupleIJSE_SF_EEENSH_IJSE_SG_EEENS0_18inequality_wrapperI22is_equal_div_10_uniqueIyEEEPmJSF_EEE10hipError_tPvRmT3_T4_T5_T6_T7_T9_mT8_P12ihipStream_tbDpT10_ENKUlT_T0_E_clISt17integral_constantIbLb0EES17_IbLb1EEEEDaS13_S14_EUlS13_E_NS1_11comp_targetILNS1_3genE4ELNS1_11target_archE910ELNS1_3gpuE8ELNS1_3repE0EEENS1_30default_config_static_selectorELNS0_4arch9wavefront6targetE0EEEvT1_,comdat
	.protected	_ZN7rocprim17ROCPRIM_400000_NS6detail17trampoline_kernelINS0_14default_configENS1_25partition_config_selectorILNS1_17partition_subalgoE9EyybEEZZNS1_14partition_implILS5_9ELb0ES3_jN6thrust23THRUST_200600_302600_NS6detail15normal_iteratorINS9_10device_ptrIyEEEESE_PNS0_10empty_typeENS0_5tupleIJSE_SF_EEENSH_IJSE_SG_EEENS0_18inequality_wrapperI22is_equal_div_10_uniqueIyEEEPmJSF_EEE10hipError_tPvRmT3_T4_T5_T6_T7_T9_mT8_P12ihipStream_tbDpT10_ENKUlT_T0_E_clISt17integral_constantIbLb0EES17_IbLb1EEEEDaS13_S14_EUlS13_E_NS1_11comp_targetILNS1_3genE4ELNS1_11target_archE910ELNS1_3gpuE8ELNS1_3repE0EEENS1_30default_config_static_selectorELNS0_4arch9wavefront6targetE0EEEvT1_ ; -- Begin function _ZN7rocprim17ROCPRIM_400000_NS6detail17trampoline_kernelINS0_14default_configENS1_25partition_config_selectorILNS1_17partition_subalgoE9EyybEEZZNS1_14partition_implILS5_9ELb0ES3_jN6thrust23THRUST_200600_302600_NS6detail15normal_iteratorINS9_10device_ptrIyEEEESE_PNS0_10empty_typeENS0_5tupleIJSE_SF_EEENSH_IJSE_SG_EEENS0_18inequality_wrapperI22is_equal_div_10_uniqueIyEEEPmJSF_EEE10hipError_tPvRmT3_T4_T5_T6_T7_T9_mT8_P12ihipStream_tbDpT10_ENKUlT_T0_E_clISt17integral_constantIbLb0EES17_IbLb1EEEEDaS13_S14_EUlS13_E_NS1_11comp_targetILNS1_3genE4ELNS1_11target_archE910ELNS1_3gpuE8ELNS1_3repE0EEENS1_30default_config_static_selectorELNS0_4arch9wavefront6targetE0EEEvT1_
	.globl	_ZN7rocprim17ROCPRIM_400000_NS6detail17trampoline_kernelINS0_14default_configENS1_25partition_config_selectorILNS1_17partition_subalgoE9EyybEEZZNS1_14partition_implILS5_9ELb0ES3_jN6thrust23THRUST_200600_302600_NS6detail15normal_iteratorINS9_10device_ptrIyEEEESE_PNS0_10empty_typeENS0_5tupleIJSE_SF_EEENSH_IJSE_SG_EEENS0_18inequality_wrapperI22is_equal_div_10_uniqueIyEEEPmJSF_EEE10hipError_tPvRmT3_T4_T5_T6_T7_T9_mT8_P12ihipStream_tbDpT10_ENKUlT_T0_E_clISt17integral_constantIbLb0EES17_IbLb1EEEEDaS13_S14_EUlS13_E_NS1_11comp_targetILNS1_3genE4ELNS1_11target_archE910ELNS1_3gpuE8ELNS1_3repE0EEENS1_30default_config_static_selectorELNS0_4arch9wavefront6targetE0EEEvT1_
	.p2align	8
	.type	_ZN7rocprim17ROCPRIM_400000_NS6detail17trampoline_kernelINS0_14default_configENS1_25partition_config_selectorILNS1_17partition_subalgoE9EyybEEZZNS1_14partition_implILS5_9ELb0ES3_jN6thrust23THRUST_200600_302600_NS6detail15normal_iteratorINS9_10device_ptrIyEEEESE_PNS0_10empty_typeENS0_5tupleIJSE_SF_EEENSH_IJSE_SG_EEENS0_18inequality_wrapperI22is_equal_div_10_uniqueIyEEEPmJSF_EEE10hipError_tPvRmT3_T4_T5_T6_T7_T9_mT8_P12ihipStream_tbDpT10_ENKUlT_T0_E_clISt17integral_constantIbLb0EES17_IbLb1EEEEDaS13_S14_EUlS13_E_NS1_11comp_targetILNS1_3genE4ELNS1_11target_archE910ELNS1_3gpuE8ELNS1_3repE0EEENS1_30default_config_static_selectorELNS0_4arch9wavefront6targetE0EEEvT1_,@function
_ZN7rocprim17ROCPRIM_400000_NS6detail17trampoline_kernelINS0_14default_configENS1_25partition_config_selectorILNS1_17partition_subalgoE9EyybEEZZNS1_14partition_implILS5_9ELb0ES3_jN6thrust23THRUST_200600_302600_NS6detail15normal_iteratorINS9_10device_ptrIyEEEESE_PNS0_10empty_typeENS0_5tupleIJSE_SF_EEENSH_IJSE_SG_EEENS0_18inequality_wrapperI22is_equal_div_10_uniqueIyEEEPmJSF_EEE10hipError_tPvRmT3_T4_T5_T6_T7_T9_mT8_P12ihipStream_tbDpT10_ENKUlT_T0_E_clISt17integral_constantIbLb0EES17_IbLb1EEEEDaS13_S14_EUlS13_E_NS1_11comp_targetILNS1_3genE4ELNS1_11target_archE910ELNS1_3gpuE8ELNS1_3repE0EEENS1_30default_config_static_selectorELNS0_4arch9wavefront6targetE0EEEvT1_: ; @_ZN7rocprim17ROCPRIM_400000_NS6detail17trampoline_kernelINS0_14default_configENS1_25partition_config_selectorILNS1_17partition_subalgoE9EyybEEZZNS1_14partition_implILS5_9ELb0ES3_jN6thrust23THRUST_200600_302600_NS6detail15normal_iteratorINS9_10device_ptrIyEEEESE_PNS0_10empty_typeENS0_5tupleIJSE_SF_EEENSH_IJSE_SG_EEENS0_18inequality_wrapperI22is_equal_div_10_uniqueIyEEEPmJSF_EEE10hipError_tPvRmT3_T4_T5_T6_T7_T9_mT8_P12ihipStream_tbDpT10_ENKUlT_T0_E_clISt17integral_constantIbLb0EES17_IbLb1EEEEDaS13_S14_EUlS13_E_NS1_11comp_targetILNS1_3genE4ELNS1_11target_archE910ELNS1_3gpuE8ELNS1_3repE0EEENS1_30default_config_static_selectorELNS0_4arch9wavefront6targetE0EEEvT1_
; %bb.0:
	.section	.rodata,"a",@progbits
	.p2align	6, 0x0
	.amdhsa_kernel _ZN7rocprim17ROCPRIM_400000_NS6detail17trampoline_kernelINS0_14default_configENS1_25partition_config_selectorILNS1_17partition_subalgoE9EyybEEZZNS1_14partition_implILS5_9ELb0ES3_jN6thrust23THRUST_200600_302600_NS6detail15normal_iteratorINS9_10device_ptrIyEEEESE_PNS0_10empty_typeENS0_5tupleIJSE_SF_EEENSH_IJSE_SG_EEENS0_18inequality_wrapperI22is_equal_div_10_uniqueIyEEEPmJSF_EEE10hipError_tPvRmT3_T4_T5_T6_T7_T9_mT8_P12ihipStream_tbDpT10_ENKUlT_T0_E_clISt17integral_constantIbLb0EES17_IbLb1EEEEDaS13_S14_EUlS13_E_NS1_11comp_targetILNS1_3genE4ELNS1_11target_archE910ELNS1_3gpuE8ELNS1_3repE0EEENS1_30default_config_static_selectorELNS0_4arch9wavefront6targetE0EEEvT1_
		.amdhsa_group_segment_fixed_size 0
		.amdhsa_private_segment_fixed_size 0
		.amdhsa_kernarg_size 128
		.amdhsa_user_sgpr_count 15
		.amdhsa_user_sgpr_dispatch_ptr 0
		.amdhsa_user_sgpr_queue_ptr 0
		.amdhsa_user_sgpr_kernarg_segment_ptr 1
		.amdhsa_user_sgpr_dispatch_id 0
		.amdhsa_user_sgpr_private_segment_size 0
		.amdhsa_wavefront_size32 1
		.amdhsa_uses_dynamic_stack 0
		.amdhsa_enable_private_segment 0
		.amdhsa_system_sgpr_workgroup_id_x 1
		.amdhsa_system_sgpr_workgroup_id_y 0
		.amdhsa_system_sgpr_workgroup_id_z 0
		.amdhsa_system_sgpr_workgroup_info 0
		.amdhsa_system_vgpr_workitem_id 0
		.amdhsa_next_free_vgpr 1
		.amdhsa_next_free_sgpr 1
		.amdhsa_reserve_vcc 0
		.amdhsa_float_round_mode_32 0
		.amdhsa_float_round_mode_16_64 0
		.amdhsa_float_denorm_mode_32 3
		.amdhsa_float_denorm_mode_16_64 3
		.amdhsa_dx10_clamp 1
		.amdhsa_ieee_mode 1
		.amdhsa_fp16_overflow 0
		.amdhsa_workgroup_processor_mode 1
		.amdhsa_memory_ordered 1
		.amdhsa_forward_progress 0
		.amdhsa_shared_vgpr_count 0
		.amdhsa_exception_fp_ieee_invalid_op 0
		.amdhsa_exception_fp_denorm_src 0
		.amdhsa_exception_fp_ieee_div_zero 0
		.amdhsa_exception_fp_ieee_overflow 0
		.amdhsa_exception_fp_ieee_underflow 0
		.amdhsa_exception_fp_ieee_inexact 0
		.amdhsa_exception_int_div_zero 0
	.end_amdhsa_kernel
	.section	.text._ZN7rocprim17ROCPRIM_400000_NS6detail17trampoline_kernelINS0_14default_configENS1_25partition_config_selectorILNS1_17partition_subalgoE9EyybEEZZNS1_14partition_implILS5_9ELb0ES3_jN6thrust23THRUST_200600_302600_NS6detail15normal_iteratorINS9_10device_ptrIyEEEESE_PNS0_10empty_typeENS0_5tupleIJSE_SF_EEENSH_IJSE_SG_EEENS0_18inequality_wrapperI22is_equal_div_10_uniqueIyEEEPmJSF_EEE10hipError_tPvRmT3_T4_T5_T6_T7_T9_mT8_P12ihipStream_tbDpT10_ENKUlT_T0_E_clISt17integral_constantIbLb0EES17_IbLb1EEEEDaS13_S14_EUlS13_E_NS1_11comp_targetILNS1_3genE4ELNS1_11target_archE910ELNS1_3gpuE8ELNS1_3repE0EEENS1_30default_config_static_selectorELNS0_4arch9wavefront6targetE0EEEvT1_,"axG",@progbits,_ZN7rocprim17ROCPRIM_400000_NS6detail17trampoline_kernelINS0_14default_configENS1_25partition_config_selectorILNS1_17partition_subalgoE9EyybEEZZNS1_14partition_implILS5_9ELb0ES3_jN6thrust23THRUST_200600_302600_NS6detail15normal_iteratorINS9_10device_ptrIyEEEESE_PNS0_10empty_typeENS0_5tupleIJSE_SF_EEENSH_IJSE_SG_EEENS0_18inequality_wrapperI22is_equal_div_10_uniqueIyEEEPmJSF_EEE10hipError_tPvRmT3_T4_T5_T6_T7_T9_mT8_P12ihipStream_tbDpT10_ENKUlT_T0_E_clISt17integral_constantIbLb0EES17_IbLb1EEEEDaS13_S14_EUlS13_E_NS1_11comp_targetILNS1_3genE4ELNS1_11target_archE910ELNS1_3gpuE8ELNS1_3repE0EEENS1_30default_config_static_selectorELNS0_4arch9wavefront6targetE0EEEvT1_,comdat
.Lfunc_end203:
	.size	_ZN7rocprim17ROCPRIM_400000_NS6detail17trampoline_kernelINS0_14default_configENS1_25partition_config_selectorILNS1_17partition_subalgoE9EyybEEZZNS1_14partition_implILS5_9ELb0ES3_jN6thrust23THRUST_200600_302600_NS6detail15normal_iteratorINS9_10device_ptrIyEEEESE_PNS0_10empty_typeENS0_5tupleIJSE_SF_EEENSH_IJSE_SG_EEENS0_18inequality_wrapperI22is_equal_div_10_uniqueIyEEEPmJSF_EEE10hipError_tPvRmT3_T4_T5_T6_T7_T9_mT8_P12ihipStream_tbDpT10_ENKUlT_T0_E_clISt17integral_constantIbLb0EES17_IbLb1EEEEDaS13_S14_EUlS13_E_NS1_11comp_targetILNS1_3genE4ELNS1_11target_archE910ELNS1_3gpuE8ELNS1_3repE0EEENS1_30default_config_static_selectorELNS0_4arch9wavefront6targetE0EEEvT1_, .Lfunc_end203-_ZN7rocprim17ROCPRIM_400000_NS6detail17trampoline_kernelINS0_14default_configENS1_25partition_config_selectorILNS1_17partition_subalgoE9EyybEEZZNS1_14partition_implILS5_9ELb0ES3_jN6thrust23THRUST_200600_302600_NS6detail15normal_iteratorINS9_10device_ptrIyEEEESE_PNS0_10empty_typeENS0_5tupleIJSE_SF_EEENSH_IJSE_SG_EEENS0_18inequality_wrapperI22is_equal_div_10_uniqueIyEEEPmJSF_EEE10hipError_tPvRmT3_T4_T5_T6_T7_T9_mT8_P12ihipStream_tbDpT10_ENKUlT_T0_E_clISt17integral_constantIbLb0EES17_IbLb1EEEEDaS13_S14_EUlS13_E_NS1_11comp_targetILNS1_3genE4ELNS1_11target_archE910ELNS1_3gpuE8ELNS1_3repE0EEENS1_30default_config_static_selectorELNS0_4arch9wavefront6targetE0EEEvT1_
                                        ; -- End function
	.section	.AMDGPU.csdata,"",@progbits
; Kernel info:
; codeLenInByte = 0
; NumSgprs: 0
; NumVgprs: 0
; ScratchSize: 0
; MemoryBound: 0
; FloatMode: 240
; IeeeMode: 1
; LDSByteSize: 0 bytes/workgroup (compile time only)
; SGPRBlocks: 0
; VGPRBlocks: 0
; NumSGPRsForWavesPerEU: 1
; NumVGPRsForWavesPerEU: 1
; Occupancy: 16
; WaveLimiterHint : 0
; COMPUTE_PGM_RSRC2:SCRATCH_EN: 0
; COMPUTE_PGM_RSRC2:USER_SGPR: 15
; COMPUTE_PGM_RSRC2:TRAP_HANDLER: 0
; COMPUTE_PGM_RSRC2:TGID_X_EN: 1
; COMPUTE_PGM_RSRC2:TGID_Y_EN: 0
; COMPUTE_PGM_RSRC2:TGID_Z_EN: 0
; COMPUTE_PGM_RSRC2:TIDIG_COMP_CNT: 0
	.section	.text._ZN7rocprim17ROCPRIM_400000_NS6detail17trampoline_kernelINS0_14default_configENS1_25partition_config_selectorILNS1_17partition_subalgoE9EyybEEZZNS1_14partition_implILS5_9ELb0ES3_jN6thrust23THRUST_200600_302600_NS6detail15normal_iteratorINS9_10device_ptrIyEEEESE_PNS0_10empty_typeENS0_5tupleIJSE_SF_EEENSH_IJSE_SG_EEENS0_18inequality_wrapperI22is_equal_div_10_uniqueIyEEEPmJSF_EEE10hipError_tPvRmT3_T4_T5_T6_T7_T9_mT8_P12ihipStream_tbDpT10_ENKUlT_T0_E_clISt17integral_constantIbLb0EES17_IbLb1EEEEDaS13_S14_EUlS13_E_NS1_11comp_targetILNS1_3genE3ELNS1_11target_archE908ELNS1_3gpuE7ELNS1_3repE0EEENS1_30default_config_static_selectorELNS0_4arch9wavefront6targetE0EEEvT1_,"axG",@progbits,_ZN7rocprim17ROCPRIM_400000_NS6detail17trampoline_kernelINS0_14default_configENS1_25partition_config_selectorILNS1_17partition_subalgoE9EyybEEZZNS1_14partition_implILS5_9ELb0ES3_jN6thrust23THRUST_200600_302600_NS6detail15normal_iteratorINS9_10device_ptrIyEEEESE_PNS0_10empty_typeENS0_5tupleIJSE_SF_EEENSH_IJSE_SG_EEENS0_18inequality_wrapperI22is_equal_div_10_uniqueIyEEEPmJSF_EEE10hipError_tPvRmT3_T4_T5_T6_T7_T9_mT8_P12ihipStream_tbDpT10_ENKUlT_T0_E_clISt17integral_constantIbLb0EES17_IbLb1EEEEDaS13_S14_EUlS13_E_NS1_11comp_targetILNS1_3genE3ELNS1_11target_archE908ELNS1_3gpuE7ELNS1_3repE0EEENS1_30default_config_static_selectorELNS0_4arch9wavefront6targetE0EEEvT1_,comdat
	.protected	_ZN7rocprim17ROCPRIM_400000_NS6detail17trampoline_kernelINS0_14default_configENS1_25partition_config_selectorILNS1_17partition_subalgoE9EyybEEZZNS1_14partition_implILS5_9ELb0ES3_jN6thrust23THRUST_200600_302600_NS6detail15normal_iteratorINS9_10device_ptrIyEEEESE_PNS0_10empty_typeENS0_5tupleIJSE_SF_EEENSH_IJSE_SG_EEENS0_18inequality_wrapperI22is_equal_div_10_uniqueIyEEEPmJSF_EEE10hipError_tPvRmT3_T4_T5_T6_T7_T9_mT8_P12ihipStream_tbDpT10_ENKUlT_T0_E_clISt17integral_constantIbLb0EES17_IbLb1EEEEDaS13_S14_EUlS13_E_NS1_11comp_targetILNS1_3genE3ELNS1_11target_archE908ELNS1_3gpuE7ELNS1_3repE0EEENS1_30default_config_static_selectorELNS0_4arch9wavefront6targetE0EEEvT1_ ; -- Begin function _ZN7rocprim17ROCPRIM_400000_NS6detail17trampoline_kernelINS0_14default_configENS1_25partition_config_selectorILNS1_17partition_subalgoE9EyybEEZZNS1_14partition_implILS5_9ELb0ES3_jN6thrust23THRUST_200600_302600_NS6detail15normal_iteratorINS9_10device_ptrIyEEEESE_PNS0_10empty_typeENS0_5tupleIJSE_SF_EEENSH_IJSE_SG_EEENS0_18inequality_wrapperI22is_equal_div_10_uniqueIyEEEPmJSF_EEE10hipError_tPvRmT3_T4_T5_T6_T7_T9_mT8_P12ihipStream_tbDpT10_ENKUlT_T0_E_clISt17integral_constantIbLb0EES17_IbLb1EEEEDaS13_S14_EUlS13_E_NS1_11comp_targetILNS1_3genE3ELNS1_11target_archE908ELNS1_3gpuE7ELNS1_3repE0EEENS1_30default_config_static_selectorELNS0_4arch9wavefront6targetE0EEEvT1_
	.globl	_ZN7rocprim17ROCPRIM_400000_NS6detail17trampoline_kernelINS0_14default_configENS1_25partition_config_selectorILNS1_17partition_subalgoE9EyybEEZZNS1_14partition_implILS5_9ELb0ES3_jN6thrust23THRUST_200600_302600_NS6detail15normal_iteratorINS9_10device_ptrIyEEEESE_PNS0_10empty_typeENS0_5tupleIJSE_SF_EEENSH_IJSE_SG_EEENS0_18inequality_wrapperI22is_equal_div_10_uniqueIyEEEPmJSF_EEE10hipError_tPvRmT3_T4_T5_T6_T7_T9_mT8_P12ihipStream_tbDpT10_ENKUlT_T0_E_clISt17integral_constantIbLb0EES17_IbLb1EEEEDaS13_S14_EUlS13_E_NS1_11comp_targetILNS1_3genE3ELNS1_11target_archE908ELNS1_3gpuE7ELNS1_3repE0EEENS1_30default_config_static_selectorELNS0_4arch9wavefront6targetE0EEEvT1_
	.p2align	8
	.type	_ZN7rocprim17ROCPRIM_400000_NS6detail17trampoline_kernelINS0_14default_configENS1_25partition_config_selectorILNS1_17partition_subalgoE9EyybEEZZNS1_14partition_implILS5_9ELb0ES3_jN6thrust23THRUST_200600_302600_NS6detail15normal_iteratorINS9_10device_ptrIyEEEESE_PNS0_10empty_typeENS0_5tupleIJSE_SF_EEENSH_IJSE_SG_EEENS0_18inequality_wrapperI22is_equal_div_10_uniqueIyEEEPmJSF_EEE10hipError_tPvRmT3_T4_T5_T6_T7_T9_mT8_P12ihipStream_tbDpT10_ENKUlT_T0_E_clISt17integral_constantIbLb0EES17_IbLb1EEEEDaS13_S14_EUlS13_E_NS1_11comp_targetILNS1_3genE3ELNS1_11target_archE908ELNS1_3gpuE7ELNS1_3repE0EEENS1_30default_config_static_selectorELNS0_4arch9wavefront6targetE0EEEvT1_,@function
_ZN7rocprim17ROCPRIM_400000_NS6detail17trampoline_kernelINS0_14default_configENS1_25partition_config_selectorILNS1_17partition_subalgoE9EyybEEZZNS1_14partition_implILS5_9ELb0ES3_jN6thrust23THRUST_200600_302600_NS6detail15normal_iteratorINS9_10device_ptrIyEEEESE_PNS0_10empty_typeENS0_5tupleIJSE_SF_EEENSH_IJSE_SG_EEENS0_18inequality_wrapperI22is_equal_div_10_uniqueIyEEEPmJSF_EEE10hipError_tPvRmT3_T4_T5_T6_T7_T9_mT8_P12ihipStream_tbDpT10_ENKUlT_T0_E_clISt17integral_constantIbLb0EES17_IbLb1EEEEDaS13_S14_EUlS13_E_NS1_11comp_targetILNS1_3genE3ELNS1_11target_archE908ELNS1_3gpuE7ELNS1_3repE0EEENS1_30default_config_static_selectorELNS0_4arch9wavefront6targetE0EEEvT1_: ; @_ZN7rocprim17ROCPRIM_400000_NS6detail17trampoline_kernelINS0_14default_configENS1_25partition_config_selectorILNS1_17partition_subalgoE9EyybEEZZNS1_14partition_implILS5_9ELb0ES3_jN6thrust23THRUST_200600_302600_NS6detail15normal_iteratorINS9_10device_ptrIyEEEESE_PNS0_10empty_typeENS0_5tupleIJSE_SF_EEENSH_IJSE_SG_EEENS0_18inequality_wrapperI22is_equal_div_10_uniqueIyEEEPmJSF_EEE10hipError_tPvRmT3_T4_T5_T6_T7_T9_mT8_P12ihipStream_tbDpT10_ENKUlT_T0_E_clISt17integral_constantIbLb0EES17_IbLb1EEEEDaS13_S14_EUlS13_E_NS1_11comp_targetILNS1_3genE3ELNS1_11target_archE908ELNS1_3gpuE7ELNS1_3repE0EEENS1_30default_config_static_selectorELNS0_4arch9wavefront6targetE0EEEvT1_
; %bb.0:
	.section	.rodata,"a",@progbits
	.p2align	6, 0x0
	.amdhsa_kernel _ZN7rocprim17ROCPRIM_400000_NS6detail17trampoline_kernelINS0_14default_configENS1_25partition_config_selectorILNS1_17partition_subalgoE9EyybEEZZNS1_14partition_implILS5_9ELb0ES3_jN6thrust23THRUST_200600_302600_NS6detail15normal_iteratorINS9_10device_ptrIyEEEESE_PNS0_10empty_typeENS0_5tupleIJSE_SF_EEENSH_IJSE_SG_EEENS0_18inequality_wrapperI22is_equal_div_10_uniqueIyEEEPmJSF_EEE10hipError_tPvRmT3_T4_T5_T6_T7_T9_mT8_P12ihipStream_tbDpT10_ENKUlT_T0_E_clISt17integral_constantIbLb0EES17_IbLb1EEEEDaS13_S14_EUlS13_E_NS1_11comp_targetILNS1_3genE3ELNS1_11target_archE908ELNS1_3gpuE7ELNS1_3repE0EEENS1_30default_config_static_selectorELNS0_4arch9wavefront6targetE0EEEvT1_
		.amdhsa_group_segment_fixed_size 0
		.amdhsa_private_segment_fixed_size 0
		.amdhsa_kernarg_size 128
		.amdhsa_user_sgpr_count 15
		.amdhsa_user_sgpr_dispatch_ptr 0
		.amdhsa_user_sgpr_queue_ptr 0
		.amdhsa_user_sgpr_kernarg_segment_ptr 1
		.amdhsa_user_sgpr_dispatch_id 0
		.amdhsa_user_sgpr_private_segment_size 0
		.amdhsa_wavefront_size32 1
		.amdhsa_uses_dynamic_stack 0
		.amdhsa_enable_private_segment 0
		.amdhsa_system_sgpr_workgroup_id_x 1
		.amdhsa_system_sgpr_workgroup_id_y 0
		.amdhsa_system_sgpr_workgroup_id_z 0
		.amdhsa_system_sgpr_workgroup_info 0
		.amdhsa_system_vgpr_workitem_id 0
		.amdhsa_next_free_vgpr 1
		.amdhsa_next_free_sgpr 1
		.amdhsa_reserve_vcc 0
		.amdhsa_float_round_mode_32 0
		.amdhsa_float_round_mode_16_64 0
		.amdhsa_float_denorm_mode_32 3
		.amdhsa_float_denorm_mode_16_64 3
		.amdhsa_dx10_clamp 1
		.amdhsa_ieee_mode 1
		.amdhsa_fp16_overflow 0
		.amdhsa_workgroup_processor_mode 1
		.amdhsa_memory_ordered 1
		.amdhsa_forward_progress 0
		.amdhsa_shared_vgpr_count 0
		.amdhsa_exception_fp_ieee_invalid_op 0
		.amdhsa_exception_fp_denorm_src 0
		.amdhsa_exception_fp_ieee_div_zero 0
		.amdhsa_exception_fp_ieee_overflow 0
		.amdhsa_exception_fp_ieee_underflow 0
		.amdhsa_exception_fp_ieee_inexact 0
		.amdhsa_exception_int_div_zero 0
	.end_amdhsa_kernel
	.section	.text._ZN7rocprim17ROCPRIM_400000_NS6detail17trampoline_kernelINS0_14default_configENS1_25partition_config_selectorILNS1_17partition_subalgoE9EyybEEZZNS1_14partition_implILS5_9ELb0ES3_jN6thrust23THRUST_200600_302600_NS6detail15normal_iteratorINS9_10device_ptrIyEEEESE_PNS0_10empty_typeENS0_5tupleIJSE_SF_EEENSH_IJSE_SG_EEENS0_18inequality_wrapperI22is_equal_div_10_uniqueIyEEEPmJSF_EEE10hipError_tPvRmT3_T4_T5_T6_T7_T9_mT8_P12ihipStream_tbDpT10_ENKUlT_T0_E_clISt17integral_constantIbLb0EES17_IbLb1EEEEDaS13_S14_EUlS13_E_NS1_11comp_targetILNS1_3genE3ELNS1_11target_archE908ELNS1_3gpuE7ELNS1_3repE0EEENS1_30default_config_static_selectorELNS0_4arch9wavefront6targetE0EEEvT1_,"axG",@progbits,_ZN7rocprim17ROCPRIM_400000_NS6detail17trampoline_kernelINS0_14default_configENS1_25partition_config_selectorILNS1_17partition_subalgoE9EyybEEZZNS1_14partition_implILS5_9ELb0ES3_jN6thrust23THRUST_200600_302600_NS6detail15normal_iteratorINS9_10device_ptrIyEEEESE_PNS0_10empty_typeENS0_5tupleIJSE_SF_EEENSH_IJSE_SG_EEENS0_18inequality_wrapperI22is_equal_div_10_uniqueIyEEEPmJSF_EEE10hipError_tPvRmT3_T4_T5_T6_T7_T9_mT8_P12ihipStream_tbDpT10_ENKUlT_T0_E_clISt17integral_constantIbLb0EES17_IbLb1EEEEDaS13_S14_EUlS13_E_NS1_11comp_targetILNS1_3genE3ELNS1_11target_archE908ELNS1_3gpuE7ELNS1_3repE0EEENS1_30default_config_static_selectorELNS0_4arch9wavefront6targetE0EEEvT1_,comdat
.Lfunc_end204:
	.size	_ZN7rocprim17ROCPRIM_400000_NS6detail17trampoline_kernelINS0_14default_configENS1_25partition_config_selectorILNS1_17partition_subalgoE9EyybEEZZNS1_14partition_implILS5_9ELb0ES3_jN6thrust23THRUST_200600_302600_NS6detail15normal_iteratorINS9_10device_ptrIyEEEESE_PNS0_10empty_typeENS0_5tupleIJSE_SF_EEENSH_IJSE_SG_EEENS0_18inequality_wrapperI22is_equal_div_10_uniqueIyEEEPmJSF_EEE10hipError_tPvRmT3_T4_T5_T6_T7_T9_mT8_P12ihipStream_tbDpT10_ENKUlT_T0_E_clISt17integral_constantIbLb0EES17_IbLb1EEEEDaS13_S14_EUlS13_E_NS1_11comp_targetILNS1_3genE3ELNS1_11target_archE908ELNS1_3gpuE7ELNS1_3repE0EEENS1_30default_config_static_selectorELNS0_4arch9wavefront6targetE0EEEvT1_, .Lfunc_end204-_ZN7rocprim17ROCPRIM_400000_NS6detail17trampoline_kernelINS0_14default_configENS1_25partition_config_selectorILNS1_17partition_subalgoE9EyybEEZZNS1_14partition_implILS5_9ELb0ES3_jN6thrust23THRUST_200600_302600_NS6detail15normal_iteratorINS9_10device_ptrIyEEEESE_PNS0_10empty_typeENS0_5tupleIJSE_SF_EEENSH_IJSE_SG_EEENS0_18inequality_wrapperI22is_equal_div_10_uniqueIyEEEPmJSF_EEE10hipError_tPvRmT3_T4_T5_T6_T7_T9_mT8_P12ihipStream_tbDpT10_ENKUlT_T0_E_clISt17integral_constantIbLb0EES17_IbLb1EEEEDaS13_S14_EUlS13_E_NS1_11comp_targetILNS1_3genE3ELNS1_11target_archE908ELNS1_3gpuE7ELNS1_3repE0EEENS1_30default_config_static_selectorELNS0_4arch9wavefront6targetE0EEEvT1_
                                        ; -- End function
	.section	.AMDGPU.csdata,"",@progbits
; Kernel info:
; codeLenInByte = 0
; NumSgprs: 0
; NumVgprs: 0
; ScratchSize: 0
; MemoryBound: 0
; FloatMode: 240
; IeeeMode: 1
; LDSByteSize: 0 bytes/workgroup (compile time only)
; SGPRBlocks: 0
; VGPRBlocks: 0
; NumSGPRsForWavesPerEU: 1
; NumVGPRsForWavesPerEU: 1
; Occupancy: 16
; WaveLimiterHint : 0
; COMPUTE_PGM_RSRC2:SCRATCH_EN: 0
; COMPUTE_PGM_RSRC2:USER_SGPR: 15
; COMPUTE_PGM_RSRC2:TRAP_HANDLER: 0
; COMPUTE_PGM_RSRC2:TGID_X_EN: 1
; COMPUTE_PGM_RSRC2:TGID_Y_EN: 0
; COMPUTE_PGM_RSRC2:TGID_Z_EN: 0
; COMPUTE_PGM_RSRC2:TIDIG_COMP_CNT: 0
	.section	.text._ZN7rocprim17ROCPRIM_400000_NS6detail17trampoline_kernelINS0_14default_configENS1_25partition_config_selectorILNS1_17partition_subalgoE9EyybEEZZNS1_14partition_implILS5_9ELb0ES3_jN6thrust23THRUST_200600_302600_NS6detail15normal_iteratorINS9_10device_ptrIyEEEESE_PNS0_10empty_typeENS0_5tupleIJSE_SF_EEENSH_IJSE_SG_EEENS0_18inequality_wrapperI22is_equal_div_10_uniqueIyEEEPmJSF_EEE10hipError_tPvRmT3_T4_T5_T6_T7_T9_mT8_P12ihipStream_tbDpT10_ENKUlT_T0_E_clISt17integral_constantIbLb0EES17_IbLb1EEEEDaS13_S14_EUlS13_E_NS1_11comp_targetILNS1_3genE2ELNS1_11target_archE906ELNS1_3gpuE6ELNS1_3repE0EEENS1_30default_config_static_selectorELNS0_4arch9wavefront6targetE0EEEvT1_,"axG",@progbits,_ZN7rocprim17ROCPRIM_400000_NS6detail17trampoline_kernelINS0_14default_configENS1_25partition_config_selectorILNS1_17partition_subalgoE9EyybEEZZNS1_14partition_implILS5_9ELb0ES3_jN6thrust23THRUST_200600_302600_NS6detail15normal_iteratorINS9_10device_ptrIyEEEESE_PNS0_10empty_typeENS0_5tupleIJSE_SF_EEENSH_IJSE_SG_EEENS0_18inequality_wrapperI22is_equal_div_10_uniqueIyEEEPmJSF_EEE10hipError_tPvRmT3_T4_T5_T6_T7_T9_mT8_P12ihipStream_tbDpT10_ENKUlT_T0_E_clISt17integral_constantIbLb0EES17_IbLb1EEEEDaS13_S14_EUlS13_E_NS1_11comp_targetILNS1_3genE2ELNS1_11target_archE906ELNS1_3gpuE6ELNS1_3repE0EEENS1_30default_config_static_selectorELNS0_4arch9wavefront6targetE0EEEvT1_,comdat
	.protected	_ZN7rocprim17ROCPRIM_400000_NS6detail17trampoline_kernelINS0_14default_configENS1_25partition_config_selectorILNS1_17partition_subalgoE9EyybEEZZNS1_14partition_implILS5_9ELb0ES3_jN6thrust23THRUST_200600_302600_NS6detail15normal_iteratorINS9_10device_ptrIyEEEESE_PNS0_10empty_typeENS0_5tupleIJSE_SF_EEENSH_IJSE_SG_EEENS0_18inequality_wrapperI22is_equal_div_10_uniqueIyEEEPmJSF_EEE10hipError_tPvRmT3_T4_T5_T6_T7_T9_mT8_P12ihipStream_tbDpT10_ENKUlT_T0_E_clISt17integral_constantIbLb0EES17_IbLb1EEEEDaS13_S14_EUlS13_E_NS1_11comp_targetILNS1_3genE2ELNS1_11target_archE906ELNS1_3gpuE6ELNS1_3repE0EEENS1_30default_config_static_selectorELNS0_4arch9wavefront6targetE0EEEvT1_ ; -- Begin function _ZN7rocprim17ROCPRIM_400000_NS6detail17trampoline_kernelINS0_14default_configENS1_25partition_config_selectorILNS1_17partition_subalgoE9EyybEEZZNS1_14partition_implILS5_9ELb0ES3_jN6thrust23THRUST_200600_302600_NS6detail15normal_iteratorINS9_10device_ptrIyEEEESE_PNS0_10empty_typeENS0_5tupleIJSE_SF_EEENSH_IJSE_SG_EEENS0_18inequality_wrapperI22is_equal_div_10_uniqueIyEEEPmJSF_EEE10hipError_tPvRmT3_T4_T5_T6_T7_T9_mT8_P12ihipStream_tbDpT10_ENKUlT_T0_E_clISt17integral_constantIbLb0EES17_IbLb1EEEEDaS13_S14_EUlS13_E_NS1_11comp_targetILNS1_3genE2ELNS1_11target_archE906ELNS1_3gpuE6ELNS1_3repE0EEENS1_30default_config_static_selectorELNS0_4arch9wavefront6targetE0EEEvT1_
	.globl	_ZN7rocprim17ROCPRIM_400000_NS6detail17trampoline_kernelINS0_14default_configENS1_25partition_config_selectorILNS1_17partition_subalgoE9EyybEEZZNS1_14partition_implILS5_9ELb0ES3_jN6thrust23THRUST_200600_302600_NS6detail15normal_iteratorINS9_10device_ptrIyEEEESE_PNS0_10empty_typeENS0_5tupleIJSE_SF_EEENSH_IJSE_SG_EEENS0_18inequality_wrapperI22is_equal_div_10_uniqueIyEEEPmJSF_EEE10hipError_tPvRmT3_T4_T5_T6_T7_T9_mT8_P12ihipStream_tbDpT10_ENKUlT_T0_E_clISt17integral_constantIbLb0EES17_IbLb1EEEEDaS13_S14_EUlS13_E_NS1_11comp_targetILNS1_3genE2ELNS1_11target_archE906ELNS1_3gpuE6ELNS1_3repE0EEENS1_30default_config_static_selectorELNS0_4arch9wavefront6targetE0EEEvT1_
	.p2align	8
	.type	_ZN7rocprim17ROCPRIM_400000_NS6detail17trampoline_kernelINS0_14default_configENS1_25partition_config_selectorILNS1_17partition_subalgoE9EyybEEZZNS1_14partition_implILS5_9ELb0ES3_jN6thrust23THRUST_200600_302600_NS6detail15normal_iteratorINS9_10device_ptrIyEEEESE_PNS0_10empty_typeENS0_5tupleIJSE_SF_EEENSH_IJSE_SG_EEENS0_18inequality_wrapperI22is_equal_div_10_uniqueIyEEEPmJSF_EEE10hipError_tPvRmT3_T4_T5_T6_T7_T9_mT8_P12ihipStream_tbDpT10_ENKUlT_T0_E_clISt17integral_constantIbLb0EES17_IbLb1EEEEDaS13_S14_EUlS13_E_NS1_11comp_targetILNS1_3genE2ELNS1_11target_archE906ELNS1_3gpuE6ELNS1_3repE0EEENS1_30default_config_static_selectorELNS0_4arch9wavefront6targetE0EEEvT1_,@function
_ZN7rocprim17ROCPRIM_400000_NS6detail17trampoline_kernelINS0_14default_configENS1_25partition_config_selectorILNS1_17partition_subalgoE9EyybEEZZNS1_14partition_implILS5_9ELb0ES3_jN6thrust23THRUST_200600_302600_NS6detail15normal_iteratorINS9_10device_ptrIyEEEESE_PNS0_10empty_typeENS0_5tupleIJSE_SF_EEENSH_IJSE_SG_EEENS0_18inequality_wrapperI22is_equal_div_10_uniqueIyEEEPmJSF_EEE10hipError_tPvRmT3_T4_T5_T6_T7_T9_mT8_P12ihipStream_tbDpT10_ENKUlT_T0_E_clISt17integral_constantIbLb0EES17_IbLb1EEEEDaS13_S14_EUlS13_E_NS1_11comp_targetILNS1_3genE2ELNS1_11target_archE906ELNS1_3gpuE6ELNS1_3repE0EEENS1_30default_config_static_selectorELNS0_4arch9wavefront6targetE0EEEvT1_: ; @_ZN7rocprim17ROCPRIM_400000_NS6detail17trampoline_kernelINS0_14default_configENS1_25partition_config_selectorILNS1_17partition_subalgoE9EyybEEZZNS1_14partition_implILS5_9ELb0ES3_jN6thrust23THRUST_200600_302600_NS6detail15normal_iteratorINS9_10device_ptrIyEEEESE_PNS0_10empty_typeENS0_5tupleIJSE_SF_EEENSH_IJSE_SG_EEENS0_18inequality_wrapperI22is_equal_div_10_uniqueIyEEEPmJSF_EEE10hipError_tPvRmT3_T4_T5_T6_T7_T9_mT8_P12ihipStream_tbDpT10_ENKUlT_T0_E_clISt17integral_constantIbLb0EES17_IbLb1EEEEDaS13_S14_EUlS13_E_NS1_11comp_targetILNS1_3genE2ELNS1_11target_archE906ELNS1_3gpuE6ELNS1_3repE0EEENS1_30default_config_static_selectorELNS0_4arch9wavefront6targetE0EEEvT1_
; %bb.0:
	.section	.rodata,"a",@progbits
	.p2align	6, 0x0
	.amdhsa_kernel _ZN7rocprim17ROCPRIM_400000_NS6detail17trampoline_kernelINS0_14default_configENS1_25partition_config_selectorILNS1_17partition_subalgoE9EyybEEZZNS1_14partition_implILS5_9ELb0ES3_jN6thrust23THRUST_200600_302600_NS6detail15normal_iteratorINS9_10device_ptrIyEEEESE_PNS0_10empty_typeENS0_5tupleIJSE_SF_EEENSH_IJSE_SG_EEENS0_18inequality_wrapperI22is_equal_div_10_uniqueIyEEEPmJSF_EEE10hipError_tPvRmT3_T4_T5_T6_T7_T9_mT8_P12ihipStream_tbDpT10_ENKUlT_T0_E_clISt17integral_constantIbLb0EES17_IbLb1EEEEDaS13_S14_EUlS13_E_NS1_11comp_targetILNS1_3genE2ELNS1_11target_archE906ELNS1_3gpuE6ELNS1_3repE0EEENS1_30default_config_static_selectorELNS0_4arch9wavefront6targetE0EEEvT1_
		.amdhsa_group_segment_fixed_size 0
		.amdhsa_private_segment_fixed_size 0
		.amdhsa_kernarg_size 128
		.amdhsa_user_sgpr_count 15
		.amdhsa_user_sgpr_dispatch_ptr 0
		.amdhsa_user_sgpr_queue_ptr 0
		.amdhsa_user_sgpr_kernarg_segment_ptr 1
		.amdhsa_user_sgpr_dispatch_id 0
		.amdhsa_user_sgpr_private_segment_size 0
		.amdhsa_wavefront_size32 1
		.amdhsa_uses_dynamic_stack 0
		.amdhsa_enable_private_segment 0
		.amdhsa_system_sgpr_workgroup_id_x 1
		.amdhsa_system_sgpr_workgroup_id_y 0
		.amdhsa_system_sgpr_workgroup_id_z 0
		.amdhsa_system_sgpr_workgroup_info 0
		.amdhsa_system_vgpr_workitem_id 0
		.amdhsa_next_free_vgpr 1
		.amdhsa_next_free_sgpr 1
		.amdhsa_reserve_vcc 0
		.amdhsa_float_round_mode_32 0
		.amdhsa_float_round_mode_16_64 0
		.amdhsa_float_denorm_mode_32 3
		.amdhsa_float_denorm_mode_16_64 3
		.amdhsa_dx10_clamp 1
		.amdhsa_ieee_mode 1
		.amdhsa_fp16_overflow 0
		.amdhsa_workgroup_processor_mode 1
		.amdhsa_memory_ordered 1
		.amdhsa_forward_progress 0
		.amdhsa_shared_vgpr_count 0
		.amdhsa_exception_fp_ieee_invalid_op 0
		.amdhsa_exception_fp_denorm_src 0
		.amdhsa_exception_fp_ieee_div_zero 0
		.amdhsa_exception_fp_ieee_overflow 0
		.amdhsa_exception_fp_ieee_underflow 0
		.amdhsa_exception_fp_ieee_inexact 0
		.amdhsa_exception_int_div_zero 0
	.end_amdhsa_kernel
	.section	.text._ZN7rocprim17ROCPRIM_400000_NS6detail17trampoline_kernelINS0_14default_configENS1_25partition_config_selectorILNS1_17partition_subalgoE9EyybEEZZNS1_14partition_implILS5_9ELb0ES3_jN6thrust23THRUST_200600_302600_NS6detail15normal_iteratorINS9_10device_ptrIyEEEESE_PNS0_10empty_typeENS0_5tupleIJSE_SF_EEENSH_IJSE_SG_EEENS0_18inequality_wrapperI22is_equal_div_10_uniqueIyEEEPmJSF_EEE10hipError_tPvRmT3_T4_T5_T6_T7_T9_mT8_P12ihipStream_tbDpT10_ENKUlT_T0_E_clISt17integral_constantIbLb0EES17_IbLb1EEEEDaS13_S14_EUlS13_E_NS1_11comp_targetILNS1_3genE2ELNS1_11target_archE906ELNS1_3gpuE6ELNS1_3repE0EEENS1_30default_config_static_selectorELNS0_4arch9wavefront6targetE0EEEvT1_,"axG",@progbits,_ZN7rocprim17ROCPRIM_400000_NS6detail17trampoline_kernelINS0_14default_configENS1_25partition_config_selectorILNS1_17partition_subalgoE9EyybEEZZNS1_14partition_implILS5_9ELb0ES3_jN6thrust23THRUST_200600_302600_NS6detail15normal_iteratorINS9_10device_ptrIyEEEESE_PNS0_10empty_typeENS0_5tupleIJSE_SF_EEENSH_IJSE_SG_EEENS0_18inequality_wrapperI22is_equal_div_10_uniqueIyEEEPmJSF_EEE10hipError_tPvRmT3_T4_T5_T6_T7_T9_mT8_P12ihipStream_tbDpT10_ENKUlT_T0_E_clISt17integral_constantIbLb0EES17_IbLb1EEEEDaS13_S14_EUlS13_E_NS1_11comp_targetILNS1_3genE2ELNS1_11target_archE906ELNS1_3gpuE6ELNS1_3repE0EEENS1_30default_config_static_selectorELNS0_4arch9wavefront6targetE0EEEvT1_,comdat
.Lfunc_end205:
	.size	_ZN7rocprim17ROCPRIM_400000_NS6detail17trampoline_kernelINS0_14default_configENS1_25partition_config_selectorILNS1_17partition_subalgoE9EyybEEZZNS1_14partition_implILS5_9ELb0ES3_jN6thrust23THRUST_200600_302600_NS6detail15normal_iteratorINS9_10device_ptrIyEEEESE_PNS0_10empty_typeENS0_5tupleIJSE_SF_EEENSH_IJSE_SG_EEENS0_18inequality_wrapperI22is_equal_div_10_uniqueIyEEEPmJSF_EEE10hipError_tPvRmT3_T4_T5_T6_T7_T9_mT8_P12ihipStream_tbDpT10_ENKUlT_T0_E_clISt17integral_constantIbLb0EES17_IbLb1EEEEDaS13_S14_EUlS13_E_NS1_11comp_targetILNS1_3genE2ELNS1_11target_archE906ELNS1_3gpuE6ELNS1_3repE0EEENS1_30default_config_static_selectorELNS0_4arch9wavefront6targetE0EEEvT1_, .Lfunc_end205-_ZN7rocprim17ROCPRIM_400000_NS6detail17trampoline_kernelINS0_14default_configENS1_25partition_config_selectorILNS1_17partition_subalgoE9EyybEEZZNS1_14partition_implILS5_9ELb0ES3_jN6thrust23THRUST_200600_302600_NS6detail15normal_iteratorINS9_10device_ptrIyEEEESE_PNS0_10empty_typeENS0_5tupleIJSE_SF_EEENSH_IJSE_SG_EEENS0_18inequality_wrapperI22is_equal_div_10_uniqueIyEEEPmJSF_EEE10hipError_tPvRmT3_T4_T5_T6_T7_T9_mT8_P12ihipStream_tbDpT10_ENKUlT_T0_E_clISt17integral_constantIbLb0EES17_IbLb1EEEEDaS13_S14_EUlS13_E_NS1_11comp_targetILNS1_3genE2ELNS1_11target_archE906ELNS1_3gpuE6ELNS1_3repE0EEENS1_30default_config_static_selectorELNS0_4arch9wavefront6targetE0EEEvT1_
                                        ; -- End function
	.section	.AMDGPU.csdata,"",@progbits
; Kernel info:
; codeLenInByte = 0
; NumSgprs: 0
; NumVgprs: 0
; ScratchSize: 0
; MemoryBound: 0
; FloatMode: 240
; IeeeMode: 1
; LDSByteSize: 0 bytes/workgroup (compile time only)
; SGPRBlocks: 0
; VGPRBlocks: 0
; NumSGPRsForWavesPerEU: 1
; NumVGPRsForWavesPerEU: 1
; Occupancy: 15
; WaveLimiterHint : 0
; COMPUTE_PGM_RSRC2:SCRATCH_EN: 0
; COMPUTE_PGM_RSRC2:USER_SGPR: 15
; COMPUTE_PGM_RSRC2:TRAP_HANDLER: 0
; COMPUTE_PGM_RSRC2:TGID_X_EN: 1
; COMPUTE_PGM_RSRC2:TGID_Y_EN: 0
; COMPUTE_PGM_RSRC2:TGID_Z_EN: 0
; COMPUTE_PGM_RSRC2:TIDIG_COMP_CNT: 0
	.section	.text._ZN7rocprim17ROCPRIM_400000_NS6detail17trampoline_kernelINS0_14default_configENS1_25partition_config_selectorILNS1_17partition_subalgoE9EyybEEZZNS1_14partition_implILS5_9ELb0ES3_jN6thrust23THRUST_200600_302600_NS6detail15normal_iteratorINS9_10device_ptrIyEEEESE_PNS0_10empty_typeENS0_5tupleIJSE_SF_EEENSH_IJSE_SG_EEENS0_18inequality_wrapperI22is_equal_div_10_uniqueIyEEEPmJSF_EEE10hipError_tPvRmT3_T4_T5_T6_T7_T9_mT8_P12ihipStream_tbDpT10_ENKUlT_T0_E_clISt17integral_constantIbLb0EES17_IbLb1EEEEDaS13_S14_EUlS13_E_NS1_11comp_targetILNS1_3genE10ELNS1_11target_archE1200ELNS1_3gpuE4ELNS1_3repE0EEENS1_30default_config_static_selectorELNS0_4arch9wavefront6targetE0EEEvT1_,"axG",@progbits,_ZN7rocprim17ROCPRIM_400000_NS6detail17trampoline_kernelINS0_14default_configENS1_25partition_config_selectorILNS1_17partition_subalgoE9EyybEEZZNS1_14partition_implILS5_9ELb0ES3_jN6thrust23THRUST_200600_302600_NS6detail15normal_iteratorINS9_10device_ptrIyEEEESE_PNS0_10empty_typeENS0_5tupleIJSE_SF_EEENSH_IJSE_SG_EEENS0_18inequality_wrapperI22is_equal_div_10_uniqueIyEEEPmJSF_EEE10hipError_tPvRmT3_T4_T5_T6_T7_T9_mT8_P12ihipStream_tbDpT10_ENKUlT_T0_E_clISt17integral_constantIbLb0EES17_IbLb1EEEEDaS13_S14_EUlS13_E_NS1_11comp_targetILNS1_3genE10ELNS1_11target_archE1200ELNS1_3gpuE4ELNS1_3repE0EEENS1_30default_config_static_selectorELNS0_4arch9wavefront6targetE0EEEvT1_,comdat
	.protected	_ZN7rocprim17ROCPRIM_400000_NS6detail17trampoline_kernelINS0_14default_configENS1_25partition_config_selectorILNS1_17partition_subalgoE9EyybEEZZNS1_14partition_implILS5_9ELb0ES3_jN6thrust23THRUST_200600_302600_NS6detail15normal_iteratorINS9_10device_ptrIyEEEESE_PNS0_10empty_typeENS0_5tupleIJSE_SF_EEENSH_IJSE_SG_EEENS0_18inequality_wrapperI22is_equal_div_10_uniqueIyEEEPmJSF_EEE10hipError_tPvRmT3_T4_T5_T6_T7_T9_mT8_P12ihipStream_tbDpT10_ENKUlT_T0_E_clISt17integral_constantIbLb0EES17_IbLb1EEEEDaS13_S14_EUlS13_E_NS1_11comp_targetILNS1_3genE10ELNS1_11target_archE1200ELNS1_3gpuE4ELNS1_3repE0EEENS1_30default_config_static_selectorELNS0_4arch9wavefront6targetE0EEEvT1_ ; -- Begin function _ZN7rocprim17ROCPRIM_400000_NS6detail17trampoline_kernelINS0_14default_configENS1_25partition_config_selectorILNS1_17partition_subalgoE9EyybEEZZNS1_14partition_implILS5_9ELb0ES3_jN6thrust23THRUST_200600_302600_NS6detail15normal_iteratorINS9_10device_ptrIyEEEESE_PNS0_10empty_typeENS0_5tupleIJSE_SF_EEENSH_IJSE_SG_EEENS0_18inequality_wrapperI22is_equal_div_10_uniqueIyEEEPmJSF_EEE10hipError_tPvRmT3_T4_T5_T6_T7_T9_mT8_P12ihipStream_tbDpT10_ENKUlT_T0_E_clISt17integral_constantIbLb0EES17_IbLb1EEEEDaS13_S14_EUlS13_E_NS1_11comp_targetILNS1_3genE10ELNS1_11target_archE1200ELNS1_3gpuE4ELNS1_3repE0EEENS1_30default_config_static_selectorELNS0_4arch9wavefront6targetE0EEEvT1_
	.globl	_ZN7rocprim17ROCPRIM_400000_NS6detail17trampoline_kernelINS0_14default_configENS1_25partition_config_selectorILNS1_17partition_subalgoE9EyybEEZZNS1_14partition_implILS5_9ELb0ES3_jN6thrust23THRUST_200600_302600_NS6detail15normal_iteratorINS9_10device_ptrIyEEEESE_PNS0_10empty_typeENS0_5tupleIJSE_SF_EEENSH_IJSE_SG_EEENS0_18inequality_wrapperI22is_equal_div_10_uniqueIyEEEPmJSF_EEE10hipError_tPvRmT3_T4_T5_T6_T7_T9_mT8_P12ihipStream_tbDpT10_ENKUlT_T0_E_clISt17integral_constantIbLb0EES17_IbLb1EEEEDaS13_S14_EUlS13_E_NS1_11comp_targetILNS1_3genE10ELNS1_11target_archE1200ELNS1_3gpuE4ELNS1_3repE0EEENS1_30default_config_static_selectorELNS0_4arch9wavefront6targetE0EEEvT1_
	.p2align	8
	.type	_ZN7rocprim17ROCPRIM_400000_NS6detail17trampoline_kernelINS0_14default_configENS1_25partition_config_selectorILNS1_17partition_subalgoE9EyybEEZZNS1_14partition_implILS5_9ELb0ES3_jN6thrust23THRUST_200600_302600_NS6detail15normal_iteratorINS9_10device_ptrIyEEEESE_PNS0_10empty_typeENS0_5tupleIJSE_SF_EEENSH_IJSE_SG_EEENS0_18inequality_wrapperI22is_equal_div_10_uniqueIyEEEPmJSF_EEE10hipError_tPvRmT3_T4_T5_T6_T7_T9_mT8_P12ihipStream_tbDpT10_ENKUlT_T0_E_clISt17integral_constantIbLb0EES17_IbLb1EEEEDaS13_S14_EUlS13_E_NS1_11comp_targetILNS1_3genE10ELNS1_11target_archE1200ELNS1_3gpuE4ELNS1_3repE0EEENS1_30default_config_static_selectorELNS0_4arch9wavefront6targetE0EEEvT1_,@function
_ZN7rocprim17ROCPRIM_400000_NS6detail17trampoline_kernelINS0_14default_configENS1_25partition_config_selectorILNS1_17partition_subalgoE9EyybEEZZNS1_14partition_implILS5_9ELb0ES3_jN6thrust23THRUST_200600_302600_NS6detail15normal_iteratorINS9_10device_ptrIyEEEESE_PNS0_10empty_typeENS0_5tupleIJSE_SF_EEENSH_IJSE_SG_EEENS0_18inequality_wrapperI22is_equal_div_10_uniqueIyEEEPmJSF_EEE10hipError_tPvRmT3_T4_T5_T6_T7_T9_mT8_P12ihipStream_tbDpT10_ENKUlT_T0_E_clISt17integral_constantIbLb0EES17_IbLb1EEEEDaS13_S14_EUlS13_E_NS1_11comp_targetILNS1_3genE10ELNS1_11target_archE1200ELNS1_3gpuE4ELNS1_3repE0EEENS1_30default_config_static_selectorELNS0_4arch9wavefront6targetE0EEEvT1_: ; @_ZN7rocprim17ROCPRIM_400000_NS6detail17trampoline_kernelINS0_14default_configENS1_25partition_config_selectorILNS1_17partition_subalgoE9EyybEEZZNS1_14partition_implILS5_9ELb0ES3_jN6thrust23THRUST_200600_302600_NS6detail15normal_iteratorINS9_10device_ptrIyEEEESE_PNS0_10empty_typeENS0_5tupleIJSE_SF_EEENSH_IJSE_SG_EEENS0_18inequality_wrapperI22is_equal_div_10_uniqueIyEEEPmJSF_EEE10hipError_tPvRmT3_T4_T5_T6_T7_T9_mT8_P12ihipStream_tbDpT10_ENKUlT_T0_E_clISt17integral_constantIbLb0EES17_IbLb1EEEEDaS13_S14_EUlS13_E_NS1_11comp_targetILNS1_3genE10ELNS1_11target_archE1200ELNS1_3gpuE4ELNS1_3repE0EEENS1_30default_config_static_selectorELNS0_4arch9wavefront6targetE0EEEvT1_
; %bb.0:
	.section	.rodata,"a",@progbits
	.p2align	6, 0x0
	.amdhsa_kernel _ZN7rocprim17ROCPRIM_400000_NS6detail17trampoline_kernelINS0_14default_configENS1_25partition_config_selectorILNS1_17partition_subalgoE9EyybEEZZNS1_14partition_implILS5_9ELb0ES3_jN6thrust23THRUST_200600_302600_NS6detail15normal_iteratorINS9_10device_ptrIyEEEESE_PNS0_10empty_typeENS0_5tupleIJSE_SF_EEENSH_IJSE_SG_EEENS0_18inequality_wrapperI22is_equal_div_10_uniqueIyEEEPmJSF_EEE10hipError_tPvRmT3_T4_T5_T6_T7_T9_mT8_P12ihipStream_tbDpT10_ENKUlT_T0_E_clISt17integral_constantIbLb0EES17_IbLb1EEEEDaS13_S14_EUlS13_E_NS1_11comp_targetILNS1_3genE10ELNS1_11target_archE1200ELNS1_3gpuE4ELNS1_3repE0EEENS1_30default_config_static_selectorELNS0_4arch9wavefront6targetE0EEEvT1_
		.amdhsa_group_segment_fixed_size 0
		.amdhsa_private_segment_fixed_size 0
		.amdhsa_kernarg_size 128
		.amdhsa_user_sgpr_count 15
		.amdhsa_user_sgpr_dispatch_ptr 0
		.amdhsa_user_sgpr_queue_ptr 0
		.amdhsa_user_sgpr_kernarg_segment_ptr 1
		.amdhsa_user_sgpr_dispatch_id 0
		.amdhsa_user_sgpr_private_segment_size 0
		.amdhsa_wavefront_size32 1
		.amdhsa_uses_dynamic_stack 0
		.amdhsa_enable_private_segment 0
		.amdhsa_system_sgpr_workgroup_id_x 1
		.amdhsa_system_sgpr_workgroup_id_y 0
		.amdhsa_system_sgpr_workgroup_id_z 0
		.amdhsa_system_sgpr_workgroup_info 0
		.amdhsa_system_vgpr_workitem_id 0
		.amdhsa_next_free_vgpr 1
		.amdhsa_next_free_sgpr 1
		.amdhsa_reserve_vcc 0
		.amdhsa_float_round_mode_32 0
		.amdhsa_float_round_mode_16_64 0
		.amdhsa_float_denorm_mode_32 3
		.amdhsa_float_denorm_mode_16_64 3
		.amdhsa_dx10_clamp 1
		.amdhsa_ieee_mode 1
		.amdhsa_fp16_overflow 0
		.amdhsa_workgroup_processor_mode 1
		.amdhsa_memory_ordered 1
		.amdhsa_forward_progress 0
		.amdhsa_shared_vgpr_count 0
		.amdhsa_exception_fp_ieee_invalid_op 0
		.amdhsa_exception_fp_denorm_src 0
		.amdhsa_exception_fp_ieee_div_zero 0
		.amdhsa_exception_fp_ieee_overflow 0
		.amdhsa_exception_fp_ieee_underflow 0
		.amdhsa_exception_fp_ieee_inexact 0
		.amdhsa_exception_int_div_zero 0
	.end_amdhsa_kernel
	.section	.text._ZN7rocprim17ROCPRIM_400000_NS6detail17trampoline_kernelINS0_14default_configENS1_25partition_config_selectorILNS1_17partition_subalgoE9EyybEEZZNS1_14partition_implILS5_9ELb0ES3_jN6thrust23THRUST_200600_302600_NS6detail15normal_iteratorINS9_10device_ptrIyEEEESE_PNS0_10empty_typeENS0_5tupleIJSE_SF_EEENSH_IJSE_SG_EEENS0_18inequality_wrapperI22is_equal_div_10_uniqueIyEEEPmJSF_EEE10hipError_tPvRmT3_T4_T5_T6_T7_T9_mT8_P12ihipStream_tbDpT10_ENKUlT_T0_E_clISt17integral_constantIbLb0EES17_IbLb1EEEEDaS13_S14_EUlS13_E_NS1_11comp_targetILNS1_3genE10ELNS1_11target_archE1200ELNS1_3gpuE4ELNS1_3repE0EEENS1_30default_config_static_selectorELNS0_4arch9wavefront6targetE0EEEvT1_,"axG",@progbits,_ZN7rocprim17ROCPRIM_400000_NS6detail17trampoline_kernelINS0_14default_configENS1_25partition_config_selectorILNS1_17partition_subalgoE9EyybEEZZNS1_14partition_implILS5_9ELb0ES3_jN6thrust23THRUST_200600_302600_NS6detail15normal_iteratorINS9_10device_ptrIyEEEESE_PNS0_10empty_typeENS0_5tupleIJSE_SF_EEENSH_IJSE_SG_EEENS0_18inequality_wrapperI22is_equal_div_10_uniqueIyEEEPmJSF_EEE10hipError_tPvRmT3_T4_T5_T6_T7_T9_mT8_P12ihipStream_tbDpT10_ENKUlT_T0_E_clISt17integral_constantIbLb0EES17_IbLb1EEEEDaS13_S14_EUlS13_E_NS1_11comp_targetILNS1_3genE10ELNS1_11target_archE1200ELNS1_3gpuE4ELNS1_3repE0EEENS1_30default_config_static_selectorELNS0_4arch9wavefront6targetE0EEEvT1_,comdat
.Lfunc_end206:
	.size	_ZN7rocprim17ROCPRIM_400000_NS6detail17trampoline_kernelINS0_14default_configENS1_25partition_config_selectorILNS1_17partition_subalgoE9EyybEEZZNS1_14partition_implILS5_9ELb0ES3_jN6thrust23THRUST_200600_302600_NS6detail15normal_iteratorINS9_10device_ptrIyEEEESE_PNS0_10empty_typeENS0_5tupleIJSE_SF_EEENSH_IJSE_SG_EEENS0_18inequality_wrapperI22is_equal_div_10_uniqueIyEEEPmJSF_EEE10hipError_tPvRmT3_T4_T5_T6_T7_T9_mT8_P12ihipStream_tbDpT10_ENKUlT_T0_E_clISt17integral_constantIbLb0EES17_IbLb1EEEEDaS13_S14_EUlS13_E_NS1_11comp_targetILNS1_3genE10ELNS1_11target_archE1200ELNS1_3gpuE4ELNS1_3repE0EEENS1_30default_config_static_selectorELNS0_4arch9wavefront6targetE0EEEvT1_, .Lfunc_end206-_ZN7rocprim17ROCPRIM_400000_NS6detail17trampoline_kernelINS0_14default_configENS1_25partition_config_selectorILNS1_17partition_subalgoE9EyybEEZZNS1_14partition_implILS5_9ELb0ES3_jN6thrust23THRUST_200600_302600_NS6detail15normal_iteratorINS9_10device_ptrIyEEEESE_PNS0_10empty_typeENS0_5tupleIJSE_SF_EEENSH_IJSE_SG_EEENS0_18inequality_wrapperI22is_equal_div_10_uniqueIyEEEPmJSF_EEE10hipError_tPvRmT3_T4_T5_T6_T7_T9_mT8_P12ihipStream_tbDpT10_ENKUlT_T0_E_clISt17integral_constantIbLb0EES17_IbLb1EEEEDaS13_S14_EUlS13_E_NS1_11comp_targetILNS1_3genE10ELNS1_11target_archE1200ELNS1_3gpuE4ELNS1_3repE0EEENS1_30default_config_static_selectorELNS0_4arch9wavefront6targetE0EEEvT1_
                                        ; -- End function
	.section	.AMDGPU.csdata,"",@progbits
; Kernel info:
; codeLenInByte = 0
; NumSgprs: 0
; NumVgprs: 0
; ScratchSize: 0
; MemoryBound: 0
; FloatMode: 240
; IeeeMode: 1
; LDSByteSize: 0 bytes/workgroup (compile time only)
; SGPRBlocks: 0
; VGPRBlocks: 0
; NumSGPRsForWavesPerEU: 1
; NumVGPRsForWavesPerEU: 1
; Occupancy: 15
; WaveLimiterHint : 0
; COMPUTE_PGM_RSRC2:SCRATCH_EN: 0
; COMPUTE_PGM_RSRC2:USER_SGPR: 15
; COMPUTE_PGM_RSRC2:TRAP_HANDLER: 0
; COMPUTE_PGM_RSRC2:TGID_X_EN: 1
; COMPUTE_PGM_RSRC2:TGID_Y_EN: 0
; COMPUTE_PGM_RSRC2:TGID_Z_EN: 0
; COMPUTE_PGM_RSRC2:TIDIG_COMP_CNT: 0
	.section	.text._ZN7rocprim17ROCPRIM_400000_NS6detail17trampoline_kernelINS0_14default_configENS1_25partition_config_selectorILNS1_17partition_subalgoE9EyybEEZZNS1_14partition_implILS5_9ELb0ES3_jN6thrust23THRUST_200600_302600_NS6detail15normal_iteratorINS9_10device_ptrIyEEEESE_PNS0_10empty_typeENS0_5tupleIJSE_SF_EEENSH_IJSE_SG_EEENS0_18inequality_wrapperI22is_equal_div_10_uniqueIyEEEPmJSF_EEE10hipError_tPvRmT3_T4_T5_T6_T7_T9_mT8_P12ihipStream_tbDpT10_ENKUlT_T0_E_clISt17integral_constantIbLb0EES17_IbLb1EEEEDaS13_S14_EUlS13_E_NS1_11comp_targetILNS1_3genE9ELNS1_11target_archE1100ELNS1_3gpuE3ELNS1_3repE0EEENS1_30default_config_static_selectorELNS0_4arch9wavefront6targetE0EEEvT1_,"axG",@progbits,_ZN7rocprim17ROCPRIM_400000_NS6detail17trampoline_kernelINS0_14default_configENS1_25partition_config_selectorILNS1_17partition_subalgoE9EyybEEZZNS1_14partition_implILS5_9ELb0ES3_jN6thrust23THRUST_200600_302600_NS6detail15normal_iteratorINS9_10device_ptrIyEEEESE_PNS0_10empty_typeENS0_5tupleIJSE_SF_EEENSH_IJSE_SG_EEENS0_18inequality_wrapperI22is_equal_div_10_uniqueIyEEEPmJSF_EEE10hipError_tPvRmT3_T4_T5_T6_T7_T9_mT8_P12ihipStream_tbDpT10_ENKUlT_T0_E_clISt17integral_constantIbLb0EES17_IbLb1EEEEDaS13_S14_EUlS13_E_NS1_11comp_targetILNS1_3genE9ELNS1_11target_archE1100ELNS1_3gpuE3ELNS1_3repE0EEENS1_30default_config_static_selectorELNS0_4arch9wavefront6targetE0EEEvT1_,comdat
	.protected	_ZN7rocprim17ROCPRIM_400000_NS6detail17trampoline_kernelINS0_14default_configENS1_25partition_config_selectorILNS1_17partition_subalgoE9EyybEEZZNS1_14partition_implILS5_9ELb0ES3_jN6thrust23THRUST_200600_302600_NS6detail15normal_iteratorINS9_10device_ptrIyEEEESE_PNS0_10empty_typeENS0_5tupleIJSE_SF_EEENSH_IJSE_SG_EEENS0_18inequality_wrapperI22is_equal_div_10_uniqueIyEEEPmJSF_EEE10hipError_tPvRmT3_T4_T5_T6_T7_T9_mT8_P12ihipStream_tbDpT10_ENKUlT_T0_E_clISt17integral_constantIbLb0EES17_IbLb1EEEEDaS13_S14_EUlS13_E_NS1_11comp_targetILNS1_3genE9ELNS1_11target_archE1100ELNS1_3gpuE3ELNS1_3repE0EEENS1_30default_config_static_selectorELNS0_4arch9wavefront6targetE0EEEvT1_ ; -- Begin function _ZN7rocprim17ROCPRIM_400000_NS6detail17trampoline_kernelINS0_14default_configENS1_25partition_config_selectorILNS1_17partition_subalgoE9EyybEEZZNS1_14partition_implILS5_9ELb0ES3_jN6thrust23THRUST_200600_302600_NS6detail15normal_iteratorINS9_10device_ptrIyEEEESE_PNS0_10empty_typeENS0_5tupleIJSE_SF_EEENSH_IJSE_SG_EEENS0_18inequality_wrapperI22is_equal_div_10_uniqueIyEEEPmJSF_EEE10hipError_tPvRmT3_T4_T5_T6_T7_T9_mT8_P12ihipStream_tbDpT10_ENKUlT_T0_E_clISt17integral_constantIbLb0EES17_IbLb1EEEEDaS13_S14_EUlS13_E_NS1_11comp_targetILNS1_3genE9ELNS1_11target_archE1100ELNS1_3gpuE3ELNS1_3repE0EEENS1_30default_config_static_selectorELNS0_4arch9wavefront6targetE0EEEvT1_
	.globl	_ZN7rocprim17ROCPRIM_400000_NS6detail17trampoline_kernelINS0_14default_configENS1_25partition_config_selectorILNS1_17partition_subalgoE9EyybEEZZNS1_14partition_implILS5_9ELb0ES3_jN6thrust23THRUST_200600_302600_NS6detail15normal_iteratorINS9_10device_ptrIyEEEESE_PNS0_10empty_typeENS0_5tupleIJSE_SF_EEENSH_IJSE_SG_EEENS0_18inequality_wrapperI22is_equal_div_10_uniqueIyEEEPmJSF_EEE10hipError_tPvRmT3_T4_T5_T6_T7_T9_mT8_P12ihipStream_tbDpT10_ENKUlT_T0_E_clISt17integral_constantIbLb0EES17_IbLb1EEEEDaS13_S14_EUlS13_E_NS1_11comp_targetILNS1_3genE9ELNS1_11target_archE1100ELNS1_3gpuE3ELNS1_3repE0EEENS1_30default_config_static_selectorELNS0_4arch9wavefront6targetE0EEEvT1_
	.p2align	8
	.type	_ZN7rocprim17ROCPRIM_400000_NS6detail17trampoline_kernelINS0_14default_configENS1_25partition_config_selectorILNS1_17partition_subalgoE9EyybEEZZNS1_14partition_implILS5_9ELb0ES3_jN6thrust23THRUST_200600_302600_NS6detail15normal_iteratorINS9_10device_ptrIyEEEESE_PNS0_10empty_typeENS0_5tupleIJSE_SF_EEENSH_IJSE_SG_EEENS0_18inequality_wrapperI22is_equal_div_10_uniqueIyEEEPmJSF_EEE10hipError_tPvRmT3_T4_T5_T6_T7_T9_mT8_P12ihipStream_tbDpT10_ENKUlT_T0_E_clISt17integral_constantIbLb0EES17_IbLb1EEEEDaS13_S14_EUlS13_E_NS1_11comp_targetILNS1_3genE9ELNS1_11target_archE1100ELNS1_3gpuE3ELNS1_3repE0EEENS1_30default_config_static_selectorELNS0_4arch9wavefront6targetE0EEEvT1_,@function
_ZN7rocprim17ROCPRIM_400000_NS6detail17trampoline_kernelINS0_14default_configENS1_25partition_config_selectorILNS1_17partition_subalgoE9EyybEEZZNS1_14partition_implILS5_9ELb0ES3_jN6thrust23THRUST_200600_302600_NS6detail15normal_iteratorINS9_10device_ptrIyEEEESE_PNS0_10empty_typeENS0_5tupleIJSE_SF_EEENSH_IJSE_SG_EEENS0_18inequality_wrapperI22is_equal_div_10_uniqueIyEEEPmJSF_EEE10hipError_tPvRmT3_T4_T5_T6_T7_T9_mT8_P12ihipStream_tbDpT10_ENKUlT_T0_E_clISt17integral_constantIbLb0EES17_IbLb1EEEEDaS13_S14_EUlS13_E_NS1_11comp_targetILNS1_3genE9ELNS1_11target_archE1100ELNS1_3gpuE3ELNS1_3repE0EEENS1_30default_config_static_selectorELNS0_4arch9wavefront6targetE0EEEvT1_: ; @_ZN7rocprim17ROCPRIM_400000_NS6detail17trampoline_kernelINS0_14default_configENS1_25partition_config_selectorILNS1_17partition_subalgoE9EyybEEZZNS1_14partition_implILS5_9ELb0ES3_jN6thrust23THRUST_200600_302600_NS6detail15normal_iteratorINS9_10device_ptrIyEEEESE_PNS0_10empty_typeENS0_5tupleIJSE_SF_EEENSH_IJSE_SG_EEENS0_18inequality_wrapperI22is_equal_div_10_uniqueIyEEEPmJSF_EEE10hipError_tPvRmT3_T4_T5_T6_T7_T9_mT8_P12ihipStream_tbDpT10_ENKUlT_T0_E_clISt17integral_constantIbLb0EES17_IbLb1EEEEDaS13_S14_EUlS13_E_NS1_11comp_targetILNS1_3genE9ELNS1_11target_archE1100ELNS1_3gpuE3ELNS1_3repE0EEENS1_30default_config_static_selectorELNS0_4arch9wavefront6targetE0EEEvT1_
; %bb.0:
	s_clause 0x4
	s_load_b128 s[4:7], s[0:1], 0x8
	s_load_b64 s[18:19], s[0:1], 0x18
	s_load_b128 s[8:11], s[0:1], 0x40
	s_load_b64 s[22:23], s[0:1], 0x50
	s_load_b64 s[16:17], s[0:1], 0x60
	v_cmp_ne_u32_e64 s3, 0, v0
	v_cmp_eq_u32_e64 s2, 0, v0
	s_delay_alu instid0(VALU_DEP_1)
	s_and_saveexec_b32 s12, s2
	s_cbranch_execz .LBB207_4
; %bb.1:
	s_mov_b32 s14, exec_lo
	s_mov_b32 s13, exec_lo
	v_mbcnt_lo_u32_b32 v1, s14, 0
                                        ; implicit-def: $vgpr2
	s_delay_alu instid0(VALU_DEP_1)
	v_cmpx_eq_u32_e32 0, v1
	s_cbranch_execz .LBB207_3
; %bb.2:
	s_load_b64 s[20:21], s[0:1], 0x70
	s_bcnt1_i32_b32 s14, s14
	s_delay_alu instid0(SALU_CYCLE_1)
	v_dual_mov_b32 v2, 0 :: v_dual_mov_b32 v3, s14
	s_waitcnt lgkmcnt(0)
	global_atomic_add_u32 v2, v2, v3, s[20:21] glc
.LBB207_3:
	s_or_b32 exec_lo, exec_lo, s13
	s_waitcnt vmcnt(0)
	v_readfirstlane_b32 s13, v2
	s_delay_alu instid0(VALU_DEP_1)
	v_dual_mov_b32 v2, 0 :: v_dual_add_nc_u32 v1, s13, v1
	ds_store_b32 v2, v1
.LBB207_4:
	s_or_b32 exec_lo, exec_lo, s12
	v_mov_b32_e32 v1, 0
	s_clause 0x1
	s_load_b128 s[12:15], s[0:1], 0x28
	s_load_b32 s0, s[0:1], 0x68
	s_waitcnt lgkmcnt(0)
	s_barrier
	buffer_gl0_inv
	ds_load_b32 v3, v1
	s_waitcnt lgkmcnt(0)
	s_barrier
	buffer_gl0_inv
	global_load_b64 v[1:2], v1, s[10:11]
	s_lshl_b64 s[20:21], s[6:7], 3
	s_mov_b32 s11, 0
	s_add_u32 s26, s4, s20
	s_addc_u32 s28, s5, s21
	v_lshlrev_b32_e32 v55, 3, v0
	v_lshrrev_b32_e32 v34, 2, v0
	v_or_b32_e32 v39, 0x200, v0
	v_or_b32_e32 v38, 0x400, v0
	;; [unrolled: 1-line block ×5, first 2 shown]
	s_add_i32 s4, s0, -1
	s_lshl_b32 s0, s0, 12
	s_lshl_b32 s1, s4, 12
	v_or_b32_e32 v33, 0xc00, v0
	v_readfirstlane_b32 s24, v3
	s_add_i32 s1, s6, s1
	v_or_b32_e32 v36, 0xe00, v0
	s_sub_i32 s25, s22, s1
	s_delay_alu instid0(VALU_DEP_2)
	s_lshl_b32 s10, s24, 12
	s_add_u32 s0, s6, s0
	s_addc_u32 s1, s7, 0
	s_cmp_eq_u32 s24, s4
	v_cmp_ge_u64_e64 s0, s[0:1], s[22:23]
	s_cselect_b32 s22, -1, 0
	s_lshl_b64 s[4:5], s[10:11], 3
	s_delay_alu instid0(VALU_DEP_1) | instskip(NEXT) | instid1(SALU_CYCLE_1)
	s_and_b32 s1, s0, s22
	s_xor_b32 s23, s1, -1
	s_add_u32 s27, s26, s4
	s_addc_u32 s26, s28, s5
	s_and_b32 vcc_lo, exec_lo, s23
	s_mov_b32 s28, -1
	s_waitcnt vmcnt(0)
	v_readfirstlane_b32 s10, v1
	v_readfirstlane_b32 s11, v2
	s_cbranch_vccz .LBB207_6
; %bb.5:
	v_add_co_u32 v1, s0, s27, v55
	s_delay_alu instid0(VALU_DEP_1) | instskip(SKIP_1) | instid1(VALU_DEP_3)
	v_add_co_ci_u32_e64 v2, null, s26, 0, s0
	v_lshrrev_b32_e32 v18, 2, v39
	v_add_co_u32 v3, vcc_lo, 0x1000, v1
	s_delay_alu instid0(VALU_DEP_3)
	v_add_co_ci_u32_e32 v4, vcc_lo, 0, v2, vcc_lo
	v_add_co_u32 v5, vcc_lo, 0x2000, v1
	v_add_co_ci_u32_e32 v6, vcc_lo, 0, v2, vcc_lo
	v_add_co_u32 v7, vcc_lo, 0x3000, v1
	;; [unrolled: 2-line block ×6, first 2 shown]
	v_add_co_ci_u32_e32 v16, vcc_lo, 0, v2, vcc_lo
	s_clause 0x7
	flat_load_b64 v[1:2], v[1:2]
	flat_load_b64 v[3:4], v[3:4]
	;; [unrolled: 1-line block ×8, first 2 shown]
	v_lshrrev_b32_e32 v19, 2, v38
	v_lshrrev_b32_e32 v20, 2, v40
	v_lshrrev_b32_e32 v21, 2, v37
	v_and_b32_e32 v17, 0x78, v34
	v_lshrrev_b32_e32 v22, 2, v35
	v_lshrrev_b32_e32 v23, 2, v33
	;; [unrolled: 1-line block ×3, first 2 shown]
	v_and_b32_e32 v18, 0xf8, v18
	v_and_b32_e32 v19, 0x178, v19
	;; [unrolled: 1-line block ×4, first 2 shown]
	v_add_nc_u32_e32 v17, v17, v55
	v_and_b32_e32 v22, 0x2f8, v22
	v_and_b32_e32 v23, 0x378, v23
	;; [unrolled: 1-line block ×3, first 2 shown]
	v_add_nc_u32_e32 v18, v18, v55
	v_add_nc_u32_e32 v19, v19, v55
	;; [unrolled: 1-line block ×4, first 2 shown]
	s_mov_b32 s28, 0
	v_add_nc_u32_e32 v22, v22, v55
	v_add_nc_u32_e32 v23, v23, v55
	;; [unrolled: 1-line block ×3, first 2 shown]
	s_waitcnt vmcnt(7) lgkmcnt(7)
	ds_store_b64 v17, v[1:2]
	s_waitcnt vmcnt(6) lgkmcnt(7)
	ds_store_b64 v18, v[3:4] offset:4096
	s_waitcnt vmcnt(5) lgkmcnt(7)
	ds_store_b64 v19, v[5:6] offset:8192
	;; [unrolled: 2-line block ×7, first 2 shown]
	s_waitcnt lgkmcnt(0)
	s_barrier
.LBB207_6:
	v_cmp_gt_u32_e64 s0, s25, v0
	s_and_not1_b32 vcc_lo, exec_lo, s28
	s_cbranch_vccnz .LBB207_24
; %bb.7:
                                        ; implicit-def: $vgpr1_vgpr2_vgpr3_vgpr4_vgpr5_vgpr6_vgpr7_vgpr8_vgpr9_vgpr10_vgpr11_vgpr12_vgpr13_vgpr14_vgpr15_vgpr16
	s_delay_alu instid0(VALU_DEP_1)
	s_and_saveexec_b32 s28, s0
	s_cbranch_execz .LBB207_15
; %bb.8:
	v_add_co_u32 v1, s0, s27, v55
	s_delay_alu instid0(VALU_DEP_1) | instskip(SKIP_2) | instid1(SALU_CYCLE_1)
	v_add_co_ci_u32_e64 v2, null, s26, 0, s0
	flat_load_b64 v[1:2], v[1:2]
	s_or_b32 exec_lo, exec_lo, s28
	s_mov_b32 s0, exec_lo
	v_cmpx_gt_u32_e64 s25, v39
	s_cbranch_execnz .LBB207_16
.LBB207_9:
	s_or_b32 exec_lo, exec_lo, s0
	s_delay_alu instid0(SALU_CYCLE_1)
	s_mov_b32 s0, exec_lo
	v_cmpx_gt_u32_e64 s25, v38
	s_cbranch_execz .LBB207_17
.LBB207_10:
	v_lshlrev_b32_e32 v5, 3, v38
	s_delay_alu instid0(VALU_DEP_1) | instskip(NEXT) | instid1(VALU_DEP_1)
	v_add_co_u32 v5, s28, s27, v5
	v_add_co_ci_u32_e64 v6, null, s26, 0, s28
	flat_load_b64 v[5:6], v[5:6]
	s_or_b32 exec_lo, exec_lo, s0
	s_delay_alu instid0(SALU_CYCLE_1)
	s_mov_b32 s0, exec_lo
	v_cmpx_gt_u32_e64 s25, v40
	s_cbranch_execnz .LBB207_18
.LBB207_11:
	s_or_b32 exec_lo, exec_lo, s0
	s_delay_alu instid0(SALU_CYCLE_1)
	s_mov_b32 s0, exec_lo
	v_cmpx_gt_u32_e64 s25, v37
	s_cbranch_execz .LBB207_19
.LBB207_12:
	v_lshlrev_b32_e32 v9, 3, v37
	s_delay_alu instid0(VALU_DEP_1) | instskip(NEXT) | instid1(VALU_DEP_1)
	v_add_co_u32 v9, s28, s27, v9
	v_add_co_ci_u32_e64 v10, null, s26, 0, s28
	flat_load_b64 v[9:10], v[9:10]
	s_or_b32 exec_lo, exec_lo, s0
	s_delay_alu instid0(SALU_CYCLE_1)
	s_mov_b32 s0, exec_lo
	v_cmpx_gt_u32_e64 s25, v35
	s_cbranch_execnz .LBB207_20
.LBB207_13:
	s_or_b32 exec_lo, exec_lo, s0
	s_delay_alu instid0(SALU_CYCLE_1)
	s_mov_b32 s0, exec_lo
	v_cmpx_gt_u32_e64 s25, v33
	s_cbranch_execz .LBB207_21
.LBB207_14:
	v_lshlrev_b32_e32 v13, 3, v33
	s_delay_alu instid0(VALU_DEP_1) | instskip(NEXT) | instid1(VALU_DEP_1)
	v_add_co_u32 v13, s28, s27, v13
	v_add_co_ci_u32_e64 v14, null, s26, 0, s28
	flat_load_b64 v[13:14], v[13:14]
	s_or_b32 exec_lo, exec_lo, s0
	s_delay_alu instid0(SALU_CYCLE_1)
	s_mov_b32 s0, exec_lo
	v_cmpx_gt_u32_e64 s25, v36
	s_cbranch_execnz .LBB207_22
	s_branch .LBB207_23
.LBB207_15:
	s_or_b32 exec_lo, exec_lo, s28
	s_delay_alu instid0(SALU_CYCLE_1)
	s_mov_b32 s0, exec_lo
	v_cmpx_gt_u32_e64 s25, v39
	s_cbranch_execz .LBB207_9
.LBB207_16:
	v_lshlrev_b32_e32 v3, 3, v39
	s_delay_alu instid0(VALU_DEP_1) | instskip(NEXT) | instid1(VALU_DEP_1)
	v_add_co_u32 v3, s28, s27, v3
	v_add_co_ci_u32_e64 v4, null, s26, 0, s28
	flat_load_b64 v[3:4], v[3:4]
	s_or_b32 exec_lo, exec_lo, s0
	s_delay_alu instid0(SALU_CYCLE_1)
	s_mov_b32 s0, exec_lo
	v_cmpx_gt_u32_e64 s25, v38
	s_cbranch_execnz .LBB207_10
.LBB207_17:
	s_or_b32 exec_lo, exec_lo, s0
	s_delay_alu instid0(SALU_CYCLE_1)
	s_mov_b32 s0, exec_lo
	v_cmpx_gt_u32_e64 s25, v40
	s_cbranch_execz .LBB207_11
.LBB207_18:
	v_lshlrev_b32_e32 v7, 3, v40
	s_delay_alu instid0(VALU_DEP_1) | instskip(NEXT) | instid1(VALU_DEP_1)
	v_add_co_u32 v7, s28, s27, v7
	v_add_co_ci_u32_e64 v8, null, s26, 0, s28
	flat_load_b64 v[7:8], v[7:8]
	s_or_b32 exec_lo, exec_lo, s0
	s_delay_alu instid0(SALU_CYCLE_1)
	s_mov_b32 s0, exec_lo
	v_cmpx_gt_u32_e64 s25, v37
	s_cbranch_execnz .LBB207_12
.LBB207_19:
	s_or_b32 exec_lo, exec_lo, s0
	s_delay_alu instid0(SALU_CYCLE_1)
	s_mov_b32 s0, exec_lo
	v_cmpx_gt_u32_e64 s25, v35
	s_cbranch_execz .LBB207_13
.LBB207_20:
	v_lshlrev_b32_e32 v11, 3, v35
	s_delay_alu instid0(VALU_DEP_1) | instskip(NEXT) | instid1(VALU_DEP_1)
	v_add_co_u32 v11, s28, s27, v11
	v_add_co_ci_u32_e64 v12, null, s26, 0, s28
	flat_load_b64 v[11:12], v[11:12]
	s_or_b32 exec_lo, exec_lo, s0
	s_delay_alu instid0(SALU_CYCLE_1)
	s_mov_b32 s0, exec_lo
	v_cmpx_gt_u32_e64 s25, v33
	s_cbranch_execnz .LBB207_14
.LBB207_21:
	s_or_b32 exec_lo, exec_lo, s0
	s_delay_alu instid0(SALU_CYCLE_1)
	s_mov_b32 s0, exec_lo
	v_cmpx_gt_u32_e64 s25, v36
	s_cbranch_execz .LBB207_23
.LBB207_22:
	v_lshlrev_b32_e32 v15, 3, v36
	s_delay_alu instid0(VALU_DEP_1) | instskip(NEXT) | instid1(VALU_DEP_1)
	v_add_co_u32 v15, s28, s27, v15
	v_add_co_ci_u32_e64 v16, null, s26, 0, s28
	flat_load_b64 v[15:16], v[15:16]
.LBB207_23:
	s_or_b32 exec_lo, exec_lo, s0
	v_lshrrev_b32_e32 v17, 2, v39
	v_lshrrev_b32_e32 v18, 2, v38
	;; [unrolled: 1-line block ×4, first 2 shown]
	v_and_b32_e32 v19, 0x78, v34
	v_lshrrev_b32_e32 v22, 2, v35
	v_lshrrev_b32_e32 v23, 2, v33
	;; [unrolled: 1-line block ×3, first 2 shown]
	v_and_b32_e32 v17, 0xf8, v17
	v_and_b32_e32 v18, 0x1f8, v18
	;; [unrolled: 1-line block ×4, first 2 shown]
	v_add_nc_u32_e32 v19, v19, v55
	v_and_b32_e32 v22, 0x3f8, v22
	v_and_b32_e32 v23, 0x3f8, v23
	;; [unrolled: 1-line block ×3, first 2 shown]
	v_add_nc_u32_e32 v17, v17, v55
	v_add_nc_u32_e32 v18, v18, v55
	;; [unrolled: 1-line block ×7, first 2 shown]
	s_waitcnt vmcnt(0) lgkmcnt(0)
	ds_store_b64 v19, v[1:2]
	ds_store_b64 v17, v[3:4] offset:4096
	ds_store_b64 v18, v[5:6] offset:8192
	;; [unrolled: 1-line block ×7, first 2 shown]
	s_waitcnt lgkmcnt(0)
	s_barrier
.LBB207_24:
	v_add_lshl_u32 v41, v34, v55, 3
	buffer_gl0_inv
	s_add_u32 s0, s18, s20
	s_addc_u32 s18, s19, s21
	s_add_u32 s0, s0, s4
	ds_load_2addr_b64 v[29:32], v41 offset1:1
	ds_load_2addr_b64 v[25:28], v41 offset0:2 offset1:3
	ds_load_2addr_b64 v[21:24], v41 offset0:4 offset1:5
	;; [unrolled: 1-line block ×3, first 2 shown]
	s_addc_u32 s4, s18, s5
	s_and_b32 vcc_lo, exec_lo, s23
	s_mov_b32 s5, -1
	s_waitcnt lgkmcnt(0)
	s_barrier
	buffer_gl0_inv
	s_cbranch_vccz .LBB207_26
; %bb.25:
	v_add_co_u32 v1, s5, s0, v55
	s_delay_alu instid0(VALU_DEP_1) | instskip(SKIP_1) | instid1(VALU_DEP_3)
	v_add_co_ci_u32_e64 v2, null, s4, 0, s5
	v_lshrrev_b32_e32 v43, 2, v39
	v_add_co_u32 v3, vcc_lo, 0x1000, v1
	s_delay_alu instid0(VALU_DEP_3)
	v_add_co_ci_u32_e32 v4, vcc_lo, 0, v2, vcc_lo
	v_add_co_u32 v5, vcc_lo, 0x2000, v1
	v_add_co_ci_u32_e32 v6, vcc_lo, 0, v2, vcc_lo
	v_add_co_u32 v7, vcc_lo, 0x3000, v1
	;; [unrolled: 2-line block ×6, first 2 shown]
	v_add_co_ci_u32_e32 v16, vcc_lo, 0, v2, vcc_lo
	s_clause 0x7
	flat_load_b64 v[1:2], v[1:2]
	flat_load_b64 v[3:4], v[3:4]
	;; [unrolled: 1-line block ×8, first 2 shown]
	v_lshrrev_b32_e32 v44, 2, v38
	v_lshrrev_b32_e32 v45, 2, v40
	;; [unrolled: 1-line block ×3, first 2 shown]
	v_and_b32_e32 v42, 0x78, v34
	v_lshrrev_b32_e32 v47, 2, v35
	v_lshrrev_b32_e32 v48, 2, v33
	;; [unrolled: 1-line block ×3, first 2 shown]
	v_and_b32_e32 v43, 0xf8, v43
	v_and_b32_e32 v44, 0x178, v44
	;; [unrolled: 1-line block ×4, first 2 shown]
	v_add_nc_u32_e32 v42, v42, v55
	v_and_b32_e32 v47, 0x2f8, v47
	v_and_b32_e32 v48, 0x378, v48
	v_and_b32_e32 v49, 0x3f8, v49
	v_add_nc_u32_e32 v43, v43, v55
	v_add_nc_u32_e32 v44, v44, v55
	;; [unrolled: 1-line block ×4, first 2 shown]
	s_mov_b32 s5, 0
	v_add_nc_u32_e32 v47, v47, v55
	v_add_nc_u32_e32 v48, v48, v55
	;; [unrolled: 1-line block ×3, first 2 shown]
	s_waitcnt vmcnt(7) lgkmcnt(7)
	ds_store_b64 v42, v[1:2]
	s_waitcnt vmcnt(6) lgkmcnt(7)
	ds_store_b64 v43, v[3:4] offset:4096
	s_waitcnt vmcnt(5) lgkmcnt(7)
	ds_store_b64 v44, v[5:6] offset:8192
	;; [unrolled: 2-line block ×7, first 2 shown]
	s_waitcnt lgkmcnt(0)
	s_barrier
.LBB207_26:
	s_and_not1_b32 vcc_lo, exec_lo, s5
	s_cbranch_vccnz .LBB207_44
; %bb.27:
	s_mov_b32 s5, exec_lo
                                        ; implicit-def: $vgpr1_vgpr2
	v_cmpx_gt_u32_e64 s25, v0
	s_cbranch_execz .LBB207_29
; %bb.28:
	v_add_co_u32 v1, s18, s0, v55
	s_delay_alu instid0(VALU_DEP_1)
	v_add_co_ci_u32_e64 v2, null, s4, 0, s18
	flat_load_b64 v[1:2], v[1:2]
.LBB207_29:
	s_or_b32 exec_lo, exec_lo, s5
	s_delay_alu instid0(SALU_CYCLE_1)
	s_mov_b32 s5, exec_lo
                                        ; implicit-def: $vgpr3_vgpr4
	v_cmpx_gt_u32_e64 s25, v39
	s_cbranch_execz .LBB207_31
; %bb.30:
	v_lshlrev_b32_e32 v3, 3, v39
	s_delay_alu instid0(VALU_DEP_1) | instskip(NEXT) | instid1(VALU_DEP_1)
	v_add_co_u32 v3, s18, s0, v3
	v_add_co_ci_u32_e64 v4, null, s4, 0, s18
	flat_load_b64 v[3:4], v[3:4]
.LBB207_31:
	s_or_b32 exec_lo, exec_lo, s5
	s_delay_alu instid0(SALU_CYCLE_1)
	s_mov_b32 s5, exec_lo
                                        ; implicit-def: $vgpr5_vgpr6
	v_cmpx_gt_u32_e64 s25, v38
	s_cbranch_execz .LBB207_33
; %bb.32:
	v_lshlrev_b32_e32 v5, 3, v38
	s_delay_alu instid0(VALU_DEP_1) | instskip(NEXT) | instid1(VALU_DEP_1)
	v_add_co_u32 v5, s18, s0, v5
	v_add_co_ci_u32_e64 v6, null, s4, 0, s18
	flat_load_b64 v[5:6], v[5:6]
.LBB207_33:
	s_or_b32 exec_lo, exec_lo, s5
	s_delay_alu instid0(SALU_CYCLE_1)
	s_mov_b32 s5, exec_lo
                                        ; implicit-def: $vgpr7_vgpr8
	v_cmpx_gt_u32_e64 s25, v40
	s_cbranch_execz .LBB207_35
; %bb.34:
	v_lshlrev_b32_e32 v7, 3, v40
	s_delay_alu instid0(VALU_DEP_1) | instskip(NEXT) | instid1(VALU_DEP_1)
	v_add_co_u32 v7, s18, s0, v7
	v_add_co_ci_u32_e64 v8, null, s4, 0, s18
	flat_load_b64 v[7:8], v[7:8]
.LBB207_35:
	s_or_b32 exec_lo, exec_lo, s5
	s_delay_alu instid0(SALU_CYCLE_1)
	s_mov_b32 s5, exec_lo
                                        ; implicit-def: $vgpr9_vgpr10
	v_cmpx_gt_u32_e64 s25, v37
	s_cbranch_execz .LBB207_37
; %bb.36:
	v_lshlrev_b32_e32 v9, 3, v37
	s_delay_alu instid0(VALU_DEP_1) | instskip(NEXT) | instid1(VALU_DEP_1)
	v_add_co_u32 v9, s18, s0, v9
	v_add_co_ci_u32_e64 v10, null, s4, 0, s18
	flat_load_b64 v[9:10], v[9:10]
.LBB207_37:
	s_or_b32 exec_lo, exec_lo, s5
	s_delay_alu instid0(SALU_CYCLE_1)
	s_mov_b32 s5, exec_lo
                                        ; implicit-def: $vgpr11_vgpr12
	v_cmpx_gt_u32_e64 s25, v35
	s_cbranch_execz .LBB207_39
; %bb.38:
	v_lshlrev_b32_e32 v11, 3, v35
	s_delay_alu instid0(VALU_DEP_1) | instskip(NEXT) | instid1(VALU_DEP_1)
	v_add_co_u32 v11, s18, s0, v11
	v_add_co_ci_u32_e64 v12, null, s4, 0, s18
	flat_load_b64 v[11:12], v[11:12]
.LBB207_39:
	s_or_b32 exec_lo, exec_lo, s5
	s_delay_alu instid0(SALU_CYCLE_1)
	s_mov_b32 s5, exec_lo
                                        ; implicit-def: $vgpr13_vgpr14
	v_cmpx_gt_u32_e64 s25, v33
	s_cbranch_execz .LBB207_41
; %bb.40:
	v_lshlrev_b32_e32 v13, 3, v33
	s_delay_alu instid0(VALU_DEP_1) | instskip(NEXT) | instid1(VALU_DEP_1)
	v_add_co_u32 v13, s18, s0, v13
	v_add_co_ci_u32_e64 v14, null, s4, 0, s18
	flat_load_b64 v[13:14], v[13:14]
.LBB207_41:
	s_or_b32 exec_lo, exec_lo, s5
	s_delay_alu instid0(SALU_CYCLE_1)
	s_mov_b32 s5, exec_lo
                                        ; implicit-def: $vgpr15_vgpr16
	v_cmpx_gt_u32_e64 s25, v36
	s_cbranch_execz .LBB207_43
; %bb.42:
	v_lshlrev_b32_e32 v15, 3, v36
	s_delay_alu instid0(VALU_DEP_1) | instskip(NEXT) | instid1(VALU_DEP_1)
	v_add_co_u32 v15, s0, s0, v15
	v_add_co_ci_u32_e64 v16, null, s4, 0, s0
	flat_load_b64 v[15:16], v[15:16]
.LBB207_43:
	s_or_b32 exec_lo, exec_lo, s5
	v_lshrrev_b32_e32 v39, 2, v39
	v_lshrrev_b32_e32 v38, 2, v38
	;; [unrolled: 1-line block ×4, first 2 shown]
	v_and_b32_e32 v34, 0x78, v34
	v_lshrrev_b32_e32 v35, 2, v35
	v_lshrrev_b32_e32 v33, 2, v33
	;; [unrolled: 1-line block ×3, first 2 shown]
	v_and_b32_e32 v39, 0xf8, v39
	v_and_b32_e32 v38, 0x1f8, v38
	;; [unrolled: 1-line block ×4, first 2 shown]
	v_add_nc_u32_e32 v34, v34, v55
	v_and_b32_e32 v35, 0x3f8, v35
	v_and_b32_e32 v33, 0x3f8, v33
	;; [unrolled: 1-line block ×3, first 2 shown]
	v_add_nc_u32_e32 v39, v39, v55
	v_add_nc_u32_e32 v38, v38, v55
	;; [unrolled: 1-line block ×7, first 2 shown]
	s_waitcnt vmcnt(0) lgkmcnt(0)
	ds_store_b64 v34, v[1:2]
	ds_store_b64 v39, v[3:4] offset:4096
	ds_store_b64 v38, v[5:6] offset:8192
	ds_store_b64 v40, v[7:8] offset:12288
	ds_store_b64 v37, v[9:10] offset:16384
	ds_store_b64 v35, v[11:12] offset:20480
	ds_store_b64 v33, v[13:14] offset:24576
	ds_store_b64 v36, v[15:16] offset:28672
	s_waitcnt lgkmcnt(0)
	s_barrier
.LBB207_44:
	buffer_gl0_inv
	ds_load_2addr_b64 v[13:16], v41 offset1:1
	ds_load_2addr_b64 v[9:12], v41 offset0:2 offset1:3
	ds_load_2addr_b64 v[5:8], v41 offset0:4 offset1:5
	;; [unrolled: 1-line block ×3, first 2 shown]
	s_cmp_lg_u32 s24, 0
	s_waitcnt lgkmcnt(0)
	s_cselect_b32 s18, -1, 0
	s_cmp_lg_u64 s[6:7], 0
	s_barrier
	s_cselect_b32 s0, -1, 0
	buffer_gl0_inv
	s_or_b32 s0, s0, s18
	s_delay_alu instid0(SALU_CYCLE_1)
	s_and_b32 vcc_lo, exec_lo, s0
	s_mov_b32 s0, 0
	s_cbranch_vccz .LBB207_49
; %bb.45:
	v_add_co_u32 v33, s0, -8, s27
	s_delay_alu instid0(VALU_DEP_1)
	v_add_co_ci_u32_e64 v34, null, -1, s26, s0
	s_mov_b32 s0, -1
	s_and_b32 vcc_lo, exec_lo, s23
	flat_load_b64 v[35:36], v[33:34]
	ds_store_b64 v55, v[19:20]
	s_cbranch_vccz .LBB207_50
; %bb.46:
	s_waitcnt vmcnt(0) lgkmcnt(1)
	v_dual_mov_b32 v33, v35 :: v_dual_mov_b32 v34, v36
	s_waitcnt lgkmcnt(0)
	s_barrier
	buffer_gl0_inv
	s_and_saveexec_b32 s0, s3
	s_cbranch_execz .LBB207_48
; %bb.47:
	v_add_nc_u32_e32 v33, -8, v55
	ds_load_b64 v[33:34], v33
.LBB207_48:
	s_or_b32 exec_lo, exec_lo, s0
	s_waitcnt lgkmcnt(0)
	v_mul_hi_i32 v34, 0x66666667, v17
	v_mul_hi_i32 v36, 0x66666667, v19
	;; [unrolled: 1-line block ×6, first 2 shown]
	v_lshrrev_b32_e32 v40, 31, v34
	v_ashrrev_i32_e32 v34, 2, v34
	v_lshrrev_b32_e32 v41, 31, v36
	v_ashrrev_i32_e32 v36, 2, v36
	;; [unrolled: 2-line block ×3, first 2 shown]
	v_add_nc_u32_e32 v34, v34, v40
	v_lshrrev_b32_e32 v43, 31, v38
	v_add_nc_u32_e32 v36, v36, v41
	v_ashrrev_i32_e32 v38, 2, v38
	v_add_nc_u32_e32 v37, v37, v42
	v_mul_hi_i32 v41, 0x66666667, v25
	v_lshrrev_b32_e32 v40, 31, v39
	v_cmp_ne_u32_e32 vcc_lo, v34, v36
	v_add_nc_u32_e32 v38, v38, v43
	v_ashrrev_i32_e32 v39, 2, v39
	v_mul_hi_i32 v42, 0x66666667, v31
	v_mul_hi_i32 v43, 0x66666667, v29
	v_cndmask_b32_e64 v36, 0, 1, vcc_lo
	v_cmp_ne_u32_e32 vcc_lo, v37, v34
	v_add_nc_u32_e32 v39, v39, v40
	v_lshrrev_b32_e32 v40, 31, v41
	v_ashrrev_i32_e32 v41, 2, v41
	v_lshlrev_b16 v36, 8, v36
	v_cndmask_b32_e64 v34, 0, 1, vcc_lo
	v_cmp_ne_u32_e32 vcc_lo, v38, v37
	v_lshrrev_b32_e32 v44, 31, v42
	v_ashrrev_i32_e32 v42, 2, v42
	v_add_nc_u32_e32 v40, v41, v40
	v_lshrrev_b32_e32 v45, 31, v43
	v_cndmask_b32_e64 v37, 0, 1, vcc_lo
	v_cmp_ne_u32_e32 vcc_lo, v39, v38
	v_ashrrev_i32_e32 v43, 2, v43
	v_add_nc_u32_e32 v41, v42, v44
	v_or_b32_e32 v34, v34, v36
	v_lshlrev_b16 v37, 8, v37
	v_cndmask_b32_e64 v38, 0, 1, vcc_lo
	v_cmp_ne_u32_e32 vcc_lo, v40, v39
	v_add_nc_u32_e32 v42, v43, v45
	v_lshrrev_b32_e32 v43, 31, v33
	v_ashrrev_i32_e32 v33, 2, v33
	v_or_b32_e32 v37, v38, v37
	v_cndmask_b32_e64 v39, 0, 1, vcc_lo
	v_cmp_ne_u32_e32 vcc_lo, v41, v40
	v_lshlrev_b32_e32 v34, 16, v34
	v_add_nc_u32_e32 v33, v33, v43
	v_and_b32_e32 v37, 0xffff, v37
	v_lshlrev_b16 v39, 8, v39
	v_cndmask_b32_e64 v40, 0, 1, vcc_lo
	v_cmp_ne_u32_e32 vcc_lo, v42, v41
	v_cmp_ne_u32_e64 s4, v33, v42
	v_or_b32_e32 v34, v37, v34
	s_delay_alu instid0(VALU_DEP_4) | instskip(SKIP_1) | instid1(VALU_DEP_2)
	v_or_b32_e32 v39, v40, v39
	v_cndmask_b32_e64 v41, 0, 1, vcc_lo
	v_lshlrev_b32_e32 v36, 16, v39
	s_delay_alu instid0(VALU_DEP_2) | instskip(NEXT) | instid1(VALU_DEP_1)
	v_lshlrev_b16 v40, 8, v41
	v_and_b32_e32 v38, 0xffff, v40
	s_delay_alu instid0(VALU_DEP_1)
	v_or_b32_e32 v33, v38, v36
	s_branch .LBB207_70
.LBB207_49:
                                        ; implicit-def: $sgpr4
                                        ; implicit-def: $vgpr34
	s_branch .LBB207_71
.LBB207_50:
                                        ; implicit-def: $sgpr4
                                        ; implicit-def: $vgpr34
	s_and_b32 vcc_lo, exec_lo, s0
	s_cbranch_vccz .LBB207_70
; %bb.51:
	v_or_b32_e32 v33, 7, v55
	s_mov_b32 s0, 0
	s_mov_b32 s4, 0
	s_mov_b32 s5, exec_lo
	s_delay_alu instid0(VALU_DEP_1)
	v_cmpx_gt_u32_e64 s25, v33
	s_cbranch_execz .LBB207_53
; %bb.52:
	v_mul_hi_i32 v33, 0x66666667, v17
	v_mul_hi_i32 v34, 0x66666667, v19
	s_waitcnt vmcnt(0) lgkmcnt(1)
	s_delay_alu instid0(VALU_DEP_2) | instskip(SKIP_1) | instid1(VALU_DEP_3)
	v_lshrrev_b32_e32 v36, 31, v33
	v_ashrrev_i32_e32 v33, 2, v33
	v_lshrrev_b32_e32 v37, 31, v34
	v_ashrrev_i32_e32 v34, 2, v34
	s_delay_alu instid0(VALU_DEP_3) | instskip(NEXT) | instid1(VALU_DEP_2)
	v_add_nc_u32_e32 v33, v33, v36
	v_add_nc_u32_e32 v34, v34, v37
	s_delay_alu instid0(VALU_DEP_1)
	v_cmp_ne_u32_e32 vcc_lo, v33, v34
	s_and_b32 s4, vcc_lo, exec_lo
.LBB207_53:
	s_or_b32 exec_lo, exec_lo, s5
	v_or_b32_e32 v33, 6, v55
	s_mov_b32 s5, exec_lo
	s_delay_alu instid0(VALU_DEP_1)
	v_cmpx_gt_u32_e64 s25, v33
	s_cbranch_execz .LBB207_55
; %bb.54:
	v_mul_hi_i32 v33, 0x66666667, v23
	v_mul_hi_i32 v34, 0x66666667, v17
	s_waitcnt vmcnt(0) lgkmcnt(1)
	s_delay_alu instid0(VALU_DEP_2) | instskip(SKIP_1) | instid1(VALU_DEP_3)
	v_lshrrev_b32_e32 v36, 31, v33
	v_ashrrev_i32_e32 v33, 2, v33
	v_lshrrev_b32_e32 v37, 31, v34
	v_ashrrev_i32_e32 v34, 2, v34
	s_delay_alu instid0(VALU_DEP_3) | instskip(NEXT) | instid1(VALU_DEP_2)
	v_add_nc_u32_e32 v33, v33, v36
	v_add_nc_u32_e32 v34, v34, v37
	s_delay_alu instid0(VALU_DEP_1)
	v_cmp_ne_u32_e32 vcc_lo, v33, v34
	s_and_b32 s0, vcc_lo, exec_lo
.LBB207_55:
	s_or_b32 exec_lo, exec_lo, s5
	v_or_b32_e32 v33, 5, v55
	s_mov_b32 s6, 0
	s_mov_b32 s5, 0
	s_mov_b32 s7, exec_lo
	s_delay_alu instid0(VALU_DEP_1)
	v_cmpx_gt_u32_e64 s25, v33
	s_cbranch_execz .LBB207_57
; %bb.56:
	v_mul_hi_i32 v33, 0x66666667, v21
	v_mul_hi_i32 v34, 0x66666667, v23
	s_waitcnt vmcnt(0) lgkmcnt(1)
	s_delay_alu instid0(VALU_DEP_2) | instskip(SKIP_1) | instid1(VALU_DEP_3)
	v_lshrrev_b32_e32 v36, 31, v33
	v_ashrrev_i32_e32 v33, 2, v33
	v_lshrrev_b32_e32 v37, 31, v34
	v_ashrrev_i32_e32 v34, 2, v34
	s_delay_alu instid0(VALU_DEP_3) | instskip(NEXT) | instid1(VALU_DEP_2)
	v_add_nc_u32_e32 v33, v33, v36
	v_add_nc_u32_e32 v34, v34, v37
	s_delay_alu instid0(VALU_DEP_1)
	v_cmp_ne_u32_e32 vcc_lo, v33, v34
	s_and_b32 s5, vcc_lo, exec_lo
.LBB207_57:
	s_or_b32 exec_lo, exec_lo, s7
	v_or_b32_e32 v33, 4, v55
	s_mov_b32 s7, exec_lo
	s_delay_alu instid0(VALU_DEP_1)
	v_cmpx_gt_u32_e64 s25, v33
	s_cbranch_execz .LBB207_59
; %bb.58:
	v_mul_hi_i32 v33, 0x66666667, v27
	v_mul_hi_i32 v34, 0x66666667, v21
	s_waitcnt vmcnt(0) lgkmcnt(1)
	s_delay_alu instid0(VALU_DEP_2) | instskip(SKIP_1) | instid1(VALU_DEP_3)
	v_lshrrev_b32_e32 v36, 31, v33
	v_ashrrev_i32_e32 v33, 2, v33
	v_lshrrev_b32_e32 v37, 31, v34
	v_ashrrev_i32_e32 v34, 2, v34
	s_delay_alu instid0(VALU_DEP_3) | instskip(NEXT) | instid1(VALU_DEP_2)
	v_add_nc_u32_e32 v33, v33, v36
	v_add_nc_u32_e32 v34, v34, v37
	s_delay_alu instid0(VALU_DEP_1)
	v_cmp_ne_u32_e32 vcc_lo, v33, v34
	s_and_b32 s6, vcc_lo, exec_lo
.LBB207_59:
	s_or_b32 exec_lo, exec_lo, s7
	;; [unrolled: 46-line block ×3, first 2 shown]
	v_or_b32_e32 v33, 1, v55
	s_mov_b32 s20, 0
	s_mov_b32 s21, exec_lo
	s_delay_alu instid0(VALU_DEP_1)
	v_cmpx_gt_u32_e64 s25, v33
	s_cbranch_execz .LBB207_65
; %bb.64:
	v_mul_hi_i32 v33, 0x66666667, v29
	v_mul_hi_i32 v34, 0x66666667, v31
	s_waitcnt vmcnt(0) lgkmcnt(1)
	s_delay_alu instid0(VALU_DEP_2) | instskip(SKIP_1) | instid1(VALU_DEP_3)
	v_lshrrev_b32_e32 v36, 31, v33
	v_ashrrev_i32_e32 v33, 2, v33
	v_lshrrev_b32_e32 v37, 31, v34
	v_ashrrev_i32_e32 v34, 2, v34
	s_delay_alu instid0(VALU_DEP_3) | instskip(NEXT) | instid1(VALU_DEP_2)
	v_add_nc_u32_e32 v33, v33, v36
	v_add_nc_u32_e32 v34, v34, v37
	s_delay_alu instid0(VALU_DEP_1)
	v_cmp_ne_u32_e32 vcc_lo, v33, v34
	s_and_b32 s20, vcc_lo, exec_lo
.LBB207_65:
	s_or_b32 exec_lo, exec_lo, s21
	s_waitcnt vmcnt(0) lgkmcnt(0)
	s_barrier
	buffer_gl0_inv
	s_and_saveexec_b32 s21, s3
	s_cbranch_execz .LBB207_67
; %bb.66:
	v_add_nc_u32_e32 v33, -8, v55
	ds_load_b64 v[35:36], v33
.LBB207_67:
	s_or_b32 exec_lo, exec_lo, s21
	v_cndmask_b32_e64 v34, 0, 1, s7
	v_cndmask_b32_e64 v37, 0, 1, s5
	;; [unrolled: 1-line block ×4, first 2 shown]
	s_waitcnt lgkmcnt(0)
	v_cndmask_b32_e64 v36, 0, 1, s6
	v_cndmask_b32_e64 v39, 0, 1, s0
	;; [unrolled: 1-line block ×3, first 2 shown]
	v_lshlrev_b16 v34, 8, v34
	v_lshlrev_b16 v37, 8, v37
	;; [unrolled: 1-line block ×3, first 2 shown]
	s_mov_b32 s4, 0
	v_lshlrev_b16 v40, 8, v40
	v_or_b32_e32 v34, v33, v34
	v_or_b32_e32 v36, v36, v37
	;; [unrolled: 1-line block ×3, first 2 shown]
	s_mov_b32 s0, exec_lo
	v_and_b32_e32 v33, 0xffff, v40
	v_lshlrev_b32_e32 v34, 16, v34
	v_and_b32_e32 v36, 0xffff, v36
	v_lshlrev_b32_e32 v37, 16, v37
	v_cmpx_gt_u32_e64 s25, v55
; %bb.68:
	v_mul_hi_i32 v35, 0x66666667, v35
	v_mul_hi_i32 v38, 0x66666667, v29
	s_delay_alu instid0(VALU_DEP_2) | instskip(SKIP_1) | instid1(VALU_DEP_3)
	v_lshrrev_b32_e32 v39, 31, v35
	v_ashrrev_i32_e32 v35, 2, v35
	v_lshrrev_b32_e32 v40, 31, v38
	v_ashrrev_i32_e32 v38, 2, v38
	s_delay_alu instid0(VALU_DEP_3) | instskip(NEXT) | instid1(VALU_DEP_2)
	v_add_nc_u32_e32 v35, v35, v39
	v_add_nc_u32_e32 v38, v38, v40
	s_delay_alu instid0(VALU_DEP_1)
	v_cmp_ne_u32_e32 vcc_lo, v35, v38
	s_and_b32 s4, vcc_lo, exec_lo
; %bb.69:
	s_or_b32 exec_lo, exec_lo, s0
	v_or_b32_e32 v33, v33, v34
	v_or_b32_e32 v34, v36, v37
.LBB207_70:
	s_mov_b32 s0, -1
	s_cbranch_execnz .LBB207_95
.LBB207_71:
	v_mul_hi_i32 v40, 0x66666667, v17
	v_mul_hi_i32 v39, 0x66666667, v23
	;; [unrolled: 1-line block ×4, first 2 shown]
	s_waitcnt vmcnt(0) lgkmcnt(1)
	v_mul_hi_i32 v36, 0x66666667, v25
	v_mul_hi_i32 v35, 0x66666667, v31
	s_and_b32 vcc_lo, exec_lo, s23
	ds_store_b64 v55, v[19:20]
	s_cbranch_vccz .LBB207_75
; %bb.72:
	v_mul_hi_i32 v33, 0x66666667, v19
	v_lshrrev_b32_e32 v34, 31, v40
	v_ashrrev_i32_e32 v41, 2, v40
	v_lshrrev_b32_e32 v42, 31, v39
	v_ashrrev_i32_e32 v43, 2, v39
	;; [unrolled: 2-line block ×3, first 2 shown]
	v_add_nc_u32_e32 v34, v41, v34
	v_lshrrev_b32_e32 v45, 31, v33
	v_ashrrev_i32_e32 v33, 2, v33
	v_add_nc_u32_e32 v41, v43, v42
	v_lshrrev_b32_e32 v42, 31, v37
	v_ashrrev_i32_e32 v43, 2, v37
	v_ashrrev_i32_e32 v48, 2, v35
	v_add_nc_u32_e32 v33, v33, v45
	v_cmp_ne_u32_e32 vcc_lo, v41, v34
	v_mul_hi_i32 v45, 0x66666667, v29
	v_add_nc_u32_e32 v42, v43, v42
	v_lshrrev_b32_e32 v43, 31, v36
	s_waitcnt lgkmcnt(0)
	v_cndmask_b32_e64 v47, 0, 1, vcc_lo
	v_cmp_ne_u32_e32 vcc_lo, v34, v33
	v_add_nc_u32_e32 v34, v46, v44
	v_ashrrev_i32_e32 v44, 2, v36
	v_lshrrev_b32_e32 v46, 31, v35
	v_lshrrev_b32_e32 v49, 31, v45
	v_cndmask_b32_e64 v33, 0, 1, vcc_lo
	v_cmp_ne_u32_e32 vcc_lo, v34, v41
	v_ashrrev_i32_e32 v45, 2, v45
	v_add_nc_u32_e32 v43, v44, v43
	v_add_nc_u32_e32 v44, v48, v46
	v_lshlrev_b16 v33, 8, v33
	v_cndmask_b32_e64 v50, 0, 1, vcc_lo
	v_cmp_ne_u32_e32 vcc_lo, v42, v34
	v_add_nc_u32_e32 v41, v45, v49
	s_barrier
	v_or_b32_e32 v33, v47, v33
	buffer_gl0_inv
	v_cndmask_b32_e64 v34, 0, 1, vcc_lo
	v_cmp_ne_u32_e32 vcc_lo, v43, v42
                                        ; implicit-def: $sgpr4
	v_lshlrev_b32_e32 v33, 16, v33
	v_cndmask_b32_e64 v42, 0, 1, vcc_lo
	v_cmp_ne_u32_e32 vcc_lo, v41, v44
	s_delay_alu instid0(VALU_DEP_2) | instskip(SKIP_3) | instid1(VALU_DEP_3)
	v_lshlrev_b16 v42, 8, v42
	v_cndmask_b32_e64 v45, 0, 1, vcc_lo
	v_cmp_ne_u32_e32 vcc_lo, v44, v43
	v_lshlrev_b16 v44, 8, v50
	v_lshlrev_b16 v45, 8, v45
	v_cndmask_b32_e64 v43, 0, 1, vcc_lo
	s_delay_alu instid0(VALU_DEP_3) | instskip(NEXT) | instid1(VALU_DEP_2)
	v_or_b32_e32 v34, v34, v44
	v_or_b32_e32 v42, v43, v42
	s_delay_alu instid0(VALU_DEP_4) | instskip(NEXT) | instid1(VALU_DEP_3)
	v_or_b32_e32 v43, 1, v45
	v_and_b32_e32 v34, 0xffff, v34
	s_delay_alu instid0(VALU_DEP_3) | instskip(NEXT) | instid1(VALU_DEP_3)
	v_lshlrev_b32_e32 v42, 16, v42
	v_and_b32_e32 v43, 0xffff, v43
	s_delay_alu instid0(VALU_DEP_3) | instskip(NEXT) | instid1(VALU_DEP_2)
	v_or_b32_e32 v34, v34, v33
	v_or_b32_e32 v33, v43, v42
	s_and_saveexec_b32 s5, s3
	s_delay_alu instid0(SALU_CYCLE_1)
	s_xor_b32 s5, exec_lo, s5
	s_cbranch_execz .LBB207_74
; %bb.73:
	v_add_nc_u32_e32 v42, -8, v55
	s_or_b32 s0, s0, exec_lo
	ds_load_b32 v42, v42
	s_waitcnt lgkmcnt(0)
	v_mul_hi_i32 v42, 0x66666667, v42
	s_delay_alu instid0(VALU_DEP_1) | instskip(SKIP_1) | instid1(VALU_DEP_1)
	v_lshrrev_b32_e32 v43, 31, v42
	v_ashrrev_i32_e32 v42, 2, v42
	v_add_nc_u32_e32 v42, v42, v43
	s_delay_alu instid0(VALU_DEP_1)
	v_cmp_ne_u32_e32 vcc_lo, v42, v41
	s_and_b32 s4, vcc_lo, exec_lo
.LBB207_74:
	s_or_b32 exec_lo, exec_lo, s5
	s_branch .LBB207_95
.LBB207_75:
                                        ; implicit-def: $sgpr4
                                        ; implicit-def: $vgpr34
	s_cbranch_execz .LBB207_95
; %bb.76:
	v_or_b32_e32 v33, 7, v55
	s_mov_b32 s4, 0
	s_mov_b32 s5, 0
	s_mov_b32 s6, exec_lo
	s_delay_alu instid0(VALU_DEP_1)
	v_cmpx_gt_u32_e64 s25, v33
; %bb.77:
	v_mul_hi_i32 v33, 0x66666667, v19
	v_lshrrev_b32_e32 v34, 31, v40
	v_ashrrev_i32_e32 v41, 2, v40
	s_delay_alu instid0(VALU_DEP_1) | instskip(NEXT) | instid1(VALU_DEP_4)
	v_add_nc_u32_e32 v34, v41, v34
	v_lshrrev_b32_e32 v42, 31, v33
	v_ashrrev_i32_e32 v33, 2, v33
	s_delay_alu instid0(VALU_DEP_1) | instskip(NEXT) | instid1(VALU_DEP_1)
	v_add_nc_u32_e32 v33, v33, v42
	v_cmp_ne_u32_e32 vcc_lo, v34, v33
	s_and_b32 s5, vcc_lo, exec_lo
; %bb.78:
	s_or_b32 exec_lo, exec_lo, s6
	v_or_b32_e32 v33, 6, v55
	s_mov_b32 s6, exec_lo
	s_delay_alu instid0(VALU_DEP_1)
	v_cmpx_gt_u32_e64 s25, v33
; %bb.79:
	v_lshrrev_b32_e32 v33, 31, v39
	v_ashrrev_i32_e32 v34, 2, v39
	v_lshrrev_b32_e32 v41, 31, v40
	v_ashrrev_i32_e32 v40, 2, v40
	s_delay_alu instid0(VALU_DEP_3) | instskip(NEXT) | instid1(VALU_DEP_2)
	v_add_nc_u32_e32 v33, v34, v33
	v_add_nc_u32_e32 v34, v40, v41
	s_delay_alu instid0(VALU_DEP_1)
	v_cmp_ne_u32_e32 vcc_lo, v33, v34
	s_and_b32 s4, vcc_lo, exec_lo
; %bb.80:
	s_or_b32 exec_lo, exec_lo, s6
	v_or_b32_e32 v33, 5, v55
	s_mov_b32 s6, 0
	s_mov_b32 s7, 0
	s_mov_b32 s19, exec_lo
	s_delay_alu instid0(VALU_DEP_1)
	v_cmpx_gt_u32_e64 s25, v33
; %bb.81:
	v_lshrrev_b32_e32 v33, 31, v38
	v_ashrrev_i32_e32 v34, 2, v38
	v_lshrrev_b32_e32 v40, 31, v39
	v_ashrrev_i32_e32 v39, 2, v39
	s_delay_alu instid0(VALU_DEP_3) | instskip(NEXT) | instid1(VALU_DEP_2)
	v_add_nc_u32_e32 v33, v34, v33
	v_add_nc_u32_e32 v34, v39, v40
	s_delay_alu instid0(VALU_DEP_1)
	v_cmp_ne_u32_e32 vcc_lo, v33, v34
	s_and_b32 s7, vcc_lo, exec_lo
; %bb.82:
	s_or_b32 exec_lo, exec_lo, s19
	v_or_b32_e32 v33, 4, v55
	s_mov_b32 s19, exec_lo
	s_delay_alu instid0(VALU_DEP_1)
	v_cmpx_gt_u32_e64 s25, v33
; %bb.83:
	v_lshrrev_b32_e32 v33, 31, v37
	v_ashrrev_i32_e32 v34, 2, v37
	v_lshrrev_b32_e32 v39, 31, v38
	v_ashrrev_i32_e32 v38, 2, v38
	s_delay_alu instid0(VALU_DEP_3) | instskip(NEXT) | instid1(VALU_DEP_2)
	v_add_nc_u32_e32 v33, v34, v33
	v_add_nc_u32_e32 v34, v38, v39
	s_delay_alu instid0(VALU_DEP_1)
	v_cmp_ne_u32_e32 vcc_lo, v33, v34
	s_and_b32 s6, vcc_lo, exec_lo
; %bb.84:
	s_or_b32 exec_lo, exec_lo, s19
	v_or_b32_e32 v33, 3, v55
	s_mov_b32 s20, 0
	s_mov_b32 s19, 0
	s_mov_b32 s21, exec_lo
	s_delay_alu instid0(VALU_DEP_1)
	v_cmpx_gt_u32_e64 s25, v33
; %bb.85:
	v_lshrrev_b32_e32 v33, 31, v36
	v_ashrrev_i32_e32 v34, 2, v36
	v_lshrrev_b32_e32 v38, 31, v37
	v_ashrrev_i32_e32 v37, 2, v37
	s_delay_alu instid0(VALU_DEP_3) | instskip(NEXT) | instid1(VALU_DEP_2)
	v_add_nc_u32_e32 v33, v34, v33
	v_add_nc_u32_e32 v34, v37, v38
	s_delay_alu instid0(VALU_DEP_1)
	v_cmp_ne_u32_e32 vcc_lo, v33, v34
	s_and_b32 s19, vcc_lo, exec_lo
; %bb.86:
	s_or_b32 exec_lo, exec_lo, s21
	v_or_b32_e32 v33, 2, v55
	s_mov_b32 s21, exec_lo
	s_delay_alu instid0(VALU_DEP_1)
	v_cmpx_gt_u32_e64 s25, v33
; %bb.87:
	v_lshrrev_b32_e32 v33, 31, v35
	v_ashrrev_i32_e32 v34, 2, v35
	v_lshrrev_b32_e32 v37, 31, v36
	v_ashrrev_i32_e32 v36, 2, v36
	s_delay_alu instid0(VALU_DEP_3) | instskip(NEXT) | instid1(VALU_DEP_2)
	v_add_nc_u32_e32 v33, v34, v33
	v_add_nc_u32_e32 v34, v36, v37
	s_delay_alu instid0(VALU_DEP_1)
	v_cmp_ne_u32_e32 vcc_lo, v33, v34
	s_and_b32 s20, vcc_lo, exec_lo
; %bb.88:
	s_or_b32 exec_lo, exec_lo, s21
	v_or_b32_e32 v33, 1, v55
	s_mov_b32 s26, 0
	s_mov_b32 s21, exec_lo
	s_delay_alu instid0(VALU_DEP_1)
	v_cmpx_gt_u32_e64 s25, v33
; %bb.89:
	v_mul_hi_i32 v33, 0x66666667, v29
	v_lshrrev_b32_e32 v34, 31, v35
	v_ashrrev_i32_e32 v35, 2, v35
	s_delay_alu instid0(VALU_DEP_1) | instskip(NEXT) | instid1(VALU_DEP_4)
	v_add_nc_u32_e32 v34, v35, v34
	v_lshrrev_b32_e32 v36, 31, v33
	v_ashrrev_i32_e32 v33, 2, v33
	s_delay_alu instid0(VALU_DEP_1) | instskip(NEXT) | instid1(VALU_DEP_1)
	v_add_nc_u32_e32 v33, v33, v36
	v_cmp_ne_u32_e32 vcc_lo, v33, v34
	s_and_b32 s26, vcc_lo, exec_lo
; %bb.90:
	s_or_b32 exec_lo, exec_lo, s21
	v_cndmask_b32_e64 v34, 0, 1, s19
	v_cndmask_b32_e64 v35, 0, 1, s7
	;; [unrolled: 1-line block ×7, first 2 shown]
	v_lshlrev_b16 v35, 8, v35
	v_lshlrev_b16 v36, 8, v36
	;; [unrolled: 1-line block ×4, first 2 shown]
	s_waitcnt lgkmcnt(0)
	v_or_b32_e32 v35, v38, v35
	v_or_b32_e32 v36, v39, v36
	v_or_b32_e32 v37, 1, v37
	v_or_b32_e32 v33, v33, v34
	s_barrier
	v_and_b32_e32 v34, 0xffff, v35
	v_lshlrev_b32_e32 v35, 16, v36
	v_and_b32_e32 v36, 0xffff, v37
	v_lshlrev_b32_e32 v33, 16, v33
	buffer_gl0_inv
                                        ; implicit-def: $sgpr4
	v_or_b32_e32 v34, v34, v35
	v_or_b32_e32 v33, v36, v33
	s_and_saveexec_b32 s5, s3
	s_cbranch_execz .LBB207_94
; %bb.91:
	s_mov_b32 s4, 0
	s_mov_b32 s3, exec_lo
	v_cmpx_gt_u32_e64 s25, v55
	s_cbranch_execz .LBB207_93
; %bb.92:
	v_add_nc_u32_e32 v35, -8, v55
	v_mul_hi_i32 v36, 0x66666667, v29
	ds_load_b32 v35, v35
	v_lshrrev_b32_e32 v37, 31, v36
	v_ashrrev_i32_e32 v36, 2, v36
	s_delay_alu instid0(VALU_DEP_1) | instskip(SKIP_2) | instid1(VALU_DEP_1)
	v_add_nc_u32_e32 v36, v36, v37
	s_waitcnt lgkmcnt(0)
	v_mul_hi_i32 v35, 0x66666667, v35
	v_lshrrev_b32_e32 v38, 31, v35
	v_ashrrev_i32_e32 v35, 2, v35
	s_delay_alu instid0(VALU_DEP_1) | instskip(NEXT) | instid1(VALU_DEP_1)
	v_add_nc_u32_e32 v35, v35, v38
	v_cmp_ne_u32_e32 vcc_lo, v35, v36
	s_and_b32 s4, vcc_lo, exec_lo
.LBB207_93:
	s_or_b32 exec_lo, exec_lo, s3
	s_delay_alu instid0(SALU_CYCLE_1)
	s_and_b32 s4, s4, exec_lo
	s_or_b32 s0, s0, exec_lo
.LBB207_94:
	s_or_b32 exec_lo, exec_lo, s5
.LBB207_95:
	s_and_saveexec_b32 s3, s0
	s_cbranch_execz .LBB207_97
; %bb.96:
	s_waitcnt vmcnt(0) lgkmcnt(1)
	v_and_b32_e32 v35, 0xffffff00, v33
	v_cndmask_b32_e64 v36, 0, 1, s4
	s_delay_alu instid0(VALU_DEP_1) | instskip(NEXT) | instid1(VALU_DEP_1)
	v_or_b32_e32 v35, v36, v35
	v_and_b32_e32 v35, 0xffff, v35
	s_delay_alu instid0(VALU_DEP_1)
	v_and_or_b32 v33, 0xffff0000, v33, v35
.LBB207_97:
	s_or_b32 exec_lo, exec_lo, s3
	s_delay_alu instid0(SALU_CYCLE_1)
	s_and_not1_b32 vcc_lo, exec_lo, s1
	s_cbranch_vccnz .LBB207_99
; %bb.98:
	v_cmp_gt_u32_e32 vcc_lo, s25, v55
	s_waitcnt vmcnt(0) lgkmcnt(1)
	v_or_b32_e32 v36, 1, v55
	v_and_b32_e32 v37, 0xffffff00, v34
	v_or_b32_e32 v38, 2, v55
	v_cndmask_b32_e32 v35, 0, v33, vcc_lo
	s_delay_alu instid0(VALU_DEP_4) | instskip(SKIP_1) | instid1(VALU_DEP_4)
	v_cmp_gt_u32_e32 vcc_lo, s25, v36
	v_or_b32_e32 v36, 4, v55
	v_cmp_gt_u32_e64 s0, s25, v38
	v_or_b32_e32 v38, 3, v55
	v_and_b32_e32 v35, 0xff, v35
	s_delay_alu instid0(VALU_DEP_2) | instskip(NEXT) | instid1(VALU_DEP_2)
	v_cmp_gt_u32_e64 s1, s25, v38
	v_cndmask_b32_e32 v35, v35, v33, vcc_lo
	v_cmp_gt_u32_e32 vcc_lo, s25, v36
	v_cndmask_b32_e32 v36, v37, v34, vcc_lo
	v_or_b32_e32 v37, 5, v55
	s_delay_alu instid0(VALU_DEP_2) | instskip(SKIP_1) | instid1(VALU_DEP_1)
	v_and_b32_e32 v36, 0xffff00ff, v36
	v_and_b32_e32 v35, 0xffff, v35
	v_cndmask_b32_e64 v35, v35, v33, s0
	s_delay_alu instid0(VALU_DEP_4) | instskip(SKIP_1) | instid1(VALU_DEP_3)
	v_cmp_gt_u32_e64 s0, s25, v37
	v_or_b32_e32 v37, 6, v55
	v_and_b32_e32 v35, 0xffffff, v35
	s_delay_alu instid0(VALU_DEP_3) | instskip(NEXT) | instid1(VALU_DEP_2)
	v_cndmask_b32_e64 v36, v36, v34, s0
	v_cndmask_b32_e64 v35, v35, v33, s1
	s_delay_alu instid0(VALU_DEP_1) | instskip(SKIP_2) | instid1(VALU_DEP_3)
	v_dual_cndmask_b32 v35, v35, v33 :: v_dual_and_b32 v36, 0xff00ffff, v36
	v_cmp_gt_u32_e32 vcc_lo, s25, v37
	v_or_b32_e32 v37, 7, v55
	v_cndmask_b32_e64 v35, v35, v33, s0
	s_delay_alu instid0(VALU_DEP_1) | instskip(NEXT) | instid1(VALU_DEP_1)
	v_dual_cndmask_b32 v36, v36, v34 :: v_dual_cndmask_b32 v35, v35, v33
	v_and_b32_e32 v36, 0xffffff, v36
	s_delay_alu instid0(VALU_DEP_4) | instskip(NEXT) | instid1(VALU_DEP_2)
	v_cmp_gt_u32_e32 vcc_lo, s25, v37
	v_dual_cndmask_b32 v34, v36, v34 :: v_dual_cndmask_b32 v33, v35, v33
.LBB207_99:
	s_delay_alu instid0(VALU_DEP_1) | instskip(SKIP_1) | instid1(VALU_DEP_2)
	v_and_b32_e32 v44, 0xff, v33
	s_waitcnt vmcnt(0) lgkmcnt(1)
	v_alignbit_b32 v35, v34, v33, 24
	v_bfe_u32 v46, v33, 8, 8
	v_bfe_u32 v48, v33, 16, 8
	v_and_b32_e32 v52, 0xff, v34
	v_bfe_u32 v54, v34, 8, 8
	v_and_b32_e32 v50, 0xff, v35
	v_add_nc_u32_e32 v35, v46, v44
	v_mbcnt_lo_u32_b32 v58, -1, 0
	v_bfe_u32 v57, v34, 16, 8
	v_lshrrev_b32_e32 v56, 24, v34
	v_lshrrev_b32_e32 v59, 5, v0
	v_add3_u32 v35, v35, v48, v50
	v_and_b32_e32 v36, 15, v58
	v_and_b32_e32 v37, 16, v58
	s_and_b32 vcc_lo, exec_lo, s18
	s_mov_b32 s7, -1
	v_add3_u32 v35, v35, v52, v54
	v_cmp_eq_u32_e64 s3, 0, v36
	v_cmp_lt_u32_e64 s0, 1, v36
	v_cmp_lt_u32_e64 s4, 3, v36
	;; [unrolled: 1-line block ×3, first 2 shown]
	v_add3_u32 v60, v35, v57, v56
	v_or_b32_e32 v35, 31, v0
	v_cmp_eq_u32_e64 s6, 0, v37
	s_waitcnt lgkmcnt(0)
	s_barrier
	buffer_gl0_inv
	v_cmp_eq_u32_e64 s5, v35, v0
	s_cbranch_vccz .LBB207_125
; %bb.100:
	v_mov_b32_dpp v35, v60 row_shr:1 row_mask:0xf bank_mask:0xf
	s_delay_alu instid0(VALU_DEP_1) | instskip(NEXT) | instid1(VALU_DEP_1)
	v_cndmask_b32_e64 v35, v35, 0, s3
	v_add_nc_u32_e32 v35, v35, v60
	s_delay_alu instid0(VALU_DEP_1) | instskip(NEXT) | instid1(VALU_DEP_1)
	v_mov_b32_dpp v36, v35 row_shr:2 row_mask:0xf bank_mask:0xf
	v_cndmask_b32_e64 v36, 0, v36, s0
	s_delay_alu instid0(VALU_DEP_1) | instskip(NEXT) | instid1(VALU_DEP_1)
	v_add_nc_u32_e32 v35, v35, v36
	v_mov_b32_dpp v36, v35 row_shr:4 row_mask:0xf bank_mask:0xf
	s_delay_alu instid0(VALU_DEP_1) | instskip(NEXT) | instid1(VALU_DEP_1)
	v_cndmask_b32_e64 v36, 0, v36, s4
	v_add_nc_u32_e32 v35, v35, v36
	s_delay_alu instid0(VALU_DEP_1) | instskip(NEXT) | instid1(VALU_DEP_1)
	v_mov_b32_dpp v36, v35 row_shr:8 row_mask:0xf bank_mask:0xf
	v_cndmask_b32_e64 v36, 0, v36, s1
	s_delay_alu instid0(VALU_DEP_1) | instskip(SKIP_3) | instid1(VALU_DEP_1)
	v_add_nc_u32_e32 v35, v35, v36
	ds_swizzle_b32 v36, v35 offset:swizzle(BROADCAST,32,15)
	s_waitcnt lgkmcnt(0)
	v_cndmask_b32_e64 v36, v36, 0, s6
	v_add_nc_u32_e32 v35, v35, v36
	s_and_saveexec_b32 s7, s5
	s_cbranch_execz .LBB207_102
; %bb.101:
	v_lshlrev_b32_e32 v36, 2, v59
	ds_store_b32 v36, v35
.LBB207_102:
	s_or_b32 exec_lo, exec_lo, s7
	s_delay_alu instid0(SALU_CYCLE_1)
	s_mov_b32 s7, exec_lo
	s_waitcnt lgkmcnt(0)
	s_barrier
	buffer_gl0_inv
	v_cmpx_gt_u32_e32 16, v0
	s_cbranch_execz .LBB207_104
; %bb.103:
	v_lshlrev_b32_e32 v36, 2, v0
	ds_load_b32 v37, v36
	s_waitcnt lgkmcnt(0)
	v_mov_b32_dpp v38, v37 row_shr:1 row_mask:0xf bank_mask:0xf
	s_delay_alu instid0(VALU_DEP_1) | instskip(NEXT) | instid1(VALU_DEP_1)
	v_cndmask_b32_e64 v38, v38, 0, s3
	v_add_nc_u32_e32 v37, v38, v37
	s_delay_alu instid0(VALU_DEP_1) | instskip(NEXT) | instid1(VALU_DEP_1)
	v_mov_b32_dpp v38, v37 row_shr:2 row_mask:0xf bank_mask:0xf
	v_cndmask_b32_e64 v38, 0, v38, s0
	s_delay_alu instid0(VALU_DEP_1) | instskip(NEXT) | instid1(VALU_DEP_1)
	v_add_nc_u32_e32 v37, v37, v38
	v_mov_b32_dpp v38, v37 row_shr:4 row_mask:0xf bank_mask:0xf
	s_delay_alu instid0(VALU_DEP_1) | instskip(NEXT) | instid1(VALU_DEP_1)
	v_cndmask_b32_e64 v38, 0, v38, s4
	v_add_nc_u32_e32 v37, v37, v38
	s_delay_alu instid0(VALU_DEP_1) | instskip(NEXT) | instid1(VALU_DEP_1)
	v_mov_b32_dpp v38, v37 row_shr:8 row_mask:0xf bank_mask:0xf
	v_cndmask_b32_e64 v38, 0, v38, s1
	s_delay_alu instid0(VALU_DEP_1)
	v_add_nc_u32_e32 v37, v37, v38
	ds_store_b32 v36, v37
.LBB207_104:
	s_or_b32 exec_lo, exec_lo, s7
	v_cmp_gt_u32_e32 vcc_lo, 32, v0
	s_mov_b32 s18, exec_lo
	s_waitcnt lgkmcnt(0)
	s_barrier
	buffer_gl0_inv
                                        ; implicit-def: $vgpr43
	v_cmpx_lt_u32_e32 31, v0
	s_cbranch_execz .LBB207_106
; %bb.105:
	v_lshl_add_u32 v36, v59, 2, -4
	ds_load_b32 v43, v36
	s_waitcnt lgkmcnt(0)
	v_add_nc_u32_e32 v35, v43, v35
.LBB207_106:
	s_or_b32 exec_lo, exec_lo, s18
	v_add_nc_u32_e32 v36, -1, v58
	s_delay_alu instid0(VALU_DEP_1) | instskip(NEXT) | instid1(VALU_DEP_1)
	v_cmp_gt_i32_e64 s7, 0, v36
	v_cndmask_b32_e64 v36, v36, v58, s7
	v_cmp_eq_u32_e64 s7, 0, v58
	s_delay_alu instid0(VALU_DEP_2)
	v_lshlrev_b32_e32 v36, 2, v36
	ds_bpermute_b32 v45, v36, v35
	s_and_saveexec_b32 s18, vcc_lo
	s_cbranch_execz .LBB207_124
; %bb.107:
	v_mov_b32_e32 v39, 0
	ds_load_b32 v35, v39 offset:60
	s_and_saveexec_b32 s19, s7
	s_cbranch_execz .LBB207_109
; %bb.108:
	s_add_i32 s20, s24, 32
	s_mov_b32 s21, 0
	v_mov_b32_e32 v36, 1
	s_lshl_b64 s[20:21], s[20:21], 3
	s_delay_alu instid0(SALU_CYCLE_1)
	s_add_u32 s20, s16, s20
	s_addc_u32 s21, s17, s21
	s_waitcnt lgkmcnt(0)
	global_store_b64 v39, v[35:36], s[20:21]
.LBB207_109:
	s_or_b32 exec_lo, exec_lo, s19
	v_xad_u32 v37, v58, -1, s24
	s_mov_b32 s20, 0
	s_mov_b32 s19, exec_lo
	s_delay_alu instid0(VALU_DEP_1) | instskip(NEXT) | instid1(VALU_DEP_1)
	v_add_nc_u32_e32 v38, 32, v37
	v_lshlrev_b64 v[38:39], 3, v[38:39]
	s_delay_alu instid0(VALU_DEP_1) | instskip(NEXT) | instid1(VALU_DEP_2)
	v_add_co_u32 v41, vcc_lo, s16, v38
	v_add_co_ci_u32_e32 v42, vcc_lo, s17, v39, vcc_lo
	global_load_b64 v[39:40], v[41:42], off glc
	s_waitcnt vmcnt(0)
	v_and_b32_e32 v36, 0xff, v40
	s_delay_alu instid0(VALU_DEP_1)
	v_cmpx_eq_u16_e32 0, v36
	s_cbranch_execz .LBB207_112
.LBB207_110:                            ; =>This Inner Loop Header: Depth=1
	global_load_b64 v[39:40], v[41:42], off glc
	s_waitcnt vmcnt(0)
	v_and_b32_e32 v36, 0xff, v40
	s_delay_alu instid0(VALU_DEP_1) | instskip(SKIP_1) | instid1(SALU_CYCLE_1)
	v_cmp_ne_u16_e32 vcc_lo, 0, v36
	s_or_b32 s20, vcc_lo, s20
	s_and_not1_b32 exec_lo, exec_lo, s20
	s_cbranch_execnz .LBB207_110
; %bb.111:
	s_or_b32 exec_lo, exec_lo, s20
.LBB207_112:
	s_delay_alu instid0(SALU_CYCLE_1)
	s_or_b32 exec_lo, exec_lo, s19
	v_cmp_ne_u32_e32 vcc_lo, 31, v58
	v_lshlrev_b32_e64 v49, v58, -1
	v_add_nc_u32_e32 v53, 2, v58
	v_add_nc_u32_e32 v66, 16, v58
	v_add_co_ci_u32_e32 v36, vcc_lo, 0, v58, vcc_lo
	s_delay_alu instid0(VALU_DEP_1)
	v_lshlrev_b32_e32 v47, 2, v36
	v_and_b32_e32 v36, 0xff, v40
	ds_bpermute_b32 v38, v47, v39
	v_cmp_eq_u16_e32 vcc_lo, 2, v36
	v_and_or_b32 v36, vcc_lo, v49, 0x80000000
	v_cmp_gt_u32_e32 vcc_lo, 30, v58
	s_delay_alu instid0(VALU_DEP_2) | instskip(SKIP_1) | instid1(VALU_DEP_2)
	v_ctz_i32_b32_e32 v36, v36
	v_cndmask_b32_e64 v41, 0, 1, vcc_lo
	v_cmp_lt_u32_e32 vcc_lo, v58, v36
	s_waitcnt lgkmcnt(0)
	s_delay_alu instid0(VALU_DEP_2) | instskip(NEXT) | instid1(VALU_DEP_1)
	v_dual_cndmask_b32 v38, 0, v38 :: v_dual_lshlrev_b32 v41, 1, v41
	v_add_lshl_u32 v51, v41, v58, 2
	v_cmp_gt_u32_e32 vcc_lo, 28, v58
	s_delay_alu instid0(VALU_DEP_3) | instskip(SKIP_4) | instid1(VALU_DEP_1)
	v_add_nc_u32_e32 v38, v38, v39
	v_cndmask_b32_e64 v41, 0, 1, vcc_lo
	v_cmp_le_u32_e32 vcc_lo, v53, v36
	ds_bpermute_b32 v39, v51, v38
	v_lshlrev_b32_e32 v41, 2, v41
	v_add_lshl_u32 v61, v41, v58, 2
	s_waitcnt lgkmcnt(0)
	v_cndmask_b32_e32 v39, 0, v39, vcc_lo
	v_cmp_gt_u32_e32 vcc_lo, 24, v58
	s_delay_alu instid0(VALU_DEP_2) | instskip(SKIP_4) | instid1(VALU_DEP_2)
	v_add_nc_u32_e32 v38, v38, v39
	v_cndmask_b32_e64 v41, 0, 1, vcc_lo
	ds_bpermute_b32 v39, v61, v38
	v_add_nc_u32_e32 v62, 4, v58
	v_lshlrev_b32_e32 v41, 3, v41
	v_cmp_le_u32_e32 vcc_lo, v62, v36
	s_delay_alu instid0(VALU_DEP_2) | instskip(SKIP_3) | instid1(VALU_DEP_2)
	v_add_lshl_u32 v63, v41, v58, 2
	s_waitcnt lgkmcnt(0)
	v_cndmask_b32_e32 v39, 0, v39, vcc_lo
	v_cmp_gt_u32_e32 vcc_lo, 16, v58
	v_add_nc_u32_e32 v38, v38, v39
	v_cndmask_b32_e64 v41, 0, 1, vcc_lo
	ds_bpermute_b32 v39, v63, v38
	v_add_nc_u32_e32 v64, 8, v58
	v_lshlrev_b32_e32 v41, 4, v41
	s_delay_alu instid0(VALU_DEP_2) | instskip(NEXT) | instid1(VALU_DEP_2)
	v_cmp_le_u32_e32 vcc_lo, v64, v36
	v_add_lshl_u32 v65, v41, v58, 2
	s_waitcnt lgkmcnt(0)
	v_cndmask_b32_e32 v39, 0, v39, vcc_lo
	v_cmp_le_u32_e32 vcc_lo, v66, v36
	s_delay_alu instid0(VALU_DEP_2) | instskip(SKIP_3) | instid1(VALU_DEP_1)
	v_add_nc_u32_e32 v38, v38, v39
	ds_bpermute_b32 v39, v65, v38
	s_waitcnt lgkmcnt(0)
	v_cndmask_b32_e32 v36, 0, v39, vcc_lo
	v_dual_mov_b32 v38, 0 :: v_dual_add_nc_u32 v39, v38, v36
	s_branch .LBB207_114
.LBB207_113:                            ;   in Loop: Header=BB207_114 Depth=1
	s_or_b32 exec_lo, exec_lo, s19
	ds_bpermute_b32 v42, v47, v39
	v_and_b32_e32 v41, 0xff, v40
	v_subrev_nc_u32_e32 v37, 32, v37
	s_delay_alu instid0(VALU_DEP_2) | instskip(SKIP_1) | instid1(VALU_DEP_1)
	v_cmp_eq_u16_e32 vcc_lo, 2, v41
	v_and_or_b32 v41, vcc_lo, v49, 0x80000000
	v_ctz_i32_b32_e32 v41, v41
	s_delay_alu instid0(VALU_DEP_1) | instskip(SKIP_3) | instid1(VALU_DEP_2)
	v_cmp_lt_u32_e32 vcc_lo, v58, v41
	s_waitcnt lgkmcnt(0)
	v_cndmask_b32_e32 v42, 0, v42, vcc_lo
	v_cmp_le_u32_e32 vcc_lo, v53, v41
	v_add_nc_u32_e32 v39, v42, v39
	ds_bpermute_b32 v42, v51, v39
	s_waitcnt lgkmcnt(0)
	v_cndmask_b32_e32 v42, 0, v42, vcc_lo
	v_cmp_le_u32_e32 vcc_lo, v62, v41
	s_delay_alu instid0(VALU_DEP_2) | instskip(SKIP_4) | instid1(VALU_DEP_2)
	v_add_nc_u32_e32 v39, v39, v42
	ds_bpermute_b32 v42, v61, v39
	s_waitcnt lgkmcnt(0)
	v_cndmask_b32_e32 v42, 0, v42, vcc_lo
	v_cmp_le_u32_e32 vcc_lo, v64, v41
	v_add_nc_u32_e32 v39, v39, v42
	ds_bpermute_b32 v42, v63, v39
	s_waitcnt lgkmcnt(0)
	v_cndmask_b32_e32 v42, 0, v42, vcc_lo
	v_cmp_le_u32_e32 vcc_lo, v66, v41
	s_delay_alu instid0(VALU_DEP_2) | instskip(SKIP_3) | instid1(VALU_DEP_1)
	v_add_nc_u32_e32 v39, v39, v42
	ds_bpermute_b32 v42, v65, v39
	s_waitcnt lgkmcnt(0)
	v_cndmask_b32_e32 v41, 0, v42, vcc_lo
	v_add3_u32 v39, v41, v36, v39
.LBB207_114:                            ; =>This Loop Header: Depth=1
                                        ;     Child Loop BB207_117 Depth 2
	v_and_b32_e32 v36, 0xff, v40
	s_delay_alu instid0(VALU_DEP_1) | instskip(SKIP_2) | instid1(VALU_DEP_1)
	v_cmp_ne_u16_e32 vcc_lo, 2, v36
	v_cndmask_b32_e64 v36, 0, 1, vcc_lo
	;;#ASMSTART
	;;#ASMEND
	v_cmp_ne_u32_e32 vcc_lo, 0, v36
	v_mov_b32_e32 v36, v39
	s_cmp_lg_u32 vcc_lo, exec_lo
	s_cbranch_scc1 .LBB207_119
; %bb.115:                              ;   in Loop: Header=BB207_114 Depth=1
	v_lshlrev_b64 v[39:40], 3, v[37:38]
	s_mov_b32 s19, exec_lo
	s_delay_alu instid0(VALU_DEP_1) | instskip(NEXT) | instid1(VALU_DEP_2)
	v_add_co_u32 v41, vcc_lo, s16, v39
	v_add_co_ci_u32_e32 v42, vcc_lo, s17, v40, vcc_lo
	global_load_b64 v[39:40], v[41:42], off glc
	s_waitcnt vmcnt(0)
	v_and_b32_e32 v67, 0xff, v40
	s_delay_alu instid0(VALU_DEP_1)
	v_cmpx_eq_u16_e32 0, v67
	s_cbranch_execz .LBB207_113
; %bb.116:                              ;   in Loop: Header=BB207_114 Depth=1
	s_mov_b32 s20, 0
.LBB207_117:                            ;   Parent Loop BB207_114 Depth=1
                                        ; =>  This Inner Loop Header: Depth=2
	global_load_b64 v[39:40], v[41:42], off glc
	s_waitcnt vmcnt(0)
	v_and_b32_e32 v67, 0xff, v40
	s_delay_alu instid0(VALU_DEP_1) | instskip(SKIP_1) | instid1(SALU_CYCLE_1)
	v_cmp_ne_u16_e32 vcc_lo, 0, v67
	s_or_b32 s20, vcc_lo, s20
	s_and_not1_b32 exec_lo, exec_lo, s20
	s_cbranch_execnz .LBB207_117
; %bb.118:                              ;   in Loop: Header=BB207_114 Depth=1
	s_or_b32 exec_lo, exec_lo, s20
	s_branch .LBB207_113
.LBB207_119:                            ;   in Loop: Header=BB207_114 Depth=1
                                        ; implicit-def: $vgpr39
                                        ; implicit-def: $vgpr40
	s_cbranch_execz .LBB207_114
; %bb.120:
	s_and_saveexec_b32 s19, s7
	s_cbranch_execz .LBB207_122
; %bb.121:
	s_add_i32 s20, s24, 32
	s_mov_b32 s21, 0
	v_dual_mov_b32 v38, 2 :: v_dual_add_nc_u32 v37, v36, v35
	s_lshl_b64 s[20:21], s[20:21], 3
	v_mov_b32_e32 v39, 0
	s_add_u32 s20, s16, s20
	s_addc_u32 s21, s17, s21
	global_store_b64 v39, v[37:38], s[20:21]
	ds_store_b64 v39, v[35:36] offset:33792
.LBB207_122:
	s_or_b32 exec_lo, exec_lo, s19
	s_delay_alu instid0(SALU_CYCLE_1)
	s_and_b32 exec_lo, exec_lo, s2
	s_cbranch_execz .LBB207_124
; %bb.123:
	v_mov_b32_e32 v35, 0
	ds_store_b32 v35, v36 offset:60
.LBB207_124:
	s_or_b32 exec_lo, exec_lo, s18
	v_mov_b32_e32 v35, 0
	s_waitcnt lgkmcnt(0)
	s_waitcnt_vscnt null, 0x0
	s_barrier
	buffer_gl0_inv
	v_cndmask_b32_e64 v37, v45, v43, s7
	ds_load_b32 v36, v35 offset:60
	s_waitcnt lgkmcnt(0)
	s_barrier
	buffer_gl0_inv
	v_cndmask_b32_e64 v37, v37, 0, s2
	s_delay_alu instid0(VALU_DEP_1) | instskip(SKIP_2) | instid1(VALU_DEP_1)
	v_add_nc_u32_e32 v53, v36, v37
	ds_load_b64 v[35:36], v35 offset:33792
	v_add_nc_u32_e32 v51, v53, v44
	v_add_nc_u32_e32 v49, v51, v46
	s_delay_alu instid0(VALU_DEP_1) | instskip(NEXT) | instid1(VALU_DEP_1)
	v_add_nc_u32_e32 v47, v49, v48
	v_add_nc_u32_e32 v45, v47, v50
	s_waitcnt lgkmcnt(0)
	v_readfirstlane_b32 s18, v36
	s_delay_alu instid0(VALU_DEP_2) | instskip(NEXT) | instid1(VALU_DEP_1)
	v_add_nc_u32_e32 v43, v45, v52
	v_add_nc_u32_e32 v41, v43, v54
	s_delay_alu instid0(VALU_DEP_1)
	v_add_nc_u32_e32 v39, v41, v57
	v_lshrrev_b64 v[37:38], 24, v[33:34]
	s_branch .LBB207_135
.LBB207_125:
                                        ; implicit-def: $vgpr39
                                        ; implicit-def: $vgpr41
                                        ; implicit-def: $vgpr43
                                        ; implicit-def: $vgpr45
                                        ; implicit-def: $vgpr47
                                        ; implicit-def: $vgpr49
                                        ; implicit-def: $vgpr51
                                        ; implicit-def: $vgpr53
                                        ; implicit-def: $sgpr18
                                        ; implicit-def: $vgpr35
	v_lshrrev_b64 v[37:38], 24, v[33:34]
	s_and_b32 vcc_lo, exec_lo, s7
	s_cbranch_vccz .LBB207_135
; %bb.126:
	v_mov_b32_dpp v35, v60 row_shr:1 row_mask:0xf bank_mask:0xf
	s_delay_alu instid0(VALU_DEP_1) | instskip(NEXT) | instid1(VALU_DEP_1)
	v_cndmask_b32_e64 v35, v35, 0, s3
	v_add_nc_u32_e32 v35, v35, v60
	s_delay_alu instid0(VALU_DEP_1) | instskip(NEXT) | instid1(VALU_DEP_1)
	v_mov_b32_dpp v36, v35 row_shr:2 row_mask:0xf bank_mask:0xf
	v_cndmask_b32_e64 v36, 0, v36, s0
	s_delay_alu instid0(VALU_DEP_1) | instskip(NEXT) | instid1(VALU_DEP_1)
	v_add_nc_u32_e32 v35, v35, v36
	v_mov_b32_dpp v36, v35 row_shr:4 row_mask:0xf bank_mask:0xf
	s_delay_alu instid0(VALU_DEP_1) | instskip(NEXT) | instid1(VALU_DEP_1)
	v_cndmask_b32_e64 v36, 0, v36, s4
	v_add_nc_u32_e32 v35, v35, v36
	s_delay_alu instid0(VALU_DEP_1) | instskip(NEXT) | instid1(VALU_DEP_1)
	v_mov_b32_dpp v36, v35 row_shr:8 row_mask:0xf bank_mask:0xf
	v_cndmask_b32_e64 v36, 0, v36, s1
	s_delay_alu instid0(VALU_DEP_1) | instskip(SKIP_3) | instid1(VALU_DEP_1)
	v_add_nc_u32_e32 v35, v35, v36
	ds_swizzle_b32 v36, v35 offset:swizzle(BROADCAST,32,15)
	s_waitcnt lgkmcnt(0)
	v_cndmask_b32_e64 v36, v36, 0, s6
	v_add_nc_u32_e32 v35, v35, v36
	s_and_saveexec_b32 s6, s5
	s_cbranch_execz .LBB207_128
; %bb.127:
	v_lshlrev_b32_e32 v36, 2, v59
	ds_store_b32 v36, v35
.LBB207_128:
	s_or_b32 exec_lo, exec_lo, s6
	s_delay_alu instid0(SALU_CYCLE_1)
	s_mov_b32 s5, exec_lo
	s_waitcnt lgkmcnt(0)
	s_barrier
	buffer_gl0_inv
	v_cmpx_gt_u32_e32 16, v0
	s_cbranch_execz .LBB207_130
; %bb.129:
	v_lshlrev_b32_e32 v36, 2, v0
	ds_load_b32 v38, v36
	s_waitcnt lgkmcnt(0)
	v_mov_b32_dpp v39, v38 row_shr:1 row_mask:0xf bank_mask:0xf
	s_delay_alu instid0(VALU_DEP_1) | instskip(NEXT) | instid1(VALU_DEP_1)
	v_cndmask_b32_e64 v39, v39, 0, s3
	v_add_nc_u32_e32 v38, v39, v38
	s_delay_alu instid0(VALU_DEP_1) | instskip(NEXT) | instid1(VALU_DEP_1)
	v_mov_b32_dpp v39, v38 row_shr:2 row_mask:0xf bank_mask:0xf
	v_cndmask_b32_e64 v39, 0, v39, s0
	s_delay_alu instid0(VALU_DEP_1) | instskip(NEXT) | instid1(VALU_DEP_1)
	v_add_nc_u32_e32 v38, v38, v39
	v_mov_b32_dpp v39, v38 row_shr:4 row_mask:0xf bank_mask:0xf
	s_delay_alu instid0(VALU_DEP_1) | instskip(NEXT) | instid1(VALU_DEP_1)
	v_cndmask_b32_e64 v39, 0, v39, s4
	v_add_nc_u32_e32 v38, v38, v39
	s_delay_alu instid0(VALU_DEP_1) | instskip(NEXT) | instid1(VALU_DEP_1)
	v_mov_b32_dpp v39, v38 row_shr:8 row_mask:0xf bank_mask:0xf
	v_cndmask_b32_e64 v39, 0, v39, s1
	s_delay_alu instid0(VALU_DEP_1)
	v_add_nc_u32_e32 v38, v38, v39
	ds_store_b32 v36, v38
.LBB207_130:
	s_or_b32 exec_lo, exec_lo, s5
	v_mov_b32_e32 v36, 0
	v_mov_b32_e32 v38, 0
	s_mov_b32 s0, exec_lo
	s_waitcnt lgkmcnt(0)
	s_barrier
	buffer_gl0_inv
	v_cmpx_lt_u32_e32 31, v0
	s_cbranch_execz .LBB207_132
; %bb.131:
	v_lshl_add_u32 v38, v59, 2, -4
	ds_load_b32 v38, v38
.LBB207_132:
	s_or_b32 exec_lo, exec_lo, s0
	v_add_nc_u32_e32 v39, -1, v58
	s_waitcnt lgkmcnt(0)
	v_add_nc_u32_e32 v35, v38, v35
	s_mov_b32 s18, 0
	s_delay_alu instid0(VALU_DEP_2) | instskip(SKIP_1) | instid1(VALU_DEP_1)
	v_cmp_gt_i32_e32 vcc_lo, 0, v39
	v_cndmask_b32_e32 v39, v39, v58, vcc_lo
	v_lshlrev_b32_e32 v39, 2, v39
	ds_bpermute_b32 v39, v39, v35
	ds_load_b32 v35, v36 offset:60
	s_and_saveexec_b32 s0, s2
	s_cbranch_execz .LBB207_134
; %bb.133:
	v_mov_b32_e32 v40, 0
	v_mov_b32_e32 v36, 2
	s_waitcnt lgkmcnt(0)
	global_store_b64 v40, v[35:36], s[16:17] offset:256
.LBB207_134:
	s_or_b32 exec_lo, exec_lo, s0
	v_cmp_eq_u32_e32 vcc_lo, 0, v58
	s_waitcnt lgkmcnt(0)
	s_waitcnt_vscnt null, 0x0
	s_barrier
	buffer_gl0_inv
	v_cndmask_b32_e32 v36, v39, v38, vcc_lo
	s_delay_alu instid0(VALU_DEP_1) | instskip(NEXT) | instid1(VALU_DEP_1)
	v_cndmask_b32_e64 v53, v36, 0, s2
	v_add_nc_u32_e32 v51, v53, v44
	s_delay_alu instid0(VALU_DEP_1) | instskip(NEXT) | instid1(VALU_DEP_1)
	v_add_nc_u32_e32 v49, v51, v46
	v_add_nc_u32_e32 v47, v49, v48
	s_delay_alu instid0(VALU_DEP_1) | instskip(NEXT) | instid1(VALU_DEP_1)
	v_add_nc_u32_e32 v45, v47, v50
	;; [unrolled: 3-line block ×3, first 2 shown]
	v_add_nc_u32_e32 v39, v41, v57
.LBB207_135:
	v_add_nc_u32_e32 v59, s18, v35
	v_cmp_gt_u32_e64 s0, 0x201, v35
	v_lshrrev_b32_e32 v58, 8, v33
	v_lshrrev_b32_e32 v57, 16, v33
	;; [unrolled: 1-line block ×4, first 2 shown]
	v_cmp_lt_u32_e64 s1, v53, v59
	s_and_b32 vcc_lo, exec_lo, s0
	s_mov_b32 s3, -1
	s_cbranch_vccz .LBB207_161
; %bb.136:
	s_lshl_b64 s[4:5], s[10:11], 3
	s_delay_alu instid0(SALU_CYCLE_1) | instskip(SKIP_2) | instid1(SALU_CYCLE_1)
	s_add_u32 s3, s12, s4
	s_addc_u32 s4, s13, s5
	s_or_b32 s5, s23, s1
	s_and_saveexec_b32 s1, s5
	s_cbranch_execz .LBB207_139
; %bb.137:
	v_and_b32_e32 v40, 1, v33
	s_delay_alu instid0(VALU_DEP_1)
	v_cmp_eq_u32_e32 vcc_lo, 1, v40
	s_and_b32 exec_lo, exec_lo, vcc_lo
	s_cbranch_execz .LBB207_139
; %bb.138:
	v_mov_b32_e32 v54, 0
	s_delay_alu instid0(VALU_DEP_1) | instskip(NEXT) | instid1(VALU_DEP_1)
	v_lshlrev_b64 v[60:61], 3, v[53:54]
	v_add_co_u32 v60, vcc_lo, s3, v60
	s_delay_alu instid0(VALU_DEP_2)
	v_add_co_ci_u32_e32 v61, vcc_lo, s4, v61, vcc_lo
	global_store_b64 v[60:61], v[29:30], off
.LBB207_139:
	s_or_b32 exec_lo, exec_lo, s1
	v_cmp_lt_u32_e32 vcc_lo, v51, v59
	s_or_b32 s5, s23, vcc_lo
	s_delay_alu instid0(SALU_CYCLE_1)
	s_and_saveexec_b32 s1, s5
	s_cbranch_execz .LBB207_142
; %bb.140:
	v_and_b32_e32 v40, 1, v58
	s_delay_alu instid0(VALU_DEP_1)
	v_cmp_eq_u32_e32 vcc_lo, 1, v40
	s_and_b32 exec_lo, exec_lo, vcc_lo
	s_cbranch_execz .LBB207_142
; %bb.141:
	v_mov_b32_e32 v52, 0
	s_delay_alu instid0(VALU_DEP_1) | instskip(NEXT) | instid1(VALU_DEP_1)
	v_lshlrev_b64 v[60:61], 3, v[51:52]
	v_add_co_u32 v60, vcc_lo, s3, v60
	s_delay_alu instid0(VALU_DEP_2)
	v_add_co_ci_u32_e32 v61, vcc_lo, s4, v61, vcc_lo
	global_store_b64 v[60:61], v[31:32], off
.LBB207_142:
	s_or_b32 exec_lo, exec_lo, s1
	v_cmp_lt_u32_e32 vcc_lo, v49, v59
	s_or_b32 s5, s23, vcc_lo
	s_delay_alu instid0(SALU_CYCLE_1)
	;; [unrolled: 21-line block ×7, first 2 shown]
	s_and_saveexec_b32 s1, s5
	s_cbranch_execz .LBB207_160
; %bb.158:
	v_and_b32_e32 v40, 1, v56
	s_delay_alu instid0(VALU_DEP_1)
	v_cmp_eq_u32_e32 vcc_lo, 1, v40
	s_and_b32 exec_lo, exec_lo, vcc_lo
	s_cbranch_execz .LBB207_160
; %bb.159:
	v_mov_b32_e32 v40, 0
	s_delay_alu instid0(VALU_DEP_1) | instskip(NEXT) | instid1(VALU_DEP_1)
	v_lshlrev_b64 v[60:61], 3, v[39:40]
	v_add_co_u32 v60, vcc_lo, s3, v60
	s_delay_alu instid0(VALU_DEP_2)
	v_add_co_ci_u32_e32 v61, vcc_lo, s4, v61, vcc_lo
	global_store_b64 v[60:61], v[19:20], off
.LBB207_160:
	s_or_b32 exec_lo, exec_lo, s1
	s_mov_b32 s3, 0
.LBB207_161:
	v_and_b32_e32 v33, 1, v33
	s_and_b32 vcc_lo, exec_lo, s3
	s_delay_alu instid0(VALU_DEP_1)
	v_cmp_eq_u32_e64 s1, 1, v33
	s_cbranch_vccz .LBB207_182
; %bb.162:
	s_delay_alu instid0(VALU_DEP_1)
	s_and_saveexec_b32 s3, s1
	s_cbranch_execz .LBB207_164
; %bb.163:
	v_subrev_nc_u32_e32 v40, s18, v53
	s_delay_alu instid0(VALU_DEP_1)
	v_lshlrev_b32_e32 v40, 3, v40
	ds_store_b64 v40, v[29:30]
.LBB207_164:
	s_or_b32 exec_lo, exec_lo, s3
	v_and_b32_e32 v29, 1, v58
	s_mov_b32 s1, exec_lo
	s_delay_alu instid0(VALU_DEP_1)
	v_cmpx_eq_u32_e32 1, v29
	s_cbranch_execz .LBB207_166
; %bb.165:
	v_subrev_nc_u32_e32 v29, s18, v51
	s_delay_alu instid0(VALU_DEP_1)
	v_lshlrev_b32_e32 v29, 3, v29
	ds_store_b64 v29, v[31:32]
.LBB207_166:
	s_or_b32 exec_lo, exec_lo, s1
	v_and_b32_e32 v29, 1, v57
	s_mov_b32 s1, exec_lo
	s_delay_alu instid0(VALU_DEP_1)
	v_cmpx_eq_u32_e32 1, v29
	;; [unrolled: 12-line block ×7, first 2 shown]
	s_cbranch_execz .LBB207_178
; %bb.177:
	v_subrev_nc_u32_e32 v17, s18, v39
	s_delay_alu instid0(VALU_DEP_1)
	v_lshlrev_b32_e32 v17, 3, v17
	ds_store_b64 v17, v[19:20]
.LBB207_178:
	s_or_b32 exec_lo, exec_lo, s1
	s_delay_alu instid0(SALU_CYCLE_1)
	s_mov_b32 s3, exec_lo
	s_waitcnt lgkmcnt(0)
	s_waitcnt_vscnt null, 0x0
	s_barrier
	buffer_gl0_inv
	v_cmpx_lt_u32_e64 v0, v35
	s_cbranch_execz .LBB207_181
; %bb.179:
	s_mov_b32 s19, 0
	s_lshl_b64 s[4:5], s[10:11], 3
	s_lshl_b64 s[6:7], s[18:19], 3
	v_dual_mov_b32 v19, v55 :: v_dual_mov_b32 v20, v0
	s_add_u32 s1, s4, s6
	s_addc_u32 s4, s5, s7
	s_add_u32 s1, s12, s1
	s_addc_u32 s4, s13, s4
	v_add_co_u32 v17, s1, s1, v55
	s_delay_alu instid0(VALU_DEP_1)
	v_add_co_ci_u32_e64 v18, null, s4, 0, s1
	.p2align	6
.LBB207_180:                            ; =>This Inner Loop Header: Depth=1
	ds_load_b64 v[21:22], v19
	v_add_nc_u32_e32 v20, 0x200, v20
	v_add_nc_u32_e32 v19, 0x1000, v19
	s_delay_alu instid0(VALU_DEP_2) | instskip(SKIP_4) | instid1(VALU_DEP_1)
	v_cmp_ge_u32_e32 vcc_lo, v20, v35
	s_or_b32 s19, vcc_lo, s19
	s_waitcnt lgkmcnt(0)
	global_store_b64 v[17:18], v[21:22], off
	v_add_co_u32 v17, s1, 0x1000, v17
	v_add_co_ci_u32_e64 v18, s1, 0, v18, s1
	s_and_not1_b32 exec_lo, exec_lo, s19
	s_cbranch_execnz .LBB207_180
.LBB207_181:
	s_or_b32 exec_lo, exec_lo, s3
.LBB207_182:
	s_delay_alu instid0(SALU_CYCLE_1)
	s_and_b32 vcc_lo, exec_lo, s0
	s_mov_b32 s0, -1
	s_waitcnt_vscnt null, 0x0
	s_barrier
	buffer_gl0_inv
	s_cbranch_vccz .LBB207_210
; %bb.183:
	v_cmp_lt_u32_e32 vcc_lo, v53, v59
	s_lshl_b64 s[0:1], s[10:11], 3
	s_delay_alu instid0(SALU_CYCLE_1) | instskip(SKIP_2) | instid1(SALU_CYCLE_1)
	s_add_u32 s0, s14, s0
	s_addc_u32 s1, s15, s1
	s_or_b32 s4, s23, vcc_lo
	s_and_saveexec_b32 s3, s4
	s_cbranch_execz .LBB207_186
; %bb.184:
	v_cmp_eq_u32_e32 vcc_lo, 1, v33
	s_and_b32 exec_lo, exec_lo, vcc_lo
	s_cbranch_execz .LBB207_186
; %bb.185:
	v_mov_b32_e32 v54, 0
	s_delay_alu instid0(VALU_DEP_1) | instskip(NEXT) | instid1(VALU_DEP_1)
	v_lshlrev_b64 v[17:18], 3, v[53:54]
	v_add_co_u32 v17, vcc_lo, s0, v17
	s_delay_alu instid0(VALU_DEP_2)
	v_add_co_ci_u32_e32 v18, vcc_lo, s1, v18, vcc_lo
	global_store_b64 v[17:18], v[13:14], off
.LBB207_186:
	s_or_b32 exec_lo, exec_lo, s3
	v_cmp_lt_u32_e32 vcc_lo, v51, v59
	s_or_b32 s4, s23, vcc_lo
	s_delay_alu instid0(SALU_CYCLE_1)
	s_and_saveexec_b32 s3, s4
	s_cbranch_execz .LBB207_189
; %bb.187:
	v_and_b32_e32 v17, 1, v58
	s_delay_alu instid0(VALU_DEP_1)
	v_cmp_eq_u32_e32 vcc_lo, 1, v17
	s_and_b32 exec_lo, exec_lo, vcc_lo
	s_cbranch_execz .LBB207_189
; %bb.188:
	v_mov_b32_e32 v52, 0
	s_delay_alu instid0(VALU_DEP_1) | instskip(NEXT) | instid1(VALU_DEP_1)
	v_lshlrev_b64 v[17:18], 3, v[51:52]
	v_add_co_u32 v17, vcc_lo, s0, v17
	s_delay_alu instid0(VALU_DEP_2)
	v_add_co_ci_u32_e32 v18, vcc_lo, s1, v18, vcc_lo
	global_store_b64 v[17:18], v[15:16], off
.LBB207_189:
	s_or_b32 exec_lo, exec_lo, s3
	v_cmp_lt_u32_e32 vcc_lo, v49, v59
	s_or_b32 s4, s23, vcc_lo
	s_delay_alu instid0(SALU_CYCLE_1)
	s_and_saveexec_b32 s3, s4
	s_cbranch_execz .LBB207_192
; %bb.190:
	v_and_b32_e32 v17, 1, v57
	s_delay_alu instid0(VALU_DEP_1)
	v_cmp_eq_u32_e32 vcc_lo, 1, v17
	s_and_b32 exec_lo, exec_lo, vcc_lo
	s_cbranch_execz .LBB207_192
; %bb.191:
	v_mov_b32_e32 v50, 0
	s_delay_alu instid0(VALU_DEP_1) | instskip(NEXT) | instid1(VALU_DEP_1)
	v_lshlrev_b64 v[17:18], 3, v[49:50]
	v_add_co_u32 v17, vcc_lo, s0, v17
	s_delay_alu instid0(VALU_DEP_2)
	v_add_co_ci_u32_e32 v18, vcc_lo, s1, v18, vcc_lo
	global_store_b64 v[17:18], v[9:10], off
.LBB207_192:
	;; [unrolled: 21-line block ×7, first 2 shown]
	s_or_b32 exec_lo, exec_lo, s3
.LBB207_208:
	s_and_b32 s0, s2, s22
	s_delay_alu instid0(SALU_CYCLE_1)
	s_and_saveexec_b32 s1, s0
	s_cbranch_execz .LBB207_231
.LBB207_209:
	v_add_co_u32 v0, s0, s10, v35
	s_delay_alu instid0(VALU_DEP_1) | instskip(SKIP_1) | instid1(VALU_DEP_3)
	v_add_co_ci_u32_e64 v1, null, s11, 0, s0
	v_mov_b32_e32 v2, 0
	v_add_co_u32 v0, vcc_lo, v0, s18
	s_delay_alu instid0(VALU_DEP_3)
	v_add_co_ci_u32_e32 v1, vcc_lo, 0, v1, vcc_lo
	global_store_b64 v2, v[0:1], s[8:9]
	s_nop 0
	s_sendmsg sendmsg(MSG_DEALLOC_VGPRS)
	s_endpgm
.LBB207_210:
	s_and_b32 vcc_lo, exec_lo, s0
	s_cbranch_vccz .LBB207_208
; %bb.211:
	s_mov_b32 s0, exec_lo
	v_cmpx_eq_u32_e32 1, v33
	s_cbranch_execz .LBB207_213
; %bb.212:
	v_subrev_nc_u32_e32 v17, s18, v53
	s_delay_alu instid0(VALU_DEP_1)
	v_lshlrev_b32_e32 v17, 3, v17
	ds_store_b64 v17, v[13:14]
.LBB207_213:
	s_or_b32 exec_lo, exec_lo, s0
	v_and_b32_e32 v13, 1, v58
	s_mov_b32 s0, exec_lo
	s_delay_alu instid0(VALU_DEP_1)
	v_cmpx_eq_u32_e32 1, v13
	s_cbranch_execz .LBB207_215
; %bb.214:
	v_subrev_nc_u32_e32 v13, s18, v51
	s_delay_alu instid0(VALU_DEP_1)
	v_lshlrev_b32_e32 v13, 3, v13
	ds_store_b64 v13, v[15:16]
.LBB207_215:
	s_or_b32 exec_lo, exec_lo, s0
	v_and_b32_e32 v13, 1, v57
	s_mov_b32 s0, exec_lo
	s_delay_alu instid0(VALU_DEP_1)
	;; [unrolled: 12-line block ×7, first 2 shown]
	v_cmpx_eq_u32_e32 1, v1
	s_cbranch_execz .LBB207_227
; %bb.226:
	v_subrev_nc_u32_e32 v1, s18, v39
	s_delay_alu instid0(VALU_DEP_1)
	v_lshlrev_b32_e32 v1, 3, v1
	ds_store_b64 v1, v[3:4]
.LBB207_227:
	s_or_b32 exec_lo, exec_lo, s0
	s_delay_alu instid0(SALU_CYCLE_1)
	s_mov_b32 s1, exec_lo
	s_waitcnt lgkmcnt(0)
	s_waitcnt_vscnt null, 0x0
	s_barrier
	buffer_gl0_inv
	v_cmpx_lt_u32_e64 v0, v35
	s_cbranch_execz .LBB207_230
; %bb.228:
	s_mov_b32 s19, 0
	s_lshl_b64 s[4:5], s[10:11], 3
	s_lshl_b64 s[6:7], s[18:19], 3
	s_delay_alu instid0(SALU_CYCLE_1) | instskip(SKIP_4) | instid1(VALU_DEP_1)
	s_add_u32 s0, s4, s6
	s_addc_u32 s3, s5, s7
	s_add_u32 s0, s14, s0
	s_addc_u32 s3, s15, s3
	v_add_co_u32 v1, s0, s0, v55
	v_add_co_ci_u32_e64 v2, null, s3, 0, s0
	.p2align	6
.LBB207_229:                            ; =>This Inner Loop Header: Depth=1
	ds_load_b64 v[3:4], v55
	v_add_nc_u32_e32 v0, 0x200, v0
	v_add_nc_u32_e32 v55, 0x1000, v55
	s_delay_alu instid0(VALU_DEP_2) | instskip(SKIP_4) | instid1(VALU_DEP_1)
	v_cmp_ge_u32_e32 vcc_lo, v0, v35
	s_or_b32 s19, vcc_lo, s19
	s_waitcnt lgkmcnt(0)
	global_store_b64 v[1:2], v[3:4], off
	v_add_co_u32 v1, s0, 0x1000, v1
	v_add_co_ci_u32_e64 v2, s0, 0, v2, s0
	s_and_not1_b32 exec_lo, exec_lo, s19
	s_cbranch_execnz .LBB207_229
.LBB207_230:
	s_or_b32 exec_lo, exec_lo, s1
	s_and_b32 s0, s2, s22
	s_delay_alu instid0(SALU_CYCLE_1)
	s_and_saveexec_b32 s1, s0
	s_cbranch_execnz .LBB207_209
.LBB207_231:
	s_nop 0
	s_sendmsg sendmsg(MSG_DEALLOC_VGPRS)
	s_endpgm
	.section	.rodata,"a",@progbits
	.p2align	6, 0x0
	.amdhsa_kernel _ZN7rocprim17ROCPRIM_400000_NS6detail17trampoline_kernelINS0_14default_configENS1_25partition_config_selectorILNS1_17partition_subalgoE9EyybEEZZNS1_14partition_implILS5_9ELb0ES3_jN6thrust23THRUST_200600_302600_NS6detail15normal_iteratorINS9_10device_ptrIyEEEESE_PNS0_10empty_typeENS0_5tupleIJSE_SF_EEENSH_IJSE_SG_EEENS0_18inequality_wrapperI22is_equal_div_10_uniqueIyEEEPmJSF_EEE10hipError_tPvRmT3_T4_T5_T6_T7_T9_mT8_P12ihipStream_tbDpT10_ENKUlT_T0_E_clISt17integral_constantIbLb0EES17_IbLb1EEEEDaS13_S14_EUlS13_E_NS1_11comp_targetILNS1_3genE9ELNS1_11target_archE1100ELNS1_3gpuE3ELNS1_3repE0EEENS1_30default_config_static_selectorELNS0_4arch9wavefront6targetE0EEEvT1_
		.amdhsa_group_segment_fixed_size 33800
		.amdhsa_private_segment_fixed_size 0
		.amdhsa_kernarg_size 128
		.amdhsa_user_sgpr_count 15
		.amdhsa_user_sgpr_dispatch_ptr 0
		.amdhsa_user_sgpr_queue_ptr 0
		.amdhsa_user_sgpr_kernarg_segment_ptr 1
		.amdhsa_user_sgpr_dispatch_id 0
		.amdhsa_user_sgpr_private_segment_size 0
		.amdhsa_wavefront_size32 1
		.amdhsa_uses_dynamic_stack 0
		.amdhsa_enable_private_segment 0
		.amdhsa_system_sgpr_workgroup_id_x 1
		.amdhsa_system_sgpr_workgroup_id_y 0
		.amdhsa_system_sgpr_workgroup_id_z 0
		.amdhsa_system_sgpr_workgroup_info 0
		.amdhsa_system_vgpr_workitem_id 0
		.amdhsa_next_free_vgpr 68
		.amdhsa_next_free_sgpr 29
		.amdhsa_reserve_vcc 1
		.amdhsa_float_round_mode_32 0
		.amdhsa_float_round_mode_16_64 0
		.amdhsa_float_denorm_mode_32 3
		.amdhsa_float_denorm_mode_16_64 3
		.amdhsa_dx10_clamp 1
		.amdhsa_ieee_mode 1
		.amdhsa_fp16_overflow 0
		.amdhsa_workgroup_processor_mode 1
		.amdhsa_memory_ordered 1
		.amdhsa_forward_progress 0
		.amdhsa_shared_vgpr_count 0
		.amdhsa_exception_fp_ieee_invalid_op 0
		.amdhsa_exception_fp_denorm_src 0
		.amdhsa_exception_fp_ieee_div_zero 0
		.amdhsa_exception_fp_ieee_overflow 0
		.amdhsa_exception_fp_ieee_underflow 0
		.amdhsa_exception_fp_ieee_inexact 0
		.amdhsa_exception_int_div_zero 0
	.end_amdhsa_kernel
	.section	.text._ZN7rocprim17ROCPRIM_400000_NS6detail17trampoline_kernelINS0_14default_configENS1_25partition_config_selectorILNS1_17partition_subalgoE9EyybEEZZNS1_14partition_implILS5_9ELb0ES3_jN6thrust23THRUST_200600_302600_NS6detail15normal_iteratorINS9_10device_ptrIyEEEESE_PNS0_10empty_typeENS0_5tupleIJSE_SF_EEENSH_IJSE_SG_EEENS0_18inequality_wrapperI22is_equal_div_10_uniqueIyEEEPmJSF_EEE10hipError_tPvRmT3_T4_T5_T6_T7_T9_mT8_P12ihipStream_tbDpT10_ENKUlT_T0_E_clISt17integral_constantIbLb0EES17_IbLb1EEEEDaS13_S14_EUlS13_E_NS1_11comp_targetILNS1_3genE9ELNS1_11target_archE1100ELNS1_3gpuE3ELNS1_3repE0EEENS1_30default_config_static_selectorELNS0_4arch9wavefront6targetE0EEEvT1_,"axG",@progbits,_ZN7rocprim17ROCPRIM_400000_NS6detail17trampoline_kernelINS0_14default_configENS1_25partition_config_selectorILNS1_17partition_subalgoE9EyybEEZZNS1_14partition_implILS5_9ELb0ES3_jN6thrust23THRUST_200600_302600_NS6detail15normal_iteratorINS9_10device_ptrIyEEEESE_PNS0_10empty_typeENS0_5tupleIJSE_SF_EEENSH_IJSE_SG_EEENS0_18inequality_wrapperI22is_equal_div_10_uniqueIyEEEPmJSF_EEE10hipError_tPvRmT3_T4_T5_T6_T7_T9_mT8_P12ihipStream_tbDpT10_ENKUlT_T0_E_clISt17integral_constantIbLb0EES17_IbLb1EEEEDaS13_S14_EUlS13_E_NS1_11comp_targetILNS1_3genE9ELNS1_11target_archE1100ELNS1_3gpuE3ELNS1_3repE0EEENS1_30default_config_static_selectorELNS0_4arch9wavefront6targetE0EEEvT1_,comdat
.Lfunc_end207:
	.size	_ZN7rocprim17ROCPRIM_400000_NS6detail17trampoline_kernelINS0_14default_configENS1_25partition_config_selectorILNS1_17partition_subalgoE9EyybEEZZNS1_14partition_implILS5_9ELb0ES3_jN6thrust23THRUST_200600_302600_NS6detail15normal_iteratorINS9_10device_ptrIyEEEESE_PNS0_10empty_typeENS0_5tupleIJSE_SF_EEENSH_IJSE_SG_EEENS0_18inequality_wrapperI22is_equal_div_10_uniqueIyEEEPmJSF_EEE10hipError_tPvRmT3_T4_T5_T6_T7_T9_mT8_P12ihipStream_tbDpT10_ENKUlT_T0_E_clISt17integral_constantIbLb0EES17_IbLb1EEEEDaS13_S14_EUlS13_E_NS1_11comp_targetILNS1_3genE9ELNS1_11target_archE1100ELNS1_3gpuE3ELNS1_3repE0EEENS1_30default_config_static_selectorELNS0_4arch9wavefront6targetE0EEEvT1_, .Lfunc_end207-_ZN7rocprim17ROCPRIM_400000_NS6detail17trampoline_kernelINS0_14default_configENS1_25partition_config_selectorILNS1_17partition_subalgoE9EyybEEZZNS1_14partition_implILS5_9ELb0ES3_jN6thrust23THRUST_200600_302600_NS6detail15normal_iteratorINS9_10device_ptrIyEEEESE_PNS0_10empty_typeENS0_5tupleIJSE_SF_EEENSH_IJSE_SG_EEENS0_18inequality_wrapperI22is_equal_div_10_uniqueIyEEEPmJSF_EEE10hipError_tPvRmT3_T4_T5_T6_T7_T9_mT8_P12ihipStream_tbDpT10_ENKUlT_T0_E_clISt17integral_constantIbLb0EES17_IbLb1EEEEDaS13_S14_EUlS13_E_NS1_11comp_targetILNS1_3genE9ELNS1_11target_archE1100ELNS1_3gpuE3ELNS1_3repE0EEENS1_30default_config_static_selectorELNS0_4arch9wavefront6targetE0EEEvT1_
                                        ; -- End function
	.section	.AMDGPU.csdata,"",@progbits
; Kernel info:
; codeLenInByte = 10924
; NumSgprs: 31
; NumVgprs: 68
; ScratchSize: 0
; MemoryBound: 0
; FloatMode: 240
; IeeeMode: 1
; LDSByteSize: 33800 bytes/workgroup (compile time only)
; SGPRBlocks: 3
; VGPRBlocks: 8
; NumSGPRsForWavesPerEU: 31
; NumVGPRsForWavesPerEU: 68
; Occupancy: 12
; WaveLimiterHint : 1
; COMPUTE_PGM_RSRC2:SCRATCH_EN: 0
; COMPUTE_PGM_RSRC2:USER_SGPR: 15
; COMPUTE_PGM_RSRC2:TRAP_HANDLER: 0
; COMPUTE_PGM_RSRC2:TGID_X_EN: 1
; COMPUTE_PGM_RSRC2:TGID_Y_EN: 0
; COMPUTE_PGM_RSRC2:TGID_Z_EN: 0
; COMPUTE_PGM_RSRC2:TIDIG_COMP_CNT: 0
	.section	.text._ZN7rocprim17ROCPRIM_400000_NS6detail17trampoline_kernelINS0_14default_configENS1_25partition_config_selectorILNS1_17partition_subalgoE9EyybEEZZNS1_14partition_implILS5_9ELb0ES3_jN6thrust23THRUST_200600_302600_NS6detail15normal_iteratorINS9_10device_ptrIyEEEESE_PNS0_10empty_typeENS0_5tupleIJSE_SF_EEENSH_IJSE_SG_EEENS0_18inequality_wrapperI22is_equal_div_10_uniqueIyEEEPmJSF_EEE10hipError_tPvRmT3_T4_T5_T6_T7_T9_mT8_P12ihipStream_tbDpT10_ENKUlT_T0_E_clISt17integral_constantIbLb0EES17_IbLb1EEEEDaS13_S14_EUlS13_E_NS1_11comp_targetILNS1_3genE8ELNS1_11target_archE1030ELNS1_3gpuE2ELNS1_3repE0EEENS1_30default_config_static_selectorELNS0_4arch9wavefront6targetE0EEEvT1_,"axG",@progbits,_ZN7rocprim17ROCPRIM_400000_NS6detail17trampoline_kernelINS0_14default_configENS1_25partition_config_selectorILNS1_17partition_subalgoE9EyybEEZZNS1_14partition_implILS5_9ELb0ES3_jN6thrust23THRUST_200600_302600_NS6detail15normal_iteratorINS9_10device_ptrIyEEEESE_PNS0_10empty_typeENS0_5tupleIJSE_SF_EEENSH_IJSE_SG_EEENS0_18inequality_wrapperI22is_equal_div_10_uniqueIyEEEPmJSF_EEE10hipError_tPvRmT3_T4_T5_T6_T7_T9_mT8_P12ihipStream_tbDpT10_ENKUlT_T0_E_clISt17integral_constantIbLb0EES17_IbLb1EEEEDaS13_S14_EUlS13_E_NS1_11comp_targetILNS1_3genE8ELNS1_11target_archE1030ELNS1_3gpuE2ELNS1_3repE0EEENS1_30default_config_static_selectorELNS0_4arch9wavefront6targetE0EEEvT1_,comdat
	.protected	_ZN7rocprim17ROCPRIM_400000_NS6detail17trampoline_kernelINS0_14default_configENS1_25partition_config_selectorILNS1_17partition_subalgoE9EyybEEZZNS1_14partition_implILS5_9ELb0ES3_jN6thrust23THRUST_200600_302600_NS6detail15normal_iteratorINS9_10device_ptrIyEEEESE_PNS0_10empty_typeENS0_5tupleIJSE_SF_EEENSH_IJSE_SG_EEENS0_18inequality_wrapperI22is_equal_div_10_uniqueIyEEEPmJSF_EEE10hipError_tPvRmT3_T4_T5_T6_T7_T9_mT8_P12ihipStream_tbDpT10_ENKUlT_T0_E_clISt17integral_constantIbLb0EES17_IbLb1EEEEDaS13_S14_EUlS13_E_NS1_11comp_targetILNS1_3genE8ELNS1_11target_archE1030ELNS1_3gpuE2ELNS1_3repE0EEENS1_30default_config_static_selectorELNS0_4arch9wavefront6targetE0EEEvT1_ ; -- Begin function _ZN7rocprim17ROCPRIM_400000_NS6detail17trampoline_kernelINS0_14default_configENS1_25partition_config_selectorILNS1_17partition_subalgoE9EyybEEZZNS1_14partition_implILS5_9ELb0ES3_jN6thrust23THRUST_200600_302600_NS6detail15normal_iteratorINS9_10device_ptrIyEEEESE_PNS0_10empty_typeENS0_5tupleIJSE_SF_EEENSH_IJSE_SG_EEENS0_18inequality_wrapperI22is_equal_div_10_uniqueIyEEEPmJSF_EEE10hipError_tPvRmT3_T4_T5_T6_T7_T9_mT8_P12ihipStream_tbDpT10_ENKUlT_T0_E_clISt17integral_constantIbLb0EES17_IbLb1EEEEDaS13_S14_EUlS13_E_NS1_11comp_targetILNS1_3genE8ELNS1_11target_archE1030ELNS1_3gpuE2ELNS1_3repE0EEENS1_30default_config_static_selectorELNS0_4arch9wavefront6targetE0EEEvT1_
	.globl	_ZN7rocprim17ROCPRIM_400000_NS6detail17trampoline_kernelINS0_14default_configENS1_25partition_config_selectorILNS1_17partition_subalgoE9EyybEEZZNS1_14partition_implILS5_9ELb0ES3_jN6thrust23THRUST_200600_302600_NS6detail15normal_iteratorINS9_10device_ptrIyEEEESE_PNS0_10empty_typeENS0_5tupleIJSE_SF_EEENSH_IJSE_SG_EEENS0_18inequality_wrapperI22is_equal_div_10_uniqueIyEEEPmJSF_EEE10hipError_tPvRmT3_T4_T5_T6_T7_T9_mT8_P12ihipStream_tbDpT10_ENKUlT_T0_E_clISt17integral_constantIbLb0EES17_IbLb1EEEEDaS13_S14_EUlS13_E_NS1_11comp_targetILNS1_3genE8ELNS1_11target_archE1030ELNS1_3gpuE2ELNS1_3repE0EEENS1_30default_config_static_selectorELNS0_4arch9wavefront6targetE0EEEvT1_
	.p2align	8
	.type	_ZN7rocprim17ROCPRIM_400000_NS6detail17trampoline_kernelINS0_14default_configENS1_25partition_config_selectorILNS1_17partition_subalgoE9EyybEEZZNS1_14partition_implILS5_9ELb0ES3_jN6thrust23THRUST_200600_302600_NS6detail15normal_iteratorINS9_10device_ptrIyEEEESE_PNS0_10empty_typeENS0_5tupleIJSE_SF_EEENSH_IJSE_SG_EEENS0_18inequality_wrapperI22is_equal_div_10_uniqueIyEEEPmJSF_EEE10hipError_tPvRmT3_T4_T5_T6_T7_T9_mT8_P12ihipStream_tbDpT10_ENKUlT_T0_E_clISt17integral_constantIbLb0EES17_IbLb1EEEEDaS13_S14_EUlS13_E_NS1_11comp_targetILNS1_3genE8ELNS1_11target_archE1030ELNS1_3gpuE2ELNS1_3repE0EEENS1_30default_config_static_selectorELNS0_4arch9wavefront6targetE0EEEvT1_,@function
_ZN7rocprim17ROCPRIM_400000_NS6detail17trampoline_kernelINS0_14default_configENS1_25partition_config_selectorILNS1_17partition_subalgoE9EyybEEZZNS1_14partition_implILS5_9ELb0ES3_jN6thrust23THRUST_200600_302600_NS6detail15normal_iteratorINS9_10device_ptrIyEEEESE_PNS0_10empty_typeENS0_5tupleIJSE_SF_EEENSH_IJSE_SG_EEENS0_18inequality_wrapperI22is_equal_div_10_uniqueIyEEEPmJSF_EEE10hipError_tPvRmT3_T4_T5_T6_T7_T9_mT8_P12ihipStream_tbDpT10_ENKUlT_T0_E_clISt17integral_constantIbLb0EES17_IbLb1EEEEDaS13_S14_EUlS13_E_NS1_11comp_targetILNS1_3genE8ELNS1_11target_archE1030ELNS1_3gpuE2ELNS1_3repE0EEENS1_30default_config_static_selectorELNS0_4arch9wavefront6targetE0EEEvT1_: ; @_ZN7rocprim17ROCPRIM_400000_NS6detail17trampoline_kernelINS0_14default_configENS1_25partition_config_selectorILNS1_17partition_subalgoE9EyybEEZZNS1_14partition_implILS5_9ELb0ES3_jN6thrust23THRUST_200600_302600_NS6detail15normal_iteratorINS9_10device_ptrIyEEEESE_PNS0_10empty_typeENS0_5tupleIJSE_SF_EEENSH_IJSE_SG_EEENS0_18inequality_wrapperI22is_equal_div_10_uniqueIyEEEPmJSF_EEE10hipError_tPvRmT3_T4_T5_T6_T7_T9_mT8_P12ihipStream_tbDpT10_ENKUlT_T0_E_clISt17integral_constantIbLb0EES17_IbLb1EEEEDaS13_S14_EUlS13_E_NS1_11comp_targetILNS1_3genE8ELNS1_11target_archE1030ELNS1_3gpuE2ELNS1_3repE0EEENS1_30default_config_static_selectorELNS0_4arch9wavefront6targetE0EEEvT1_
; %bb.0:
	.section	.rodata,"a",@progbits
	.p2align	6, 0x0
	.amdhsa_kernel _ZN7rocprim17ROCPRIM_400000_NS6detail17trampoline_kernelINS0_14default_configENS1_25partition_config_selectorILNS1_17partition_subalgoE9EyybEEZZNS1_14partition_implILS5_9ELb0ES3_jN6thrust23THRUST_200600_302600_NS6detail15normal_iteratorINS9_10device_ptrIyEEEESE_PNS0_10empty_typeENS0_5tupleIJSE_SF_EEENSH_IJSE_SG_EEENS0_18inequality_wrapperI22is_equal_div_10_uniqueIyEEEPmJSF_EEE10hipError_tPvRmT3_T4_T5_T6_T7_T9_mT8_P12ihipStream_tbDpT10_ENKUlT_T0_E_clISt17integral_constantIbLb0EES17_IbLb1EEEEDaS13_S14_EUlS13_E_NS1_11comp_targetILNS1_3genE8ELNS1_11target_archE1030ELNS1_3gpuE2ELNS1_3repE0EEENS1_30default_config_static_selectorELNS0_4arch9wavefront6targetE0EEEvT1_
		.amdhsa_group_segment_fixed_size 0
		.amdhsa_private_segment_fixed_size 0
		.amdhsa_kernarg_size 128
		.amdhsa_user_sgpr_count 15
		.amdhsa_user_sgpr_dispatch_ptr 0
		.amdhsa_user_sgpr_queue_ptr 0
		.amdhsa_user_sgpr_kernarg_segment_ptr 1
		.amdhsa_user_sgpr_dispatch_id 0
		.amdhsa_user_sgpr_private_segment_size 0
		.amdhsa_wavefront_size32 1
		.amdhsa_uses_dynamic_stack 0
		.amdhsa_enable_private_segment 0
		.amdhsa_system_sgpr_workgroup_id_x 1
		.amdhsa_system_sgpr_workgroup_id_y 0
		.amdhsa_system_sgpr_workgroup_id_z 0
		.amdhsa_system_sgpr_workgroup_info 0
		.amdhsa_system_vgpr_workitem_id 0
		.amdhsa_next_free_vgpr 1
		.amdhsa_next_free_sgpr 1
		.amdhsa_reserve_vcc 0
		.amdhsa_float_round_mode_32 0
		.amdhsa_float_round_mode_16_64 0
		.amdhsa_float_denorm_mode_32 3
		.amdhsa_float_denorm_mode_16_64 3
		.amdhsa_dx10_clamp 1
		.amdhsa_ieee_mode 1
		.amdhsa_fp16_overflow 0
		.amdhsa_workgroup_processor_mode 1
		.amdhsa_memory_ordered 1
		.amdhsa_forward_progress 0
		.amdhsa_shared_vgpr_count 0
		.amdhsa_exception_fp_ieee_invalid_op 0
		.amdhsa_exception_fp_denorm_src 0
		.amdhsa_exception_fp_ieee_div_zero 0
		.amdhsa_exception_fp_ieee_overflow 0
		.amdhsa_exception_fp_ieee_underflow 0
		.amdhsa_exception_fp_ieee_inexact 0
		.amdhsa_exception_int_div_zero 0
	.end_amdhsa_kernel
	.section	.text._ZN7rocprim17ROCPRIM_400000_NS6detail17trampoline_kernelINS0_14default_configENS1_25partition_config_selectorILNS1_17partition_subalgoE9EyybEEZZNS1_14partition_implILS5_9ELb0ES3_jN6thrust23THRUST_200600_302600_NS6detail15normal_iteratorINS9_10device_ptrIyEEEESE_PNS0_10empty_typeENS0_5tupleIJSE_SF_EEENSH_IJSE_SG_EEENS0_18inequality_wrapperI22is_equal_div_10_uniqueIyEEEPmJSF_EEE10hipError_tPvRmT3_T4_T5_T6_T7_T9_mT8_P12ihipStream_tbDpT10_ENKUlT_T0_E_clISt17integral_constantIbLb0EES17_IbLb1EEEEDaS13_S14_EUlS13_E_NS1_11comp_targetILNS1_3genE8ELNS1_11target_archE1030ELNS1_3gpuE2ELNS1_3repE0EEENS1_30default_config_static_selectorELNS0_4arch9wavefront6targetE0EEEvT1_,"axG",@progbits,_ZN7rocprim17ROCPRIM_400000_NS6detail17trampoline_kernelINS0_14default_configENS1_25partition_config_selectorILNS1_17partition_subalgoE9EyybEEZZNS1_14partition_implILS5_9ELb0ES3_jN6thrust23THRUST_200600_302600_NS6detail15normal_iteratorINS9_10device_ptrIyEEEESE_PNS0_10empty_typeENS0_5tupleIJSE_SF_EEENSH_IJSE_SG_EEENS0_18inequality_wrapperI22is_equal_div_10_uniqueIyEEEPmJSF_EEE10hipError_tPvRmT3_T4_T5_T6_T7_T9_mT8_P12ihipStream_tbDpT10_ENKUlT_T0_E_clISt17integral_constantIbLb0EES17_IbLb1EEEEDaS13_S14_EUlS13_E_NS1_11comp_targetILNS1_3genE8ELNS1_11target_archE1030ELNS1_3gpuE2ELNS1_3repE0EEENS1_30default_config_static_selectorELNS0_4arch9wavefront6targetE0EEEvT1_,comdat
.Lfunc_end208:
	.size	_ZN7rocprim17ROCPRIM_400000_NS6detail17trampoline_kernelINS0_14default_configENS1_25partition_config_selectorILNS1_17partition_subalgoE9EyybEEZZNS1_14partition_implILS5_9ELb0ES3_jN6thrust23THRUST_200600_302600_NS6detail15normal_iteratorINS9_10device_ptrIyEEEESE_PNS0_10empty_typeENS0_5tupleIJSE_SF_EEENSH_IJSE_SG_EEENS0_18inequality_wrapperI22is_equal_div_10_uniqueIyEEEPmJSF_EEE10hipError_tPvRmT3_T4_T5_T6_T7_T9_mT8_P12ihipStream_tbDpT10_ENKUlT_T0_E_clISt17integral_constantIbLb0EES17_IbLb1EEEEDaS13_S14_EUlS13_E_NS1_11comp_targetILNS1_3genE8ELNS1_11target_archE1030ELNS1_3gpuE2ELNS1_3repE0EEENS1_30default_config_static_selectorELNS0_4arch9wavefront6targetE0EEEvT1_, .Lfunc_end208-_ZN7rocprim17ROCPRIM_400000_NS6detail17trampoline_kernelINS0_14default_configENS1_25partition_config_selectorILNS1_17partition_subalgoE9EyybEEZZNS1_14partition_implILS5_9ELb0ES3_jN6thrust23THRUST_200600_302600_NS6detail15normal_iteratorINS9_10device_ptrIyEEEESE_PNS0_10empty_typeENS0_5tupleIJSE_SF_EEENSH_IJSE_SG_EEENS0_18inequality_wrapperI22is_equal_div_10_uniqueIyEEEPmJSF_EEE10hipError_tPvRmT3_T4_T5_T6_T7_T9_mT8_P12ihipStream_tbDpT10_ENKUlT_T0_E_clISt17integral_constantIbLb0EES17_IbLb1EEEEDaS13_S14_EUlS13_E_NS1_11comp_targetILNS1_3genE8ELNS1_11target_archE1030ELNS1_3gpuE2ELNS1_3repE0EEENS1_30default_config_static_selectorELNS0_4arch9wavefront6targetE0EEEvT1_
                                        ; -- End function
	.section	.AMDGPU.csdata,"",@progbits
; Kernel info:
; codeLenInByte = 0
; NumSgprs: 0
; NumVgprs: 0
; ScratchSize: 0
; MemoryBound: 0
; FloatMode: 240
; IeeeMode: 1
; LDSByteSize: 0 bytes/workgroup (compile time only)
; SGPRBlocks: 0
; VGPRBlocks: 0
; NumSGPRsForWavesPerEU: 1
; NumVGPRsForWavesPerEU: 1
; Occupancy: 16
; WaveLimiterHint : 0
; COMPUTE_PGM_RSRC2:SCRATCH_EN: 0
; COMPUTE_PGM_RSRC2:USER_SGPR: 15
; COMPUTE_PGM_RSRC2:TRAP_HANDLER: 0
; COMPUTE_PGM_RSRC2:TGID_X_EN: 1
; COMPUTE_PGM_RSRC2:TGID_Y_EN: 0
; COMPUTE_PGM_RSRC2:TGID_Z_EN: 0
; COMPUTE_PGM_RSRC2:TIDIG_COMP_CNT: 0
	.section	.text._ZN6thrust23THRUST_200600_302600_NS11hip_rocprim14__parallel_for6kernelILj256ENS1_20__uninitialized_fill7functorINS0_10device_ptrIjEEjEEmLj1EEEvT0_T1_SA_,"axG",@progbits,_ZN6thrust23THRUST_200600_302600_NS11hip_rocprim14__parallel_for6kernelILj256ENS1_20__uninitialized_fill7functorINS0_10device_ptrIjEEjEEmLj1EEEvT0_T1_SA_,comdat
	.protected	_ZN6thrust23THRUST_200600_302600_NS11hip_rocprim14__parallel_for6kernelILj256ENS1_20__uninitialized_fill7functorINS0_10device_ptrIjEEjEEmLj1EEEvT0_T1_SA_ ; -- Begin function _ZN6thrust23THRUST_200600_302600_NS11hip_rocprim14__parallel_for6kernelILj256ENS1_20__uninitialized_fill7functorINS0_10device_ptrIjEEjEEmLj1EEEvT0_T1_SA_
	.globl	_ZN6thrust23THRUST_200600_302600_NS11hip_rocprim14__parallel_for6kernelILj256ENS1_20__uninitialized_fill7functorINS0_10device_ptrIjEEjEEmLj1EEEvT0_T1_SA_
	.p2align	8
	.type	_ZN6thrust23THRUST_200600_302600_NS11hip_rocprim14__parallel_for6kernelILj256ENS1_20__uninitialized_fill7functorINS0_10device_ptrIjEEjEEmLj1EEEvT0_T1_SA_,@function
_ZN6thrust23THRUST_200600_302600_NS11hip_rocprim14__parallel_for6kernelILj256ENS1_20__uninitialized_fill7functorINS0_10device_ptrIjEEjEEmLj1EEEvT0_T1_SA_: ; @_ZN6thrust23THRUST_200600_302600_NS11hip_rocprim14__parallel_for6kernelILj256ENS1_20__uninitialized_fill7functorINS0_10device_ptrIjEEjEEmLj1EEEvT0_T1_SA_
; %bb.0:
	s_load_b128 s[4:7], s[0:1], 0x10
	s_lshl_b32 s2, s15, 8
	s_waitcnt lgkmcnt(0)
	s_add_u32 s2, s2, s6
	s_addc_u32 s3, 0, s7
	s_sub_u32 s4, s4, s2
	s_subb_u32 s5, s5, s3
	s_delay_alu instid0(SALU_CYCLE_1) | instskip(NEXT) | instid1(VALU_DEP_1)
	v_cmp_gt_u64_e64 s5, 0x100, s[4:5]
	s_and_b32 vcc_lo, exec_lo, s5
	s_mov_b32 s5, 0
	s_cbranch_vccz .LBB209_2
; %bb.1:
	v_cmp_gt_u32_e32 vcc_lo, s4, v0
	s_and_b32 s5, vcc_lo, exec_lo
	s_cbranch_execz .LBB209_3
	s_branch .LBB209_4
.LBB209_2:
.LBB209_3:
	s_or_b32 s5, s5, exec_lo
.LBB209_4:
	s_delay_alu instid0(SALU_CYCLE_1)
	s_and_saveexec_b32 s4, s5
	s_cbranch_execnz .LBB209_6
; %bb.5:
	s_endpgm
.LBB209_6:
	s_clause 0x1
	s_load_b64 s[4:5], s[0:1], 0x0
	s_load_b32 s6, s[0:1], 0x8
	v_mov_b32_e32 v1, 0
	s_lshl_b64 s[0:1], s[2:3], 2
	s_waitcnt lgkmcnt(0)
	s_add_u32 s0, s4, s0
	v_mov_b32_e32 v2, s6
	v_lshlrev_b64 v[0:1], 2, v[0:1]
	s_addc_u32 s1, s5, s1
	s_delay_alu instid0(VALU_DEP_1) | instskip(NEXT) | instid1(VALU_DEP_2)
	v_add_co_u32 v0, vcc_lo, s0, v0
	v_add_co_ci_u32_e32 v1, vcc_lo, s1, v1, vcc_lo
	flat_store_b32 v[0:1], v2
	s_endpgm
	.section	.rodata,"a",@progbits
	.p2align	6, 0x0
	.amdhsa_kernel _ZN6thrust23THRUST_200600_302600_NS11hip_rocprim14__parallel_for6kernelILj256ENS1_20__uninitialized_fill7functorINS0_10device_ptrIjEEjEEmLj1EEEvT0_T1_SA_
		.amdhsa_group_segment_fixed_size 0
		.amdhsa_private_segment_fixed_size 0
		.amdhsa_kernarg_size 32
		.amdhsa_user_sgpr_count 15
		.amdhsa_user_sgpr_dispatch_ptr 0
		.amdhsa_user_sgpr_queue_ptr 0
		.amdhsa_user_sgpr_kernarg_segment_ptr 1
		.amdhsa_user_sgpr_dispatch_id 0
		.amdhsa_user_sgpr_private_segment_size 0
		.amdhsa_wavefront_size32 1
		.amdhsa_uses_dynamic_stack 0
		.amdhsa_enable_private_segment 0
		.amdhsa_system_sgpr_workgroup_id_x 1
		.amdhsa_system_sgpr_workgroup_id_y 0
		.amdhsa_system_sgpr_workgroup_id_z 0
		.amdhsa_system_sgpr_workgroup_info 0
		.amdhsa_system_vgpr_workitem_id 0
		.amdhsa_next_free_vgpr 3
		.amdhsa_next_free_sgpr 16
		.amdhsa_reserve_vcc 1
		.amdhsa_float_round_mode_32 0
		.amdhsa_float_round_mode_16_64 0
		.amdhsa_float_denorm_mode_32 3
		.amdhsa_float_denorm_mode_16_64 3
		.amdhsa_dx10_clamp 1
		.amdhsa_ieee_mode 1
		.amdhsa_fp16_overflow 0
		.amdhsa_workgroup_processor_mode 1
		.amdhsa_memory_ordered 1
		.amdhsa_forward_progress 0
		.amdhsa_shared_vgpr_count 0
		.amdhsa_exception_fp_ieee_invalid_op 0
		.amdhsa_exception_fp_denorm_src 0
		.amdhsa_exception_fp_ieee_div_zero 0
		.amdhsa_exception_fp_ieee_overflow 0
		.amdhsa_exception_fp_ieee_underflow 0
		.amdhsa_exception_fp_ieee_inexact 0
		.amdhsa_exception_int_div_zero 0
	.end_amdhsa_kernel
	.section	.text._ZN6thrust23THRUST_200600_302600_NS11hip_rocprim14__parallel_for6kernelILj256ENS1_20__uninitialized_fill7functorINS0_10device_ptrIjEEjEEmLj1EEEvT0_T1_SA_,"axG",@progbits,_ZN6thrust23THRUST_200600_302600_NS11hip_rocprim14__parallel_for6kernelILj256ENS1_20__uninitialized_fill7functorINS0_10device_ptrIjEEjEEmLj1EEEvT0_T1_SA_,comdat
.Lfunc_end209:
	.size	_ZN6thrust23THRUST_200600_302600_NS11hip_rocprim14__parallel_for6kernelILj256ENS1_20__uninitialized_fill7functorINS0_10device_ptrIjEEjEEmLj1EEEvT0_T1_SA_, .Lfunc_end209-_ZN6thrust23THRUST_200600_302600_NS11hip_rocprim14__parallel_for6kernelILj256ENS1_20__uninitialized_fill7functorINS0_10device_ptrIjEEjEEmLj1EEEvT0_T1_SA_
                                        ; -- End function
	.section	.AMDGPU.csdata,"",@progbits
; Kernel info:
; codeLenInByte = 176
; NumSgprs: 18
; NumVgprs: 3
; ScratchSize: 0
; MemoryBound: 0
; FloatMode: 240
; IeeeMode: 1
; LDSByteSize: 0 bytes/workgroup (compile time only)
; SGPRBlocks: 2
; VGPRBlocks: 0
; NumSGPRsForWavesPerEU: 18
; NumVGPRsForWavesPerEU: 3
; Occupancy: 16
; WaveLimiterHint : 0
; COMPUTE_PGM_RSRC2:SCRATCH_EN: 0
; COMPUTE_PGM_RSRC2:USER_SGPR: 15
; COMPUTE_PGM_RSRC2:TRAP_HANDLER: 0
; COMPUTE_PGM_RSRC2:TGID_X_EN: 1
; COMPUTE_PGM_RSRC2:TGID_Y_EN: 0
; COMPUTE_PGM_RSRC2:TGID_Z_EN: 0
; COMPUTE_PGM_RSRC2:TIDIG_COMP_CNT: 0
	.section	.text._ZN7rocprim17ROCPRIM_400000_NS6detail17trampoline_kernelINS0_14default_configENS1_25partition_config_selectorILNS1_17partition_subalgoE9EjjbEEZZNS1_14partition_implILS5_9ELb0ES3_jN6thrust23THRUST_200600_302600_NS6detail15normal_iteratorINS9_10device_ptrIjEEEESE_PNS0_10empty_typeENS0_5tupleIJSE_SF_EEENSH_IJSE_SG_EEENS0_18inequality_wrapperINS9_8equal_toIjEEEEPmJSF_EEE10hipError_tPvRmT3_T4_T5_T6_T7_T9_mT8_P12ihipStream_tbDpT10_ENKUlT_T0_E_clISt17integral_constantIbLb0EES18_EEDaS13_S14_EUlS13_E_NS1_11comp_targetILNS1_3genE0ELNS1_11target_archE4294967295ELNS1_3gpuE0ELNS1_3repE0EEENS1_30default_config_static_selectorELNS0_4arch9wavefront6targetE0EEEvT1_,"axG",@progbits,_ZN7rocprim17ROCPRIM_400000_NS6detail17trampoline_kernelINS0_14default_configENS1_25partition_config_selectorILNS1_17partition_subalgoE9EjjbEEZZNS1_14partition_implILS5_9ELb0ES3_jN6thrust23THRUST_200600_302600_NS6detail15normal_iteratorINS9_10device_ptrIjEEEESE_PNS0_10empty_typeENS0_5tupleIJSE_SF_EEENSH_IJSE_SG_EEENS0_18inequality_wrapperINS9_8equal_toIjEEEEPmJSF_EEE10hipError_tPvRmT3_T4_T5_T6_T7_T9_mT8_P12ihipStream_tbDpT10_ENKUlT_T0_E_clISt17integral_constantIbLb0EES18_EEDaS13_S14_EUlS13_E_NS1_11comp_targetILNS1_3genE0ELNS1_11target_archE4294967295ELNS1_3gpuE0ELNS1_3repE0EEENS1_30default_config_static_selectorELNS0_4arch9wavefront6targetE0EEEvT1_,comdat
	.protected	_ZN7rocprim17ROCPRIM_400000_NS6detail17trampoline_kernelINS0_14default_configENS1_25partition_config_selectorILNS1_17partition_subalgoE9EjjbEEZZNS1_14partition_implILS5_9ELb0ES3_jN6thrust23THRUST_200600_302600_NS6detail15normal_iteratorINS9_10device_ptrIjEEEESE_PNS0_10empty_typeENS0_5tupleIJSE_SF_EEENSH_IJSE_SG_EEENS0_18inequality_wrapperINS9_8equal_toIjEEEEPmJSF_EEE10hipError_tPvRmT3_T4_T5_T6_T7_T9_mT8_P12ihipStream_tbDpT10_ENKUlT_T0_E_clISt17integral_constantIbLb0EES18_EEDaS13_S14_EUlS13_E_NS1_11comp_targetILNS1_3genE0ELNS1_11target_archE4294967295ELNS1_3gpuE0ELNS1_3repE0EEENS1_30default_config_static_selectorELNS0_4arch9wavefront6targetE0EEEvT1_ ; -- Begin function _ZN7rocprim17ROCPRIM_400000_NS6detail17trampoline_kernelINS0_14default_configENS1_25partition_config_selectorILNS1_17partition_subalgoE9EjjbEEZZNS1_14partition_implILS5_9ELb0ES3_jN6thrust23THRUST_200600_302600_NS6detail15normal_iteratorINS9_10device_ptrIjEEEESE_PNS0_10empty_typeENS0_5tupleIJSE_SF_EEENSH_IJSE_SG_EEENS0_18inequality_wrapperINS9_8equal_toIjEEEEPmJSF_EEE10hipError_tPvRmT3_T4_T5_T6_T7_T9_mT8_P12ihipStream_tbDpT10_ENKUlT_T0_E_clISt17integral_constantIbLb0EES18_EEDaS13_S14_EUlS13_E_NS1_11comp_targetILNS1_3genE0ELNS1_11target_archE4294967295ELNS1_3gpuE0ELNS1_3repE0EEENS1_30default_config_static_selectorELNS0_4arch9wavefront6targetE0EEEvT1_
	.globl	_ZN7rocprim17ROCPRIM_400000_NS6detail17trampoline_kernelINS0_14default_configENS1_25partition_config_selectorILNS1_17partition_subalgoE9EjjbEEZZNS1_14partition_implILS5_9ELb0ES3_jN6thrust23THRUST_200600_302600_NS6detail15normal_iteratorINS9_10device_ptrIjEEEESE_PNS0_10empty_typeENS0_5tupleIJSE_SF_EEENSH_IJSE_SG_EEENS0_18inequality_wrapperINS9_8equal_toIjEEEEPmJSF_EEE10hipError_tPvRmT3_T4_T5_T6_T7_T9_mT8_P12ihipStream_tbDpT10_ENKUlT_T0_E_clISt17integral_constantIbLb0EES18_EEDaS13_S14_EUlS13_E_NS1_11comp_targetILNS1_3genE0ELNS1_11target_archE4294967295ELNS1_3gpuE0ELNS1_3repE0EEENS1_30default_config_static_selectorELNS0_4arch9wavefront6targetE0EEEvT1_
	.p2align	8
	.type	_ZN7rocprim17ROCPRIM_400000_NS6detail17trampoline_kernelINS0_14default_configENS1_25partition_config_selectorILNS1_17partition_subalgoE9EjjbEEZZNS1_14partition_implILS5_9ELb0ES3_jN6thrust23THRUST_200600_302600_NS6detail15normal_iteratorINS9_10device_ptrIjEEEESE_PNS0_10empty_typeENS0_5tupleIJSE_SF_EEENSH_IJSE_SG_EEENS0_18inequality_wrapperINS9_8equal_toIjEEEEPmJSF_EEE10hipError_tPvRmT3_T4_T5_T6_T7_T9_mT8_P12ihipStream_tbDpT10_ENKUlT_T0_E_clISt17integral_constantIbLb0EES18_EEDaS13_S14_EUlS13_E_NS1_11comp_targetILNS1_3genE0ELNS1_11target_archE4294967295ELNS1_3gpuE0ELNS1_3repE0EEENS1_30default_config_static_selectorELNS0_4arch9wavefront6targetE0EEEvT1_,@function
_ZN7rocprim17ROCPRIM_400000_NS6detail17trampoline_kernelINS0_14default_configENS1_25partition_config_selectorILNS1_17partition_subalgoE9EjjbEEZZNS1_14partition_implILS5_9ELb0ES3_jN6thrust23THRUST_200600_302600_NS6detail15normal_iteratorINS9_10device_ptrIjEEEESE_PNS0_10empty_typeENS0_5tupleIJSE_SF_EEENSH_IJSE_SG_EEENS0_18inequality_wrapperINS9_8equal_toIjEEEEPmJSF_EEE10hipError_tPvRmT3_T4_T5_T6_T7_T9_mT8_P12ihipStream_tbDpT10_ENKUlT_T0_E_clISt17integral_constantIbLb0EES18_EEDaS13_S14_EUlS13_E_NS1_11comp_targetILNS1_3genE0ELNS1_11target_archE4294967295ELNS1_3gpuE0ELNS1_3repE0EEENS1_30default_config_static_selectorELNS0_4arch9wavefront6targetE0EEEvT1_: ; @_ZN7rocprim17ROCPRIM_400000_NS6detail17trampoline_kernelINS0_14default_configENS1_25partition_config_selectorILNS1_17partition_subalgoE9EjjbEEZZNS1_14partition_implILS5_9ELb0ES3_jN6thrust23THRUST_200600_302600_NS6detail15normal_iteratorINS9_10device_ptrIjEEEESE_PNS0_10empty_typeENS0_5tupleIJSE_SF_EEENSH_IJSE_SG_EEENS0_18inequality_wrapperINS9_8equal_toIjEEEEPmJSF_EEE10hipError_tPvRmT3_T4_T5_T6_T7_T9_mT8_P12ihipStream_tbDpT10_ENKUlT_T0_E_clISt17integral_constantIbLb0EES18_EEDaS13_S14_EUlS13_E_NS1_11comp_targetILNS1_3genE0ELNS1_11target_archE4294967295ELNS1_3gpuE0ELNS1_3repE0EEENS1_30default_config_static_selectorELNS0_4arch9wavefront6targetE0EEEvT1_
; %bb.0:
	.section	.rodata,"a",@progbits
	.p2align	6, 0x0
	.amdhsa_kernel _ZN7rocprim17ROCPRIM_400000_NS6detail17trampoline_kernelINS0_14default_configENS1_25partition_config_selectorILNS1_17partition_subalgoE9EjjbEEZZNS1_14partition_implILS5_9ELb0ES3_jN6thrust23THRUST_200600_302600_NS6detail15normal_iteratorINS9_10device_ptrIjEEEESE_PNS0_10empty_typeENS0_5tupleIJSE_SF_EEENSH_IJSE_SG_EEENS0_18inequality_wrapperINS9_8equal_toIjEEEEPmJSF_EEE10hipError_tPvRmT3_T4_T5_T6_T7_T9_mT8_P12ihipStream_tbDpT10_ENKUlT_T0_E_clISt17integral_constantIbLb0EES18_EEDaS13_S14_EUlS13_E_NS1_11comp_targetILNS1_3genE0ELNS1_11target_archE4294967295ELNS1_3gpuE0ELNS1_3repE0EEENS1_30default_config_static_selectorELNS0_4arch9wavefront6targetE0EEEvT1_
		.amdhsa_group_segment_fixed_size 0
		.amdhsa_private_segment_fixed_size 0
		.amdhsa_kernarg_size 112
		.amdhsa_user_sgpr_count 15
		.amdhsa_user_sgpr_dispatch_ptr 0
		.amdhsa_user_sgpr_queue_ptr 0
		.amdhsa_user_sgpr_kernarg_segment_ptr 1
		.amdhsa_user_sgpr_dispatch_id 0
		.amdhsa_user_sgpr_private_segment_size 0
		.amdhsa_wavefront_size32 1
		.amdhsa_uses_dynamic_stack 0
		.amdhsa_enable_private_segment 0
		.amdhsa_system_sgpr_workgroup_id_x 1
		.amdhsa_system_sgpr_workgroup_id_y 0
		.amdhsa_system_sgpr_workgroup_id_z 0
		.amdhsa_system_sgpr_workgroup_info 0
		.amdhsa_system_vgpr_workitem_id 0
		.amdhsa_next_free_vgpr 1
		.amdhsa_next_free_sgpr 1
		.amdhsa_reserve_vcc 0
		.amdhsa_float_round_mode_32 0
		.amdhsa_float_round_mode_16_64 0
		.amdhsa_float_denorm_mode_32 3
		.amdhsa_float_denorm_mode_16_64 3
		.amdhsa_dx10_clamp 1
		.amdhsa_ieee_mode 1
		.amdhsa_fp16_overflow 0
		.amdhsa_workgroup_processor_mode 1
		.amdhsa_memory_ordered 1
		.amdhsa_forward_progress 0
		.amdhsa_shared_vgpr_count 0
		.amdhsa_exception_fp_ieee_invalid_op 0
		.amdhsa_exception_fp_denorm_src 0
		.amdhsa_exception_fp_ieee_div_zero 0
		.amdhsa_exception_fp_ieee_overflow 0
		.amdhsa_exception_fp_ieee_underflow 0
		.amdhsa_exception_fp_ieee_inexact 0
		.amdhsa_exception_int_div_zero 0
	.end_amdhsa_kernel
	.section	.text._ZN7rocprim17ROCPRIM_400000_NS6detail17trampoline_kernelINS0_14default_configENS1_25partition_config_selectorILNS1_17partition_subalgoE9EjjbEEZZNS1_14partition_implILS5_9ELb0ES3_jN6thrust23THRUST_200600_302600_NS6detail15normal_iteratorINS9_10device_ptrIjEEEESE_PNS0_10empty_typeENS0_5tupleIJSE_SF_EEENSH_IJSE_SG_EEENS0_18inequality_wrapperINS9_8equal_toIjEEEEPmJSF_EEE10hipError_tPvRmT3_T4_T5_T6_T7_T9_mT8_P12ihipStream_tbDpT10_ENKUlT_T0_E_clISt17integral_constantIbLb0EES18_EEDaS13_S14_EUlS13_E_NS1_11comp_targetILNS1_3genE0ELNS1_11target_archE4294967295ELNS1_3gpuE0ELNS1_3repE0EEENS1_30default_config_static_selectorELNS0_4arch9wavefront6targetE0EEEvT1_,"axG",@progbits,_ZN7rocprim17ROCPRIM_400000_NS6detail17trampoline_kernelINS0_14default_configENS1_25partition_config_selectorILNS1_17partition_subalgoE9EjjbEEZZNS1_14partition_implILS5_9ELb0ES3_jN6thrust23THRUST_200600_302600_NS6detail15normal_iteratorINS9_10device_ptrIjEEEESE_PNS0_10empty_typeENS0_5tupleIJSE_SF_EEENSH_IJSE_SG_EEENS0_18inequality_wrapperINS9_8equal_toIjEEEEPmJSF_EEE10hipError_tPvRmT3_T4_T5_T6_T7_T9_mT8_P12ihipStream_tbDpT10_ENKUlT_T0_E_clISt17integral_constantIbLb0EES18_EEDaS13_S14_EUlS13_E_NS1_11comp_targetILNS1_3genE0ELNS1_11target_archE4294967295ELNS1_3gpuE0ELNS1_3repE0EEENS1_30default_config_static_selectorELNS0_4arch9wavefront6targetE0EEEvT1_,comdat
.Lfunc_end210:
	.size	_ZN7rocprim17ROCPRIM_400000_NS6detail17trampoline_kernelINS0_14default_configENS1_25partition_config_selectorILNS1_17partition_subalgoE9EjjbEEZZNS1_14partition_implILS5_9ELb0ES3_jN6thrust23THRUST_200600_302600_NS6detail15normal_iteratorINS9_10device_ptrIjEEEESE_PNS0_10empty_typeENS0_5tupleIJSE_SF_EEENSH_IJSE_SG_EEENS0_18inequality_wrapperINS9_8equal_toIjEEEEPmJSF_EEE10hipError_tPvRmT3_T4_T5_T6_T7_T9_mT8_P12ihipStream_tbDpT10_ENKUlT_T0_E_clISt17integral_constantIbLb0EES18_EEDaS13_S14_EUlS13_E_NS1_11comp_targetILNS1_3genE0ELNS1_11target_archE4294967295ELNS1_3gpuE0ELNS1_3repE0EEENS1_30default_config_static_selectorELNS0_4arch9wavefront6targetE0EEEvT1_, .Lfunc_end210-_ZN7rocprim17ROCPRIM_400000_NS6detail17trampoline_kernelINS0_14default_configENS1_25partition_config_selectorILNS1_17partition_subalgoE9EjjbEEZZNS1_14partition_implILS5_9ELb0ES3_jN6thrust23THRUST_200600_302600_NS6detail15normal_iteratorINS9_10device_ptrIjEEEESE_PNS0_10empty_typeENS0_5tupleIJSE_SF_EEENSH_IJSE_SG_EEENS0_18inequality_wrapperINS9_8equal_toIjEEEEPmJSF_EEE10hipError_tPvRmT3_T4_T5_T6_T7_T9_mT8_P12ihipStream_tbDpT10_ENKUlT_T0_E_clISt17integral_constantIbLb0EES18_EEDaS13_S14_EUlS13_E_NS1_11comp_targetILNS1_3genE0ELNS1_11target_archE4294967295ELNS1_3gpuE0ELNS1_3repE0EEENS1_30default_config_static_selectorELNS0_4arch9wavefront6targetE0EEEvT1_
                                        ; -- End function
	.section	.AMDGPU.csdata,"",@progbits
; Kernel info:
; codeLenInByte = 0
; NumSgprs: 0
; NumVgprs: 0
; ScratchSize: 0
; MemoryBound: 0
; FloatMode: 240
; IeeeMode: 1
; LDSByteSize: 0 bytes/workgroup (compile time only)
; SGPRBlocks: 0
; VGPRBlocks: 0
; NumSGPRsForWavesPerEU: 1
; NumVGPRsForWavesPerEU: 1
; Occupancy: 16
; WaveLimiterHint : 0
; COMPUTE_PGM_RSRC2:SCRATCH_EN: 0
; COMPUTE_PGM_RSRC2:USER_SGPR: 15
; COMPUTE_PGM_RSRC2:TRAP_HANDLER: 0
; COMPUTE_PGM_RSRC2:TGID_X_EN: 1
; COMPUTE_PGM_RSRC2:TGID_Y_EN: 0
; COMPUTE_PGM_RSRC2:TGID_Z_EN: 0
; COMPUTE_PGM_RSRC2:TIDIG_COMP_CNT: 0
	.section	.text._ZN7rocprim17ROCPRIM_400000_NS6detail17trampoline_kernelINS0_14default_configENS1_25partition_config_selectorILNS1_17partition_subalgoE9EjjbEEZZNS1_14partition_implILS5_9ELb0ES3_jN6thrust23THRUST_200600_302600_NS6detail15normal_iteratorINS9_10device_ptrIjEEEESE_PNS0_10empty_typeENS0_5tupleIJSE_SF_EEENSH_IJSE_SG_EEENS0_18inequality_wrapperINS9_8equal_toIjEEEEPmJSF_EEE10hipError_tPvRmT3_T4_T5_T6_T7_T9_mT8_P12ihipStream_tbDpT10_ENKUlT_T0_E_clISt17integral_constantIbLb0EES18_EEDaS13_S14_EUlS13_E_NS1_11comp_targetILNS1_3genE5ELNS1_11target_archE942ELNS1_3gpuE9ELNS1_3repE0EEENS1_30default_config_static_selectorELNS0_4arch9wavefront6targetE0EEEvT1_,"axG",@progbits,_ZN7rocprim17ROCPRIM_400000_NS6detail17trampoline_kernelINS0_14default_configENS1_25partition_config_selectorILNS1_17partition_subalgoE9EjjbEEZZNS1_14partition_implILS5_9ELb0ES3_jN6thrust23THRUST_200600_302600_NS6detail15normal_iteratorINS9_10device_ptrIjEEEESE_PNS0_10empty_typeENS0_5tupleIJSE_SF_EEENSH_IJSE_SG_EEENS0_18inequality_wrapperINS9_8equal_toIjEEEEPmJSF_EEE10hipError_tPvRmT3_T4_T5_T6_T7_T9_mT8_P12ihipStream_tbDpT10_ENKUlT_T0_E_clISt17integral_constantIbLb0EES18_EEDaS13_S14_EUlS13_E_NS1_11comp_targetILNS1_3genE5ELNS1_11target_archE942ELNS1_3gpuE9ELNS1_3repE0EEENS1_30default_config_static_selectorELNS0_4arch9wavefront6targetE0EEEvT1_,comdat
	.protected	_ZN7rocprim17ROCPRIM_400000_NS6detail17trampoline_kernelINS0_14default_configENS1_25partition_config_selectorILNS1_17partition_subalgoE9EjjbEEZZNS1_14partition_implILS5_9ELb0ES3_jN6thrust23THRUST_200600_302600_NS6detail15normal_iteratorINS9_10device_ptrIjEEEESE_PNS0_10empty_typeENS0_5tupleIJSE_SF_EEENSH_IJSE_SG_EEENS0_18inequality_wrapperINS9_8equal_toIjEEEEPmJSF_EEE10hipError_tPvRmT3_T4_T5_T6_T7_T9_mT8_P12ihipStream_tbDpT10_ENKUlT_T0_E_clISt17integral_constantIbLb0EES18_EEDaS13_S14_EUlS13_E_NS1_11comp_targetILNS1_3genE5ELNS1_11target_archE942ELNS1_3gpuE9ELNS1_3repE0EEENS1_30default_config_static_selectorELNS0_4arch9wavefront6targetE0EEEvT1_ ; -- Begin function _ZN7rocprim17ROCPRIM_400000_NS6detail17trampoline_kernelINS0_14default_configENS1_25partition_config_selectorILNS1_17partition_subalgoE9EjjbEEZZNS1_14partition_implILS5_9ELb0ES3_jN6thrust23THRUST_200600_302600_NS6detail15normal_iteratorINS9_10device_ptrIjEEEESE_PNS0_10empty_typeENS0_5tupleIJSE_SF_EEENSH_IJSE_SG_EEENS0_18inequality_wrapperINS9_8equal_toIjEEEEPmJSF_EEE10hipError_tPvRmT3_T4_T5_T6_T7_T9_mT8_P12ihipStream_tbDpT10_ENKUlT_T0_E_clISt17integral_constantIbLb0EES18_EEDaS13_S14_EUlS13_E_NS1_11comp_targetILNS1_3genE5ELNS1_11target_archE942ELNS1_3gpuE9ELNS1_3repE0EEENS1_30default_config_static_selectorELNS0_4arch9wavefront6targetE0EEEvT1_
	.globl	_ZN7rocprim17ROCPRIM_400000_NS6detail17trampoline_kernelINS0_14default_configENS1_25partition_config_selectorILNS1_17partition_subalgoE9EjjbEEZZNS1_14partition_implILS5_9ELb0ES3_jN6thrust23THRUST_200600_302600_NS6detail15normal_iteratorINS9_10device_ptrIjEEEESE_PNS0_10empty_typeENS0_5tupleIJSE_SF_EEENSH_IJSE_SG_EEENS0_18inequality_wrapperINS9_8equal_toIjEEEEPmJSF_EEE10hipError_tPvRmT3_T4_T5_T6_T7_T9_mT8_P12ihipStream_tbDpT10_ENKUlT_T0_E_clISt17integral_constantIbLb0EES18_EEDaS13_S14_EUlS13_E_NS1_11comp_targetILNS1_3genE5ELNS1_11target_archE942ELNS1_3gpuE9ELNS1_3repE0EEENS1_30default_config_static_selectorELNS0_4arch9wavefront6targetE0EEEvT1_
	.p2align	8
	.type	_ZN7rocprim17ROCPRIM_400000_NS6detail17trampoline_kernelINS0_14default_configENS1_25partition_config_selectorILNS1_17partition_subalgoE9EjjbEEZZNS1_14partition_implILS5_9ELb0ES3_jN6thrust23THRUST_200600_302600_NS6detail15normal_iteratorINS9_10device_ptrIjEEEESE_PNS0_10empty_typeENS0_5tupleIJSE_SF_EEENSH_IJSE_SG_EEENS0_18inequality_wrapperINS9_8equal_toIjEEEEPmJSF_EEE10hipError_tPvRmT3_T4_T5_T6_T7_T9_mT8_P12ihipStream_tbDpT10_ENKUlT_T0_E_clISt17integral_constantIbLb0EES18_EEDaS13_S14_EUlS13_E_NS1_11comp_targetILNS1_3genE5ELNS1_11target_archE942ELNS1_3gpuE9ELNS1_3repE0EEENS1_30default_config_static_selectorELNS0_4arch9wavefront6targetE0EEEvT1_,@function
_ZN7rocprim17ROCPRIM_400000_NS6detail17trampoline_kernelINS0_14default_configENS1_25partition_config_selectorILNS1_17partition_subalgoE9EjjbEEZZNS1_14partition_implILS5_9ELb0ES3_jN6thrust23THRUST_200600_302600_NS6detail15normal_iteratorINS9_10device_ptrIjEEEESE_PNS0_10empty_typeENS0_5tupleIJSE_SF_EEENSH_IJSE_SG_EEENS0_18inequality_wrapperINS9_8equal_toIjEEEEPmJSF_EEE10hipError_tPvRmT3_T4_T5_T6_T7_T9_mT8_P12ihipStream_tbDpT10_ENKUlT_T0_E_clISt17integral_constantIbLb0EES18_EEDaS13_S14_EUlS13_E_NS1_11comp_targetILNS1_3genE5ELNS1_11target_archE942ELNS1_3gpuE9ELNS1_3repE0EEENS1_30default_config_static_selectorELNS0_4arch9wavefront6targetE0EEEvT1_: ; @_ZN7rocprim17ROCPRIM_400000_NS6detail17trampoline_kernelINS0_14default_configENS1_25partition_config_selectorILNS1_17partition_subalgoE9EjjbEEZZNS1_14partition_implILS5_9ELb0ES3_jN6thrust23THRUST_200600_302600_NS6detail15normal_iteratorINS9_10device_ptrIjEEEESE_PNS0_10empty_typeENS0_5tupleIJSE_SF_EEENSH_IJSE_SG_EEENS0_18inequality_wrapperINS9_8equal_toIjEEEEPmJSF_EEE10hipError_tPvRmT3_T4_T5_T6_T7_T9_mT8_P12ihipStream_tbDpT10_ENKUlT_T0_E_clISt17integral_constantIbLb0EES18_EEDaS13_S14_EUlS13_E_NS1_11comp_targetILNS1_3genE5ELNS1_11target_archE942ELNS1_3gpuE9ELNS1_3repE0EEENS1_30default_config_static_selectorELNS0_4arch9wavefront6targetE0EEEvT1_
; %bb.0:
	.section	.rodata,"a",@progbits
	.p2align	6, 0x0
	.amdhsa_kernel _ZN7rocprim17ROCPRIM_400000_NS6detail17trampoline_kernelINS0_14default_configENS1_25partition_config_selectorILNS1_17partition_subalgoE9EjjbEEZZNS1_14partition_implILS5_9ELb0ES3_jN6thrust23THRUST_200600_302600_NS6detail15normal_iteratorINS9_10device_ptrIjEEEESE_PNS0_10empty_typeENS0_5tupleIJSE_SF_EEENSH_IJSE_SG_EEENS0_18inequality_wrapperINS9_8equal_toIjEEEEPmJSF_EEE10hipError_tPvRmT3_T4_T5_T6_T7_T9_mT8_P12ihipStream_tbDpT10_ENKUlT_T0_E_clISt17integral_constantIbLb0EES18_EEDaS13_S14_EUlS13_E_NS1_11comp_targetILNS1_3genE5ELNS1_11target_archE942ELNS1_3gpuE9ELNS1_3repE0EEENS1_30default_config_static_selectorELNS0_4arch9wavefront6targetE0EEEvT1_
		.amdhsa_group_segment_fixed_size 0
		.amdhsa_private_segment_fixed_size 0
		.amdhsa_kernarg_size 112
		.amdhsa_user_sgpr_count 15
		.amdhsa_user_sgpr_dispatch_ptr 0
		.amdhsa_user_sgpr_queue_ptr 0
		.amdhsa_user_sgpr_kernarg_segment_ptr 1
		.amdhsa_user_sgpr_dispatch_id 0
		.amdhsa_user_sgpr_private_segment_size 0
		.amdhsa_wavefront_size32 1
		.amdhsa_uses_dynamic_stack 0
		.amdhsa_enable_private_segment 0
		.amdhsa_system_sgpr_workgroup_id_x 1
		.amdhsa_system_sgpr_workgroup_id_y 0
		.amdhsa_system_sgpr_workgroup_id_z 0
		.amdhsa_system_sgpr_workgroup_info 0
		.amdhsa_system_vgpr_workitem_id 0
		.amdhsa_next_free_vgpr 1
		.amdhsa_next_free_sgpr 1
		.amdhsa_reserve_vcc 0
		.amdhsa_float_round_mode_32 0
		.amdhsa_float_round_mode_16_64 0
		.amdhsa_float_denorm_mode_32 3
		.amdhsa_float_denorm_mode_16_64 3
		.amdhsa_dx10_clamp 1
		.amdhsa_ieee_mode 1
		.amdhsa_fp16_overflow 0
		.amdhsa_workgroup_processor_mode 1
		.amdhsa_memory_ordered 1
		.amdhsa_forward_progress 0
		.amdhsa_shared_vgpr_count 0
		.amdhsa_exception_fp_ieee_invalid_op 0
		.amdhsa_exception_fp_denorm_src 0
		.amdhsa_exception_fp_ieee_div_zero 0
		.amdhsa_exception_fp_ieee_overflow 0
		.amdhsa_exception_fp_ieee_underflow 0
		.amdhsa_exception_fp_ieee_inexact 0
		.amdhsa_exception_int_div_zero 0
	.end_amdhsa_kernel
	.section	.text._ZN7rocprim17ROCPRIM_400000_NS6detail17trampoline_kernelINS0_14default_configENS1_25partition_config_selectorILNS1_17partition_subalgoE9EjjbEEZZNS1_14partition_implILS5_9ELb0ES3_jN6thrust23THRUST_200600_302600_NS6detail15normal_iteratorINS9_10device_ptrIjEEEESE_PNS0_10empty_typeENS0_5tupleIJSE_SF_EEENSH_IJSE_SG_EEENS0_18inequality_wrapperINS9_8equal_toIjEEEEPmJSF_EEE10hipError_tPvRmT3_T4_T5_T6_T7_T9_mT8_P12ihipStream_tbDpT10_ENKUlT_T0_E_clISt17integral_constantIbLb0EES18_EEDaS13_S14_EUlS13_E_NS1_11comp_targetILNS1_3genE5ELNS1_11target_archE942ELNS1_3gpuE9ELNS1_3repE0EEENS1_30default_config_static_selectorELNS0_4arch9wavefront6targetE0EEEvT1_,"axG",@progbits,_ZN7rocprim17ROCPRIM_400000_NS6detail17trampoline_kernelINS0_14default_configENS1_25partition_config_selectorILNS1_17partition_subalgoE9EjjbEEZZNS1_14partition_implILS5_9ELb0ES3_jN6thrust23THRUST_200600_302600_NS6detail15normal_iteratorINS9_10device_ptrIjEEEESE_PNS0_10empty_typeENS0_5tupleIJSE_SF_EEENSH_IJSE_SG_EEENS0_18inequality_wrapperINS9_8equal_toIjEEEEPmJSF_EEE10hipError_tPvRmT3_T4_T5_T6_T7_T9_mT8_P12ihipStream_tbDpT10_ENKUlT_T0_E_clISt17integral_constantIbLb0EES18_EEDaS13_S14_EUlS13_E_NS1_11comp_targetILNS1_3genE5ELNS1_11target_archE942ELNS1_3gpuE9ELNS1_3repE0EEENS1_30default_config_static_selectorELNS0_4arch9wavefront6targetE0EEEvT1_,comdat
.Lfunc_end211:
	.size	_ZN7rocprim17ROCPRIM_400000_NS6detail17trampoline_kernelINS0_14default_configENS1_25partition_config_selectorILNS1_17partition_subalgoE9EjjbEEZZNS1_14partition_implILS5_9ELb0ES3_jN6thrust23THRUST_200600_302600_NS6detail15normal_iteratorINS9_10device_ptrIjEEEESE_PNS0_10empty_typeENS0_5tupleIJSE_SF_EEENSH_IJSE_SG_EEENS0_18inequality_wrapperINS9_8equal_toIjEEEEPmJSF_EEE10hipError_tPvRmT3_T4_T5_T6_T7_T9_mT8_P12ihipStream_tbDpT10_ENKUlT_T0_E_clISt17integral_constantIbLb0EES18_EEDaS13_S14_EUlS13_E_NS1_11comp_targetILNS1_3genE5ELNS1_11target_archE942ELNS1_3gpuE9ELNS1_3repE0EEENS1_30default_config_static_selectorELNS0_4arch9wavefront6targetE0EEEvT1_, .Lfunc_end211-_ZN7rocprim17ROCPRIM_400000_NS6detail17trampoline_kernelINS0_14default_configENS1_25partition_config_selectorILNS1_17partition_subalgoE9EjjbEEZZNS1_14partition_implILS5_9ELb0ES3_jN6thrust23THRUST_200600_302600_NS6detail15normal_iteratorINS9_10device_ptrIjEEEESE_PNS0_10empty_typeENS0_5tupleIJSE_SF_EEENSH_IJSE_SG_EEENS0_18inequality_wrapperINS9_8equal_toIjEEEEPmJSF_EEE10hipError_tPvRmT3_T4_T5_T6_T7_T9_mT8_P12ihipStream_tbDpT10_ENKUlT_T0_E_clISt17integral_constantIbLb0EES18_EEDaS13_S14_EUlS13_E_NS1_11comp_targetILNS1_3genE5ELNS1_11target_archE942ELNS1_3gpuE9ELNS1_3repE0EEENS1_30default_config_static_selectorELNS0_4arch9wavefront6targetE0EEEvT1_
                                        ; -- End function
	.section	.AMDGPU.csdata,"",@progbits
; Kernel info:
; codeLenInByte = 0
; NumSgprs: 0
; NumVgprs: 0
; ScratchSize: 0
; MemoryBound: 0
; FloatMode: 240
; IeeeMode: 1
; LDSByteSize: 0 bytes/workgroup (compile time only)
; SGPRBlocks: 0
; VGPRBlocks: 0
; NumSGPRsForWavesPerEU: 1
; NumVGPRsForWavesPerEU: 1
; Occupancy: 16
; WaveLimiterHint : 0
; COMPUTE_PGM_RSRC2:SCRATCH_EN: 0
; COMPUTE_PGM_RSRC2:USER_SGPR: 15
; COMPUTE_PGM_RSRC2:TRAP_HANDLER: 0
; COMPUTE_PGM_RSRC2:TGID_X_EN: 1
; COMPUTE_PGM_RSRC2:TGID_Y_EN: 0
; COMPUTE_PGM_RSRC2:TGID_Z_EN: 0
; COMPUTE_PGM_RSRC2:TIDIG_COMP_CNT: 0
	.section	.text._ZN7rocprim17ROCPRIM_400000_NS6detail17trampoline_kernelINS0_14default_configENS1_25partition_config_selectorILNS1_17partition_subalgoE9EjjbEEZZNS1_14partition_implILS5_9ELb0ES3_jN6thrust23THRUST_200600_302600_NS6detail15normal_iteratorINS9_10device_ptrIjEEEESE_PNS0_10empty_typeENS0_5tupleIJSE_SF_EEENSH_IJSE_SG_EEENS0_18inequality_wrapperINS9_8equal_toIjEEEEPmJSF_EEE10hipError_tPvRmT3_T4_T5_T6_T7_T9_mT8_P12ihipStream_tbDpT10_ENKUlT_T0_E_clISt17integral_constantIbLb0EES18_EEDaS13_S14_EUlS13_E_NS1_11comp_targetILNS1_3genE4ELNS1_11target_archE910ELNS1_3gpuE8ELNS1_3repE0EEENS1_30default_config_static_selectorELNS0_4arch9wavefront6targetE0EEEvT1_,"axG",@progbits,_ZN7rocprim17ROCPRIM_400000_NS6detail17trampoline_kernelINS0_14default_configENS1_25partition_config_selectorILNS1_17partition_subalgoE9EjjbEEZZNS1_14partition_implILS5_9ELb0ES3_jN6thrust23THRUST_200600_302600_NS6detail15normal_iteratorINS9_10device_ptrIjEEEESE_PNS0_10empty_typeENS0_5tupleIJSE_SF_EEENSH_IJSE_SG_EEENS0_18inequality_wrapperINS9_8equal_toIjEEEEPmJSF_EEE10hipError_tPvRmT3_T4_T5_T6_T7_T9_mT8_P12ihipStream_tbDpT10_ENKUlT_T0_E_clISt17integral_constantIbLb0EES18_EEDaS13_S14_EUlS13_E_NS1_11comp_targetILNS1_3genE4ELNS1_11target_archE910ELNS1_3gpuE8ELNS1_3repE0EEENS1_30default_config_static_selectorELNS0_4arch9wavefront6targetE0EEEvT1_,comdat
	.protected	_ZN7rocprim17ROCPRIM_400000_NS6detail17trampoline_kernelINS0_14default_configENS1_25partition_config_selectorILNS1_17partition_subalgoE9EjjbEEZZNS1_14partition_implILS5_9ELb0ES3_jN6thrust23THRUST_200600_302600_NS6detail15normal_iteratorINS9_10device_ptrIjEEEESE_PNS0_10empty_typeENS0_5tupleIJSE_SF_EEENSH_IJSE_SG_EEENS0_18inequality_wrapperINS9_8equal_toIjEEEEPmJSF_EEE10hipError_tPvRmT3_T4_T5_T6_T7_T9_mT8_P12ihipStream_tbDpT10_ENKUlT_T0_E_clISt17integral_constantIbLb0EES18_EEDaS13_S14_EUlS13_E_NS1_11comp_targetILNS1_3genE4ELNS1_11target_archE910ELNS1_3gpuE8ELNS1_3repE0EEENS1_30default_config_static_selectorELNS0_4arch9wavefront6targetE0EEEvT1_ ; -- Begin function _ZN7rocprim17ROCPRIM_400000_NS6detail17trampoline_kernelINS0_14default_configENS1_25partition_config_selectorILNS1_17partition_subalgoE9EjjbEEZZNS1_14partition_implILS5_9ELb0ES3_jN6thrust23THRUST_200600_302600_NS6detail15normal_iteratorINS9_10device_ptrIjEEEESE_PNS0_10empty_typeENS0_5tupleIJSE_SF_EEENSH_IJSE_SG_EEENS0_18inequality_wrapperINS9_8equal_toIjEEEEPmJSF_EEE10hipError_tPvRmT3_T4_T5_T6_T7_T9_mT8_P12ihipStream_tbDpT10_ENKUlT_T0_E_clISt17integral_constantIbLb0EES18_EEDaS13_S14_EUlS13_E_NS1_11comp_targetILNS1_3genE4ELNS1_11target_archE910ELNS1_3gpuE8ELNS1_3repE0EEENS1_30default_config_static_selectorELNS0_4arch9wavefront6targetE0EEEvT1_
	.globl	_ZN7rocprim17ROCPRIM_400000_NS6detail17trampoline_kernelINS0_14default_configENS1_25partition_config_selectorILNS1_17partition_subalgoE9EjjbEEZZNS1_14partition_implILS5_9ELb0ES3_jN6thrust23THRUST_200600_302600_NS6detail15normal_iteratorINS9_10device_ptrIjEEEESE_PNS0_10empty_typeENS0_5tupleIJSE_SF_EEENSH_IJSE_SG_EEENS0_18inequality_wrapperINS9_8equal_toIjEEEEPmJSF_EEE10hipError_tPvRmT3_T4_T5_T6_T7_T9_mT8_P12ihipStream_tbDpT10_ENKUlT_T0_E_clISt17integral_constantIbLb0EES18_EEDaS13_S14_EUlS13_E_NS1_11comp_targetILNS1_3genE4ELNS1_11target_archE910ELNS1_3gpuE8ELNS1_3repE0EEENS1_30default_config_static_selectorELNS0_4arch9wavefront6targetE0EEEvT1_
	.p2align	8
	.type	_ZN7rocprim17ROCPRIM_400000_NS6detail17trampoline_kernelINS0_14default_configENS1_25partition_config_selectorILNS1_17partition_subalgoE9EjjbEEZZNS1_14partition_implILS5_9ELb0ES3_jN6thrust23THRUST_200600_302600_NS6detail15normal_iteratorINS9_10device_ptrIjEEEESE_PNS0_10empty_typeENS0_5tupleIJSE_SF_EEENSH_IJSE_SG_EEENS0_18inequality_wrapperINS9_8equal_toIjEEEEPmJSF_EEE10hipError_tPvRmT3_T4_T5_T6_T7_T9_mT8_P12ihipStream_tbDpT10_ENKUlT_T0_E_clISt17integral_constantIbLb0EES18_EEDaS13_S14_EUlS13_E_NS1_11comp_targetILNS1_3genE4ELNS1_11target_archE910ELNS1_3gpuE8ELNS1_3repE0EEENS1_30default_config_static_selectorELNS0_4arch9wavefront6targetE0EEEvT1_,@function
_ZN7rocprim17ROCPRIM_400000_NS6detail17trampoline_kernelINS0_14default_configENS1_25partition_config_selectorILNS1_17partition_subalgoE9EjjbEEZZNS1_14partition_implILS5_9ELb0ES3_jN6thrust23THRUST_200600_302600_NS6detail15normal_iteratorINS9_10device_ptrIjEEEESE_PNS0_10empty_typeENS0_5tupleIJSE_SF_EEENSH_IJSE_SG_EEENS0_18inequality_wrapperINS9_8equal_toIjEEEEPmJSF_EEE10hipError_tPvRmT3_T4_T5_T6_T7_T9_mT8_P12ihipStream_tbDpT10_ENKUlT_T0_E_clISt17integral_constantIbLb0EES18_EEDaS13_S14_EUlS13_E_NS1_11comp_targetILNS1_3genE4ELNS1_11target_archE910ELNS1_3gpuE8ELNS1_3repE0EEENS1_30default_config_static_selectorELNS0_4arch9wavefront6targetE0EEEvT1_: ; @_ZN7rocprim17ROCPRIM_400000_NS6detail17trampoline_kernelINS0_14default_configENS1_25partition_config_selectorILNS1_17partition_subalgoE9EjjbEEZZNS1_14partition_implILS5_9ELb0ES3_jN6thrust23THRUST_200600_302600_NS6detail15normal_iteratorINS9_10device_ptrIjEEEESE_PNS0_10empty_typeENS0_5tupleIJSE_SF_EEENSH_IJSE_SG_EEENS0_18inequality_wrapperINS9_8equal_toIjEEEEPmJSF_EEE10hipError_tPvRmT3_T4_T5_T6_T7_T9_mT8_P12ihipStream_tbDpT10_ENKUlT_T0_E_clISt17integral_constantIbLb0EES18_EEDaS13_S14_EUlS13_E_NS1_11comp_targetILNS1_3genE4ELNS1_11target_archE910ELNS1_3gpuE8ELNS1_3repE0EEENS1_30default_config_static_selectorELNS0_4arch9wavefront6targetE0EEEvT1_
; %bb.0:
	.section	.rodata,"a",@progbits
	.p2align	6, 0x0
	.amdhsa_kernel _ZN7rocprim17ROCPRIM_400000_NS6detail17trampoline_kernelINS0_14default_configENS1_25partition_config_selectorILNS1_17partition_subalgoE9EjjbEEZZNS1_14partition_implILS5_9ELb0ES3_jN6thrust23THRUST_200600_302600_NS6detail15normal_iteratorINS9_10device_ptrIjEEEESE_PNS0_10empty_typeENS0_5tupleIJSE_SF_EEENSH_IJSE_SG_EEENS0_18inequality_wrapperINS9_8equal_toIjEEEEPmJSF_EEE10hipError_tPvRmT3_T4_T5_T6_T7_T9_mT8_P12ihipStream_tbDpT10_ENKUlT_T0_E_clISt17integral_constantIbLb0EES18_EEDaS13_S14_EUlS13_E_NS1_11comp_targetILNS1_3genE4ELNS1_11target_archE910ELNS1_3gpuE8ELNS1_3repE0EEENS1_30default_config_static_selectorELNS0_4arch9wavefront6targetE0EEEvT1_
		.amdhsa_group_segment_fixed_size 0
		.amdhsa_private_segment_fixed_size 0
		.amdhsa_kernarg_size 112
		.amdhsa_user_sgpr_count 15
		.amdhsa_user_sgpr_dispatch_ptr 0
		.amdhsa_user_sgpr_queue_ptr 0
		.amdhsa_user_sgpr_kernarg_segment_ptr 1
		.amdhsa_user_sgpr_dispatch_id 0
		.amdhsa_user_sgpr_private_segment_size 0
		.amdhsa_wavefront_size32 1
		.amdhsa_uses_dynamic_stack 0
		.amdhsa_enable_private_segment 0
		.amdhsa_system_sgpr_workgroup_id_x 1
		.amdhsa_system_sgpr_workgroup_id_y 0
		.amdhsa_system_sgpr_workgroup_id_z 0
		.amdhsa_system_sgpr_workgroup_info 0
		.amdhsa_system_vgpr_workitem_id 0
		.amdhsa_next_free_vgpr 1
		.amdhsa_next_free_sgpr 1
		.amdhsa_reserve_vcc 0
		.amdhsa_float_round_mode_32 0
		.amdhsa_float_round_mode_16_64 0
		.amdhsa_float_denorm_mode_32 3
		.amdhsa_float_denorm_mode_16_64 3
		.amdhsa_dx10_clamp 1
		.amdhsa_ieee_mode 1
		.amdhsa_fp16_overflow 0
		.amdhsa_workgroup_processor_mode 1
		.amdhsa_memory_ordered 1
		.amdhsa_forward_progress 0
		.amdhsa_shared_vgpr_count 0
		.amdhsa_exception_fp_ieee_invalid_op 0
		.amdhsa_exception_fp_denorm_src 0
		.amdhsa_exception_fp_ieee_div_zero 0
		.amdhsa_exception_fp_ieee_overflow 0
		.amdhsa_exception_fp_ieee_underflow 0
		.amdhsa_exception_fp_ieee_inexact 0
		.amdhsa_exception_int_div_zero 0
	.end_amdhsa_kernel
	.section	.text._ZN7rocprim17ROCPRIM_400000_NS6detail17trampoline_kernelINS0_14default_configENS1_25partition_config_selectorILNS1_17partition_subalgoE9EjjbEEZZNS1_14partition_implILS5_9ELb0ES3_jN6thrust23THRUST_200600_302600_NS6detail15normal_iteratorINS9_10device_ptrIjEEEESE_PNS0_10empty_typeENS0_5tupleIJSE_SF_EEENSH_IJSE_SG_EEENS0_18inequality_wrapperINS9_8equal_toIjEEEEPmJSF_EEE10hipError_tPvRmT3_T4_T5_T6_T7_T9_mT8_P12ihipStream_tbDpT10_ENKUlT_T0_E_clISt17integral_constantIbLb0EES18_EEDaS13_S14_EUlS13_E_NS1_11comp_targetILNS1_3genE4ELNS1_11target_archE910ELNS1_3gpuE8ELNS1_3repE0EEENS1_30default_config_static_selectorELNS0_4arch9wavefront6targetE0EEEvT1_,"axG",@progbits,_ZN7rocprim17ROCPRIM_400000_NS6detail17trampoline_kernelINS0_14default_configENS1_25partition_config_selectorILNS1_17partition_subalgoE9EjjbEEZZNS1_14partition_implILS5_9ELb0ES3_jN6thrust23THRUST_200600_302600_NS6detail15normal_iteratorINS9_10device_ptrIjEEEESE_PNS0_10empty_typeENS0_5tupleIJSE_SF_EEENSH_IJSE_SG_EEENS0_18inequality_wrapperINS9_8equal_toIjEEEEPmJSF_EEE10hipError_tPvRmT3_T4_T5_T6_T7_T9_mT8_P12ihipStream_tbDpT10_ENKUlT_T0_E_clISt17integral_constantIbLb0EES18_EEDaS13_S14_EUlS13_E_NS1_11comp_targetILNS1_3genE4ELNS1_11target_archE910ELNS1_3gpuE8ELNS1_3repE0EEENS1_30default_config_static_selectorELNS0_4arch9wavefront6targetE0EEEvT1_,comdat
.Lfunc_end212:
	.size	_ZN7rocprim17ROCPRIM_400000_NS6detail17trampoline_kernelINS0_14default_configENS1_25partition_config_selectorILNS1_17partition_subalgoE9EjjbEEZZNS1_14partition_implILS5_9ELb0ES3_jN6thrust23THRUST_200600_302600_NS6detail15normal_iteratorINS9_10device_ptrIjEEEESE_PNS0_10empty_typeENS0_5tupleIJSE_SF_EEENSH_IJSE_SG_EEENS0_18inequality_wrapperINS9_8equal_toIjEEEEPmJSF_EEE10hipError_tPvRmT3_T4_T5_T6_T7_T9_mT8_P12ihipStream_tbDpT10_ENKUlT_T0_E_clISt17integral_constantIbLb0EES18_EEDaS13_S14_EUlS13_E_NS1_11comp_targetILNS1_3genE4ELNS1_11target_archE910ELNS1_3gpuE8ELNS1_3repE0EEENS1_30default_config_static_selectorELNS0_4arch9wavefront6targetE0EEEvT1_, .Lfunc_end212-_ZN7rocprim17ROCPRIM_400000_NS6detail17trampoline_kernelINS0_14default_configENS1_25partition_config_selectorILNS1_17partition_subalgoE9EjjbEEZZNS1_14partition_implILS5_9ELb0ES3_jN6thrust23THRUST_200600_302600_NS6detail15normal_iteratorINS9_10device_ptrIjEEEESE_PNS0_10empty_typeENS0_5tupleIJSE_SF_EEENSH_IJSE_SG_EEENS0_18inequality_wrapperINS9_8equal_toIjEEEEPmJSF_EEE10hipError_tPvRmT3_T4_T5_T6_T7_T9_mT8_P12ihipStream_tbDpT10_ENKUlT_T0_E_clISt17integral_constantIbLb0EES18_EEDaS13_S14_EUlS13_E_NS1_11comp_targetILNS1_3genE4ELNS1_11target_archE910ELNS1_3gpuE8ELNS1_3repE0EEENS1_30default_config_static_selectorELNS0_4arch9wavefront6targetE0EEEvT1_
                                        ; -- End function
	.section	.AMDGPU.csdata,"",@progbits
; Kernel info:
; codeLenInByte = 0
; NumSgprs: 0
; NumVgprs: 0
; ScratchSize: 0
; MemoryBound: 0
; FloatMode: 240
; IeeeMode: 1
; LDSByteSize: 0 bytes/workgroup (compile time only)
; SGPRBlocks: 0
; VGPRBlocks: 0
; NumSGPRsForWavesPerEU: 1
; NumVGPRsForWavesPerEU: 1
; Occupancy: 15
; WaveLimiterHint : 0
; COMPUTE_PGM_RSRC2:SCRATCH_EN: 0
; COMPUTE_PGM_RSRC2:USER_SGPR: 15
; COMPUTE_PGM_RSRC2:TRAP_HANDLER: 0
; COMPUTE_PGM_RSRC2:TGID_X_EN: 1
; COMPUTE_PGM_RSRC2:TGID_Y_EN: 0
; COMPUTE_PGM_RSRC2:TGID_Z_EN: 0
; COMPUTE_PGM_RSRC2:TIDIG_COMP_CNT: 0
	.section	.text._ZN7rocprim17ROCPRIM_400000_NS6detail17trampoline_kernelINS0_14default_configENS1_25partition_config_selectorILNS1_17partition_subalgoE9EjjbEEZZNS1_14partition_implILS5_9ELb0ES3_jN6thrust23THRUST_200600_302600_NS6detail15normal_iteratorINS9_10device_ptrIjEEEESE_PNS0_10empty_typeENS0_5tupleIJSE_SF_EEENSH_IJSE_SG_EEENS0_18inequality_wrapperINS9_8equal_toIjEEEEPmJSF_EEE10hipError_tPvRmT3_T4_T5_T6_T7_T9_mT8_P12ihipStream_tbDpT10_ENKUlT_T0_E_clISt17integral_constantIbLb0EES18_EEDaS13_S14_EUlS13_E_NS1_11comp_targetILNS1_3genE3ELNS1_11target_archE908ELNS1_3gpuE7ELNS1_3repE0EEENS1_30default_config_static_selectorELNS0_4arch9wavefront6targetE0EEEvT1_,"axG",@progbits,_ZN7rocprim17ROCPRIM_400000_NS6detail17trampoline_kernelINS0_14default_configENS1_25partition_config_selectorILNS1_17partition_subalgoE9EjjbEEZZNS1_14partition_implILS5_9ELb0ES3_jN6thrust23THRUST_200600_302600_NS6detail15normal_iteratorINS9_10device_ptrIjEEEESE_PNS0_10empty_typeENS0_5tupleIJSE_SF_EEENSH_IJSE_SG_EEENS0_18inequality_wrapperINS9_8equal_toIjEEEEPmJSF_EEE10hipError_tPvRmT3_T4_T5_T6_T7_T9_mT8_P12ihipStream_tbDpT10_ENKUlT_T0_E_clISt17integral_constantIbLb0EES18_EEDaS13_S14_EUlS13_E_NS1_11comp_targetILNS1_3genE3ELNS1_11target_archE908ELNS1_3gpuE7ELNS1_3repE0EEENS1_30default_config_static_selectorELNS0_4arch9wavefront6targetE0EEEvT1_,comdat
	.protected	_ZN7rocprim17ROCPRIM_400000_NS6detail17trampoline_kernelINS0_14default_configENS1_25partition_config_selectorILNS1_17partition_subalgoE9EjjbEEZZNS1_14partition_implILS5_9ELb0ES3_jN6thrust23THRUST_200600_302600_NS6detail15normal_iteratorINS9_10device_ptrIjEEEESE_PNS0_10empty_typeENS0_5tupleIJSE_SF_EEENSH_IJSE_SG_EEENS0_18inequality_wrapperINS9_8equal_toIjEEEEPmJSF_EEE10hipError_tPvRmT3_T4_T5_T6_T7_T9_mT8_P12ihipStream_tbDpT10_ENKUlT_T0_E_clISt17integral_constantIbLb0EES18_EEDaS13_S14_EUlS13_E_NS1_11comp_targetILNS1_3genE3ELNS1_11target_archE908ELNS1_3gpuE7ELNS1_3repE0EEENS1_30default_config_static_selectorELNS0_4arch9wavefront6targetE0EEEvT1_ ; -- Begin function _ZN7rocprim17ROCPRIM_400000_NS6detail17trampoline_kernelINS0_14default_configENS1_25partition_config_selectorILNS1_17partition_subalgoE9EjjbEEZZNS1_14partition_implILS5_9ELb0ES3_jN6thrust23THRUST_200600_302600_NS6detail15normal_iteratorINS9_10device_ptrIjEEEESE_PNS0_10empty_typeENS0_5tupleIJSE_SF_EEENSH_IJSE_SG_EEENS0_18inequality_wrapperINS9_8equal_toIjEEEEPmJSF_EEE10hipError_tPvRmT3_T4_T5_T6_T7_T9_mT8_P12ihipStream_tbDpT10_ENKUlT_T0_E_clISt17integral_constantIbLb0EES18_EEDaS13_S14_EUlS13_E_NS1_11comp_targetILNS1_3genE3ELNS1_11target_archE908ELNS1_3gpuE7ELNS1_3repE0EEENS1_30default_config_static_selectorELNS0_4arch9wavefront6targetE0EEEvT1_
	.globl	_ZN7rocprim17ROCPRIM_400000_NS6detail17trampoline_kernelINS0_14default_configENS1_25partition_config_selectorILNS1_17partition_subalgoE9EjjbEEZZNS1_14partition_implILS5_9ELb0ES3_jN6thrust23THRUST_200600_302600_NS6detail15normal_iteratorINS9_10device_ptrIjEEEESE_PNS0_10empty_typeENS0_5tupleIJSE_SF_EEENSH_IJSE_SG_EEENS0_18inequality_wrapperINS9_8equal_toIjEEEEPmJSF_EEE10hipError_tPvRmT3_T4_T5_T6_T7_T9_mT8_P12ihipStream_tbDpT10_ENKUlT_T0_E_clISt17integral_constantIbLb0EES18_EEDaS13_S14_EUlS13_E_NS1_11comp_targetILNS1_3genE3ELNS1_11target_archE908ELNS1_3gpuE7ELNS1_3repE0EEENS1_30default_config_static_selectorELNS0_4arch9wavefront6targetE0EEEvT1_
	.p2align	8
	.type	_ZN7rocprim17ROCPRIM_400000_NS6detail17trampoline_kernelINS0_14default_configENS1_25partition_config_selectorILNS1_17partition_subalgoE9EjjbEEZZNS1_14partition_implILS5_9ELb0ES3_jN6thrust23THRUST_200600_302600_NS6detail15normal_iteratorINS9_10device_ptrIjEEEESE_PNS0_10empty_typeENS0_5tupleIJSE_SF_EEENSH_IJSE_SG_EEENS0_18inequality_wrapperINS9_8equal_toIjEEEEPmJSF_EEE10hipError_tPvRmT3_T4_T5_T6_T7_T9_mT8_P12ihipStream_tbDpT10_ENKUlT_T0_E_clISt17integral_constantIbLb0EES18_EEDaS13_S14_EUlS13_E_NS1_11comp_targetILNS1_3genE3ELNS1_11target_archE908ELNS1_3gpuE7ELNS1_3repE0EEENS1_30default_config_static_selectorELNS0_4arch9wavefront6targetE0EEEvT1_,@function
_ZN7rocprim17ROCPRIM_400000_NS6detail17trampoline_kernelINS0_14default_configENS1_25partition_config_selectorILNS1_17partition_subalgoE9EjjbEEZZNS1_14partition_implILS5_9ELb0ES3_jN6thrust23THRUST_200600_302600_NS6detail15normal_iteratorINS9_10device_ptrIjEEEESE_PNS0_10empty_typeENS0_5tupleIJSE_SF_EEENSH_IJSE_SG_EEENS0_18inequality_wrapperINS9_8equal_toIjEEEEPmJSF_EEE10hipError_tPvRmT3_T4_T5_T6_T7_T9_mT8_P12ihipStream_tbDpT10_ENKUlT_T0_E_clISt17integral_constantIbLb0EES18_EEDaS13_S14_EUlS13_E_NS1_11comp_targetILNS1_3genE3ELNS1_11target_archE908ELNS1_3gpuE7ELNS1_3repE0EEENS1_30default_config_static_selectorELNS0_4arch9wavefront6targetE0EEEvT1_: ; @_ZN7rocprim17ROCPRIM_400000_NS6detail17trampoline_kernelINS0_14default_configENS1_25partition_config_selectorILNS1_17partition_subalgoE9EjjbEEZZNS1_14partition_implILS5_9ELb0ES3_jN6thrust23THRUST_200600_302600_NS6detail15normal_iteratorINS9_10device_ptrIjEEEESE_PNS0_10empty_typeENS0_5tupleIJSE_SF_EEENSH_IJSE_SG_EEENS0_18inequality_wrapperINS9_8equal_toIjEEEEPmJSF_EEE10hipError_tPvRmT3_T4_T5_T6_T7_T9_mT8_P12ihipStream_tbDpT10_ENKUlT_T0_E_clISt17integral_constantIbLb0EES18_EEDaS13_S14_EUlS13_E_NS1_11comp_targetILNS1_3genE3ELNS1_11target_archE908ELNS1_3gpuE7ELNS1_3repE0EEENS1_30default_config_static_selectorELNS0_4arch9wavefront6targetE0EEEvT1_
; %bb.0:
	.section	.rodata,"a",@progbits
	.p2align	6, 0x0
	.amdhsa_kernel _ZN7rocprim17ROCPRIM_400000_NS6detail17trampoline_kernelINS0_14default_configENS1_25partition_config_selectorILNS1_17partition_subalgoE9EjjbEEZZNS1_14partition_implILS5_9ELb0ES3_jN6thrust23THRUST_200600_302600_NS6detail15normal_iteratorINS9_10device_ptrIjEEEESE_PNS0_10empty_typeENS0_5tupleIJSE_SF_EEENSH_IJSE_SG_EEENS0_18inequality_wrapperINS9_8equal_toIjEEEEPmJSF_EEE10hipError_tPvRmT3_T4_T5_T6_T7_T9_mT8_P12ihipStream_tbDpT10_ENKUlT_T0_E_clISt17integral_constantIbLb0EES18_EEDaS13_S14_EUlS13_E_NS1_11comp_targetILNS1_3genE3ELNS1_11target_archE908ELNS1_3gpuE7ELNS1_3repE0EEENS1_30default_config_static_selectorELNS0_4arch9wavefront6targetE0EEEvT1_
		.amdhsa_group_segment_fixed_size 0
		.amdhsa_private_segment_fixed_size 0
		.amdhsa_kernarg_size 112
		.amdhsa_user_sgpr_count 15
		.amdhsa_user_sgpr_dispatch_ptr 0
		.amdhsa_user_sgpr_queue_ptr 0
		.amdhsa_user_sgpr_kernarg_segment_ptr 1
		.amdhsa_user_sgpr_dispatch_id 0
		.amdhsa_user_sgpr_private_segment_size 0
		.amdhsa_wavefront_size32 1
		.amdhsa_uses_dynamic_stack 0
		.amdhsa_enable_private_segment 0
		.amdhsa_system_sgpr_workgroup_id_x 1
		.amdhsa_system_sgpr_workgroup_id_y 0
		.amdhsa_system_sgpr_workgroup_id_z 0
		.amdhsa_system_sgpr_workgroup_info 0
		.amdhsa_system_vgpr_workitem_id 0
		.amdhsa_next_free_vgpr 1
		.amdhsa_next_free_sgpr 1
		.amdhsa_reserve_vcc 0
		.amdhsa_float_round_mode_32 0
		.amdhsa_float_round_mode_16_64 0
		.amdhsa_float_denorm_mode_32 3
		.amdhsa_float_denorm_mode_16_64 3
		.amdhsa_dx10_clamp 1
		.amdhsa_ieee_mode 1
		.amdhsa_fp16_overflow 0
		.amdhsa_workgroup_processor_mode 1
		.amdhsa_memory_ordered 1
		.amdhsa_forward_progress 0
		.amdhsa_shared_vgpr_count 0
		.amdhsa_exception_fp_ieee_invalid_op 0
		.amdhsa_exception_fp_denorm_src 0
		.amdhsa_exception_fp_ieee_div_zero 0
		.amdhsa_exception_fp_ieee_overflow 0
		.amdhsa_exception_fp_ieee_underflow 0
		.amdhsa_exception_fp_ieee_inexact 0
		.amdhsa_exception_int_div_zero 0
	.end_amdhsa_kernel
	.section	.text._ZN7rocprim17ROCPRIM_400000_NS6detail17trampoline_kernelINS0_14default_configENS1_25partition_config_selectorILNS1_17partition_subalgoE9EjjbEEZZNS1_14partition_implILS5_9ELb0ES3_jN6thrust23THRUST_200600_302600_NS6detail15normal_iteratorINS9_10device_ptrIjEEEESE_PNS0_10empty_typeENS0_5tupleIJSE_SF_EEENSH_IJSE_SG_EEENS0_18inequality_wrapperINS9_8equal_toIjEEEEPmJSF_EEE10hipError_tPvRmT3_T4_T5_T6_T7_T9_mT8_P12ihipStream_tbDpT10_ENKUlT_T0_E_clISt17integral_constantIbLb0EES18_EEDaS13_S14_EUlS13_E_NS1_11comp_targetILNS1_3genE3ELNS1_11target_archE908ELNS1_3gpuE7ELNS1_3repE0EEENS1_30default_config_static_selectorELNS0_4arch9wavefront6targetE0EEEvT1_,"axG",@progbits,_ZN7rocprim17ROCPRIM_400000_NS6detail17trampoline_kernelINS0_14default_configENS1_25partition_config_selectorILNS1_17partition_subalgoE9EjjbEEZZNS1_14partition_implILS5_9ELb0ES3_jN6thrust23THRUST_200600_302600_NS6detail15normal_iteratorINS9_10device_ptrIjEEEESE_PNS0_10empty_typeENS0_5tupleIJSE_SF_EEENSH_IJSE_SG_EEENS0_18inequality_wrapperINS9_8equal_toIjEEEEPmJSF_EEE10hipError_tPvRmT3_T4_T5_T6_T7_T9_mT8_P12ihipStream_tbDpT10_ENKUlT_T0_E_clISt17integral_constantIbLb0EES18_EEDaS13_S14_EUlS13_E_NS1_11comp_targetILNS1_3genE3ELNS1_11target_archE908ELNS1_3gpuE7ELNS1_3repE0EEENS1_30default_config_static_selectorELNS0_4arch9wavefront6targetE0EEEvT1_,comdat
.Lfunc_end213:
	.size	_ZN7rocprim17ROCPRIM_400000_NS6detail17trampoline_kernelINS0_14default_configENS1_25partition_config_selectorILNS1_17partition_subalgoE9EjjbEEZZNS1_14partition_implILS5_9ELb0ES3_jN6thrust23THRUST_200600_302600_NS6detail15normal_iteratorINS9_10device_ptrIjEEEESE_PNS0_10empty_typeENS0_5tupleIJSE_SF_EEENSH_IJSE_SG_EEENS0_18inequality_wrapperINS9_8equal_toIjEEEEPmJSF_EEE10hipError_tPvRmT3_T4_T5_T6_T7_T9_mT8_P12ihipStream_tbDpT10_ENKUlT_T0_E_clISt17integral_constantIbLb0EES18_EEDaS13_S14_EUlS13_E_NS1_11comp_targetILNS1_3genE3ELNS1_11target_archE908ELNS1_3gpuE7ELNS1_3repE0EEENS1_30default_config_static_selectorELNS0_4arch9wavefront6targetE0EEEvT1_, .Lfunc_end213-_ZN7rocprim17ROCPRIM_400000_NS6detail17trampoline_kernelINS0_14default_configENS1_25partition_config_selectorILNS1_17partition_subalgoE9EjjbEEZZNS1_14partition_implILS5_9ELb0ES3_jN6thrust23THRUST_200600_302600_NS6detail15normal_iteratorINS9_10device_ptrIjEEEESE_PNS0_10empty_typeENS0_5tupleIJSE_SF_EEENSH_IJSE_SG_EEENS0_18inequality_wrapperINS9_8equal_toIjEEEEPmJSF_EEE10hipError_tPvRmT3_T4_T5_T6_T7_T9_mT8_P12ihipStream_tbDpT10_ENKUlT_T0_E_clISt17integral_constantIbLb0EES18_EEDaS13_S14_EUlS13_E_NS1_11comp_targetILNS1_3genE3ELNS1_11target_archE908ELNS1_3gpuE7ELNS1_3repE0EEENS1_30default_config_static_selectorELNS0_4arch9wavefront6targetE0EEEvT1_
                                        ; -- End function
	.section	.AMDGPU.csdata,"",@progbits
; Kernel info:
; codeLenInByte = 0
; NumSgprs: 0
; NumVgprs: 0
; ScratchSize: 0
; MemoryBound: 0
; FloatMode: 240
; IeeeMode: 1
; LDSByteSize: 0 bytes/workgroup (compile time only)
; SGPRBlocks: 0
; VGPRBlocks: 0
; NumSGPRsForWavesPerEU: 1
; NumVGPRsForWavesPerEU: 1
; Occupancy: 16
; WaveLimiterHint : 0
; COMPUTE_PGM_RSRC2:SCRATCH_EN: 0
; COMPUTE_PGM_RSRC2:USER_SGPR: 15
; COMPUTE_PGM_RSRC2:TRAP_HANDLER: 0
; COMPUTE_PGM_RSRC2:TGID_X_EN: 1
; COMPUTE_PGM_RSRC2:TGID_Y_EN: 0
; COMPUTE_PGM_RSRC2:TGID_Z_EN: 0
; COMPUTE_PGM_RSRC2:TIDIG_COMP_CNT: 0
	.section	.text._ZN7rocprim17ROCPRIM_400000_NS6detail17trampoline_kernelINS0_14default_configENS1_25partition_config_selectorILNS1_17partition_subalgoE9EjjbEEZZNS1_14partition_implILS5_9ELb0ES3_jN6thrust23THRUST_200600_302600_NS6detail15normal_iteratorINS9_10device_ptrIjEEEESE_PNS0_10empty_typeENS0_5tupleIJSE_SF_EEENSH_IJSE_SG_EEENS0_18inequality_wrapperINS9_8equal_toIjEEEEPmJSF_EEE10hipError_tPvRmT3_T4_T5_T6_T7_T9_mT8_P12ihipStream_tbDpT10_ENKUlT_T0_E_clISt17integral_constantIbLb0EES18_EEDaS13_S14_EUlS13_E_NS1_11comp_targetILNS1_3genE2ELNS1_11target_archE906ELNS1_3gpuE6ELNS1_3repE0EEENS1_30default_config_static_selectorELNS0_4arch9wavefront6targetE0EEEvT1_,"axG",@progbits,_ZN7rocprim17ROCPRIM_400000_NS6detail17trampoline_kernelINS0_14default_configENS1_25partition_config_selectorILNS1_17partition_subalgoE9EjjbEEZZNS1_14partition_implILS5_9ELb0ES3_jN6thrust23THRUST_200600_302600_NS6detail15normal_iteratorINS9_10device_ptrIjEEEESE_PNS0_10empty_typeENS0_5tupleIJSE_SF_EEENSH_IJSE_SG_EEENS0_18inequality_wrapperINS9_8equal_toIjEEEEPmJSF_EEE10hipError_tPvRmT3_T4_T5_T6_T7_T9_mT8_P12ihipStream_tbDpT10_ENKUlT_T0_E_clISt17integral_constantIbLb0EES18_EEDaS13_S14_EUlS13_E_NS1_11comp_targetILNS1_3genE2ELNS1_11target_archE906ELNS1_3gpuE6ELNS1_3repE0EEENS1_30default_config_static_selectorELNS0_4arch9wavefront6targetE0EEEvT1_,comdat
	.protected	_ZN7rocprim17ROCPRIM_400000_NS6detail17trampoline_kernelINS0_14default_configENS1_25partition_config_selectorILNS1_17partition_subalgoE9EjjbEEZZNS1_14partition_implILS5_9ELb0ES3_jN6thrust23THRUST_200600_302600_NS6detail15normal_iteratorINS9_10device_ptrIjEEEESE_PNS0_10empty_typeENS0_5tupleIJSE_SF_EEENSH_IJSE_SG_EEENS0_18inequality_wrapperINS9_8equal_toIjEEEEPmJSF_EEE10hipError_tPvRmT3_T4_T5_T6_T7_T9_mT8_P12ihipStream_tbDpT10_ENKUlT_T0_E_clISt17integral_constantIbLb0EES18_EEDaS13_S14_EUlS13_E_NS1_11comp_targetILNS1_3genE2ELNS1_11target_archE906ELNS1_3gpuE6ELNS1_3repE0EEENS1_30default_config_static_selectorELNS0_4arch9wavefront6targetE0EEEvT1_ ; -- Begin function _ZN7rocprim17ROCPRIM_400000_NS6detail17trampoline_kernelINS0_14default_configENS1_25partition_config_selectorILNS1_17partition_subalgoE9EjjbEEZZNS1_14partition_implILS5_9ELb0ES3_jN6thrust23THRUST_200600_302600_NS6detail15normal_iteratorINS9_10device_ptrIjEEEESE_PNS0_10empty_typeENS0_5tupleIJSE_SF_EEENSH_IJSE_SG_EEENS0_18inequality_wrapperINS9_8equal_toIjEEEEPmJSF_EEE10hipError_tPvRmT3_T4_T5_T6_T7_T9_mT8_P12ihipStream_tbDpT10_ENKUlT_T0_E_clISt17integral_constantIbLb0EES18_EEDaS13_S14_EUlS13_E_NS1_11comp_targetILNS1_3genE2ELNS1_11target_archE906ELNS1_3gpuE6ELNS1_3repE0EEENS1_30default_config_static_selectorELNS0_4arch9wavefront6targetE0EEEvT1_
	.globl	_ZN7rocprim17ROCPRIM_400000_NS6detail17trampoline_kernelINS0_14default_configENS1_25partition_config_selectorILNS1_17partition_subalgoE9EjjbEEZZNS1_14partition_implILS5_9ELb0ES3_jN6thrust23THRUST_200600_302600_NS6detail15normal_iteratorINS9_10device_ptrIjEEEESE_PNS0_10empty_typeENS0_5tupleIJSE_SF_EEENSH_IJSE_SG_EEENS0_18inequality_wrapperINS9_8equal_toIjEEEEPmJSF_EEE10hipError_tPvRmT3_T4_T5_T6_T7_T9_mT8_P12ihipStream_tbDpT10_ENKUlT_T0_E_clISt17integral_constantIbLb0EES18_EEDaS13_S14_EUlS13_E_NS1_11comp_targetILNS1_3genE2ELNS1_11target_archE906ELNS1_3gpuE6ELNS1_3repE0EEENS1_30default_config_static_selectorELNS0_4arch9wavefront6targetE0EEEvT1_
	.p2align	8
	.type	_ZN7rocprim17ROCPRIM_400000_NS6detail17trampoline_kernelINS0_14default_configENS1_25partition_config_selectorILNS1_17partition_subalgoE9EjjbEEZZNS1_14partition_implILS5_9ELb0ES3_jN6thrust23THRUST_200600_302600_NS6detail15normal_iteratorINS9_10device_ptrIjEEEESE_PNS0_10empty_typeENS0_5tupleIJSE_SF_EEENSH_IJSE_SG_EEENS0_18inequality_wrapperINS9_8equal_toIjEEEEPmJSF_EEE10hipError_tPvRmT3_T4_T5_T6_T7_T9_mT8_P12ihipStream_tbDpT10_ENKUlT_T0_E_clISt17integral_constantIbLb0EES18_EEDaS13_S14_EUlS13_E_NS1_11comp_targetILNS1_3genE2ELNS1_11target_archE906ELNS1_3gpuE6ELNS1_3repE0EEENS1_30default_config_static_selectorELNS0_4arch9wavefront6targetE0EEEvT1_,@function
_ZN7rocprim17ROCPRIM_400000_NS6detail17trampoline_kernelINS0_14default_configENS1_25partition_config_selectorILNS1_17partition_subalgoE9EjjbEEZZNS1_14partition_implILS5_9ELb0ES3_jN6thrust23THRUST_200600_302600_NS6detail15normal_iteratorINS9_10device_ptrIjEEEESE_PNS0_10empty_typeENS0_5tupleIJSE_SF_EEENSH_IJSE_SG_EEENS0_18inequality_wrapperINS9_8equal_toIjEEEEPmJSF_EEE10hipError_tPvRmT3_T4_T5_T6_T7_T9_mT8_P12ihipStream_tbDpT10_ENKUlT_T0_E_clISt17integral_constantIbLb0EES18_EEDaS13_S14_EUlS13_E_NS1_11comp_targetILNS1_3genE2ELNS1_11target_archE906ELNS1_3gpuE6ELNS1_3repE0EEENS1_30default_config_static_selectorELNS0_4arch9wavefront6targetE0EEEvT1_: ; @_ZN7rocprim17ROCPRIM_400000_NS6detail17trampoline_kernelINS0_14default_configENS1_25partition_config_selectorILNS1_17partition_subalgoE9EjjbEEZZNS1_14partition_implILS5_9ELb0ES3_jN6thrust23THRUST_200600_302600_NS6detail15normal_iteratorINS9_10device_ptrIjEEEESE_PNS0_10empty_typeENS0_5tupleIJSE_SF_EEENSH_IJSE_SG_EEENS0_18inequality_wrapperINS9_8equal_toIjEEEEPmJSF_EEE10hipError_tPvRmT3_T4_T5_T6_T7_T9_mT8_P12ihipStream_tbDpT10_ENKUlT_T0_E_clISt17integral_constantIbLb0EES18_EEDaS13_S14_EUlS13_E_NS1_11comp_targetILNS1_3genE2ELNS1_11target_archE906ELNS1_3gpuE6ELNS1_3repE0EEENS1_30default_config_static_selectorELNS0_4arch9wavefront6targetE0EEEvT1_
; %bb.0:
	.section	.rodata,"a",@progbits
	.p2align	6, 0x0
	.amdhsa_kernel _ZN7rocprim17ROCPRIM_400000_NS6detail17trampoline_kernelINS0_14default_configENS1_25partition_config_selectorILNS1_17partition_subalgoE9EjjbEEZZNS1_14partition_implILS5_9ELb0ES3_jN6thrust23THRUST_200600_302600_NS6detail15normal_iteratorINS9_10device_ptrIjEEEESE_PNS0_10empty_typeENS0_5tupleIJSE_SF_EEENSH_IJSE_SG_EEENS0_18inequality_wrapperINS9_8equal_toIjEEEEPmJSF_EEE10hipError_tPvRmT3_T4_T5_T6_T7_T9_mT8_P12ihipStream_tbDpT10_ENKUlT_T0_E_clISt17integral_constantIbLb0EES18_EEDaS13_S14_EUlS13_E_NS1_11comp_targetILNS1_3genE2ELNS1_11target_archE906ELNS1_3gpuE6ELNS1_3repE0EEENS1_30default_config_static_selectorELNS0_4arch9wavefront6targetE0EEEvT1_
		.amdhsa_group_segment_fixed_size 0
		.amdhsa_private_segment_fixed_size 0
		.amdhsa_kernarg_size 112
		.amdhsa_user_sgpr_count 15
		.amdhsa_user_sgpr_dispatch_ptr 0
		.amdhsa_user_sgpr_queue_ptr 0
		.amdhsa_user_sgpr_kernarg_segment_ptr 1
		.amdhsa_user_sgpr_dispatch_id 0
		.amdhsa_user_sgpr_private_segment_size 0
		.amdhsa_wavefront_size32 1
		.amdhsa_uses_dynamic_stack 0
		.amdhsa_enable_private_segment 0
		.amdhsa_system_sgpr_workgroup_id_x 1
		.amdhsa_system_sgpr_workgroup_id_y 0
		.amdhsa_system_sgpr_workgroup_id_z 0
		.amdhsa_system_sgpr_workgroup_info 0
		.amdhsa_system_vgpr_workitem_id 0
		.amdhsa_next_free_vgpr 1
		.amdhsa_next_free_sgpr 1
		.amdhsa_reserve_vcc 0
		.amdhsa_float_round_mode_32 0
		.amdhsa_float_round_mode_16_64 0
		.amdhsa_float_denorm_mode_32 3
		.amdhsa_float_denorm_mode_16_64 3
		.amdhsa_dx10_clamp 1
		.amdhsa_ieee_mode 1
		.amdhsa_fp16_overflow 0
		.amdhsa_workgroup_processor_mode 1
		.amdhsa_memory_ordered 1
		.amdhsa_forward_progress 0
		.amdhsa_shared_vgpr_count 0
		.amdhsa_exception_fp_ieee_invalid_op 0
		.amdhsa_exception_fp_denorm_src 0
		.amdhsa_exception_fp_ieee_div_zero 0
		.amdhsa_exception_fp_ieee_overflow 0
		.amdhsa_exception_fp_ieee_underflow 0
		.amdhsa_exception_fp_ieee_inexact 0
		.amdhsa_exception_int_div_zero 0
	.end_amdhsa_kernel
	.section	.text._ZN7rocprim17ROCPRIM_400000_NS6detail17trampoline_kernelINS0_14default_configENS1_25partition_config_selectorILNS1_17partition_subalgoE9EjjbEEZZNS1_14partition_implILS5_9ELb0ES3_jN6thrust23THRUST_200600_302600_NS6detail15normal_iteratorINS9_10device_ptrIjEEEESE_PNS0_10empty_typeENS0_5tupleIJSE_SF_EEENSH_IJSE_SG_EEENS0_18inequality_wrapperINS9_8equal_toIjEEEEPmJSF_EEE10hipError_tPvRmT3_T4_T5_T6_T7_T9_mT8_P12ihipStream_tbDpT10_ENKUlT_T0_E_clISt17integral_constantIbLb0EES18_EEDaS13_S14_EUlS13_E_NS1_11comp_targetILNS1_3genE2ELNS1_11target_archE906ELNS1_3gpuE6ELNS1_3repE0EEENS1_30default_config_static_selectorELNS0_4arch9wavefront6targetE0EEEvT1_,"axG",@progbits,_ZN7rocprim17ROCPRIM_400000_NS6detail17trampoline_kernelINS0_14default_configENS1_25partition_config_selectorILNS1_17partition_subalgoE9EjjbEEZZNS1_14partition_implILS5_9ELb0ES3_jN6thrust23THRUST_200600_302600_NS6detail15normal_iteratorINS9_10device_ptrIjEEEESE_PNS0_10empty_typeENS0_5tupleIJSE_SF_EEENSH_IJSE_SG_EEENS0_18inequality_wrapperINS9_8equal_toIjEEEEPmJSF_EEE10hipError_tPvRmT3_T4_T5_T6_T7_T9_mT8_P12ihipStream_tbDpT10_ENKUlT_T0_E_clISt17integral_constantIbLb0EES18_EEDaS13_S14_EUlS13_E_NS1_11comp_targetILNS1_3genE2ELNS1_11target_archE906ELNS1_3gpuE6ELNS1_3repE0EEENS1_30default_config_static_selectorELNS0_4arch9wavefront6targetE0EEEvT1_,comdat
.Lfunc_end214:
	.size	_ZN7rocprim17ROCPRIM_400000_NS6detail17trampoline_kernelINS0_14default_configENS1_25partition_config_selectorILNS1_17partition_subalgoE9EjjbEEZZNS1_14partition_implILS5_9ELb0ES3_jN6thrust23THRUST_200600_302600_NS6detail15normal_iteratorINS9_10device_ptrIjEEEESE_PNS0_10empty_typeENS0_5tupleIJSE_SF_EEENSH_IJSE_SG_EEENS0_18inequality_wrapperINS9_8equal_toIjEEEEPmJSF_EEE10hipError_tPvRmT3_T4_T5_T6_T7_T9_mT8_P12ihipStream_tbDpT10_ENKUlT_T0_E_clISt17integral_constantIbLb0EES18_EEDaS13_S14_EUlS13_E_NS1_11comp_targetILNS1_3genE2ELNS1_11target_archE906ELNS1_3gpuE6ELNS1_3repE0EEENS1_30default_config_static_selectorELNS0_4arch9wavefront6targetE0EEEvT1_, .Lfunc_end214-_ZN7rocprim17ROCPRIM_400000_NS6detail17trampoline_kernelINS0_14default_configENS1_25partition_config_selectorILNS1_17partition_subalgoE9EjjbEEZZNS1_14partition_implILS5_9ELb0ES3_jN6thrust23THRUST_200600_302600_NS6detail15normal_iteratorINS9_10device_ptrIjEEEESE_PNS0_10empty_typeENS0_5tupleIJSE_SF_EEENSH_IJSE_SG_EEENS0_18inequality_wrapperINS9_8equal_toIjEEEEPmJSF_EEE10hipError_tPvRmT3_T4_T5_T6_T7_T9_mT8_P12ihipStream_tbDpT10_ENKUlT_T0_E_clISt17integral_constantIbLb0EES18_EEDaS13_S14_EUlS13_E_NS1_11comp_targetILNS1_3genE2ELNS1_11target_archE906ELNS1_3gpuE6ELNS1_3repE0EEENS1_30default_config_static_selectorELNS0_4arch9wavefront6targetE0EEEvT1_
                                        ; -- End function
	.section	.AMDGPU.csdata,"",@progbits
; Kernel info:
; codeLenInByte = 0
; NumSgprs: 0
; NumVgprs: 0
; ScratchSize: 0
; MemoryBound: 0
; FloatMode: 240
; IeeeMode: 1
; LDSByteSize: 0 bytes/workgroup (compile time only)
; SGPRBlocks: 0
; VGPRBlocks: 0
; NumSGPRsForWavesPerEU: 1
; NumVGPRsForWavesPerEU: 1
; Occupancy: 16
; WaveLimiterHint : 0
; COMPUTE_PGM_RSRC2:SCRATCH_EN: 0
; COMPUTE_PGM_RSRC2:USER_SGPR: 15
; COMPUTE_PGM_RSRC2:TRAP_HANDLER: 0
; COMPUTE_PGM_RSRC2:TGID_X_EN: 1
; COMPUTE_PGM_RSRC2:TGID_Y_EN: 0
; COMPUTE_PGM_RSRC2:TGID_Z_EN: 0
; COMPUTE_PGM_RSRC2:TIDIG_COMP_CNT: 0
	.section	.text._ZN7rocprim17ROCPRIM_400000_NS6detail17trampoline_kernelINS0_14default_configENS1_25partition_config_selectorILNS1_17partition_subalgoE9EjjbEEZZNS1_14partition_implILS5_9ELb0ES3_jN6thrust23THRUST_200600_302600_NS6detail15normal_iteratorINS9_10device_ptrIjEEEESE_PNS0_10empty_typeENS0_5tupleIJSE_SF_EEENSH_IJSE_SG_EEENS0_18inequality_wrapperINS9_8equal_toIjEEEEPmJSF_EEE10hipError_tPvRmT3_T4_T5_T6_T7_T9_mT8_P12ihipStream_tbDpT10_ENKUlT_T0_E_clISt17integral_constantIbLb0EES18_EEDaS13_S14_EUlS13_E_NS1_11comp_targetILNS1_3genE10ELNS1_11target_archE1200ELNS1_3gpuE4ELNS1_3repE0EEENS1_30default_config_static_selectorELNS0_4arch9wavefront6targetE0EEEvT1_,"axG",@progbits,_ZN7rocprim17ROCPRIM_400000_NS6detail17trampoline_kernelINS0_14default_configENS1_25partition_config_selectorILNS1_17partition_subalgoE9EjjbEEZZNS1_14partition_implILS5_9ELb0ES3_jN6thrust23THRUST_200600_302600_NS6detail15normal_iteratorINS9_10device_ptrIjEEEESE_PNS0_10empty_typeENS0_5tupleIJSE_SF_EEENSH_IJSE_SG_EEENS0_18inequality_wrapperINS9_8equal_toIjEEEEPmJSF_EEE10hipError_tPvRmT3_T4_T5_T6_T7_T9_mT8_P12ihipStream_tbDpT10_ENKUlT_T0_E_clISt17integral_constantIbLb0EES18_EEDaS13_S14_EUlS13_E_NS1_11comp_targetILNS1_3genE10ELNS1_11target_archE1200ELNS1_3gpuE4ELNS1_3repE0EEENS1_30default_config_static_selectorELNS0_4arch9wavefront6targetE0EEEvT1_,comdat
	.protected	_ZN7rocprim17ROCPRIM_400000_NS6detail17trampoline_kernelINS0_14default_configENS1_25partition_config_selectorILNS1_17partition_subalgoE9EjjbEEZZNS1_14partition_implILS5_9ELb0ES3_jN6thrust23THRUST_200600_302600_NS6detail15normal_iteratorINS9_10device_ptrIjEEEESE_PNS0_10empty_typeENS0_5tupleIJSE_SF_EEENSH_IJSE_SG_EEENS0_18inequality_wrapperINS9_8equal_toIjEEEEPmJSF_EEE10hipError_tPvRmT3_T4_T5_T6_T7_T9_mT8_P12ihipStream_tbDpT10_ENKUlT_T0_E_clISt17integral_constantIbLb0EES18_EEDaS13_S14_EUlS13_E_NS1_11comp_targetILNS1_3genE10ELNS1_11target_archE1200ELNS1_3gpuE4ELNS1_3repE0EEENS1_30default_config_static_selectorELNS0_4arch9wavefront6targetE0EEEvT1_ ; -- Begin function _ZN7rocprim17ROCPRIM_400000_NS6detail17trampoline_kernelINS0_14default_configENS1_25partition_config_selectorILNS1_17partition_subalgoE9EjjbEEZZNS1_14partition_implILS5_9ELb0ES3_jN6thrust23THRUST_200600_302600_NS6detail15normal_iteratorINS9_10device_ptrIjEEEESE_PNS0_10empty_typeENS0_5tupleIJSE_SF_EEENSH_IJSE_SG_EEENS0_18inequality_wrapperINS9_8equal_toIjEEEEPmJSF_EEE10hipError_tPvRmT3_T4_T5_T6_T7_T9_mT8_P12ihipStream_tbDpT10_ENKUlT_T0_E_clISt17integral_constantIbLb0EES18_EEDaS13_S14_EUlS13_E_NS1_11comp_targetILNS1_3genE10ELNS1_11target_archE1200ELNS1_3gpuE4ELNS1_3repE0EEENS1_30default_config_static_selectorELNS0_4arch9wavefront6targetE0EEEvT1_
	.globl	_ZN7rocprim17ROCPRIM_400000_NS6detail17trampoline_kernelINS0_14default_configENS1_25partition_config_selectorILNS1_17partition_subalgoE9EjjbEEZZNS1_14partition_implILS5_9ELb0ES3_jN6thrust23THRUST_200600_302600_NS6detail15normal_iteratorINS9_10device_ptrIjEEEESE_PNS0_10empty_typeENS0_5tupleIJSE_SF_EEENSH_IJSE_SG_EEENS0_18inequality_wrapperINS9_8equal_toIjEEEEPmJSF_EEE10hipError_tPvRmT3_T4_T5_T6_T7_T9_mT8_P12ihipStream_tbDpT10_ENKUlT_T0_E_clISt17integral_constantIbLb0EES18_EEDaS13_S14_EUlS13_E_NS1_11comp_targetILNS1_3genE10ELNS1_11target_archE1200ELNS1_3gpuE4ELNS1_3repE0EEENS1_30default_config_static_selectorELNS0_4arch9wavefront6targetE0EEEvT1_
	.p2align	8
	.type	_ZN7rocprim17ROCPRIM_400000_NS6detail17trampoline_kernelINS0_14default_configENS1_25partition_config_selectorILNS1_17partition_subalgoE9EjjbEEZZNS1_14partition_implILS5_9ELb0ES3_jN6thrust23THRUST_200600_302600_NS6detail15normal_iteratorINS9_10device_ptrIjEEEESE_PNS0_10empty_typeENS0_5tupleIJSE_SF_EEENSH_IJSE_SG_EEENS0_18inequality_wrapperINS9_8equal_toIjEEEEPmJSF_EEE10hipError_tPvRmT3_T4_T5_T6_T7_T9_mT8_P12ihipStream_tbDpT10_ENKUlT_T0_E_clISt17integral_constantIbLb0EES18_EEDaS13_S14_EUlS13_E_NS1_11comp_targetILNS1_3genE10ELNS1_11target_archE1200ELNS1_3gpuE4ELNS1_3repE0EEENS1_30default_config_static_selectorELNS0_4arch9wavefront6targetE0EEEvT1_,@function
_ZN7rocprim17ROCPRIM_400000_NS6detail17trampoline_kernelINS0_14default_configENS1_25partition_config_selectorILNS1_17partition_subalgoE9EjjbEEZZNS1_14partition_implILS5_9ELb0ES3_jN6thrust23THRUST_200600_302600_NS6detail15normal_iteratorINS9_10device_ptrIjEEEESE_PNS0_10empty_typeENS0_5tupleIJSE_SF_EEENSH_IJSE_SG_EEENS0_18inequality_wrapperINS9_8equal_toIjEEEEPmJSF_EEE10hipError_tPvRmT3_T4_T5_T6_T7_T9_mT8_P12ihipStream_tbDpT10_ENKUlT_T0_E_clISt17integral_constantIbLb0EES18_EEDaS13_S14_EUlS13_E_NS1_11comp_targetILNS1_3genE10ELNS1_11target_archE1200ELNS1_3gpuE4ELNS1_3repE0EEENS1_30default_config_static_selectorELNS0_4arch9wavefront6targetE0EEEvT1_: ; @_ZN7rocprim17ROCPRIM_400000_NS6detail17trampoline_kernelINS0_14default_configENS1_25partition_config_selectorILNS1_17partition_subalgoE9EjjbEEZZNS1_14partition_implILS5_9ELb0ES3_jN6thrust23THRUST_200600_302600_NS6detail15normal_iteratorINS9_10device_ptrIjEEEESE_PNS0_10empty_typeENS0_5tupleIJSE_SF_EEENSH_IJSE_SG_EEENS0_18inequality_wrapperINS9_8equal_toIjEEEEPmJSF_EEE10hipError_tPvRmT3_T4_T5_T6_T7_T9_mT8_P12ihipStream_tbDpT10_ENKUlT_T0_E_clISt17integral_constantIbLb0EES18_EEDaS13_S14_EUlS13_E_NS1_11comp_targetILNS1_3genE10ELNS1_11target_archE1200ELNS1_3gpuE4ELNS1_3repE0EEENS1_30default_config_static_selectorELNS0_4arch9wavefront6targetE0EEEvT1_
; %bb.0:
	.section	.rodata,"a",@progbits
	.p2align	6, 0x0
	.amdhsa_kernel _ZN7rocprim17ROCPRIM_400000_NS6detail17trampoline_kernelINS0_14default_configENS1_25partition_config_selectorILNS1_17partition_subalgoE9EjjbEEZZNS1_14partition_implILS5_9ELb0ES3_jN6thrust23THRUST_200600_302600_NS6detail15normal_iteratorINS9_10device_ptrIjEEEESE_PNS0_10empty_typeENS0_5tupleIJSE_SF_EEENSH_IJSE_SG_EEENS0_18inequality_wrapperINS9_8equal_toIjEEEEPmJSF_EEE10hipError_tPvRmT3_T4_T5_T6_T7_T9_mT8_P12ihipStream_tbDpT10_ENKUlT_T0_E_clISt17integral_constantIbLb0EES18_EEDaS13_S14_EUlS13_E_NS1_11comp_targetILNS1_3genE10ELNS1_11target_archE1200ELNS1_3gpuE4ELNS1_3repE0EEENS1_30default_config_static_selectorELNS0_4arch9wavefront6targetE0EEEvT1_
		.amdhsa_group_segment_fixed_size 0
		.amdhsa_private_segment_fixed_size 0
		.amdhsa_kernarg_size 112
		.amdhsa_user_sgpr_count 15
		.amdhsa_user_sgpr_dispatch_ptr 0
		.amdhsa_user_sgpr_queue_ptr 0
		.amdhsa_user_sgpr_kernarg_segment_ptr 1
		.amdhsa_user_sgpr_dispatch_id 0
		.amdhsa_user_sgpr_private_segment_size 0
		.amdhsa_wavefront_size32 1
		.amdhsa_uses_dynamic_stack 0
		.amdhsa_enable_private_segment 0
		.amdhsa_system_sgpr_workgroup_id_x 1
		.amdhsa_system_sgpr_workgroup_id_y 0
		.amdhsa_system_sgpr_workgroup_id_z 0
		.amdhsa_system_sgpr_workgroup_info 0
		.amdhsa_system_vgpr_workitem_id 0
		.amdhsa_next_free_vgpr 1
		.amdhsa_next_free_sgpr 1
		.amdhsa_reserve_vcc 0
		.amdhsa_float_round_mode_32 0
		.amdhsa_float_round_mode_16_64 0
		.amdhsa_float_denorm_mode_32 3
		.amdhsa_float_denorm_mode_16_64 3
		.amdhsa_dx10_clamp 1
		.amdhsa_ieee_mode 1
		.amdhsa_fp16_overflow 0
		.amdhsa_workgroup_processor_mode 1
		.amdhsa_memory_ordered 1
		.amdhsa_forward_progress 0
		.amdhsa_shared_vgpr_count 0
		.amdhsa_exception_fp_ieee_invalid_op 0
		.amdhsa_exception_fp_denorm_src 0
		.amdhsa_exception_fp_ieee_div_zero 0
		.amdhsa_exception_fp_ieee_overflow 0
		.amdhsa_exception_fp_ieee_underflow 0
		.amdhsa_exception_fp_ieee_inexact 0
		.amdhsa_exception_int_div_zero 0
	.end_amdhsa_kernel
	.section	.text._ZN7rocprim17ROCPRIM_400000_NS6detail17trampoline_kernelINS0_14default_configENS1_25partition_config_selectorILNS1_17partition_subalgoE9EjjbEEZZNS1_14partition_implILS5_9ELb0ES3_jN6thrust23THRUST_200600_302600_NS6detail15normal_iteratorINS9_10device_ptrIjEEEESE_PNS0_10empty_typeENS0_5tupleIJSE_SF_EEENSH_IJSE_SG_EEENS0_18inequality_wrapperINS9_8equal_toIjEEEEPmJSF_EEE10hipError_tPvRmT3_T4_T5_T6_T7_T9_mT8_P12ihipStream_tbDpT10_ENKUlT_T0_E_clISt17integral_constantIbLb0EES18_EEDaS13_S14_EUlS13_E_NS1_11comp_targetILNS1_3genE10ELNS1_11target_archE1200ELNS1_3gpuE4ELNS1_3repE0EEENS1_30default_config_static_selectorELNS0_4arch9wavefront6targetE0EEEvT1_,"axG",@progbits,_ZN7rocprim17ROCPRIM_400000_NS6detail17trampoline_kernelINS0_14default_configENS1_25partition_config_selectorILNS1_17partition_subalgoE9EjjbEEZZNS1_14partition_implILS5_9ELb0ES3_jN6thrust23THRUST_200600_302600_NS6detail15normal_iteratorINS9_10device_ptrIjEEEESE_PNS0_10empty_typeENS0_5tupleIJSE_SF_EEENSH_IJSE_SG_EEENS0_18inequality_wrapperINS9_8equal_toIjEEEEPmJSF_EEE10hipError_tPvRmT3_T4_T5_T6_T7_T9_mT8_P12ihipStream_tbDpT10_ENKUlT_T0_E_clISt17integral_constantIbLb0EES18_EEDaS13_S14_EUlS13_E_NS1_11comp_targetILNS1_3genE10ELNS1_11target_archE1200ELNS1_3gpuE4ELNS1_3repE0EEENS1_30default_config_static_selectorELNS0_4arch9wavefront6targetE0EEEvT1_,comdat
.Lfunc_end215:
	.size	_ZN7rocprim17ROCPRIM_400000_NS6detail17trampoline_kernelINS0_14default_configENS1_25partition_config_selectorILNS1_17partition_subalgoE9EjjbEEZZNS1_14partition_implILS5_9ELb0ES3_jN6thrust23THRUST_200600_302600_NS6detail15normal_iteratorINS9_10device_ptrIjEEEESE_PNS0_10empty_typeENS0_5tupleIJSE_SF_EEENSH_IJSE_SG_EEENS0_18inequality_wrapperINS9_8equal_toIjEEEEPmJSF_EEE10hipError_tPvRmT3_T4_T5_T6_T7_T9_mT8_P12ihipStream_tbDpT10_ENKUlT_T0_E_clISt17integral_constantIbLb0EES18_EEDaS13_S14_EUlS13_E_NS1_11comp_targetILNS1_3genE10ELNS1_11target_archE1200ELNS1_3gpuE4ELNS1_3repE0EEENS1_30default_config_static_selectorELNS0_4arch9wavefront6targetE0EEEvT1_, .Lfunc_end215-_ZN7rocprim17ROCPRIM_400000_NS6detail17trampoline_kernelINS0_14default_configENS1_25partition_config_selectorILNS1_17partition_subalgoE9EjjbEEZZNS1_14partition_implILS5_9ELb0ES3_jN6thrust23THRUST_200600_302600_NS6detail15normal_iteratorINS9_10device_ptrIjEEEESE_PNS0_10empty_typeENS0_5tupleIJSE_SF_EEENSH_IJSE_SG_EEENS0_18inequality_wrapperINS9_8equal_toIjEEEEPmJSF_EEE10hipError_tPvRmT3_T4_T5_T6_T7_T9_mT8_P12ihipStream_tbDpT10_ENKUlT_T0_E_clISt17integral_constantIbLb0EES18_EEDaS13_S14_EUlS13_E_NS1_11comp_targetILNS1_3genE10ELNS1_11target_archE1200ELNS1_3gpuE4ELNS1_3repE0EEENS1_30default_config_static_selectorELNS0_4arch9wavefront6targetE0EEEvT1_
                                        ; -- End function
	.section	.AMDGPU.csdata,"",@progbits
; Kernel info:
; codeLenInByte = 0
; NumSgprs: 0
; NumVgprs: 0
; ScratchSize: 0
; MemoryBound: 0
; FloatMode: 240
; IeeeMode: 1
; LDSByteSize: 0 bytes/workgroup (compile time only)
; SGPRBlocks: 0
; VGPRBlocks: 0
; NumSGPRsForWavesPerEU: 1
; NumVGPRsForWavesPerEU: 1
; Occupancy: 15
; WaveLimiterHint : 0
; COMPUTE_PGM_RSRC2:SCRATCH_EN: 0
; COMPUTE_PGM_RSRC2:USER_SGPR: 15
; COMPUTE_PGM_RSRC2:TRAP_HANDLER: 0
; COMPUTE_PGM_RSRC2:TGID_X_EN: 1
; COMPUTE_PGM_RSRC2:TGID_Y_EN: 0
; COMPUTE_PGM_RSRC2:TGID_Z_EN: 0
; COMPUTE_PGM_RSRC2:TIDIG_COMP_CNT: 0
	.section	.text._ZN7rocprim17ROCPRIM_400000_NS6detail17trampoline_kernelINS0_14default_configENS1_25partition_config_selectorILNS1_17partition_subalgoE9EjjbEEZZNS1_14partition_implILS5_9ELb0ES3_jN6thrust23THRUST_200600_302600_NS6detail15normal_iteratorINS9_10device_ptrIjEEEESE_PNS0_10empty_typeENS0_5tupleIJSE_SF_EEENSH_IJSE_SG_EEENS0_18inequality_wrapperINS9_8equal_toIjEEEEPmJSF_EEE10hipError_tPvRmT3_T4_T5_T6_T7_T9_mT8_P12ihipStream_tbDpT10_ENKUlT_T0_E_clISt17integral_constantIbLb0EES18_EEDaS13_S14_EUlS13_E_NS1_11comp_targetILNS1_3genE9ELNS1_11target_archE1100ELNS1_3gpuE3ELNS1_3repE0EEENS1_30default_config_static_selectorELNS0_4arch9wavefront6targetE0EEEvT1_,"axG",@progbits,_ZN7rocprim17ROCPRIM_400000_NS6detail17trampoline_kernelINS0_14default_configENS1_25partition_config_selectorILNS1_17partition_subalgoE9EjjbEEZZNS1_14partition_implILS5_9ELb0ES3_jN6thrust23THRUST_200600_302600_NS6detail15normal_iteratorINS9_10device_ptrIjEEEESE_PNS0_10empty_typeENS0_5tupleIJSE_SF_EEENSH_IJSE_SG_EEENS0_18inequality_wrapperINS9_8equal_toIjEEEEPmJSF_EEE10hipError_tPvRmT3_T4_T5_T6_T7_T9_mT8_P12ihipStream_tbDpT10_ENKUlT_T0_E_clISt17integral_constantIbLb0EES18_EEDaS13_S14_EUlS13_E_NS1_11comp_targetILNS1_3genE9ELNS1_11target_archE1100ELNS1_3gpuE3ELNS1_3repE0EEENS1_30default_config_static_selectorELNS0_4arch9wavefront6targetE0EEEvT1_,comdat
	.protected	_ZN7rocprim17ROCPRIM_400000_NS6detail17trampoline_kernelINS0_14default_configENS1_25partition_config_selectorILNS1_17partition_subalgoE9EjjbEEZZNS1_14partition_implILS5_9ELb0ES3_jN6thrust23THRUST_200600_302600_NS6detail15normal_iteratorINS9_10device_ptrIjEEEESE_PNS0_10empty_typeENS0_5tupleIJSE_SF_EEENSH_IJSE_SG_EEENS0_18inequality_wrapperINS9_8equal_toIjEEEEPmJSF_EEE10hipError_tPvRmT3_T4_T5_T6_T7_T9_mT8_P12ihipStream_tbDpT10_ENKUlT_T0_E_clISt17integral_constantIbLb0EES18_EEDaS13_S14_EUlS13_E_NS1_11comp_targetILNS1_3genE9ELNS1_11target_archE1100ELNS1_3gpuE3ELNS1_3repE0EEENS1_30default_config_static_selectorELNS0_4arch9wavefront6targetE0EEEvT1_ ; -- Begin function _ZN7rocprim17ROCPRIM_400000_NS6detail17trampoline_kernelINS0_14default_configENS1_25partition_config_selectorILNS1_17partition_subalgoE9EjjbEEZZNS1_14partition_implILS5_9ELb0ES3_jN6thrust23THRUST_200600_302600_NS6detail15normal_iteratorINS9_10device_ptrIjEEEESE_PNS0_10empty_typeENS0_5tupleIJSE_SF_EEENSH_IJSE_SG_EEENS0_18inequality_wrapperINS9_8equal_toIjEEEEPmJSF_EEE10hipError_tPvRmT3_T4_T5_T6_T7_T9_mT8_P12ihipStream_tbDpT10_ENKUlT_T0_E_clISt17integral_constantIbLb0EES18_EEDaS13_S14_EUlS13_E_NS1_11comp_targetILNS1_3genE9ELNS1_11target_archE1100ELNS1_3gpuE3ELNS1_3repE0EEENS1_30default_config_static_selectorELNS0_4arch9wavefront6targetE0EEEvT1_
	.globl	_ZN7rocprim17ROCPRIM_400000_NS6detail17trampoline_kernelINS0_14default_configENS1_25partition_config_selectorILNS1_17partition_subalgoE9EjjbEEZZNS1_14partition_implILS5_9ELb0ES3_jN6thrust23THRUST_200600_302600_NS6detail15normal_iteratorINS9_10device_ptrIjEEEESE_PNS0_10empty_typeENS0_5tupleIJSE_SF_EEENSH_IJSE_SG_EEENS0_18inequality_wrapperINS9_8equal_toIjEEEEPmJSF_EEE10hipError_tPvRmT3_T4_T5_T6_T7_T9_mT8_P12ihipStream_tbDpT10_ENKUlT_T0_E_clISt17integral_constantIbLb0EES18_EEDaS13_S14_EUlS13_E_NS1_11comp_targetILNS1_3genE9ELNS1_11target_archE1100ELNS1_3gpuE3ELNS1_3repE0EEENS1_30default_config_static_selectorELNS0_4arch9wavefront6targetE0EEEvT1_
	.p2align	8
	.type	_ZN7rocprim17ROCPRIM_400000_NS6detail17trampoline_kernelINS0_14default_configENS1_25partition_config_selectorILNS1_17partition_subalgoE9EjjbEEZZNS1_14partition_implILS5_9ELb0ES3_jN6thrust23THRUST_200600_302600_NS6detail15normal_iteratorINS9_10device_ptrIjEEEESE_PNS0_10empty_typeENS0_5tupleIJSE_SF_EEENSH_IJSE_SG_EEENS0_18inequality_wrapperINS9_8equal_toIjEEEEPmJSF_EEE10hipError_tPvRmT3_T4_T5_T6_T7_T9_mT8_P12ihipStream_tbDpT10_ENKUlT_T0_E_clISt17integral_constantIbLb0EES18_EEDaS13_S14_EUlS13_E_NS1_11comp_targetILNS1_3genE9ELNS1_11target_archE1100ELNS1_3gpuE3ELNS1_3repE0EEENS1_30default_config_static_selectorELNS0_4arch9wavefront6targetE0EEEvT1_,@function
_ZN7rocprim17ROCPRIM_400000_NS6detail17trampoline_kernelINS0_14default_configENS1_25partition_config_selectorILNS1_17partition_subalgoE9EjjbEEZZNS1_14partition_implILS5_9ELb0ES3_jN6thrust23THRUST_200600_302600_NS6detail15normal_iteratorINS9_10device_ptrIjEEEESE_PNS0_10empty_typeENS0_5tupleIJSE_SF_EEENSH_IJSE_SG_EEENS0_18inequality_wrapperINS9_8equal_toIjEEEEPmJSF_EEE10hipError_tPvRmT3_T4_T5_T6_T7_T9_mT8_P12ihipStream_tbDpT10_ENKUlT_T0_E_clISt17integral_constantIbLb0EES18_EEDaS13_S14_EUlS13_E_NS1_11comp_targetILNS1_3genE9ELNS1_11target_archE1100ELNS1_3gpuE3ELNS1_3repE0EEENS1_30default_config_static_selectorELNS0_4arch9wavefront6targetE0EEEvT1_: ; @_ZN7rocprim17ROCPRIM_400000_NS6detail17trampoline_kernelINS0_14default_configENS1_25partition_config_selectorILNS1_17partition_subalgoE9EjjbEEZZNS1_14partition_implILS5_9ELb0ES3_jN6thrust23THRUST_200600_302600_NS6detail15normal_iteratorINS9_10device_ptrIjEEEESE_PNS0_10empty_typeENS0_5tupleIJSE_SF_EEENSH_IJSE_SG_EEENS0_18inequality_wrapperINS9_8equal_toIjEEEEPmJSF_EEE10hipError_tPvRmT3_T4_T5_T6_T7_T9_mT8_P12ihipStream_tbDpT10_ENKUlT_T0_E_clISt17integral_constantIbLb0EES18_EEDaS13_S14_EUlS13_E_NS1_11comp_targetILNS1_3genE9ELNS1_11target_archE1100ELNS1_3gpuE3ELNS1_3repE0EEENS1_30default_config_static_selectorELNS0_4arch9wavefront6targetE0EEEvT1_
; %bb.0:
	s_clause 0x4
	s_load_b128 s[4:7], s[0:1], 0x8
	s_load_b32 s14, s[0:1], 0x68
	s_load_b128 s[16:19], s[0:1], 0x40
	s_load_b64 s[2:3], s[0:1], 0x50
	s_load_b64 s[8:9], s[0:1], 0x18
	s_mov_b32 s23, 0
	s_mul_i32 s22, s15, 0xc00
	v_lshrrev_b32_e32 v18, 3, v0
	v_add_nc_u32_e32 v23, 0x180, v0
	v_add_nc_u32_e32 v22, 0x300, v0
	;; [unrolled: 1-line block ×3, first 2 shown]
	v_or_b32_e32 v24, 0x600, v0
	v_add_nc_u32_e32 v20, 0x780, v0
	v_add_nc_u32_e32 v17, 0x900, v0
	;; [unrolled: 1-line block ×3, first 2 shown]
	s_waitcnt lgkmcnt(0)
	s_lshl_b64 s[12:13], s[6:7], 2
	s_mul_i32 s20, s14, 0xc00
	s_add_u32 s21, s4, s12
	s_addc_u32 s24, s5, s13
	s_add_i32 s4, s20, s6
	s_load_b64 s[10:11], s[18:19], 0x0
	s_sub_i32 s19, s2, s4
	s_add_i32 s14, s14, -1
	s_addk_i32 s19, 0xc00
	s_add_u32 s4, s6, s20
	s_addc_u32 s5, s7, 0
	s_cmp_eq_u32 s15, s14
	v_cmp_ge_u64_e64 s2, s[4:5], s[2:3]
	s_cselect_b32 s14, -1, 0
	s_lshl_b64 s[4:5], s[22:23], 2
	s_mov_b32 s22, -1
	s_delay_alu instid0(VALU_DEP_1) | instskip(NEXT) | instid1(SALU_CYCLE_1)
	s_and_b32 s20, s14, s2
	s_xor_b32 s18, s20, -1
	s_add_u32 s21, s21, s4
	s_addc_u32 s3, s24, s5
	s_and_b32 vcc_lo, exec_lo, s18
	s_cbranch_vccz .LBB216_2
; %bb.1:
	v_lshlrev_b32_e32 v7, 2, v0
	v_lshrrev_b32_e32 v11, 3, v23
	v_lshrrev_b32_e32 v12, 3, v22
	;; [unrolled: 1-line block ×4, first 2 shown]
	v_add_co_u32 v1, s2, s21, v7
	s_delay_alu instid0(VALU_DEP_1) | instskip(SKIP_1) | instid1(VALU_DEP_3)
	v_add_co_ci_u32_e64 v2, null, s3, 0, s2
	v_lshrrev_b32_e32 v15, 3, v20
	v_add_co_u32 v3, vcc_lo, 0x1000, v1
	s_delay_alu instid0(VALU_DEP_3)
	v_add_co_ci_u32_e32 v4, vcc_lo, 0, v2, vcc_lo
	v_add_co_u32 v5, vcc_lo, 0x2000, v1
	v_add_co_ci_u32_e32 v6, vcc_lo, 0, v2, vcc_lo
	s_clause 0x7
	flat_load_b32 v8, v[1:2]
	flat_load_b32 v9, v[1:2] offset:1536
	flat_load_b32 v1, v[1:2] offset:3072
	;; [unrolled: 1-line block ×7, first 2 shown]
	v_and_b32_e32 v6, 60, v18
	v_lshrrev_b32_e32 v16, 3, v17
	v_lshrrev_b32_e32 v19, 3, v21
	v_and_b32_e32 v11, 0x7c, v11
	v_and_b32_e32 v12, 0xfc, v12
	v_and_b32_e32 v13, 0xfc, v13
	v_and_b32_e32 v14, 0xfc, v14
	v_add_nc_u32_e32 v6, v6, v7
	v_and_b32_e32 v15, 0x1fc, v15
	v_and_b32_e32 v16, 0x17c, v16
	;; [unrolled: 1-line block ×3, first 2 shown]
	v_add_nc_u32_e32 v11, v11, v7
	v_add_nc_u32_e32 v12, v12, v7
	;; [unrolled: 1-line block ×4, first 2 shown]
	s_mov_b32 s22, 0
	v_add_nc_u32_e32 v15, v15, v7
	v_add_nc_u32_e32 v16, v16, v7
	;; [unrolled: 1-line block ×3, first 2 shown]
	s_waitcnt vmcnt(7) lgkmcnt(0)
	ds_store_b32 v6, v8
	s_waitcnt vmcnt(6)
	ds_store_b32 v11, v9 offset:1536
	s_waitcnt vmcnt(5)
	ds_store_b32 v12, v1 offset:3072
	;; [unrolled: 2-line block ×7, first 2 shown]
	s_waitcnt lgkmcnt(0)
	s_barrier
.LBB216_2:
	v_cmp_gt_u32_e64 s2, s19, v0
	s_and_not1_b32 vcc_lo, exec_lo, s22
	s_cbranch_vccnz .LBB216_20
; %bb.3:
                                        ; implicit-def: $vgpr1_vgpr2_vgpr3_vgpr4_vgpr5_vgpr6_vgpr7_vgpr8
	s_delay_alu instid0(VALU_DEP_1)
	s_and_saveexec_b32 s22, s2
	s_cbranch_execz .LBB216_11
; %bb.4:
	v_lshlrev_b32_e32 v1, 2, v0
	s_delay_alu instid0(VALU_DEP_1) | instskip(NEXT) | instid1(VALU_DEP_1)
	v_add_co_u32 v1, s2, s21, v1
	v_add_co_ci_u32_e64 v2, null, s3, 0, s2
	flat_load_b32 v1, v[1:2]
	s_or_b32 exec_lo, exec_lo, s22
	s_delay_alu instid0(SALU_CYCLE_1)
	s_mov_b32 s2, exec_lo
	v_cmpx_gt_u32_e64 s19, v23
	s_cbranch_execnz .LBB216_12
.LBB216_5:
	s_or_b32 exec_lo, exec_lo, s2
	s_delay_alu instid0(SALU_CYCLE_1)
	s_mov_b32 s2, exec_lo
	v_cmpx_gt_u32_e64 s19, v22
	s_cbranch_execz .LBB216_13
.LBB216_6:
	v_lshlrev_b32_e32 v3, 2, v0
	s_delay_alu instid0(VALU_DEP_1) | instskip(NEXT) | instid1(VALU_DEP_1)
	v_add_co_u32 v9, s22, s21, v3
	v_add_co_ci_u32_e64 v10, null, s3, 0, s22
	flat_load_b32 v3, v[9:10] offset:3072
	s_or_b32 exec_lo, exec_lo, s2
	s_delay_alu instid0(SALU_CYCLE_1)
	s_mov_b32 s2, exec_lo
	v_cmpx_gt_u32_e64 s19, v25
	s_cbranch_execnz .LBB216_14
.LBB216_7:
	s_or_b32 exec_lo, exec_lo, s2
	s_delay_alu instid0(SALU_CYCLE_1)
	s_mov_b32 s2, exec_lo
	v_cmpx_gt_u32_e64 s19, v24
	s_cbranch_execz .LBB216_15
.LBB216_8:
	v_lshlrev_b32_e32 v5, 2, v24
	s_delay_alu instid0(VALU_DEP_1) | instskip(NEXT) | instid1(VALU_DEP_1)
	v_add_co_u32 v9, s22, s21, v5
	v_add_co_ci_u32_e64 v10, null, s3, 0, s22
	flat_load_b32 v5, v[9:10]
	s_or_b32 exec_lo, exec_lo, s2
	s_delay_alu instid0(SALU_CYCLE_1)
	s_mov_b32 s2, exec_lo
	v_cmpx_gt_u32_e64 s19, v20
	s_cbranch_execnz .LBB216_16
.LBB216_9:
	s_or_b32 exec_lo, exec_lo, s2
	s_delay_alu instid0(SALU_CYCLE_1)
	s_mov_b32 s2, exec_lo
	v_cmpx_gt_u32_e64 s19, v17
	s_cbranch_execz .LBB216_17
.LBB216_10:
	v_lshlrev_b32_e32 v7, 2, v17
	s_delay_alu instid0(VALU_DEP_1) | instskip(NEXT) | instid1(VALU_DEP_1)
	v_add_co_u32 v9, s22, s21, v7
	v_add_co_ci_u32_e64 v10, null, s3, 0, s22
	flat_load_b32 v7, v[9:10]
	s_or_b32 exec_lo, exec_lo, s2
	s_delay_alu instid0(SALU_CYCLE_1)
	s_mov_b32 s2, exec_lo
	v_cmpx_gt_u32_e64 s19, v21
	s_cbranch_execnz .LBB216_18
	s_branch .LBB216_19
.LBB216_11:
	s_or_b32 exec_lo, exec_lo, s22
	s_delay_alu instid0(SALU_CYCLE_1)
	s_mov_b32 s2, exec_lo
	v_cmpx_gt_u32_e64 s19, v23
	s_cbranch_execz .LBB216_5
.LBB216_12:
	v_lshlrev_b32_e32 v2, 2, v0
	s_delay_alu instid0(VALU_DEP_1) | instskip(NEXT) | instid1(VALU_DEP_1)
	v_add_co_u32 v9, s22, s21, v2
	v_add_co_ci_u32_e64 v10, null, s3, 0, s22
	flat_load_b32 v2, v[9:10] offset:1536
	s_or_b32 exec_lo, exec_lo, s2
	s_delay_alu instid0(SALU_CYCLE_1)
	s_mov_b32 s2, exec_lo
	v_cmpx_gt_u32_e64 s19, v22
	s_cbranch_execnz .LBB216_6
.LBB216_13:
	s_or_b32 exec_lo, exec_lo, s2
	s_delay_alu instid0(SALU_CYCLE_1)
	s_mov_b32 s2, exec_lo
	v_cmpx_gt_u32_e64 s19, v25
	s_cbranch_execz .LBB216_7
.LBB216_14:
	v_lshlrev_b32_e32 v4, 2, v25
	s_delay_alu instid0(VALU_DEP_1) | instskip(NEXT) | instid1(VALU_DEP_1)
	v_add_co_u32 v9, s22, s21, v4
	v_add_co_ci_u32_e64 v10, null, s3, 0, s22
	flat_load_b32 v4, v[9:10]
	s_or_b32 exec_lo, exec_lo, s2
	s_delay_alu instid0(SALU_CYCLE_1)
	s_mov_b32 s2, exec_lo
	v_cmpx_gt_u32_e64 s19, v24
	s_cbranch_execnz .LBB216_8
.LBB216_15:
	s_or_b32 exec_lo, exec_lo, s2
	s_delay_alu instid0(SALU_CYCLE_1)
	s_mov_b32 s2, exec_lo
	v_cmpx_gt_u32_e64 s19, v20
	s_cbranch_execz .LBB216_9
.LBB216_16:
	v_lshlrev_b32_e32 v6, 2, v20
	s_delay_alu instid0(VALU_DEP_1) | instskip(NEXT) | instid1(VALU_DEP_1)
	v_add_co_u32 v9, s22, s21, v6
	v_add_co_ci_u32_e64 v10, null, s3, 0, s22
	flat_load_b32 v6, v[9:10]
	s_or_b32 exec_lo, exec_lo, s2
	s_delay_alu instid0(SALU_CYCLE_1)
	s_mov_b32 s2, exec_lo
	v_cmpx_gt_u32_e64 s19, v17
	s_cbranch_execnz .LBB216_10
.LBB216_17:
	s_or_b32 exec_lo, exec_lo, s2
	s_delay_alu instid0(SALU_CYCLE_1)
	s_mov_b32 s2, exec_lo
	v_cmpx_gt_u32_e64 s19, v21
	s_cbranch_execz .LBB216_19
.LBB216_18:
	v_lshlrev_b32_e32 v8, 2, v21
	s_delay_alu instid0(VALU_DEP_1) | instskip(NEXT) | instid1(VALU_DEP_1)
	v_add_co_u32 v8, s22, s21, v8
	v_add_co_ci_u32_e64 v9, null, s3, 0, s22
	flat_load_b32 v8, v[8:9]
.LBB216_19:
	s_or_b32 exec_lo, exec_lo, s2
	v_lshrrev_b32_e32 v9, 3, v23
	v_lshrrev_b32_e32 v10, 3, v22
	;; [unrolled: 1-line block ×4, first 2 shown]
	v_and_b32_e32 v11, 60, v18
	v_lshlrev_b32_e32 v12, 2, v0
	v_lshrrev_b32_e32 v15, 3, v20
	v_lshrrev_b32_e32 v16, 3, v17
	;; [unrolled: 1-line block ×3, first 2 shown]
	v_and_b32_e32 v9, 0x7c, v9
	v_and_b32_e32 v10, 0xfc, v10
	;; [unrolled: 1-line block ×4, first 2 shown]
	v_add_nc_u32_e32 v11, v11, v12
	v_and_b32_e32 v15, 0x1fc, v15
	v_and_b32_e32 v16, 0x1fc, v16
	;; [unrolled: 1-line block ×3, first 2 shown]
	v_add_nc_u32_e32 v9, v9, v12
	v_add_nc_u32_e32 v10, v10, v12
	;; [unrolled: 1-line block ×7, first 2 shown]
	s_waitcnt vmcnt(0) lgkmcnt(0)
	ds_store_b32 v11, v1
	ds_store_b32 v9, v2 offset:1536
	ds_store_b32 v10, v3 offset:3072
	;; [unrolled: 1-line block ×7, first 2 shown]
	s_waitcnt lgkmcnt(0)
	s_barrier
.LBB216_20:
	v_lshlrev_b32_e32 v19, 3, v0
	v_lshrrev_b32_e32 v1, 2, v0
	s_waitcnt lgkmcnt(0)
	buffer_gl0_inv
	s_add_u32 s2, s8, s12
	s_addc_u32 s8, s9, s13
	s_add_u32 s2, s2, s4
	v_add_lshl_u32 v1, v1, v19, 2
	s_addc_u32 s4, s8, s5
	s_and_b32 vcc_lo, exec_lo, s18
	s_mov_b32 s5, -1
	ds_load_2addr_b32 v[15:16], v1 offset1:1
	ds_load_2addr_b32 v[13:14], v1 offset0:2 offset1:3
	ds_load_2addr_b32 v[11:12], v1 offset0:4 offset1:5
	;; [unrolled: 1-line block ×3, first 2 shown]
	s_waitcnt lgkmcnt(0)
	s_barrier
	buffer_gl0_inv
	s_cbranch_vccz .LBB216_22
; %bb.21:
	v_lshlrev_b32_e32 v8, 2, v0
	v_lshrrev_b32_e32 v29, 3, v23
	v_lshrrev_b32_e32 v30, 3, v22
	;; [unrolled: 1-line block ×4, first 2 shown]
	v_add_co_u32 v2, s5, s2, v8
	s_delay_alu instid0(VALU_DEP_1) | instskip(SKIP_1) | instid1(VALU_DEP_3)
	v_add_co_ci_u32_e64 v3, null, s4, 0, s5
	v_lshrrev_b32_e32 v33, 3, v20
	v_add_co_u32 v4, vcc_lo, 0x1000, v2
	s_delay_alu instid0(VALU_DEP_3)
	v_add_co_ci_u32_e32 v5, vcc_lo, 0, v3, vcc_lo
	v_add_co_u32 v6, vcc_lo, 0x2000, v2
	v_add_co_ci_u32_e32 v7, vcc_lo, 0, v3, vcc_lo
	s_clause 0x7
	flat_load_b32 v26, v[2:3]
	flat_load_b32 v27, v[2:3] offset:1536
	flat_load_b32 v2, v[2:3] offset:3072
	;; [unrolled: 1-line block ×7, first 2 shown]
	v_and_b32_e32 v7, 60, v18
	v_lshrrev_b32_e32 v34, 3, v17
	v_lshrrev_b32_e32 v35, 3, v21
	v_and_b32_e32 v29, 0x7c, v29
	v_and_b32_e32 v30, 0xfc, v30
	;; [unrolled: 1-line block ×4, first 2 shown]
	v_add_nc_u32_e32 v7, v7, v8
	v_and_b32_e32 v33, 0x1fc, v33
	v_and_b32_e32 v34, 0x17c, v34
	;; [unrolled: 1-line block ×3, first 2 shown]
	v_add_nc_u32_e32 v29, v29, v8
	v_add_nc_u32_e32 v30, v30, v8
	;; [unrolled: 1-line block ×4, first 2 shown]
	s_mov_b32 s5, 0
	v_add_nc_u32_e32 v33, v33, v8
	v_add_nc_u32_e32 v34, v34, v8
	;; [unrolled: 1-line block ×3, first 2 shown]
	s_waitcnt vmcnt(7) lgkmcnt(7)
	ds_store_b32 v7, v26
	s_waitcnt vmcnt(6) lgkmcnt(7)
	ds_store_b32 v29, v27 offset:1536
	s_waitcnt vmcnt(5) lgkmcnt(7)
	ds_store_b32 v30, v2 offset:3072
	;; [unrolled: 2-line block ×7, first 2 shown]
	s_waitcnt lgkmcnt(0)
	s_barrier
.LBB216_22:
	s_and_not1_b32 vcc_lo, exec_lo, s5
	s_cbranch_vccnz .LBB216_40
; %bb.23:
	s_mov_b32 s5, exec_lo
                                        ; implicit-def: $vgpr2
	v_cmpx_gt_u32_e64 s19, v0
	s_cbranch_execz .LBB216_25
; %bb.24:
	v_lshlrev_b32_e32 v2, 2, v0
	s_delay_alu instid0(VALU_DEP_1) | instskip(NEXT) | instid1(VALU_DEP_1)
	v_add_co_u32 v2, s8, s2, v2
	v_add_co_ci_u32_e64 v3, null, s4, 0, s8
	flat_load_b32 v2, v[2:3]
.LBB216_25:
	s_or_b32 exec_lo, exec_lo, s5
	s_delay_alu instid0(SALU_CYCLE_1)
	s_mov_b32 s5, exec_lo
                                        ; implicit-def: $vgpr3
	v_cmpx_gt_u32_e64 s19, v23
	s_cbranch_execz .LBB216_27
; %bb.26:
	v_lshlrev_b32_e32 v3, 2, v0
	s_delay_alu instid0(VALU_DEP_1) | instskip(NEXT) | instid1(VALU_DEP_1)
	v_add_co_u32 v3, s8, s2, v3
	v_add_co_ci_u32_e64 v4, null, s4, 0, s8
	flat_load_b32 v3, v[3:4] offset:1536
.LBB216_27:
	s_or_b32 exec_lo, exec_lo, s5
	s_delay_alu instid0(SALU_CYCLE_1)
	s_mov_b32 s5, exec_lo
                                        ; implicit-def: $vgpr4
	v_cmpx_gt_u32_e64 s19, v22
	s_cbranch_execz .LBB216_29
; %bb.28:
	v_lshlrev_b32_e32 v4, 2, v0
	s_delay_alu instid0(VALU_DEP_1) | instskip(NEXT) | instid1(VALU_DEP_1)
	v_add_co_u32 v4, s8, s2, v4
	v_add_co_ci_u32_e64 v5, null, s4, 0, s8
	flat_load_b32 v4, v[4:5] offset:3072
.LBB216_29:
	s_or_b32 exec_lo, exec_lo, s5
	s_delay_alu instid0(SALU_CYCLE_1)
	s_mov_b32 s5, exec_lo
                                        ; implicit-def: $vgpr5
	v_cmpx_gt_u32_e64 s19, v25
	s_cbranch_execz .LBB216_31
; %bb.30:
	v_lshlrev_b32_e32 v5, 2, v25
	s_delay_alu instid0(VALU_DEP_1) | instskip(NEXT) | instid1(VALU_DEP_1)
	v_add_co_u32 v5, s8, s2, v5
	v_add_co_ci_u32_e64 v6, null, s4, 0, s8
	flat_load_b32 v5, v[5:6]
.LBB216_31:
	s_or_b32 exec_lo, exec_lo, s5
	s_delay_alu instid0(SALU_CYCLE_1)
	s_mov_b32 s5, exec_lo
                                        ; implicit-def: $vgpr6
	v_cmpx_gt_u32_e64 s19, v24
	s_cbranch_execz .LBB216_33
; %bb.32:
	v_lshlrev_b32_e32 v6, 2, v24
	s_delay_alu instid0(VALU_DEP_1) | instskip(NEXT) | instid1(VALU_DEP_1)
	v_add_co_u32 v6, s8, s2, v6
	v_add_co_ci_u32_e64 v7, null, s4, 0, s8
	flat_load_b32 v6, v[6:7]
.LBB216_33:
	s_or_b32 exec_lo, exec_lo, s5
	s_delay_alu instid0(SALU_CYCLE_1)
	s_mov_b32 s5, exec_lo
                                        ; implicit-def: $vgpr7
	v_cmpx_gt_u32_e64 s19, v20
	s_cbranch_execz .LBB216_35
; %bb.34:
	v_lshlrev_b32_e32 v7, 2, v20
	s_delay_alu instid0(VALU_DEP_1) | instskip(NEXT) | instid1(VALU_DEP_1)
	v_add_co_u32 v7, s8, s2, v7
	v_add_co_ci_u32_e64 v8, null, s4, 0, s8
	flat_load_b32 v7, v[7:8]
.LBB216_35:
	s_or_b32 exec_lo, exec_lo, s5
	s_delay_alu instid0(SALU_CYCLE_1)
	s_mov_b32 s5, exec_lo
                                        ; implicit-def: $vgpr8
	v_cmpx_gt_u32_e64 s19, v17
	s_cbranch_execz .LBB216_37
; %bb.36:
	v_lshlrev_b32_e32 v8, 2, v17
	s_delay_alu instid0(VALU_DEP_1) | instskip(NEXT) | instid1(VALU_DEP_1)
	v_add_co_u32 v26, s8, s2, v8
	v_add_co_ci_u32_e64 v27, null, s4, 0, s8
	flat_load_b32 v8, v[26:27]
.LBB216_37:
	s_or_b32 exec_lo, exec_lo, s5
	s_delay_alu instid0(SALU_CYCLE_1)
	s_mov_b32 s5, exec_lo
                                        ; implicit-def: $vgpr26
	v_cmpx_gt_u32_e64 s19, v21
	s_cbranch_execz .LBB216_39
; %bb.38:
	v_lshlrev_b32_e32 v26, 2, v21
	s_delay_alu instid0(VALU_DEP_1) | instskip(NEXT) | instid1(VALU_DEP_1)
	v_add_co_u32 v26, s2, s2, v26
	v_add_co_ci_u32_e64 v27, null, s4, 0, s2
	flat_load_b32 v26, v[26:27]
.LBB216_39:
	s_or_b32 exec_lo, exec_lo, s5
	v_lshrrev_b32_e32 v23, 3, v23
	v_lshrrev_b32_e32 v22, 3, v22
	;; [unrolled: 1-line block ×4, first 2 shown]
	v_and_b32_e32 v18, 60, v18
	v_lshlrev_b32_e32 v27, 2, v0
	v_lshrrev_b32_e32 v20, 3, v20
	v_lshrrev_b32_e32 v17, 3, v17
	;; [unrolled: 1-line block ×3, first 2 shown]
	v_and_b32_e32 v23, 0x7c, v23
	v_and_b32_e32 v22, 0xfc, v22
	;; [unrolled: 1-line block ×4, first 2 shown]
	v_add_nc_u32_e32 v18, v18, v27
	v_and_b32_e32 v20, 0x1fc, v20
	v_and_b32_e32 v17, 0x1fc, v17
	;; [unrolled: 1-line block ×3, first 2 shown]
	v_add_nc_u32_e32 v23, v23, v27
	v_add_nc_u32_e32 v22, v22, v27
	;; [unrolled: 1-line block ×7, first 2 shown]
	s_waitcnt vmcnt(0) lgkmcnt(0)
	ds_store_b32 v18, v2
	ds_store_b32 v23, v3 offset:1536
	ds_store_b32 v22, v4 offset:3072
	;; [unrolled: 1-line block ×7, first 2 shown]
	s_waitcnt lgkmcnt(0)
	s_barrier
.LBB216_40:
	buffer_gl0_inv
	ds_load_2addr_b32 v[7:8], v1 offset1:1
	ds_load_2addr_b32 v[5:6], v1 offset0:2 offset1:3
	ds_load_2addr_b32 v[3:4], v1 offset0:4 offset1:5
	;; [unrolled: 1-line block ×3, first 2 shown]
	s_cmp_lg_u32 s15, 0
	s_mov_b32 s12, 0
	s_cselect_b32 s9, -1, 0
	s_cmp_lg_u64 s[6:7], 0
	s_waitcnt lgkmcnt(0)
	s_cselect_b32 s2, -1, 0
	s_barrier
	s_or_b32 s2, s9, s2
	buffer_gl0_inv
	s_and_b32 vcc_lo, exec_lo, s2
	s_cbranch_vccz .LBB216_45
; %bb.41:
	v_add_co_u32 v17, s2, -4, s21
	s_delay_alu instid0(VALU_DEP_1)
	v_add_co_ci_u32_e64 v18, null, -1, s3, s2
	v_lshlrev_b32_e32 v21, 2, v0
	s_mov_b32 s3, -1
	s_and_b32 vcc_lo, exec_lo, s18
	flat_load_b32 v20, v[17:18]
	ds_store_b32 v21, v10
	s_cbranch_vccz .LBB216_46
; %bb.42:
	s_waitcnt vmcnt(0) lgkmcnt(1)
	v_mov_b32_e32 v17, v20
	s_mov_b32 s3, 0
	s_mov_b32 s2, exec_lo
	s_waitcnt lgkmcnt(0)
	s_barrier
	buffer_gl0_inv
	v_cmpx_ne_u32_e32 0, v0
	s_cbranch_execz .LBB216_44
; %bb.43:
	v_add_nc_u32_e32 v17, -4, v21
	ds_load_b32 v17, v17
.LBB216_44:
	s_or_b32 exec_lo, exec_lo, s2
	v_cmp_ne_u32_e32 vcc_lo, v9, v10
	s_waitcnt lgkmcnt(0)
	v_cmp_ne_u32_e64 s2, v17, v15
	v_cndmask_b32_e64 v18, 0, 1, vcc_lo
	v_cmp_ne_u32_e32 vcc_lo, v12, v9
	s_delay_alu instid0(VALU_DEP_2) | instskip(SKIP_2) | instid1(VALU_DEP_2)
	v_lshlrev_b16 v18, 8, v18
	v_cndmask_b32_e64 v22, 0, 1, vcc_lo
	v_cmp_ne_u32_e32 vcc_lo, v11, v12
	v_or_b32_e32 v18, v22, v18
	v_cndmask_b32_e64 v23, 0, 1, vcc_lo
	v_cmp_ne_u32_e32 vcc_lo, v13, v14
	s_delay_alu instid0(VALU_DEP_3) | instskip(NEXT) | instid1(VALU_DEP_3)
	v_lshlrev_b32_e32 v18, 16, v18
	v_lshlrev_b16 v23, 8, v23
	v_cndmask_b32_e64 v24, 0, 1, vcc_lo
	v_cmp_ne_u32_e32 vcc_lo, v14, v11
	s_delay_alu instid0(VALU_DEP_2) | instskip(SKIP_2) | instid1(VALU_DEP_2)
	v_lshlrev_b16 v24, 8, v24
	v_cndmask_b32_e64 v25, 0, 1, vcc_lo
	v_cmp_ne_u32_e32 vcc_lo, v16, v13
	v_or_b32_e32 v23, v25, v23
	v_cndmask_b32_e64 v26, 0, 1, vcc_lo
	v_cmp_ne_u32_e32 vcc_lo, v15, v16
	s_delay_alu instid0(VALU_DEP_3) | instskip(NEXT) | instid1(VALU_DEP_3)
	v_and_b32_e32 v23, 0xffff, v23
	v_or_b32_e32 v24, v26, v24
	v_cndmask_b32_e64 v27, 0, 1, vcc_lo
	s_delay_alu instid0(VALU_DEP_3) | instskip(NEXT) | instid1(VALU_DEP_3)
	v_or_b32_e32 v18, v23, v18
	v_lshlrev_b32_e32 v22, 16, v24
	s_delay_alu instid0(VALU_DEP_3) | instskip(NEXT) | instid1(VALU_DEP_1)
	v_lshlrev_b16 v26, 8, v27
	v_and_b32_e32 v24, 0xffff, v26
	s_delay_alu instid0(VALU_DEP_1)
	v_or_b32_e32 v17, v24, v22
	s_and_b32 vcc_lo, exec_lo, s3
	s_cbranch_vccnz .LBB216_47
	s_branch .LBB216_50
.LBB216_45:
                                        ; implicit-def: $sgpr2
                                        ; implicit-def: $vgpr18
	s_branch .LBB216_51
.LBB216_46:
                                        ; implicit-def: $sgpr2
                                        ; implicit-def: $vgpr18
	s_and_b32 vcc_lo, exec_lo, s3
	s_cbranch_vccz .LBB216_50
.LBB216_47:
	s_mov_b32 s2, exec_lo
	s_waitcnt vmcnt(0) lgkmcnt(0)
	s_barrier
	buffer_gl0_inv
	v_cmpx_ne_u32_e32 0, v0
	s_cbranch_execz .LBB216_49
; %bb.48:
	v_add_nc_u32_e32 v17, -4, v21
	ds_load_b32 v20, v17
.LBB216_49:
	s_or_b32 exec_lo, exec_lo, s2
	v_or_b32_e32 v17, 7, v19
	v_or_b32_e32 v18, 6, v19
	;; [unrolled: 1-line block ×3, first 2 shown]
	v_cmp_ne_u32_e32 vcc_lo, v9, v10
	v_cmp_ne_u32_e64 s3, v12, v9
	v_cmp_gt_u32_e64 s2, s19, v17
	v_cmp_gt_u32_e64 s5, s19, v18
	v_cmp_ne_u32_e64 s4, v11, v12
	v_cmp_gt_u32_e64 s6, s19, v21
	v_or_b32_e32 v18, 3, v19
	s_and_b32 s2, s2, vcc_lo
	v_or_b32_e32 v22, 4, v19
	v_cndmask_b32_e64 v17, 0, 1, s2
	s_and_b32 s2, s5, s3
	v_cmp_gt_u32_e32 vcc_lo, s19, v18
	v_cndmask_b32_e64 v21, 0, 1, s2
	s_and_b32 s2, s6, s4
	v_or_b32_e32 v18, 2, v19
	v_cndmask_b32_e64 v23, 0, 1, s2
	v_cmp_ne_u32_e64 s2, v13, v14
	v_cmp_gt_u32_e64 s3, s19, v22
	v_or_b32_e32 v22, 1, v19
	v_cmp_ne_u32_e64 s4, v14, v11
	v_cmp_ne_u32_e64 s6, v15, v16
	s_and_b32 s2, vcc_lo, s2
	v_cmp_gt_u32_e32 vcc_lo, s19, v18
	v_cndmask_b32_e64 v24, 0, 1, s2
	v_cmp_ne_u32_e64 s2, v16, v13
	v_cmp_gt_u32_e64 s5, s19, v22
	s_and_b32 s3, s3, s4
	v_lshlrev_b16 v23, 8, v23
	v_cndmask_b32_e64 v18, 0, 1, s3
	s_and_b32 s2, vcc_lo, s2
	v_lshlrev_b16 v24, 8, v24
	v_cndmask_b32_e64 v22, 0, 1, s2
	s_and_b32 s2, s5, s6
	v_lshlrev_b16 v17, 8, v17
	v_cndmask_b32_e64 v25, 0, 1, s2
	v_or_b32_e32 v18, v18, v23
	v_or_b32_e32 v22, v22, v24
	v_cmp_gt_u32_e32 vcc_lo, s19, v19
	v_or_b32_e32 v17, v21, v17
	v_lshlrev_b16 v24, 8, v25
	v_and_b32_e32 v18, 0xffff, v18
	v_lshlrev_b32_e32 v21, 16, v22
	s_waitcnt lgkmcnt(0)
	v_cmp_ne_u32_e64 s2, v20, v15
	v_lshlrev_b32_e32 v23, 16, v17
	v_and_b32_e32 v22, 0xffff, v24
	s_delay_alu instid0(VALU_DEP_3) | instskip(NEXT) | instid1(VALU_DEP_2)
	s_and_b32 s2, vcc_lo, s2
	v_or_b32_e32 v18, v18, v23
	s_delay_alu instid0(VALU_DEP_2)
	v_or_b32_e32 v17, v22, v21
.LBB216_50:
	s_mov_b32 s12, -1
	s_cbranch_execnz .LBB216_59
.LBB216_51:
	s_waitcnt vmcnt(0) lgkmcnt(1)
	v_lshlrev_b32_e32 v20, 2, v0
	v_cmp_ne_u32_e64 s3, v9, v10
	v_cmp_ne_u32_e64 s4, v12, v9
	;; [unrolled: 1-line block ×7, first 2 shown]
	s_and_b32 vcc_lo, exec_lo, s18
	ds_store_b32 v20, v10
	s_cbranch_vccz .LBB216_55
; %bb.52:
	v_cndmask_b32_e64 v17, 0, 1, s3
	v_cndmask_b32_e64 v21, 0, 1, s5
	;; [unrolled: 1-line block ×7, first 2 shown]
	v_lshlrev_b16 v21, 8, v21
	v_lshlrev_b16 v17, 8, v17
	;; [unrolled: 1-line block ×4, first 2 shown]
	s_mov_b32 s3, 0
	v_or_b32_e32 v21, v22, v21
	v_or_b32_e32 v17, v18, v17
	;; [unrolled: 1-line block ×4, first 2 shown]
	s_mov_b32 s4, exec_lo
	v_and_b32_e32 v21, 0xffff, v21
	v_lshlrev_b32_e32 v17, 16, v17
	v_lshlrev_b32_e32 v23, 16, v18
	v_and_b32_e32 v22, 0xffff, v22
	s_waitcnt lgkmcnt(0)
	s_barrier
	v_or_b32_e32 v18, v21, v17
	buffer_gl0_inv
	v_or_b32_e32 v17, v22, v23
                                        ; implicit-def: $sgpr2
	v_cmpx_ne_u32_e32 0, v0
	s_xor_b32 s4, exec_lo, s4
	s_cbranch_execz .LBB216_54
; %bb.53:
	v_add_nc_u32_e32 v21, -4, v20
	s_or_b32 s12, s12, exec_lo
	ds_load_b32 v21, v21
	s_waitcnt lgkmcnt(0)
	v_cmp_ne_u32_e32 vcc_lo, v21, v15
	s_and_b32 s2, vcc_lo, exec_lo
.LBB216_54:
	s_or_b32 exec_lo, exec_lo, s4
	s_delay_alu instid0(SALU_CYCLE_1)
	s_and_b32 vcc_lo, exec_lo, s3
	s_cbranch_vccnz .LBB216_56
	s_branch .LBB216_59
.LBB216_55:
                                        ; implicit-def: $sgpr2
                                        ; implicit-def: $vgpr18
	s_cbranch_execz .LBB216_59
.LBB216_56:
	v_or_b32_e32 v17, 7, v19
	v_or_b32_e32 v18, 6, v19
	v_cmp_ne_u32_e32 vcc_lo, v9, v10
	v_cmp_ne_u32_e64 s3, v12, v9
	v_or_b32_e32 v21, 5, v19
	v_cmp_gt_u32_e64 s2, s19, v17
	v_cmp_gt_u32_e64 s4, s19, v18
	v_or_b32_e32 v17, 4, v19
	v_or_b32_e32 v22, 3, v19
	v_cmp_gt_u32_e64 s5, s19, v21
	s_and_b32 s2, s2, vcc_lo
	v_cmp_ne_u32_e32 vcc_lo, v11, v12
	v_cndmask_b32_e64 v18, 0, 1, s2
	s_and_b32 s2, s4, s3
	v_cmp_ne_u32_e64 s3, v14, v11
	v_cndmask_b32_e64 v21, 0, 1, s2
	v_cmp_gt_u32_e64 s2, s19, v17
	v_or_b32_e32 v23, 1, v19
	s_and_b32 s4, s5, vcc_lo
	v_cmp_gt_u32_e32 vcc_lo, s19, v22
	v_cndmask_b32_e64 v17, 0, 1, s4
	s_and_b32 s2, s2, s3
	v_or_b32_e32 v25, 2, v19
	v_cndmask_b32_e64 v24, 0, 1, s2
	v_cmp_ne_u32_e64 s2, v13, v14
	v_cmp_gt_u32_e64 s3, s19, v23
	v_cmp_ne_u32_e64 s4, v15, v16
	v_cmp_gt_u32_e64 s5, s19, v25
	v_cmp_ne_u32_e64 s6, v16, v13
	s_and_b32 s2, vcc_lo, s2
	v_lshlrev_b16 v17, 8, v17
	v_cndmask_b32_e64 v22, 0, 1, s2
	s_and_b32 s2, s3, s4
	v_lshlrev_b16 v18, 8, v18
	v_cndmask_b32_e64 v23, 0, 1, s2
	s_and_b32 s2, s5, s6
	v_lshlrev_b16 v22, 8, v22
	v_cndmask_b32_e64 v25, 0, 1, s2
	v_or_b32_e32 v17, v24, v17
	v_lshlrev_b16 v23, 8, v23
	v_or_b32_e32 v18, v21, v18
	s_mov_b32 s3, exec_lo
	v_or_b32_e32 v21, v25, v22
	v_and_b32_e32 v17, 0xffff, v17
	v_or_b32_e32 v22, 1, v23
	v_lshlrev_b32_e32 v18, 16, v18
	s_waitcnt lgkmcnt(0)
	v_lshlrev_b32_e32 v21, 16, v21
	s_barrier
	v_and_b32_e32 v22, 0xffff, v22
	v_or_b32_e32 v18, v17, v18
	buffer_gl0_inv
                                        ; implicit-def: $sgpr2
	v_or_b32_e32 v17, v22, v21
	v_cmpx_ne_u32_e32 0, v0
	s_cbranch_execz .LBB216_58
; %bb.57:
	v_add_nc_u32_e32 v20, -4, v20
	v_cmp_gt_u32_e32 vcc_lo, s19, v19
	s_or_b32 s12, s12, exec_lo
	ds_load_b32 v20, v20
	s_waitcnt lgkmcnt(0)
	v_cmp_ne_u32_e64 s2, v20, v15
	s_delay_alu instid0(VALU_DEP_1) | instskip(NEXT) | instid1(SALU_CYCLE_1)
	s_and_b32 s2, vcc_lo, s2
	s_and_b32 s2, s2, exec_lo
.LBB216_58:
	s_or_b32 exec_lo, exec_lo, s3
.LBB216_59:
	s_and_saveexec_b32 s3, s12
	s_cbranch_execz .LBB216_61
; %bb.60:
	s_waitcnt vmcnt(0) lgkmcnt(1)
	v_and_b32_e32 v20, 0xffffff00, v17
	v_cndmask_b32_e64 v21, 0, 1, s2
	s_delay_alu instid0(VALU_DEP_1) | instskip(NEXT) | instid1(VALU_DEP_1)
	v_or_b32_e32 v20, v21, v20
	v_and_b32_e32 v20, 0xffff, v20
	s_delay_alu instid0(VALU_DEP_1)
	v_and_or_b32 v17, 0xffff0000, v17, v20
.LBB216_61:
	s_or_b32 exec_lo, exec_lo, s3
	s_load_b64 s[12:13], s[0:1], 0x60
	s_and_not1_b32 vcc_lo, exec_lo, s20
	s_cbranch_vccnz .LBB216_63
; %bb.62:
	v_cmp_gt_u32_e32 vcc_lo, s19, v19
	v_or_b32_e32 v21, 1, v19
	v_and_b32_e32 v22, 0xffffff00, v18
	v_or_b32_e32 v23, 2, v19
	s_waitcnt vmcnt(0) lgkmcnt(0)
	v_cndmask_b32_e32 v20, 0, v17, vcc_lo
	v_cmp_gt_u32_e32 vcc_lo, s19, v21
	v_or_b32_e32 v21, 4, v19
	v_cmp_gt_u32_e64 s2, s19, v23
	v_or_b32_e32 v23, 3, v19
	v_and_b32_e32 v20, 0xff, v20
	s_delay_alu instid0(VALU_DEP_2) | instskip(NEXT) | instid1(VALU_DEP_2)
	v_cmp_gt_u32_e64 s3, s19, v23
	v_cndmask_b32_e32 v20, v20, v17, vcc_lo
	v_cmp_gt_u32_e32 vcc_lo, s19, v21
	s_delay_alu instid0(VALU_DEP_2) | instskip(SKIP_1) | instid1(VALU_DEP_2)
	v_dual_cndmask_b32 v21, v22, v18 :: v_dual_and_b32 v20, 0xffff, v20
	v_or_b32_e32 v22, 5, v19
	v_cndmask_b32_e64 v20, v20, v17, s2
	s_delay_alu instid0(VALU_DEP_3) | instskip(NEXT) | instid1(VALU_DEP_3)
	v_and_b32_e32 v21, 0xffff00ff, v21
	v_cmp_gt_u32_e64 s2, s19, v22
	v_or_b32_e32 v22, 6, v19
	v_or_b32_e32 v19, 7, v19
	v_and_b32_e32 v20, 0xffffff, v20
	s_delay_alu instid0(VALU_DEP_4) | instskip(NEXT) | instid1(VALU_DEP_2)
	v_cndmask_b32_e64 v21, v21, v18, s2
	v_cndmask_b32_e64 v20, v20, v17, s3
	s_delay_alu instid0(VALU_DEP_2) | instskip(NEXT) | instid1(VALU_DEP_2)
	v_and_b32_e32 v21, 0xff00ffff, v21
	v_cndmask_b32_e32 v20, v20, v17, vcc_lo
	v_cmp_gt_u32_e32 vcc_lo, s19, v22
	s_delay_alu instid0(VALU_DEP_2) | instskip(NEXT) | instid1(VALU_DEP_1)
	v_cndmask_b32_e64 v20, v20, v17, s2
	v_dual_cndmask_b32 v21, v21, v18 :: v_dual_cndmask_b32 v20, v20, v17
	s_delay_alu instid0(VALU_DEP_1) | instskip(SKIP_1) | instid1(VALU_DEP_2)
	v_and_b32_e32 v21, 0xffffff, v21
	v_cmp_gt_u32_e32 vcc_lo, s19, v19
	v_dual_cndmask_b32 v18, v21, v18 :: v_dual_cndmask_b32 v17, v20, v17
.LBB216_63:
	s_delay_alu instid0(VALU_DEP_1) | instskip(NEXT) | instid1(VALU_DEP_2)
	v_and_b32_e32 v28, 0xff, v17
	v_alignbit_b32 v19, v18, v17, 24
	v_bfe_u32 v30, v17, 8, 8
	v_bfe_u32 v32, v17, 16, 8
	v_and_b32_e32 v36, 0xff, v18
	v_bfe_u32 v38, v18, 8, 8
	v_and_b32_e32 v34, 0xff, v19
	v_add_nc_u32_e32 v19, v30, v28
	s_waitcnt vmcnt(0) lgkmcnt(0)
	v_and_b32_e32 v20, 0x1e0, v0
	v_mbcnt_lo_u32_b32 v41, -1, 0
	v_bfe_u32 v40, v18, 16, 8
	v_lshrrev_b32_e32 v39, 24, v18
	v_add3_u32 v19, v19, v32, v34
	v_min_u32_e32 v20, 0x160, v20
	v_and_b32_e32 v21, 15, v41
	v_lshrrev_b32_e32 v42, 5, v0
	s_and_b32 vcc_lo, exec_lo, s9
	v_add3_u32 v19, v19, v36, v38
	v_or_b32_e32 v20, 31, v20
	v_cmp_eq_u32_e64 s4, 0, v21
	v_cmp_lt_u32_e64 s5, 1, v21
	v_cmp_lt_u32_e64 s3, 3, v21
	v_add3_u32 v43, v19, v40, v39
	v_and_b32_e32 v19, 16, v41
	v_cmp_lt_u32_e64 s2, 7, v21
	v_cmp_eq_u32_e64 s6, v20, v0
	s_mov_b32 s8, -1
	s_delay_alu instid0(VALU_DEP_3)
	v_cmp_eq_u32_e64 s7, 0, v19
	s_barrier
	buffer_gl0_inv
	s_cbranch_vccz .LBB216_89
; %bb.64:
	v_mov_b32_dpp v19, v43 row_shr:1 row_mask:0xf bank_mask:0xf
	s_delay_alu instid0(VALU_DEP_1) | instskip(NEXT) | instid1(VALU_DEP_1)
	v_cndmask_b32_e64 v19, v19, 0, s4
	v_add_nc_u32_e32 v19, v19, v43
	s_delay_alu instid0(VALU_DEP_1) | instskip(NEXT) | instid1(VALU_DEP_1)
	v_mov_b32_dpp v20, v19 row_shr:2 row_mask:0xf bank_mask:0xf
	v_cndmask_b32_e64 v20, 0, v20, s5
	s_delay_alu instid0(VALU_DEP_1) | instskip(NEXT) | instid1(VALU_DEP_1)
	v_add_nc_u32_e32 v19, v19, v20
	v_mov_b32_dpp v20, v19 row_shr:4 row_mask:0xf bank_mask:0xf
	s_delay_alu instid0(VALU_DEP_1) | instskip(NEXT) | instid1(VALU_DEP_1)
	v_cndmask_b32_e64 v20, 0, v20, s3
	v_add_nc_u32_e32 v19, v19, v20
	s_delay_alu instid0(VALU_DEP_1) | instskip(NEXT) | instid1(VALU_DEP_1)
	v_mov_b32_dpp v20, v19 row_shr:8 row_mask:0xf bank_mask:0xf
	v_cndmask_b32_e64 v20, 0, v20, s2
	s_delay_alu instid0(VALU_DEP_1) | instskip(SKIP_3) | instid1(VALU_DEP_1)
	v_add_nc_u32_e32 v19, v19, v20
	ds_swizzle_b32 v20, v19 offset:swizzle(BROADCAST,32,15)
	s_waitcnt lgkmcnt(0)
	v_cndmask_b32_e64 v20, v20, 0, s7
	v_add_nc_u32_e32 v19, v19, v20
	s_and_saveexec_b32 s8, s6
	s_cbranch_execz .LBB216_66
; %bb.65:
	v_lshlrev_b32_e32 v20, 2, v42
	ds_store_b32 v20, v19
.LBB216_66:
	s_or_b32 exec_lo, exec_lo, s8
	s_delay_alu instid0(SALU_CYCLE_1)
	s_mov_b32 s8, exec_lo
	s_waitcnt lgkmcnt(0)
	s_barrier
	buffer_gl0_inv
	v_cmpx_gt_u32_e32 12, v0
	s_cbranch_execz .LBB216_68
; %bb.67:
	v_lshlrev_b32_e32 v20, 2, v0
	ds_load_b32 v21, v20
	s_waitcnt lgkmcnt(0)
	v_mov_b32_dpp v22, v21 row_shr:1 row_mask:0xf bank_mask:0xf
	s_delay_alu instid0(VALU_DEP_1) | instskip(NEXT) | instid1(VALU_DEP_1)
	v_cndmask_b32_e64 v22, v22, 0, s4
	v_add_nc_u32_e32 v21, v22, v21
	s_delay_alu instid0(VALU_DEP_1) | instskip(NEXT) | instid1(VALU_DEP_1)
	v_mov_b32_dpp v22, v21 row_shr:2 row_mask:0xf bank_mask:0xf
	v_cndmask_b32_e64 v22, 0, v22, s5
	s_delay_alu instid0(VALU_DEP_1) | instskip(NEXT) | instid1(VALU_DEP_1)
	v_add_nc_u32_e32 v21, v21, v22
	v_mov_b32_dpp v22, v21 row_shr:4 row_mask:0xf bank_mask:0xf
	s_delay_alu instid0(VALU_DEP_1) | instskip(NEXT) | instid1(VALU_DEP_1)
	v_cndmask_b32_e64 v22, 0, v22, s3
	v_add_nc_u32_e32 v21, v21, v22
	s_delay_alu instid0(VALU_DEP_1) | instskip(NEXT) | instid1(VALU_DEP_1)
	v_mov_b32_dpp v22, v21 row_shr:8 row_mask:0xf bank_mask:0xf
	v_cndmask_b32_e64 v22, 0, v22, s2
	s_delay_alu instid0(VALU_DEP_1)
	v_add_nc_u32_e32 v21, v21, v22
	ds_store_b32 v20, v21
.LBB216_68:
	s_or_b32 exec_lo, exec_lo, s8
	v_cmp_gt_u32_e32 vcc_lo, 32, v0
	s_mov_b32 s9, exec_lo
	s_waitcnt lgkmcnt(0)
	s_barrier
	buffer_gl0_inv
                                        ; implicit-def: $vgpr27
	v_cmpx_lt_u32_e32 31, v0
	s_cbranch_execz .LBB216_70
; %bb.69:
	v_lshl_add_u32 v20, v42, 2, -4
	ds_load_b32 v27, v20
	s_waitcnt lgkmcnt(0)
	v_add_nc_u32_e32 v19, v27, v19
.LBB216_70:
	s_or_b32 exec_lo, exec_lo, s9
	v_add_nc_u32_e32 v20, -1, v41
	s_delay_alu instid0(VALU_DEP_1) | instskip(NEXT) | instid1(VALU_DEP_1)
	v_cmp_gt_i32_e64 s8, 0, v20
	v_cndmask_b32_e64 v20, v20, v41, s8
	v_cmp_eq_u32_e64 s8, 0, v41
	s_delay_alu instid0(VALU_DEP_2)
	v_lshlrev_b32_e32 v20, 2, v20
	ds_bpermute_b32 v29, v20, v19
	s_and_saveexec_b32 s9, vcc_lo
	s_cbranch_execz .LBB216_88
; %bb.71:
	v_mov_b32_e32 v23, 0
	ds_load_b32 v19, v23 offset:44
	s_and_saveexec_b32 s19, s8
	s_cbranch_execz .LBB216_73
; %bb.72:
	s_add_i32 s20, s15, 32
	s_mov_b32 s21, 0
	v_mov_b32_e32 v20, 1
	s_lshl_b64 s[20:21], s[20:21], 3
	s_delay_alu instid0(SALU_CYCLE_1)
	s_add_u32 s20, s12, s20
	s_addc_u32 s21, s13, s21
	s_waitcnt lgkmcnt(0)
	global_store_b64 v23, v[19:20], s[20:21]
.LBB216_73:
	s_or_b32 exec_lo, exec_lo, s19
	v_xad_u32 v21, v41, -1, s15
	s_mov_b32 s20, 0
	s_mov_b32 s19, exec_lo
	s_delay_alu instid0(VALU_DEP_1) | instskip(NEXT) | instid1(VALU_DEP_1)
	v_add_nc_u32_e32 v22, 32, v21
	v_lshlrev_b64 v[22:23], 3, v[22:23]
	s_delay_alu instid0(VALU_DEP_1) | instskip(NEXT) | instid1(VALU_DEP_2)
	v_add_co_u32 v25, vcc_lo, s12, v22
	v_add_co_ci_u32_e32 v26, vcc_lo, s13, v23, vcc_lo
	global_load_b64 v[23:24], v[25:26], off glc
	s_waitcnt vmcnt(0)
	v_and_b32_e32 v20, 0xff, v24
	s_delay_alu instid0(VALU_DEP_1)
	v_cmpx_eq_u16_e32 0, v20
	s_cbranch_execz .LBB216_76
.LBB216_74:                             ; =>This Inner Loop Header: Depth=1
	global_load_b64 v[23:24], v[25:26], off glc
	s_waitcnt vmcnt(0)
	v_and_b32_e32 v20, 0xff, v24
	s_delay_alu instid0(VALU_DEP_1) | instskip(SKIP_1) | instid1(SALU_CYCLE_1)
	v_cmp_ne_u16_e32 vcc_lo, 0, v20
	s_or_b32 s20, vcc_lo, s20
	s_and_not1_b32 exec_lo, exec_lo, s20
	s_cbranch_execnz .LBB216_74
; %bb.75:
	s_or_b32 exec_lo, exec_lo, s20
.LBB216_76:
	s_delay_alu instid0(SALU_CYCLE_1)
	s_or_b32 exec_lo, exec_lo, s19
	v_cmp_ne_u32_e32 vcc_lo, 31, v41
	v_lshlrev_b32_e64 v33, v41, -1
	v_add_nc_u32_e32 v37, 2, v41
	v_add_nc_u32_e32 v45, 4, v41
	;; [unrolled: 1-line block ×3, first 2 shown]
	v_add_co_ci_u32_e32 v20, vcc_lo, 0, v41, vcc_lo
	v_add_nc_u32_e32 v49, 16, v41
	s_delay_alu instid0(VALU_DEP_2)
	v_lshlrev_b32_e32 v31, 2, v20
	v_and_b32_e32 v20, 0xff, v24
	ds_bpermute_b32 v22, v31, v23
	v_cmp_eq_u16_e32 vcc_lo, 2, v20
	v_and_or_b32 v20, vcc_lo, v33, 0x80000000
	v_cmp_gt_u32_e32 vcc_lo, 30, v41
	s_delay_alu instid0(VALU_DEP_2) | instskip(SKIP_1) | instid1(VALU_DEP_2)
	v_ctz_i32_b32_e32 v20, v20
	v_cndmask_b32_e64 v25, 0, 1, vcc_lo
	v_cmp_lt_u32_e32 vcc_lo, v41, v20
	s_waitcnt lgkmcnt(0)
	s_delay_alu instid0(VALU_DEP_2) | instskip(NEXT) | instid1(VALU_DEP_1)
	v_dual_cndmask_b32 v22, 0, v22 :: v_dual_lshlrev_b32 v25, 1, v25
	v_add_lshl_u32 v35, v25, v41, 2
	v_cmp_gt_u32_e32 vcc_lo, 28, v41
	s_delay_alu instid0(VALU_DEP_3) | instskip(SKIP_4) | instid1(VALU_DEP_1)
	v_add_nc_u32_e32 v22, v22, v23
	v_cndmask_b32_e64 v25, 0, 1, vcc_lo
	v_cmp_le_u32_e32 vcc_lo, v37, v20
	ds_bpermute_b32 v23, v35, v22
	v_lshlrev_b32_e32 v25, 2, v25
	v_add_lshl_u32 v44, v25, v41, 2
	s_waitcnt lgkmcnt(0)
	v_cndmask_b32_e32 v23, 0, v23, vcc_lo
	v_cmp_gt_u32_e32 vcc_lo, 24, v41
	s_delay_alu instid0(VALU_DEP_2) | instskip(SKIP_4) | instid1(VALU_DEP_1)
	v_add_nc_u32_e32 v22, v22, v23
	v_cndmask_b32_e64 v25, 0, 1, vcc_lo
	v_cmp_le_u32_e32 vcc_lo, v45, v20
	ds_bpermute_b32 v23, v44, v22
	v_lshlrev_b32_e32 v25, 3, v25
	v_add_lshl_u32 v46, v25, v41, 2
	s_waitcnt lgkmcnt(0)
	v_cndmask_b32_e32 v23, 0, v23, vcc_lo
	v_cmp_gt_u32_e32 vcc_lo, 16, v41
	s_delay_alu instid0(VALU_DEP_2) | instskip(SKIP_4) | instid1(VALU_DEP_1)
	v_add_nc_u32_e32 v22, v22, v23
	v_cndmask_b32_e64 v25, 0, 1, vcc_lo
	v_cmp_le_u32_e32 vcc_lo, v47, v20
	ds_bpermute_b32 v23, v46, v22
	v_lshlrev_b32_e32 v25, 4, v25
	v_add_lshl_u32 v48, v25, v41, 2
	s_waitcnt lgkmcnt(0)
	v_cndmask_b32_e32 v23, 0, v23, vcc_lo
	v_cmp_le_u32_e32 vcc_lo, v49, v20
	s_delay_alu instid0(VALU_DEP_2) | instskip(SKIP_3) | instid1(VALU_DEP_1)
	v_add_nc_u32_e32 v22, v22, v23
	ds_bpermute_b32 v23, v48, v22
	s_waitcnt lgkmcnt(0)
	v_cndmask_b32_e32 v20, 0, v23, vcc_lo
	v_dual_mov_b32 v22, 0 :: v_dual_add_nc_u32 v23, v22, v20
	s_branch .LBB216_78
.LBB216_77:                             ;   in Loop: Header=BB216_78 Depth=1
	s_or_b32 exec_lo, exec_lo, s19
	ds_bpermute_b32 v26, v31, v23
	v_and_b32_e32 v25, 0xff, v24
	v_subrev_nc_u32_e32 v21, 32, v21
	s_delay_alu instid0(VALU_DEP_2) | instskip(SKIP_1) | instid1(VALU_DEP_1)
	v_cmp_eq_u16_e32 vcc_lo, 2, v25
	v_and_or_b32 v25, vcc_lo, v33, 0x80000000
	v_ctz_i32_b32_e32 v25, v25
	s_delay_alu instid0(VALU_DEP_1) | instskip(SKIP_3) | instid1(VALU_DEP_2)
	v_cmp_lt_u32_e32 vcc_lo, v41, v25
	s_waitcnt lgkmcnt(0)
	v_cndmask_b32_e32 v26, 0, v26, vcc_lo
	v_cmp_le_u32_e32 vcc_lo, v37, v25
	v_add_nc_u32_e32 v23, v26, v23
	ds_bpermute_b32 v26, v35, v23
	s_waitcnt lgkmcnt(0)
	v_cndmask_b32_e32 v26, 0, v26, vcc_lo
	v_cmp_le_u32_e32 vcc_lo, v45, v25
	s_delay_alu instid0(VALU_DEP_2) | instskip(SKIP_4) | instid1(VALU_DEP_2)
	v_add_nc_u32_e32 v23, v23, v26
	ds_bpermute_b32 v26, v44, v23
	s_waitcnt lgkmcnt(0)
	v_cndmask_b32_e32 v26, 0, v26, vcc_lo
	v_cmp_le_u32_e32 vcc_lo, v47, v25
	v_add_nc_u32_e32 v23, v23, v26
	ds_bpermute_b32 v26, v46, v23
	s_waitcnt lgkmcnt(0)
	v_cndmask_b32_e32 v26, 0, v26, vcc_lo
	v_cmp_le_u32_e32 vcc_lo, v49, v25
	s_delay_alu instid0(VALU_DEP_2) | instskip(SKIP_3) | instid1(VALU_DEP_1)
	v_add_nc_u32_e32 v23, v23, v26
	ds_bpermute_b32 v26, v48, v23
	s_waitcnt lgkmcnt(0)
	v_cndmask_b32_e32 v25, 0, v26, vcc_lo
	v_add3_u32 v23, v25, v20, v23
.LBB216_78:                             ; =>This Loop Header: Depth=1
                                        ;     Child Loop BB216_81 Depth 2
	v_and_b32_e32 v20, 0xff, v24
	s_delay_alu instid0(VALU_DEP_1) | instskip(SKIP_2) | instid1(VALU_DEP_1)
	v_cmp_ne_u16_e32 vcc_lo, 2, v20
	v_cndmask_b32_e64 v20, 0, 1, vcc_lo
	;;#ASMSTART
	;;#ASMEND
	v_cmp_ne_u32_e32 vcc_lo, 0, v20
	v_mov_b32_e32 v20, v23
	s_cmp_lg_u32 vcc_lo, exec_lo
	s_cbranch_scc1 .LBB216_83
; %bb.79:                               ;   in Loop: Header=BB216_78 Depth=1
	v_lshlrev_b64 v[23:24], 3, v[21:22]
	s_mov_b32 s19, exec_lo
	s_delay_alu instid0(VALU_DEP_1) | instskip(NEXT) | instid1(VALU_DEP_2)
	v_add_co_u32 v25, vcc_lo, s12, v23
	v_add_co_ci_u32_e32 v26, vcc_lo, s13, v24, vcc_lo
	global_load_b64 v[23:24], v[25:26], off glc
	s_waitcnt vmcnt(0)
	v_and_b32_e32 v50, 0xff, v24
	s_delay_alu instid0(VALU_DEP_1)
	v_cmpx_eq_u16_e32 0, v50
	s_cbranch_execz .LBB216_77
; %bb.80:                               ;   in Loop: Header=BB216_78 Depth=1
	s_mov_b32 s20, 0
.LBB216_81:                             ;   Parent Loop BB216_78 Depth=1
                                        ; =>  This Inner Loop Header: Depth=2
	global_load_b64 v[23:24], v[25:26], off glc
	s_waitcnt vmcnt(0)
	v_and_b32_e32 v50, 0xff, v24
	s_delay_alu instid0(VALU_DEP_1) | instskip(SKIP_1) | instid1(SALU_CYCLE_1)
	v_cmp_ne_u16_e32 vcc_lo, 0, v50
	s_or_b32 s20, vcc_lo, s20
	s_and_not1_b32 exec_lo, exec_lo, s20
	s_cbranch_execnz .LBB216_81
; %bb.82:                               ;   in Loop: Header=BB216_78 Depth=1
	s_or_b32 exec_lo, exec_lo, s20
	s_branch .LBB216_77
.LBB216_83:                             ;   in Loop: Header=BB216_78 Depth=1
                                        ; implicit-def: $vgpr23
                                        ; implicit-def: $vgpr24
	s_cbranch_execz .LBB216_78
; %bb.84:
	s_and_saveexec_b32 s19, s8
	s_cbranch_execz .LBB216_86
; %bb.85:
	s_add_i32 s20, s15, 32
	s_mov_b32 s21, 0
	v_dual_mov_b32 v22, 2 :: v_dual_add_nc_u32 v21, v20, v19
	s_lshl_b64 s[20:21], s[20:21], 3
	v_mov_b32_e32 v23, 0
	s_add_u32 s20, s12, s20
	s_addc_u32 s21, s13, s21
	global_store_b64 v23, v[21:22], s[20:21]
	ds_store_b64 v23, v[19:20] offset:12672
.LBB216_86:
	s_or_b32 exec_lo, exec_lo, s19
	v_cmp_eq_u32_e32 vcc_lo, 0, v0
	s_and_b32 exec_lo, exec_lo, vcc_lo
	s_cbranch_execz .LBB216_88
; %bb.87:
	v_mov_b32_e32 v19, 0
	ds_store_b32 v19, v20 offset:44
.LBB216_88:
	s_or_b32 exec_lo, exec_lo, s9
	v_mov_b32_e32 v19, 0
	s_waitcnt lgkmcnt(0)
	s_waitcnt_vscnt null, 0x0
	s_barrier
	buffer_gl0_inv
	v_cndmask_b32_e64 v21, v29, v27, s8
	ds_load_b32 v20, v19 offset:44
	v_cmp_ne_u32_e32 vcc_lo, 0, v0
	s_waitcnt lgkmcnt(0)
	s_barrier
	buffer_gl0_inv
	v_cndmask_b32_e32 v21, 0, v21, vcc_lo
	s_delay_alu instid0(VALU_DEP_1) | instskip(SKIP_2) | instid1(VALU_DEP_1)
	v_add_nc_u32_e32 v37, v20, v21
	ds_load_b64 v[19:20], v19 offset:12672
	v_add_nc_u32_e32 v35, v37, v28
	v_add_nc_u32_e32 v33, v35, v30
	s_delay_alu instid0(VALU_DEP_1) | instskip(NEXT) | instid1(VALU_DEP_1)
	v_add_nc_u32_e32 v31, v33, v32
	v_add_nc_u32_e32 v29, v31, v34
	s_delay_alu instid0(VALU_DEP_1) | instskip(NEXT) | instid1(VALU_DEP_1)
	v_add_nc_u32_e32 v27, v29, v36
	v_add_nc_u32_e32 v25, v27, v38
	s_delay_alu instid0(VALU_DEP_1)
	v_add_nc_u32_e32 v23, v25, v40
	v_lshrrev_b64 v[21:22], 24, v[17:18]
	s_branch .LBB216_99
.LBB216_89:
                                        ; implicit-def: $vgpr23
                                        ; implicit-def: $vgpr25
                                        ; implicit-def: $vgpr27
                                        ; implicit-def: $vgpr29
                                        ; implicit-def: $vgpr31
                                        ; implicit-def: $vgpr33
                                        ; implicit-def: $vgpr35
                                        ; implicit-def: $vgpr37
                                        ; implicit-def: $vgpr20
	v_lshrrev_b64 v[21:22], 24, v[17:18]
	s_and_b32 vcc_lo, exec_lo, s8
	s_cbranch_vccz .LBB216_99
; %bb.90:
	s_waitcnt lgkmcnt(0)
	v_mov_b32_dpp v19, v43 row_shr:1 row_mask:0xf bank_mask:0xf
	s_delay_alu instid0(VALU_DEP_1) | instskip(NEXT) | instid1(VALU_DEP_1)
	v_cndmask_b32_e64 v19, v19, 0, s4
	v_add_nc_u32_e32 v19, v19, v43
	s_delay_alu instid0(VALU_DEP_1) | instskip(NEXT) | instid1(VALU_DEP_1)
	v_mov_b32_dpp v20, v19 row_shr:2 row_mask:0xf bank_mask:0xf
	v_cndmask_b32_e64 v20, 0, v20, s5
	s_delay_alu instid0(VALU_DEP_1) | instskip(NEXT) | instid1(VALU_DEP_1)
	v_add_nc_u32_e32 v19, v19, v20
	v_mov_b32_dpp v20, v19 row_shr:4 row_mask:0xf bank_mask:0xf
	s_delay_alu instid0(VALU_DEP_1) | instskip(NEXT) | instid1(VALU_DEP_1)
	v_cndmask_b32_e64 v20, 0, v20, s3
	v_add_nc_u32_e32 v19, v19, v20
	s_delay_alu instid0(VALU_DEP_1) | instskip(NEXT) | instid1(VALU_DEP_1)
	v_mov_b32_dpp v20, v19 row_shr:8 row_mask:0xf bank_mask:0xf
	v_cndmask_b32_e64 v20, 0, v20, s2
	s_delay_alu instid0(VALU_DEP_1) | instskip(SKIP_3) | instid1(VALU_DEP_1)
	v_add_nc_u32_e32 v19, v19, v20
	ds_swizzle_b32 v20, v19 offset:swizzle(BROADCAST,32,15)
	s_waitcnt lgkmcnt(0)
	v_cndmask_b32_e64 v20, v20, 0, s7
	v_add_nc_u32_e32 v19, v19, v20
	s_and_saveexec_b32 s7, s6
	s_cbranch_execz .LBB216_92
; %bb.91:
	v_lshlrev_b32_e32 v20, 2, v42
	ds_store_b32 v20, v19
.LBB216_92:
	s_or_b32 exec_lo, exec_lo, s7
	s_delay_alu instid0(SALU_CYCLE_1)
	s_mov_b32 s6, exec_lo
	s_waitcnt lgkmcnt(0)
	s_barrier
	buffer_gl0_inv
	v_cmpx_gt_u32_e32 12, v0
	s_cbranch_execz .LBB216_94
; %bb.93:
	v_lshlrev_b32_e32 v20, 2, v0
	ds_load_b32 v22, v20
	s_waitcnt lgkmcnt(0)
	v_mov_b32_dpp v23, v22 row_shr:1 row_mask:0xf bank_mask:0xf
	s_delay_alu instid0(VALU_DEP_1) | instskip(NEXT) | instid1(VALU_DEP_1)
	v_cndmask_b32_e64 v23, v23, 0, s4
	v_add_nc_u32_e32 v22, v23, v22
	s_delay_alu instid0(VALU_DEP_1) | instskip(NEXT) | instid1(VALU_DEP_1)
	v_mov_b32_dpp v23, v22 row_shr:2 row_mask:0xf bank_mask:0xf
	v_cndmask_b32_e64 v23, 0, v23, s5
	s_delay_alu instid0(VALU_DEP_1) | instskip(NEXT) | instid1(VALU_DEP_1)
	v_add_nc_u32_e32 v22, v22, v23
	v_mov_b32_dpp v23, v22 row_shr:4 row_mask:0xf bank_mask:0xf
	s_delay_alu instid0(VALU_DEP_1) | instskip(NEXT) | instid1(VALU_DEP_1)
	v_cndmask_b32_e64 v23, 0, v23, s3
	v_add_nc_u32_e32 v22, v22, v23
	s_delay_alu instid0(VALU_DEP_1) | instskip(NEXT) | instid1(VALU_DEP_1)
	v_mov_b32_dpp v23, v22 row_shr:8 row_mask:0xf bank_mask:0xf
	v_cndmask_b32_e64 v23, 0, v23, s2
	s_delay_alu instid0(VALU_DEP_1)
	v_add_nc_u32_e32 v22, v22, v23
	ds_store_b32 v20, v22
.LBB216_94:
	s_or_b32 exec_lo, exec_lo, s6
	v_mov_b32_e32 v20, 0
	v_mov_b32_e32 v22, 0
	s_mov_b32 s2, exec_lo
	s_waitcnt lgkmcnt(0)
	s_barrier
	buffer_gl0_inv
	v_cmpx_lt_u32_e32 31, v0
	s_cbranch_execz .LBB216_96
; %bb.95:
	v_lshl_add_u32 v22, v42, 2, -4
	ds_load_b32 v22, v22
.LBB216_96:
	s_or_b32 exec_lo, exec_lo, s2
	v_add_nc_u32_e32 v23, -1, v41
	s_waitcnt lgkmcnt(0)
	v_add_nc_u32_e32 v19, v22, v19
	s_delay_alu instid0(VALU_DEP_2) | instskip(SKIP_2) | instid1(VALU_DEP_2)
	v_cmp_gt_i32_e32 vcc_lo, 0, v23
	v_cndmask_b32_e32 v23, v23, v41, vcc_lo
	v_cmp_eq_u32_e32 vcc_lo, 0, v0
	v_lshlrev_b32_e32 v23, 2, v23
	ds_bpermute_b32 v23, v23, v19
	ds_load_b32 v19, v20 offset:44
	s_and_saveexec_b32 s2, vcc_lo
	s_cbranch_execz .LBB216_98
; %bb.97:
	v_mov_b32_e32 v24, 0
	v_mov_b32_e32 v20, 2
	s_waitcnt lgkmcnt(0)
	global_store_b64 v24, v[19:20], s[12:13] offset:256
.LBB216_98:
	s_or_b32 exec_lo, exec_lo, s2
	v_cmp_eq_u32_e64 s2, 0, v41
	s_waitcnt lgkmcnt(0)
	s_waitcnt_vscnt null, 0x0
	s_barrier
	buffer_gl0_inv
	v_cndmask_b32_e64 v20, v23, v22, s2
	s_delay_alu instid0(VALU_DEP_1) | instskip(NEXT) | instid1(VALU_DEP_1)
	v_cndmask_b32_e64 v37, v20, 0, vcc_lo
	v_dual_mov_b32 v20, 0 :: v_dual_add_nc_u32 v35, v37, v28
	s_delay_alu instid0(VALU_DEP_1) | instskip(NEXT) | instid1(VALU_DEP_1)
	v_add_nc_u32_e32 v33, v35, v30
	v_add_nc_u32_e32 v31, v33, v32
	s_delay_alu instid0(VALU_DEP_1) | instskip(NEXT) | instid1(VALU_DEP_1)
	v_add_nc_u32_e32 v29, v31, v34
	v_add_nc_u32_e32 v27, v29, v36
	;; [unrolled: 3-line block ×3, first 2 shown]
.LBB216_99:
	s_load_b128 s[4:7], s[0:1], 0x28
	s_waitcnt lgkmcnt(0)
	v_add_nc_u32_e32 v43, v20, v19
	v_cmp_gt_u32_e64 s0, 0x181, v19
	v_lshrrev_b32_e32 v42, 8, v17
	v_lshrrev_b32_e32 v41, 16, v17
	;; [unrolled: 1-line block ×4, first 2 shown]
	v_cmp_lt_u32_e64 s1, v37, v43
	s_and_b32 vcc_lo, exec_lo, s0
	s_mov_b32 s2, -1
	s_cbranch_vccz .LBB216_125
; %bb.100:
	s_lshl_b64 s[2:3], s[10:11], 2
	s_delay_alu instid0(SALU_CYCLE_1) | instskip(SKIP_2) | instid1(SALU_CYCLE_1)
	s_add_u32 s2, s4, s2
	s_addc_u32 s3, s5, s3
	s_or_b32 s8, s18, s1
	s_and_saveexec_b32 s1, s8
	s_cbranch_execz .LBB216_103
; %bb.101:
	v_and_b32_e32 v24, 1, v17
	s_delay_alu instid0(VALU_DEP_1)
	v_cmp_eq_u32_e32 vcc_lo, 1, v24
	s_and_b32 exec_lo, exec_lo, vcc_lo
	s_cbranch_execz .LBB216_103
; %bb.102:
	v_mov_b32_e32 v38, 0
	s_delay_alu instid0(VALU_DEP_1) | instskip(NEXT) | instid1(VALU_DEP_1)
	v_lshlrev_b64 v[44:45], 2, v[37:38]
	v_add_co_u32 v44, vcc_lo, s2, v44
	s_delay_alu instid0(VALU_DEP_2)
	v_add_co_ci_u32_e32 v45, vcc_lo, s3, v45, vcc_lo
	global_store_b32 v[44:45], v15, off
.LBB216_103:
	s_or_b32 exec_lo, exec_lo, s1
	v_cmp_lt_u32_e32 vcc_lo, v35, v43
	s_or_b32 s8, s18, vcc_lo
	s_delay_alu instid0(SALU_CYCLE_1)
	s_and_saveexec_b32 s1, s8
	s_cbranch_execz .LBB216_106
; %bb.104:
	v_and_b32_e32 v24, 1, v42
	s_delay_alu instid0(VALU_DEP_1)
	v_cmp_eq_u32_e32 vcc_lo, 1, v24
	s_and_b32 exec_lo, exec_lo, vcc_lo
	s_cbranch_execz .LBB216_106
; %bb.105:
	v_mov_b32_e32 v36, 0
	s_delay_alu instid0(VALU_DEP_1) | instskip(NEXT) | instid1(VALU_DEP_1)
	v_lshlrev_b64 v[44:45], 2, v[35:36]
	v_add_co_u32 v44, vcc_lo, s2, v44
	s_delay_alu instid0(VALU_DEP_2)
	v_add_co_ci_u32_e32 v45, vcc_lo, s3, v45, vcc_lo
	global_store_b32 v[44:45], v16, off
.LBB216_106:
	s_or_b32 exec_lo, exec_lo, s1
	v_cmp_lt_u32_e32 vcc_lo, v33, v43
	s_or_b32 s8, s18, vcc_lo
	s_delay_alu instid0(SALU_CYCLE_1)
	;; [unrolled: 21-line block ×7, first 2 shown]
	s_and_saveexec_b32 s1, s8
	s_cbranch_execz .LBB216_124
; %bb.122:
	v_and_b32_e32 v24, 1, v39
	s_delay_alu instid0(VALU_DEP_1)
	v_cmp_eq_u32_e32 vcc_lo, 1, v24
	s_and_b32 exec_lo, exec_lo, vcc_lo
	s_cbranch_execz .LBB216_124
; %bb.123:
	v_mov_b32_e32 v24, 0
	s_delay_alu instid0(VALU_DEP_1) | instskip(NEXT) | instid1(VALU_DEP_1)
	v_lshlrev_b64 v[44:45], 2, v[23:24]
	v_add_co_u32 v44, vcc_lo, s2, v44
	s_delay_alu instid0(VALU_DEP_2)
	v_add_co_ci_u32_e32 v45, vcc_lo, s3, v45, vcc_lo
	global_store_b32 v[44:45], v10, off
.LBB216_124:
	s_or_b32 exec_lo, exec_lo, s1
	s_mov_b32 s2, 0
.LBB216_125:
	v_and_b32_e32 v17, 1, v17
	s_and_b32 vcc_lo, exec_lo, s2
	s_delay_alu instid0(VALU_DEP_1)
	v_cmp_eq_u32_e64 s1, 1, v17
	s_cbranch_vccz .LBB216_146
; %bb.126:
	s_delay_alu instid0(VALU_DEP_1)
	s_and_saveexec_b32 s2, s1
	s_cbranch_execz .LBB216_128
; %bb.127:
	v_sub_nc_u32_e32 v24, v37, v20
	s_delay_alu instid0(VALU_DEP_1)
	v_lshlrev_b32_e32 v24, 2, v24
	ds_store_b32 v24, v15
.LBB216_128:
	s_or_b32 exec_lo, exec_lo, s2
	v_and_b32_e32 v15, 1, v42
	s_mov_b32 s1, exec_lo
	s_delay_alu instid0(VALU_DEP_1)
	v_cmpx_eq_u32_e32 1, v15
	s_cbranch_execz .LBB216_130
; %bb.129:
	v_sub_nc_u32_e32 v15, v35, v20
	s_delay_alu instid0(VALU_DEP_1)
	v_lshlrev_b32_e32 v15, 2, v15
	ds_store_b32 v15, v16
.LBB216_130:
	s_or_b32 exec_lo, exec_lo, s1
	v_and_b32_e32 v15, 1, v41
	s_mov_b32 s1, exec_lo
	s_delay_alu instid0(VALU_DEP_1)
	v_cmpx_eq_u32_e32 1, v15
	;; [unrolled: 12-line block ×7, first 2 shown]
	s_cbranch_execz .LBB216_142
; %bb.141:
	v_sub_nc_u32_e32 v9, v23, v20
	s_delay_alu instid0(VALU_DEP_1)
	v_lshlrev_b32_e32 v9, 2, v9
	ds_store_b32 v9, v10
.LBB216_142:
	s_or_b32 exec_lo, exec_lo, s1
	s_delay_alu instid0(SALU_CYCLE_1)
	s_mov_b32 s2, exec_lo
	s_waitcnt lgkmcnt(0)
	s_waitcnt_vscnt null, 0x0
	s_barrier
	buffer_gl0_inv
	v_cmpx_lt_u32_e64 v0, v19
	s_cbranch_execz .LBB216_145
; %bb.143:
	v_dual_mov_b32 v10, 0 :: v_dual_mov_b32 v9, v20
	s_lshl_b64 s[8:9], s[10:11], 2
	v_lshlrev_b32_e32 v11, 2, v0
	s_add_u32 s1, s4, s8
	s_addc_u32 s3, s5, s9
	v_lshlrev_b64 v[12:13], 2, v[9:10]
	v_mov_b32_e32 v9, v0
	s_delay_alu instid0(VALU_DEP_2) | instskip(NEXT) | instid1(VALU_DEP_3)
	v_add_co_u32 v12, vcc_lo, s1, v12
	v_add_co_ci_u32_e32 v13, vcc_lo, s3, v13, vcc_lo
	s_mov_b32 s3, 0
	.p2align	6
.LBB216_144:                            ; =>This Inner Loop Header: Depth=1
	ds_load_b32 v16, v11
	v_lshlrev_b64 v[14:15], 2, v[9:10]
	v_add_nc_u32_e32 v9, 0x180, v9
	v_add_nc_u32_e32 v11, 0x600, v11
	s_delay_alu instid0(VALU_DEP_2) | instskip(NEXT) | instid1(VALU_DEP_4)
	v_cmp_ge_u32_e32 vcc_lo, v9, v19
	v_add_co_u32 v14, s1, v12, v14
	s_delay_alu instid0(VALU_DEP_1)
	v_add_co_ci_u32_e64 v15, s1, v13, v15, s1
	s_or_b32 s3, vcc_lo, s3
	s_waitcnt lgkmcnt(0)
	global_store_b32 v[14:15], v16, off
	s_and_not1_b32 exec_lo, exec_lo, s3
	s_cbranch_execnz .LBB216_144
.LBB216_145:
	s_or_b32 exec_lo, exec_lo, s2
.LBB216_146:
	s_delay_alu instid0(SALU_CYCLE_1)
	s_and_b32 vcc_lo, exec_lo, s0
	s_mov_b32 s0, -1
	s_waitcnt_vscnt null, 0x0
	s_barrier
	buffer_gl0_inv
	s_cbranch_vccz .LBB216_174
; %bb.147:
	v_cmp_lt_u32_e32 vcc_lo, v37, v43
	s_lshl_b64 s[0:1], s[10:11], 2
	s_delay_alu instid0(SALU_CYCLE_1) | instskip(SKIP_2) | instid1(SALU_CYCLE_1)
	s_add_u32 s0, s6, s0
	s_addc_u32 s1, s7, s1
	s_or_b32 s3, s18, vcc_lo
	s_and_saveexec_b32 s2, s3
	s_cbranch_execz .LBB216_150
; %bb.148:
	v_cmp_eq_u32_e32 vcc_lo, 1, v17
	s_and_b32 exec_lo, exec_lo, vcc_lo
	s_cbranch_execz .LBB216_150
; %bb.149:
	v_mov_b32_e32 v38, 0
	s_delay_alu instid0(VALU_DEP_1) | instskip(NEXT) | instid1(VALU_DEP_1)
	v_lshlrev_b64 v[9:10], 2, v[37:38]
	v_add_co_u32 v9, vcc_lo, s0, v9
	s_delay_alu instid0(VALU_DEP_2)
	v_add_co_ci_u32_e32 v10, vcc_lo, s1, v10, vcc_lo
	global_store_b32 v[9:10], v7, off
.LBB216_150:
	s_or_b32 exec_lo, exec_lo, s2
	v_cmp_lt_u32_e32 vcc_lo, v35, v43
	s_or_b32 s3, s18, vcc_lo
	s_delay_alu instid0(SALU_CYCLE_1)
	s_and_saveexec_b32 s2, s3
	s_cbranch_execz .LBB216_153
; %bb.151:
	v_and_b32_e32 v9, 1, v42
	s_delay_alu instid0(VALU_DEP_1)
	v_cmp_eq_u32_e32 vcc_lo, 1, v9
	s_and_b32 exec_lo, exec_lo, vcc_lo
	s_cbranch_execz .LBB216_153
; %bb.152:
	v_mov_b32_e32 v36, 0
	s_delay_alu instid0(VALU_DEP_1) | instskip(NEXT) | instid1(VALU_DEP_1)
	v_lshlrev_b64 v[9:10], 2, v[35:36]
	v_add_co_u32 v9, vcc_lo, s0, v9
	s_delay_alu instid0(VALU_DEP_2)
	v_add_co_ci_u32_e32 v10, vcc_lo, s1, v10, vcc_lo
	global_store_b32 v[9:10], v8, off
.LBB216_153:
	s_or_b32 exec_lo, exec_lo, s2
	v_cmp_lt_u32_e32 vcc_lo, v33, v43
	s_or_b32 s3, s18, vcc_lo
	s_delay_alu instid0(SALU_CYCLE_1)
	s_and_saveexec_b32 s2, s3
	s_cbranch_execz .LBB216_156
; %bb.154:
	v_and_b32_e32 v9, 1, v41
	s_delay_alu instid0(VALU_DEP_1)
	v_cmp_eq_u32_e32 vcc_lo, 1, v9
	s_and_b32 exec_lo, exec_lo, vcc_lo
	s_cbranch_execz .LBB216_156
; %bb.155:
	v_mov_b32_e32 v34, 0
	s_delay_alu instid0(VALU_DEP_1) | instskip(NEXT) | instid1(VALU_DEP_1)
	v_lshlrev_b64 v[9:10], 2, v[33:34]
	v_add_co_u32 v9, vcc_lo, s0, v9
	s_delay_alu instid0(VALU_DEP_2)
	v_add_co_ci_u32_e32 v10, vcc_lo, s1, v10, vcc_lo
	global_store_b32 v[9:10], v5, off
.LBB216_156:
	;; [unrolled: 21-line block ×7, first 2 shown]
	s_or_b32 exec_lo, exec_lo, s2
.LBB216_172:
	v_cmp_eq_u32_e32 vcc_lo, 0, v0
	s_and_b32 s0, vcc_lo, s14
	s_delay_alu instid0(SALU_CYCLE_1)
	s_and_saveexec_b32 s1, s0
	s_cbranch_execz .LBB216_195
.LBB216_173:
	v_add_co_u32 v0, s0, s10, v19
	s_delay_alu instid0(VALU_DEP_1) | instskip(SKIP_1) | instid1(VALU_DEP_3)
	v_add_co_ci_u32_e64 v1, null, s11, 0, s0
	v_mov_b32_e32 v2, 0
	v_add_co_u32 v0, vcc_lo, v0, v20
	s_delay_alu instid0(VALU_DEP_3)
	v_add_co_ci_u32_e32 v1, vcc_lo, 0, v1, vcc_lo
	global_store_b64 v2, v[0:1], s[16:17]
	s_nop 0
	s_sendmsg sendmsg(MSG_DEALLOC_VGPRS)
	s_endpgm
.LBB216_174:
	s_and_b32 vcc_lo, exec_lo, s0
	s_cbranch_vccz .LBB216_172
; %bb.175:
	s_mov_b32 s0, exec_lo
	v_cmpx_eq_u32_e32 1, v17
	s_cbranch_execz .LBB216_177
; %bb.176:
	v_sub_nc_u32_e32 v9, v37, v20
	s_delay_alu instid0(VALU_DEP_1)
	v_lshlrev_b32_e32 v9, 2, v9
	ds_store_b32 v9, v7
.LBB216_177:
	s_or_b32 exec_lo, exec_lo, s0
	v_and_b32_e32 v7, 1, v42
	s_mov_b32 s0, exec_lo
	s_delay_alu instid0(VALU_DEP_1)
	v_cmpx_eq_u32_e32 1, v7
	s_cbranch_execz .LBB216_179
; %bb.178:
	v_sub_nc_u32_e32 v7, v35, v20
	s_delay_alu instid0(VALU_DEP_1)
	v_lshlrev_b32_e32 v7, 2, v7
	ds_store_b32 v7, v8
.LBB216_179:
	s_or_b32 exec_lo, exec_lo, s0
	v_and_b32_e32 v7, 1, v41
	s_mov_b32 s0, exec_lo
	s_delay_alu instid0(VALU_DEP_1)
	;; [unrolled: 12-line block ×7, first 2 shown]
	v_cmpx_eq_u32_e32 1, v1
	s_cbranch_execz .LBB216_191
; %bb.190:
	v_sub_nc_u32_e32 v1, v23, v20
	s_delay_alu instid0(VALU_DEP_1)
	v_lshlrev_b32_e32 v1, 2, v1
	ds_store_b32 v1, v2
.LBB216_191:
	s_or_b32 exec_lo, exec_lo, s0
	s_delay_alu instid0(SALU_CYCLE_1)
	s_mov_b32 s1, exec_lo
	s_waitcnt lgkmcnt(0)
	s_waitcnt_vscnt null, 0x0
	s_barrier
	buffer_gl0_inv
	v_cmpx_lt_u32_e64 v0, v19
	s_cbranch_execz .LBB216_194
; %bb.192:
	v_dual_mov_b32 v2, 0 :: v_dual_mov_b32 v1, v20
	s_lshl_b64 s[2:3], s[10:11], 2
	v_lshlrev_b32_e32 v3, 2, v0
	s_add_u32 s0, s6, s2
	s_addc_u32 s2, s7, s3
	v_lshlrev_b64 v[4:5], 2, v[1:2]
	v_mov_b32_e32 v1, v0
	s_delay_alu instid0(VALU_DEP_2) | instskip(NEXT) | instid1(VALU_DEP_3)
	v_add_co_u32 v4, vcc_lo, s0, v4
	v_add_co_ci_u32_e32 v5, vcc_lo, s2, v5, vcc_lo
	s_mov_b32 s2, 0
	.p2align	6
.LBB216_193:                            ; =>This Inner Loop Header: Depth=1
	ds_load_b32 v8, v3
	v_lshlrev_b64 v[6:7], 2, v[1:2]
	v_add_nc_u32_e32 v1, 0x180, v1
	v_add_nc_u32_e32 v3, 0x600, v3
	s_delay_alu instid0(VALU_DEP_2) | instskip(NEXT) | instid1(VALU_DEP_4)
	v_cmp_ge_u32_e32 vcc_lo, v1, v19
	v_add_co_u32 v6, s0, v4, v6
	s_delay_alu instid0(VALU_DEP_1)
	v_add_co_ci_u32_e64 v7, s0, v5, v7, s0
	s_or_b32 s2, vcc_lo, s2
	s_waitcnt lgkmcnt(0)
	global_store_b32 v[6:7], v8, off
	s_and_not1_b32 exec_lo, exec_lo, s2
	s_cbranch_execnz .LBB216_193
.LBB216_194:
	s_or_b32 exec_lo, exec_lo, s1
	v_cmp_eq_u32_e32 vcc_lo, 0, v0
	s_and_b32 s0, vcc_lo, s14
	s_delay_alu instid0(SALU_CYCLE_1)
	s_and_saveexec_b32 s1, s0
	s_cbranch_execnz .LBB216_173
.LBB216_195:
	s_nop 0
	s_sendmsg sendmsg(MSG_DEALLOC_VGPRS)
	s_endpgm
	.section	.rodata,"a",@progbits
	.p2align	6, 0x0
	.amdhsa_kernel _ZN7rocprim17ROCPRIM_400000_NS6detail17trampoline_kernelINS0_14default_configENS1_25partition_config_selectorILNS1_17partition_subalgoE9EjjbEEZZNS1_14partition_implILS5_9ELb0ES3_jN6thrust23THRUST_200600_302600_NS6detail15normal_iteratorINS9_10device_ptrIjEEEESE_PNS0_10empty_typeENS0_5tupleIJSE_SF_EEENSH_IJSE_SG_EEENS0_18inequality_wrapperINS9_8equal_toIjEEEEPmJSF_EEE10hipError_tPvRmT3_T4_T5_T6_T7_T9_mT8_P12ihipStream_tbDpT10_ENKUlT_T0_E_clISt17integral_constantIbLb0EES18_EEDaS13_S14_EUlS13_E_NS1_11comp_targetILNS1_3genE9ELNS1_11target_archE1100ELNS1_3gpuE3ELNS1_3repE0EEENS1_30default_config_static_selectorELNS0_4arch9wavefront6targetE0EEEvT1_
		.amdhsa_group_segment_fixed_size 12680
		.amdhsa_private_segment_fixed_size 0
		.amdhsa_kernarg_size 112
		.amdhsa_user_sgpr_count 15
		.amdhsa_user_sgpr_dispatch_ptr 0
		.amdhsa_user_sgpr_queue_ptr 0
		.amdhsa_user_sgpr_kernarg_segment_ptr 1
		.amdhsa_user_sgpr_dispatch_id 0
		.amdhsa_user_sgpr_private_segment_size 0
		.amdhsa_wavefront_size32 1
		.amdhsa_uses_dynamic_stack 0
		.amdhsa_enable_private_segment 0
		.amdhsa_system_sgpr_workgroup_id_x 1
		.amdhsa_system_sgpr_workgroup_id_y 0
		.amdhsa_system_sgpr_workgroup_id_z 0
		.amdhsa_system_sgpr_workgroup_info 0
		.amdhsa_system_vgpr_workitem_id 0
		.amdhsa_next_free_vgpr 51
		.amdhsa_next_free_sgpr 25
		.amdhsa_reserve_vcc 1
		.amdhsa_float_round_mode_32 0
		.amdhsa_float_round_mode_16_64 0
		.amdhsa_float_denorm_mode_32 3
		.amdhsa_float_denorm_mode_16_64 3
		.amdhsa_dx10_clamp 1
		.amdhsa_ieee_mode 1
		.amdhsa_fp16_overflow 0
		.amdhsa_workgroup_processor_mode 1
		.amdhsa_memory_ordered 1
		.amdhsa_forward_progress 0
		.amdhsa_shared_vgpr_count 0
		.amdhsa_exception_fp_ieee_invalid_op 0
		.amdhsa_exception_fp_denorm_src 0
		.amdhsa_exception_fp_ieee_div_zero 0
		.amdhsa_exception_fp_ieee_overflow 0
		.amdhsa_exception_fp_ieee_underflow 0
		.amdhsa_exception_fp_ieee_inexact 0
		.amdhsa_exception_int_div_zero 0
	.end_amdhsa_kernel
	.section	.text._ZN7rocprim17ROCPRIM_400000_NS6detail17trampoline_kernelINS0_14default_configENS1_25partition_config_selectorILNS1_17partition_subalgoE9EjjbEEZZNS1_14partition_implILS5_9ELb0ES3_jN6thrust23THRUST_200600_302600_NS6detail15normal_iteratorINS9_10device_ptrIjEEEESE_PNS0_10empty_typeENS0_5tupleIJSE_SF_EEENSH_IJSE_SG_EEENS0_18inequality_wrapperINS9_8equal_toIjEEEEPmJSF_EEE10hipError_tPvRmT3_T4_T5_T6_T7_T9_mT8_P12ihipStream_tbDpT10_ENKUlT_T0_E_clISt17integral_constantIbLb0EES18_EEDaS13_S14_EUlS13_E_NS1_11comp_targetILNS1_3genE9ELNS1_11target_archE1100ELNS1_3gpuE3ELNS1_3repE0EEENS1_30default_config_static_selectorELNS0_4arch9wavefront6targetE0EEEvT1_,"axG",@progbits,_ZN7rocprim17ROCPRIM_400000_NS6detail17trampoline_kernelINS0_14default_configENS1_25partition_config_selectorILNS1_17partition_subalgoE9EjjbEEZZNS1_14partition_implILS5_9ELb0ES3_jN6thrust23THRUST_200600_302600_NS6detail15normal_iteratorINS9_10device_ptrIjEEEESE_PNS0_10empty_typeENS0_5tupleIJSE_SF_EEENSH_IJSE_SG_EEENS0_18inequality_wrapperINS9_8equal_toIjEEEEPmJSF_EEE10hipError_tPvRmT3_T4_T5_T6_T7_T9_mT8_P12ihipStream_tbDpT10_ENKUlT_T0_E_clISt17integral_constantIbLb0EES18_EEDaS13_S14_EUlS13_E_NS1_11comp_targetILNS1_3genE9ELNS1_11target_archE1100ELNS1_3gpuE3ELNS1_3repE0EEENS1_30default_config_static_selectorELNS0_4arch9wavefront6targetE0EEEvT1_,comdat
.Lfunc_end216:
	.size	_ZN7rocprim17ROCPRIM_400000_NS6detail17trampoline_kernelINS0_14default_configENS1_25partition_config_selectorILNS1_17partition_subalgoE9EjjbEEZZNS1_14partition_implILS5_9ELb0ES3_jN6thrust23THRUST_200600_302600_NS6detail15normal_iteratorINS9_10device_ptrIjEEEESE_PNS0_10empty_typeENS0_5tupleIJSE_SF_EEENSH_IJSE_SG_EEENS0_18inequality_wrapperINS9_8equal_toIjEEEEPmJSF_EEE10hipError_tPvRmT3_T4_T5_T6_T7_T9_mT8_P12ihipStream_tbDpT10_ENKUlT_T0_E_clISt17integral_constantIbLb0EES18_EEDaS13_S14_EUlS13_E_NS1_11comp_targetILNS1_3genE9ELNS1_11target_archE1100ELNS1_3gpuE3ELNS1_3repE0EEENS1_30default_config_static_selectorELNS0_4arch9wavefront6targetE0EEEvT1_, .Lfunc_end216-_ZN7rocprim17ROCPRIM_400000_NS6detail17trampoline_kernelINS0_14default_configENS1_25partition_config_selectorILNS1_17partition_subalgoE9EjjbEEZZNS1_14partition_implILS5_9ELb0ES3_jN6thrust23THRUST_200600_302600_NS6detail15normal_iteratorINS9_10device_ptrIjEEEESE_PNS0_10empty_typeENS0_5tupleIJSE_SF_EEENSH_IJSE_SG_EEENS0_18inequality_wrapperINS9_8equal_toIjEEEEPmJSF_EEE10hipError_tPvRmT3_T4_T5_T6_T7_T9_mT8_P12ihipStream_tbDpT10_ENKUlT_T0_E_clISt17integral_constantIbLb0EES18_EEDaS13_S14_EUlS13_E_NS1_11comp_targetILNS1_3genE9ELNS1_11target_archE1100ELNS1_3gpuE3ELNS1_3repE0EEENS1_30default_config_static_selectorELNS0_4arch9wavefront6targetE0EEEvT1_
                                        ; -- End function
	.section	.AMDGPU.csdata,"",@progbits
; Kernel info:
; codeLenInByte = 9220
; NumSgprs: 27
; NumVgprs: 51
; ScratchSize: 0
; MemoryBound: 0
; FloatMode: 240
; IeeeMode: 1
; LDSByteSize: 12680 bytes/workgroup (compile time only)
; SGPRBlocks: 3
; VGPRBlocks: 6
; NumSGPRsForWavesPerEU: 27
; NumVGPRsForWavesPerEU: 51
; Occupancy: 15
; WaveLimiterHint : 1
; COMPUTE_PGM_RSRC2:SCRATCH_EN: 0
; COMPUTE_PGM_RSRC2:USER_SGPR: 15
; COMPUTE_PGM_RSRC2:TRAP_HANDLER: 0
; COMPUTE_PGM_RSRC2:TGID_X_EN: 1
; COMPUTE_PGM_RSRC2:TGID_Y_EN: 0
; COMPUTE_PGM_RSRC2:TGID_Z_EN: 0
; COMPUTE_PGM_RSRC2:TIDIG_COMP_CNT: 0
	.section	.text._ZN7rocprim17ROCPRIM_400000_NS6detail17trampoline_kernelINS0_14default_configENS1_25partition_config_selectorILNS1_17partition_subalgoE9EjjbEEZZNS1_14partition_implILS5_9ELb0ES3_jN6thrust23THRUST_200600_302600_NS6detail15normal_iteratorINS9_10device_ptrIjEEEESE_PNS0_10empty_typeENS0_5tupleIJSE_SF_EEENSH_IJSE_SG_EEENS0_18inequality_wrapperINS9_8equal_toIjEEEEPmJSF_EEE10hipError_tPvRmT3_T4_T5_T6_T7_T9_mT8_P12ihipStream_tbDpT10_ENKUlT_T0_E_clISt17integral_constantIbLb0EES18_EEDaS13_S14_EUlS13_E_NS1_11comp_targetILNS1_3genE8ELNS1_11target_archE1030ELNS1_3gpuE2ELNS1_3repE0EEENS1_30default_config_static_selectorELNS0_4arch9wavefront6targetE0EEEvT1_,"axG",@progbits,_ZN7rocprim17ROCPRIM_400000_NS6detail17trampoline_kernelINS0_14default_configENS1_25partition_config_selectorILNS1_17partition_subalgoE9EjjbEEZZNS1_14partition_implILS5_9ELb0ES3_jN6thrust23THRUST_200600_302600_NS6detail15normal_iteratorINS9_10device_ptrIjEEEESE_PNS0_10empty_typeENS0_5tupleIJSE_SF_EEENSH_IJSE_SG_EEENS0_18inequality_wrapperINS9_8equal_toIjEEEEPmJSF_EEE10hipError_tPvRmT3_T4_T5_T6_T7_T9_mT8_P12ihipStream_tbDpT10_ENKUlT_T0_E_clISt17integral_constantIbLb0EES18_EEDaS13_S14_EUlS13_E_NS1_11comp_targetILNS1_3genE8ELNS1_11target_archE1030ELNS1_3gpuE2ELNS1_3repE0EEENS1_30default_config_static_selectorELNS0_4arch9wavefront6targetE0EEEvT1_,comdat
	.protected	_ZN7rocprim17ROCPRIM_400000_NS6detail17trampoline_kernelINS0_14default_configENS1_25partition_config_selectorILNS1_17partition_subalgoE9EjjbEEZZNS1_14partition_implILS5_9ELb0ES3_jN6thrust23THRUST_200600_302600_NS6detail15normal_iteratorINS9_10device_ptrIjEEEESE_PNS0_10empty_typeENS0_5tupleIJSE_SF_EEENSH_IJSE_SG_EEENS0_18inequality_wrapperINS9_8equal_toIjEEEEPmJSF_EEE10hipError_tPvRmT3_T4_T5_T6_T7_T9_mT8_P12ihipStream_tbDpT10_ENKUlT_T0_E_clISt17integral_constantIbLb0EES18_EEDaS13_S14_EUlS13_E_NS1_11comp_targetILNS1_3genE8ELNS1_11target_archE1030ELNS1_3gpuE2ELNS1_3repE0EEENS1_30default_config_static_selectorELNS0_4arch9wavefront6targetE0EEEvT1_ ; -- Begin function _ZN7rocprim17ROCPRIM_400000_NS6detail17trampoline_kernelINS0_14default_configENS1_25partition_config_selectorILNS1_17partition_subalgoE9EjjbEEZZNS1_14partition_implILS5_9ELb0ES3_jN6thrust23THRUST_200600_302600_NS6detail15normal_iteratorINS9_10device_ptrIjEEEESE_PNS0_10empty_typeENS0_5tupleIJSE_SF_EEENSH_IJSE_SG_EEENS0_18inequality_wrapperINS9_8equal_toIjEEEEPmJSF_EEE10hipError_tPvRmT3_T4_T5_T6_T7_T9_mT8_P12ihipStream_tbDpT10_ENKUlT_T0_E_clISt17integral_constantIbLb0EES18_EEDaS13_S14_EUlS13_E_NS1_11comp_targetILNS1_3genE8ELNS1_11target_archE1030ELNS1_3gpuE2ELNS1_3repE0EEENS1_30default_config_static_selectorELNS0_4arch9wavefront6targetE0EEEvT1_
	.globl	_ZN7rocprim17ROCPRIM_400000_NS6detail17trampoline_kernelINS0_14default_configENS1_25partition_config_selectorILNS1_17partition_subalgoE9EjjbEEZZNS1_14partition_implILS5_9ELb0ES3_jN6thrust23THRUST_200600_302600_NS6detail15normal_iteratorINS9_10device_ptrIjEEEESE_PNS0_10empty_typeENS0_5tupleIJSE_SF_EEENSH_IJSE_SG_EEENS0_18inequality_wrapperINS9_8equal_toIjEEEEPmJSF_EEE10hipError_tPvRmT3_T4_T5_T6_T7_T9_mT8_P12ihipStream_tbDpT10_ENKUlT_T0_E_clISt17integral_constantIbLb0EES18_EEDaS13_S14_EUlS13_E_NS1_11comp_targetILNS1_3genE8ELNS1_11target_archE1030ELNS1_3gpuE2ELNS1_3repE0EEENS1_30default_config_static_selectorELNS0_4arch9wavefront6targetE0EEEvT1_
	.p2align	8
	.type	_ZN7rocprim17ROCPRIM_400000_NS6detail17trampoline_kernelINS0_14default_configENS1_25partition_config_selectorILNS1_17partition_subalgoE9EjjbEEZZNS1_14partition_implILS5_9ELb0ES3_jN6thrust23THRUST_200600_302600_NS6detail15normal_iteratorINS9_10device_ptrIjEEEESE_PNS0_10empty_typeENS0_5tupleIJSE_SF_EEENSH_IJSE_SG_EEENS0_18inequality_wrapperINS9_8equal_toIjEEEEPmJSF_EEE10hipError_tPvRmT3_T4_T5_T6_T7_T9_mT8_P12ihipStream_tbDpT10_ENKUlT_T0_E_clISt17integral_constantIbLb0EES18_EEDaS13_S14_EUlS13_E_NS1_11comp_targetILNS1_3genE8ELNS1_11target_archE1030ELNS1_3gpuE2ELNS1_3repE0EEENS1_30default_config_static_selectorELNS0_4arch9wavefront6targetE0EEEvT1_,@function
_ZN7rocprim17ROCPRIM_400000_NS6detail17trampoline_kernelINS0_14default_configENS1_25partition_config_selectorILNS1_17partition_subalgoE9EjjbEEZZNS1_14partition_implILS5_9ELb0ES3_jN6thrust23THRUST_200600_302600_NS6detail15normal_iteratorINS9_10device_ptrIjEEEESE_PNS0_10empty_typeENS0_5tupleIJSE_SF_EEENSH_IJSE_SG_EEENS0_18inequality_wrapperINS9_8equal_toIjEEEEPmJSF_EEE10hipError_tPvRmT3_T4_T5_T6_T7_T9_mT8_P12ihipStream_tbDpT10_ENKUlT_T0_E_clISt17integral_constantIbLb0EES18_EEDaS13_S14_EUlS13_E_NS1_11comp_targetILNS1_3genE8ELNS1_11target_archE1030ELNS1_3gpuE2ELNS1_3repE0EEENS1_30default_config_static_selectorELNS0_4arch9wavefront6targetE0EEEvT1_: ; @_ZN7rocprim17ROCPRIM_400000_NS6detail17trampoline_kernelINS0_14default_configENS1_25partition_config_selectorILNS1_17partition_subalgoE9EjjbEEZZNS1_14partition_implILS5_9ELb0ES3_jN6thrust23THRUST_200600_302600_NS6detail15normal_iteratorINS9_10device_ptrIjEEEESE_PNS0_10empty_typeENS0_5tupleIJSE_SF_EEENSH_IJSE_SG_EEENS0_18inequality_wrapperINS9_8equal_toIjEEEEPmJSF_EEE10hipError_tPvRmT3_T4_T5_T6_T7_T9_mT8_P12ihipStream_tbDpT10_ENKUlT_T0_E_clISt17integral_constantIbLb0EES18_EEDaS13_S14_EUlS13_E_NS1_11comp_targetILNS1_3genE8ELNS1_11target_archE1030ELNS1_3gpuE2ELNS1_3repE0EEENS1_30default_config_static_selectorELNS0_4arch9wavefront6targetE0EEEvT1_
; %bb.0:
	.section	.rodata,"a",@progbits
	.p2align	6, 0x0
	.amdhsa_kernel _ZN7rocprim17ROCPRIM_400000_NS6detail17trampoline_kernelINS0_14default_configENS1_25partition_config_selectorILNS1_17partition_subalgoE9EjjbEEZZNS1_14partition_implILS5_9ELb0ES3_jN6thrust23THRUST_200600_302600_NS6detail15normal_iteratorINS9_10device_ptrIjEEEESE_PNS0_10empty_typeENS0_5tupleIJSE_SF_EEENSH_IJSE_SG_EEENS0_18inequality_wrapperINS9_8equal_toIjEEEEPmJSF_EEE10hipError_tPvRmT3_T4_T5_T6_T7_T9_mT8_P12ihipStream_tbDpT10_ENKUlT_T0_E_clISt17integral_constantIbLb0EES18_EEDaS13_S14_EUlS13_E_NS1_11comp_targetILNS1_3genE8ELNS1_11target_archE1030ELNS1_3gpuE2ELNS1_3repE0EEENS1_30default_config_static_selectorELNS0_4arch9wavefront6targetE0EEEvT1_
		.amdhsa_group_segment_fixed_size 0
		.amdhsa_private_segment_fixed_size 0
		.amdhsa_kernarg_size 112
		.amdhsa_user_sgpr_count 15
		.amdhsa_user_sgpr_dispatch_ptr 0
		.amdhsa_user_sgpr_queue_ptr 0
		.amdhsa_user_sgpr_kernarg_segment_ptr 1
		.amdhsa_user_sgpr_dispatch_id 0
		.amdhsa_user_sgpr_private_segment_size 0
		.amdhsa_wavefront_size32 1
		.amdhsa_uses_dynamic_stack 0
		.amdhsa_enable_private_segment 0
		.amdhsa_system_sgpr_workgroup_id_x 1
		.amdhsa_system_sgpr_workgroup_id_y 0
		.amdhsa_system_sgpr_workgroup_id_z 0
		.amdhsa_system_sgpr_workgroup_info 0
		.amdhsa_system_vgpr_workitem_id 0
		.amdhsa_next_free_vgpr 1
		.amdhsa_next_free_sgpr 1
		.amdhsa_reserve_vcc 0
		.amdhsa_float_round_mode_32 0
		.amdhsa_float_round_mode_16_64 0
		.amdhsa_float_denorm_mode_32 3
		.amdhsa_float_denorm_mode_16_64 3
		.amdhsa_dx10_clamp 1
		.amdhsa_ieee_mode 1
		.amdhsa_fp16_overflow 0
		.amdhsa_workgroup_processor_mode 1
		.amdhsa_memory_ordered 1
		.amdhsa_forward_progress 0
		.amdhsa_shared_vgpr_count 0
		.amdhsa_exception_fp_ieee_invalid_op 0
		.amdhsa_exception_fp_denorm_src 0
		.amdhsa_exception_fp_ieee_div_zero 0
		.amdhsa_exception_fp_ieee_overflow 0
		.amdhsa_exception_fp_ieee_underflow 0
		.amdhsa_exception_fp_ieee_inexact 0
		.amdhsa_exception_int_div_zero 0
	.end_amdhsa_kernel
	.section	.text._ZN7rocprim17ROCPRIM_400000_NS6detail17trampoline_kernelINS0_14default_configENS1_25partition_config_selectorILNS1_17partition_subalgoE9EjjbEEZZNS1_14partition_implILS5_9ELb0ES3_jN6thrust23THRUST_200600_302600_NS6detail15normal_iteratorINS9_10device_ptrIjEEEESE_PNS0_10empty_typeENS0_5tupleIJSE_SF_EEENSH_IJSE_SG_EEENS0_18inequality_wrapperINS9_8equal_toIjEEEEPmJSF_EEE10hipError_tPvRmT3_T4_T5_T6_T7_T9_mT8_P12ihipStream_tbDpT10_ENKUlT_T0_E_clISt17integral_constantIbLb0EES18_EEDaS13_S14_EUlS13_E_NS1_11comp_targetILNS1_3genE8ELNS1_11target_archE1030ELNS1_3gpuE2ELNS1_3repE0EEENS1_30default_config_static_selectorELNS0_4arch9wavefront6targetE0EEEvT1_,"axG",@progbits,_ZN7rocprim17ROCPRIM_400000_NS6detail17trampoline_kernelINS0_14default_configENS1_25partition_config_selectorILNS1_17partition_subalgoE9EjjbEEZZNS1_14partition_implILS5_9ELb0ES3_jN6thrust23THRUST_200600_302600_NS6detail15normal_iteratorINS9_10device_ptrIjEEEESE_PNS0_10empty_typeENS0_5tupleIJSE_SF_EEENSH_IJSE_SG_EEENS0_18inequality_wrapperINS9_8equal_toIjEEEEPmJSF_EEE10hipError_tPvRmT3_T4_T5_T6_T7_T9_mT8_P12ihipStream_tbDpT10_ENKUlT_T0_E_clISt17integral_constantIbLb0EES18_EEDaS13_S14_EUlS13_E_NS1_11comp_targetILNS1_3genE8ELNS1_11target_archE1030ELNS1_3gpuE2ELNS1_3repE0EEENS1_30default_config_static_selectorELNS0_4arch9wavefront6targetE0EEEvT1_,comdat
.Lfunc_end217:
	.size	_ZN7rocprim17ROCPRIM_400000_NS6detail17trampoline_kernelINS0_14default_configENS1_25partition_config_selectorILNS1_17partition_subalgoE9EjjbEEZZNS1_14partition_implILS5_9ELb0ES3_jN6thrust23THRUST_200600_302600_NS6detail15normal_iteratorINS9_10device_ptrIjEEEESE_PNS0_10empty_typeENS0_5tupleIJSE_SF_EEENSH_IJSE_SG_EEENS0_18inequality_wrapperINS9_8equal_toIjEEEEPmJSF_EEE10hipError_tPvRmT3_T4_T5_T6_T7_T9_mT8_P12ihipStream_tbDpT10_ENKUlT_T0_E_clISt17integral_constantIbLb0EES18_EEDaS13_S14_EUlS13_E_NS1_11comp_targetILNS1_3genE8ELNS1_11target_archE1030ELNS1_3gpuE2ELNS1_3repE0EEENS1_30default_config_static_selectorELNS0_4arch9wavefront6targetE0EEEvT1_, .Lfunc_end217-_ZN7rocprim17ROCPRIM_400000_NS6detail17trampoline_kernelINS0_14default_configENS1_25partition_config_selectorILNS1_17partition_subalgoE9EjjbEEZZNS1_14partition_implILS5_9ELb0ES3_jN6thrust23THRUST_200600_302600_NS6detail15normal_iteratorINS9_10device_ptrIjEEEESE_PNS0_10empty_typeENS0_5tupleIJSE_SF_EEENSH_IJSE_SG_EEENS0_18inequality_wrapperINS9_8equal_toIjEEEEPmJSF_EEE10hipError_tPvRmT3_T4_T5_T6_T7_T9_mT8_P12ihipStream_tbDpT10_ENKUlT_T0_E_clISt17integral_constantIbLb0EES18_EEDaS13_S14_EUlS13_E_NS1_11comp_targetILNS1_3genE8ELNS1_11target_archE1030ELNS1_3gpuE2ELNS1_3repE0EEENS1_30default_config_static_selectorELNS0_4arch9wavefront6targetE0EEEvT1_
                                        ; -- End function
	.section	.AMDGPU.csdata,"",@progbits
; Kernel info:
; codeLenInByte = 0
; NumSgprs: 0
; NumVgprs: 0
; ScratchSize: 0
; MemoryBound: 0
; FloatMode: 240
; IeeeMode: 1
; LDSByteSize: 0 bytes/workgroup (compile time only)
; SGPRBlocks: 0
; VGPRBlocks: 0
; NumSGPRsForWavesPerEU: 1
; NumVGPRsForWavesPerEU: 1
; Occupancy: 16
; WaveLimiterHint : 0
; COMPUTE_PGM_RSRC2:SCRATCH_EN: 0
; COMPUTE_PGM_RSRC2:USER_SGPR: 15
; COMPUTE_PGM_RSRC2:TRAP_HANDLER: 0
; COMPUTE_PGM_RSRC2:TGID_X_EN: 1
; COMPUTE_PGM_RSRC2:TGID_Y_EN: 0
; COMPUTE_PGM_RSRC2:TGID_Z_EN: 0
; COMPUTE_PGM_RSRC2:TIDIG_COMP_CNT: 0
	.section	.text._ZN7rocprim17ROCPRIM_400000_NS6detail17trampoline_kernelINS0_14default_configENS1_25partition_config_selectorILNS1_17partition_subalgoE9EjjbEEZZNS1_14partition_implILS5_9ELb0ES3_jN6thrust23THRUST_200600_302600_NS6detail15normal_iteratorINS9_10device_ptrIjEEEESE_PNS0_10empty_typeENS0_5tupleIJSE_SF_EEENSH_IJSE_SG_EEENS0_18inequality_wrapperINS9_8equal_toIjEEEEPmJSF_EEE10hipError_tPvRmT3_T4_T5_T6_T7_T9_mT8_P12ihipStream_tbDpT10_ENKUlT_T0_E_clISt17integral_constantIbLb1EES18_EEDaS13_S14_EUlS13_E_NS1_11comp_targetILNS1_3genE0ELNS1_11target_archE4294967295ELNS1_3gpuE0ELNS1_3repE0EEENS1_30default_config_static_selectorELNS0_4arch9wavefront6targetE0EEEvT1_,"axG",@progbits,_ZN7rocprim17ROCPRIM_400000_NS6detail17trampoline_kernelINS0_14default_configENS1_25partition_config_selectorILNS1_17partition_subalgoE9EjjbEEZZNS1_14partition_implILS5_9ELb0ES3_jN6thrust23THRUST_200600_302600_NS6detail15normal_iteratorINS9_10device_ptrIjEEEESE_PNS0_10empty_typeENS0_5tupleIJSE_SF_EEENSH_IJSE_SG_EEENS0_18inequality_wrapperINS9_8equal_toIjEEEEPmJSF_EEE10hipError_tPvRmT3_T4_T5_T6_T7_T9_mT8_P12ihipStream_tbDpT10_ENKUlT_T0_E_clISt17integral_constantIbLb1EES18_EEDaS13_S14_EUlS13_E_NS1_11comp_targetILNS1_3genE0ELNS1_11target_archE4294967295ELNS1_3gpuE0ELNS1_3repE0EEENS1_30default_config_static_selectorELNS0_4arch9wavefront6targetE0EEEvT1_,comdat
	.protected	_ZN7rocprim17ROCPRIM_400000_NS6detail17trampoline_kernelINS0_14default_configENS1_25partition_config_selectorILNS1_17partition_subalgoE9EjjbEEZZNS1_14partition_implILS5_9ELb0ES3_jN6thrust23THRUST_200600_302600_NS6detail15normal_iteratorINS9_10device_ptrIjEEEESE_PNS0_10empty_typeENS0_5tupleIJSE_SF_EEENSH_IJSE_SG_EEENS0_18inequality_wrapperINS9_8equal_toIjEEEEPmJSF_EEE10hipError_tPvRmT3_T4_T5_T6_T7_T9_mT8_P12ihipStream_tbDpT10_ENKUlT_T0_E_clISt17integral_constantIbLb1EES18_EEDaS13_S14_EUlS13_E_NS1_11comp_targetILNS1_3genE0ELNS1_11target_archE4294967295ELNS1_3gpuE0ELNS1_3repE0EEENS1_30default_config_static_selectorELNS0_4arch9wavefront6targetE0EEEvT1_ ; -- Begin function _ZN7rocprim17ROCPRIM_400000_NS6detail17trampoline_kernelINS0_14default_configENS1_25partition_config_selectorILNS1_17partition_subalgoE9EjjbEEZZNS1_14partition_implILS5_9ELb0ES3_jN6thrust23THRUST_200600_302600_NS6detail15normal_iteratorINS9_10device_ptrIjEEEESE_PNS0_10empty_typeENS0_5tupleIJSE_SF_EEENSH_IJSE_SG_EEENS0_18inequality_wrapperINS9_8equal_toIjEEEEPmJSF_EEE10hipError_tPvRmT3_T4_T5_T6_T7_T9_mT8_P12ihipStream_tbDpT10_ENKUlT_T0_E_clISt17integral_constantIbLb1EES18_EEDaS13_S14_EUlS13_E_NS1_11comp_targetILNS1_3genE0ELNS1_11target_archE4294967295ELNS1_3gpuE0ELNS1_3repE0EEENS1_30default_config_static_selectorELNS0_4arch9wavefront6targetE0EEEvT1_
	.globl	_ZN7rocprim17ROCPRIM_400000_NS6detail17trampoline_kernelINS0_14default_configENS1_25partition_config_selectorILNS1_17partition_subalgoE9EjjbEEZZNS1_14partition_implILS5_9ELb0ES3_jN6thrust23THRUST_200600_302600_NS6detail15normal_iteratorINS9_10device_ptrIjEEEESE_PNS0_10empty_typeENS0_5tupleIJSE_SF_EEENSH_IJSE_SG_EEENS0_18inequality_wrapperINS9_8equal_toIjEEEEPmJSF_EEE10hipError_tPvRmT3_T4_T5_T6_T7_T9_mT8_P12ihipStream_tbDpT10_ENKUlT_T0_E_clISt17integral_constantIbLb1EES18_EEDaS13_S14_EUlS13_E_NS1_11comp_targetILNS1_3genE0ELNS1_11target_archE4294967295ELNS1_3gpuE0ELNS1_3repE0EEENS1_30default_config_static_selectorELNS0_4arch9wavefront6targetE0EEEvT1_
	.p2align	8
	.type	_ZN7rocprim17ROCPRIM_400000_NS6detail17trampoline_kernelINS0_14default_configENS1_25partition_config_selectorILNS1_17partition_subalgoE9EjjbEEZZNS1_14partition_implILS5_9ELb0ES3_jN6thrust23THRUST_200600_302600_NS6detail15normal_iteratorINS9_10device_ptrIjEEEESE_PNS0_10empty_typeENS0_5tupleIJSE_SF_EEENSH_IJSE_SG_EEENS0_18inequality_wrapperINS9_8equal_toIjEEEEPmJSF_EEE10hipError_tPvRmT3_T4_T5_T6_T7_T9_mT8_P12ihipStream_tbDpT10_ENKUlT_T0_E_clISt17integral_constantIbLb1EES18_EEDaS13_S14_EUlS13_E_NS1_11comp_targetILNS1_3genE0ELNS1_11target_archE4294967295ELNS1_3gpuE0ELNS1_3repE0EEENS1_30default_config_static_selectorELNS0_4arch9wavefront6targetE0EEEvT1_,@function
_ZN7rocprim17ROCPRIM_400000_NS6detail17trampoline_kernelINS0_14default_configENS1_25partition_config_selectorILNS1_17partition_subalgoE9EjjbEEZZNS1_14partition_implILS5_9ELb0ES3_jN6thrust23THRUST_200600_302600_NS6detail15normal_iteratorINS9_10device_ptrIjEEEESE_PNS0_10empty_typeENS0_5tupleIJSE_SF_EEENSH_IJSE_SG_EEENS0_18inequality_wrapperINS9_8equal_toIjEEEEPmJSF_EEE10hipError_tPvRmT3_T4_T5_T6_T7_T9_mT8_P12ihipStream_tbDpT10_ENKUlT_T0_E_clISt17integral_constantIbLb1EES18_EEDaS13_S14_EUlS13_E_NS1_11comp_targetILNS1_3genE0ELNS1_11target_archE4294967295ELNS1_3gpuE0ELNS1_3repE0EEENS1_30default_config_static_selectorELNS0_4arch9wavefront6targetE0EEEvT1_: ; @_ZN7rocprim17ROCPRIM_400000_NS6detail17trampoline_kernelINS0_14default_configENS1_25partition_config_selectorILNS1_17partition_subalgoE9EjjbEEZZNS1_14partition_implILS5_9ELb0ES3_jN6thrust23THRUST_200600_302600_NS6detail15normal_iteratorINS9_10device_ptrIjEEEESE_PNS0_10empty_typeENS0_5tupleIJSE_SF_EEENSH_IJSE_SG_EEENS0_18inequality_wrapperINS9_8equal_toIjEEEEPmJSF_EEE10hipError_tPvRmT3_T4_T5_T6_T7_T9_mT8_P12ihipStream_tbDpT10_ENKUlT_T0_E_clISt17integral_constantIbLb1EES18_EEDaS13_S14_EUlS13_E_NS1_11comp_targetILNS1_3genE0ELNS1_11target_archE4294967295ELNS1_3gpuE0ELNS1_3repE0EEENS1_30default_config_static_selectorELNS0_4arch9wavefront6targetE0EEEvT1_
; %bb.0:
	.section	.rodata,"a",@progbits
	.p2align	6, 0x0
	.amdhsa_kernel _ZN7rocprim17ROCPRIM_400000_NS6detail17trampoline_kernelINS0_14default_configENS1_25partition_config_selectorILNS1_17partition_subalgoE9EjjbEEZZNS1_14partition_implILS5_9ELb0ES3_jN6thrust23THRUST_200600_302600_NS6detail15normal_iteratorINS9_10device_ptrIjEEEESE_PNS0_10empty_typeENS0_5tupleIJSE_SF_EEENSH_IJSE_SG_EEENS0_18inequality_wrapperINS9_8equal_toIjEEEEPmJSF_EEE10hipError_tPvRmT3_T4_T5_T6_T7_T9_mT8_P12ihipStream_tbDpT10_ENKUlT_T0_E_clISt17integral_constantIbLb1EES18_EEDaS13_S14_EUlS13_E_NS1_11comp_targetILNS1_3genE0ELNS1_11target_archE4294967295ELNS1_3gpuE0ELNS1_3repE0EEENS1_30default_config_static_selectorELNS0_4arch9wavefront6targetE0EEEvT1_
		.amdhsa_group_segment_fixed_size 0
		.amdhsa_private_segment_fixed_size 0
		.amdhsa_kernarg_size 128
		.amdhsa_user_sgpr_count 15
		.amdhsa_user_sgpr_dispatch_ptr 0
		.amdhsa_user_sgpr_queue_ptr 0
		.amdhsa_user_sgpr_kernarg_segment_ptr 1
		.amdhsa_user_sgpr_dispatch_id 0
		.amdhsa_user_sgpr_private_segment_size 0
		.amdhsa_wavefront_size32 1
		.amdhsa_uses_dynamic_stack 0
		.amdhsa_enable_private_segment 0
		.amdhsa_system_sgpr_workgroup_id_x 1
		.amdhsa_system_sgpr_workgroup_id_y 0
		.amdhsa_system_sgpr_workgroup_id_z 0
		.amdhsa_system_sgpr_workgroup_info 0
		.amdhsa_system_vgpr_workitem_id 0
		.amdhsa_next_free_vgpr 1
		.amdhsa_next_free_sgpr 1
		.amdhsa_reserve_vcc 0
		.amdhsa_float_round_mode_32 0
		.amdhsa_float_round_mode_16_64 0
		.amdhsa_float_denorm_mode_32 3
		.amdhsa_float_denorm_mode_16_64 3
		.amdhsa_dx10_clamp 1
		.amdhsa_ieee_mode 1
		.amdhsa_fp16_overflow 0
		.amdhsa_workgroup_processor_mode 1
		.amdhsa_memory_ordered 1
		.amdhsa_forward_progress 0
		.amdhsa_shared_vgpr_count 0
		.amdhsa_exception_fp_ieee_invalid_op 0
		.amdhsa_exception_fp_denorm_src 0
		.amdhsa_exception_fp_ieee_div_zero 0
		.amdhsa_exception_fp_ieee_overflow 0
		.amdhsa_exception_fp_ieee_underflow 0
		.amdhsa_exception_fp_ieee_inexact 0
		.amdhsa_exception_int_div_zero 0
	.end_amdhsa_kernel
	.section	.text._ZN7rocprim17ROCPRIM_400000_NS6detail17trampoline_kernelINS0_14default_configENS1_25partition_config_selectorILNS1_17partition_subalgoE9EjjbEEZZNS1_14partition_implILS5_9ELb0ES3_jN6thrust23THRUST_200600_302600_NS6detail15normal_iteratorINS9_10device_ptrIjEEEESE_PNS0_10empty_typeENS0_5tupleIJSE_SF_EEENSH_IJSE_SG_EEENS0_18inequality_wrapperINS9_8equal_toIjEEEEPmJSF_EEE10hipError_tPvRmT3_T4_T5_T6_T7_T9_mT8_P12ihipStream_tbDpT10_ENKUlT_T0_E_clISt17integral_constantIbLb1EES18_EEDaS13_S14_EUlS13_E_NS1_11comp_targetILNS1_3genE0ELNS1_11target_archE4294967295ELNS1_3gpuE0ELNS1_3repE0EEENS1_30default_config_static_selectorELNS0_4arch9wavefront6targetE0EEEvT1_,"axG",@progbits,_ZN7rocprim17ROCPRIM_400000_NS6detail17trampoline_kernelINS0_14default_configENS1_25partition_config_selectorILNS1_17partition_subalgoE9EjjbEEZZNS1_14partition_implILS5_9ELb0ES3_jN6thrust23THRUST_200600_302600_NS6detail15normal_iteratorINS9_10device_ptrIjEEEESE_PNS0_10empty_typeENS0_5tupleIJSE_SF_EEENSH_IJSE_SG_EEENS0_18inequality_wrapperINS9_8equal_toIjEEEEPmJSF_EEE10hipError_tPvRmT3_T4_T5_T6_T7_T9_mT8_P12ihipStream_tbDpT10_ENKUlT_T0_E_clISt17integral_constantIbLb1EES18_EEDaS13_S14_EUlS13_E_NS1_11comp_targetILNS1_3genE0ELNS1_11target_archE4294967295ELNS1_3gpuE0ELNS1_3repE0EEENS1_30default_config_static_selectorELNS0_4arch9wavefront6targetE0EEEvT1_,comdat
.Lfunc_end218:
	.size	_ZN7rocprim17ROCPRIM_400000_NS6detail17trampoline_kernelINS0_14default_configENS1_25partition_config_selectorILNS1_17partition_subalgoE9EjjbEEZZNS1_14partition_implILS5_9ELb0ES3_jN6thrust23THRUST_200600_302600_NS6detail15normal_iteratorINS9_10device_ptrIjEEEESE_PNS0_10empty_typeENS0_5tupleIJSE_SF_EEENSH_IJSE_SG_EEENS0_18inequality_wrapperINS9_8equal_toIjEEEEPmJSF_EEE10hipError_tPvRmT3_T4_T5_T6_T7_T9_mT8_P12ihipStream_tbDpT10_ENKUlT_T0_E_clISt17integral_constantIbLb1EES18_EEDaS13_S14_EUlS13_E_NS1_11comp_targetILNS1_3genE0ELNS1_11target_archE4294967295ELNS1_3gpuE0ELNS1_3repE0EEENS1_30default_config_static_selectorELNS0_4arch9wavefront6targetE0EEEvT1_, .Lfunc_end218-_ZN7rocprim17ROCPRIM_400000_NS6detail17trampoline_kernelINS0_14default_configENS1_25partition_config_selectorILNS1_17partition_subalgoE9EjjbEEZZNS1_14partition_implILS5_9ELb0ES3_jN6thrust23THRUST_200600_302600_NS6detail15normal_iteratorINS9_10device_ptrIjEEEESE_PNS0_10empty_typeENS0_5tupleIJSE_SF_EEENSH_IJSE_SG_EEENS0_18inequality_wrapperINS9_8equal_toIjEEEEPmJSF_EEE10hipError_tPvRmT3_T4_T5_T6_T7_T9_mT8_P12ihipStream_tbDpT10_ENKUlT_T0_E_clISt17integral_constantIbLb1EES18_EEDaS13_S14_EUlS13_E_NS1_11comp_targetILNS1_3genE0ELNS1_11target_archE4294967295ELNS1_3gpuE0ELNS1_3repE0EEENS1_30default_config_static_selectorELNS0_4arch9wavefront6targetE0EEEvT1_
                                        ; -- End function
	.section	.AMDGPU.csdata,"",@progbits
; Kernel info:
; codeLenInByte = 0
; NumSgprs: 0
; NumVgprs: 0
; ScratchSize: 0
; MemoryBound: 0
; FloatMode: 240
; IeeeMode: 1
; LDSByteSize: 0 bytes/workgroup (compile time only)
; SGPRBlocks: 0
; VGPRBlocks: 0
; NumSGPRsForWavesPerEU: 1
; NumVGPRsForWavesPerEU: 1
; Occupancy: 16
; WaveLimiterHint : 0
; COMPUTE_PGM_RSRC2:SCRATCH_EN: 0
; COMPUTE_PGM_RSRC2:USER_SGPR: 15
; COMPUTE_PGM_RSRC2:TRAP_HANDLER: 0
; COMPUTE_PGM_RSRC2:TGID_X_EN: 1
; COMPUTE_PGM_RSRC2:TGID_Y_EN: 0
; COMPUTE_PGM_RSRC2:TGID_Z_EN: 0
; COMPUTE_PGM_RSRC2:TIDIG_COMP_CNT: 0
	.section	.text._ZN7rocprim17ROCPRIM_400000_NS6detail17trampoline_kernelINS0_14default_configENS1_25partition_config_selectorILNS1_17partition_subalgoE9EjjbEEZZNS1_14partition_implILS5_9ELb0ES3_jN6thrust23THRUST_200600_302600_NS6detail15normal_iteratorINS9_10device_ptrIjEEEESE_PNS0_10empty_typeENS0_5tupleIJSE_SF_EEENSH_IJSE_SG_EEENS0_18inequality_wrapperINS9_8equal_toIjEEEEPmJSF_EEE10hipError_tPvRmT3_T4_T5_T6_T7_T9_mT8_P12ihipStream_tbDpT10_ENKUlT_T0_E_clISt17integral_constantIbLb1EES18_EEDaS13_S14_EUlS13_E_NS1_11comp_targetILNS1_3genE5ELNS1_11target_archE942ELNS1_3gpuE9ELNS1_3repE0EEENS1_30default_config_static_selectorELNS0_4arch9wavefront6targetE0EEEvT1_,"axG",@progbits,_ZN7rocprim17ROCPRIM_400000_NS6detail17trampoline_kernelINS0_14default_configENS1_25partition_config_selectorILNS1_17partition_subalgoE9EjjbEEZZNS1_14partition_implILS5_9ELb0ES3_jN6thrust23THRUST_200600_302600_NS6detail15normal_iteratorINS9_10device_ptrIjEEEESE_PNS0_10empty_typeENS0_5tupleIJSE_SF_EEENSH_IJSE_SG_EEENS0_18inequality_wrapperINS9_8equal_toIjEEEEPmJSF_EEE10hipError_tPvRmT3_T4_T5_T6_T7_T9_mT8_P12ihipStream_tbDpT10_ENKUlT_T0_E_clISt17integral_constantIbLb1EES18_EEDaS13_S14_EUlS13_E_NS1_11comp_targetILNS1_3genE5ELNS1_11target_archE942ELNS1_3gpuE9ELNS1_3repE0EEENS1_30default_config_static_selectorELNS0_4arch9wavefront6targetE0EEEvT1_,comdat
	.protected	_ZN7rocprim17ROCPRIM_400000_NS6detail17trampoline_kernelINS0_14default_configENS1_25partition_config_selectorILNS1_17partition_subalgoE9EjjbEEZZNS1_14partition_implILS5_9ELb0ES3_jN6thrust23THRUST_200600_302600_NS6detail15normal_iteratorINS9_10device_ptrIjEEEESE_PNS0_10empty_typeENS0_5tupleIJSE_SF_EEENSH_IJSE_SG_EEENS0_18inequality_wrapperINS9_8equal_toIjEEEEPmJSF_EEE10hipError_tPvRmT3_T4_T5_T6_T7_T9_mT8_P12ihipStream_tbDpT10_ENKUlT_T0_E_clISt17integral_constantIbLb1EES18_EEDaS13_S14_EUlS13_E_NS1_11comp_targetILNS1_3genE5ELNS1_11target_archE942ELNS1_3gpuE9ELNS1_3repE0EEENS1_30default_config_static_selectorELNS0_4arch9wavefront6targetE0EEEvT1_ ; -- Begin function _ZN7rocprim17ROCPRIM_400000_NS6detail17trampoline_kernelINS0_14default_configENS1_25partition_config_selectorILNS1_17partition_subalgoE9EjjbEEZZNS1_14partition_implILS5_9ELb0ES3_jN6thrust23THRUST_200600_302600_NS6detail15normal_iteratorINS9_10device_ptrIjEEEESE_PNS0_10empty_typeENS0_5tupleIJSE_SF_EEENSH_IJSE_SG_EEENS0_18inequality_wrapperINS9_8equal_toIjEEEEPmJSF_EEE10hipError_tPvRmT3_T4_T5_T6_T7_T9_mT8_P12ihipStream_tbDpT10_ENKUlT_T0_E_clISt17integral_constantIbLb1EES18_EEDaS13_S14_EUlS13_E_NS1_11comp_targetILNS1_3genE5ELNS1_11target_archE942ELNS1_3gpuE9ELNS1_3repE0EEENS1_30default_config_static_selectorELNS0_4arch9wavefront6targetE0EEEvT1_
	.globl	_ZN7rocprim17ROCPRIM_400000_NS6detail17trampoline_kernelINS0_14default_configENS1_25partition_config_selectorILNS1_17partition_subalgoE9EjjbEEZZNS1_14partition_implILS5_9ELb0ES3_jN6thrust23THRUST_200600_302600_NS6detail15normal_iteratorINS9_10device_ptrIjEEEESE_PNS0_10empty_typeENS0_5tupleIJSE_SF_EEENSH_IJSE_SG_EEENS0_18inequality_wrapperINS9_8equal_toIjEEEEPmJSF_EEE10hipError_tPvRmT3_T4_T5_T6_T7_T9_mT8_P12ihipStream_tbDpT10_ENKUlT_T0_E_clISt17integral_constantIbLb1EES18_EEDaS13_S14_EUlS13_E_NS1_11comp_targetILNS1_3genE5ELNS1_11target_archE942ELNS1_3gpuE9ELNS1_3repE0EEENS1_30default_config_static_selectorELNS0_4arch9wavefront6targetE0EEEvT1_
	.p2align	8
	.type	_ZN7rocprim17ROCPRIM_400000_NS6detail17trampoline_kernelINS0_14default_configENS1_25partition_config_selectorILNS1_17partition_subalgoE9EjjbEEZZNS1_14partition_implILS5_9ELb0ES3_jN6thrust23THRUST_200600_302600_NS6detail15normal_iteratorINS9_10device_ptrIjEEEESE_PNS0_10empty_typeENS0_5tupleIJSE_SF_EEENSH_IJSE_SG_EEENS0_18inequality_wrapperINS9_8equal_toIjEEEEPmJSF_EEE10hipError_tPvRmT3_T4_T5_T6_T7_T9_mT8_P12ihipStream_tbDpT10_ENKUlT_T0_E_clISt17integral_constantIbLb1EES18_EEDaS13_S14_EUlS13_E_NS1_11comp_targetILNS1_3genE5ELNS1_11target_archE942ELNS1_3gpuE9ELNS1_3repE0EEENS1_30default_config_static_selectorELNS0_4arch9wavefront6targetE0EEEvT1_,@function
_ZN7rocprim17ROCPRIM_400000_NS6detail17trampoline_kernelINS0_14default_configENS1_25partition_config_selectorILNS1_17partition_subalgoE9EjjbEEZZNS1_14partition_implILS5_9ELb0ES3_jN6thrust23THRUST_200600_302600_NS6detail15normal_iteratorINS9_10device_ptrIjEEEESE_PNS0_10empty_typeENS0_5tupleIJSE_SF_EEENSH_IJSE_SG_EEENS0_18inequality_wrapperINS9_8equal_toIjEEEEPmJSF_EEE10hipError_tPvRmT3_T4_T5_T6_T7_T9_mT8_P12ihipStream_tbDpT10_ENKUlT_T0_E_clISt17integral_constantIbLb1EES18_EEDaS13_S14_EUlS13_E_NS1_11comp_targetILNS1_3genE5ELNS1_11target_archE942ELNS1_3gpuE9ELNS1_3repE0EEENS1_30default_config_static_selectorELNS0_4arch9wavefront6targetE0EEEvT1_: ; @_ZN7rocprim17ROCPRIM_400000_NS6detail17trampoline_kernelINS0_14default_configENS1_25partition_config_selectorILNS1_17partition_subalgoE9EjjbEEZZNS1_14partition_implILS5_9ELb0ES3_jN6thrust23THRUST_200600_302600_NS6detail15normal_iteratorINS9_10device_ptrIjEEEESE_PNS0_10empty_typeENS0_5tupleIJSE_SF_EEENSH_IJSE_SG_EEENS0_18inequality_wrapperINS9_8equal_toIjEEEEPmJSF_EEE10hipError_tPvRmT3_T4_T5_T6_T7_T9_mT8_P12ihipStream_tbDpT10_ENKUlT_T0_E_clISt17integral_constantIbLb1EES18_EEDaS13_S14_EUlS13_E_NS1_11comp_targetILNS1_3genE5ELNS1_11target_archE942ELNS1_3gpuE9ELNS1_3repE0EEENS1_30default_config_static_selectorELNS0_4arch9wavefront6targetE0EEEvT1_
; %bb.0:
	.section	.rodata,"a",@progbits
	.p2align	6, 0x0
	.amdhsa_kernel _ZN7rocprim17ROCPRIM_400000_NS6detail17trampoline_kernelINS0_14default_configENS1_25partition_config_selectorILNS1_17partition_subalgoE9EjjbEEZZNS1_14partition_implILS5_9ELb0ES3_jN6thrust23THRUST_200600_302600_NS6detail15normal_iteratorINS9_10device_ptrIjEEEESE_PNS0_10empty_typeENS0_5tupleIJSE_SF_EEENSH_IJSE_SG_EEENS0_18inequality_wrapperINS9_8equal_toIjEEEEPmJSF_EEE10hipError_tPvRmT3_T4_T5_T6_T7_T9_mT8_P12ihipStream_tbDpT10_ENKUlT_T0_E_clISt17integral_constantIbLb1EES18_EEDaS13_S14_EUlS13_E_NS1_11comp_targetILNS1_3genE5ELNS1_11target_archE942ELNS1_3gpuE9ELNS1_3repE0EEENS1_30default_config_static_selectorELNS0_4arch9wavefront6targetE0EEEvT1_
		.amdhsa_group_segment_fixed_size 0
		.amdhsa_private_segment_fixed_size 0
		.amdhsa_kernarg_size 128
		.amdhsa_user_sgpr_count 15
		.amdhsa_user_sgpr_dispatch_ptr 0
		.amdhsa_user_sgpr_queue_ptr 0
		.amdhsa_user_sgpr_kernarg_segment_ptr 1
		.amdhsa_user_sgpr_dispatch_id 0
		.amdhsa_user_sgpr_private_segment_size 0
		.amdhsa_wavefront_size32 1
		.amdhsa_uses_dynamic_stack 0
		.amdhsa_enable_private_segment 0
		.amdhsa_system_sgpr_workgroup_id_x 1
		.amdhsa_system_sgpr_workgroup_id_y 0
		.amdhsa_system_sgpr_workgroup_id_z 0
		.amdhsa_system_sgpr_workgroup_info 0
		.amdhsa_system_vgpr_workitem_id 0
		.amdhsa_next_free_vgpr 1
		.amdhsa_next_free_sgpr 1
		.amdhsa_reserve_vcc 0
		.amdhsa_float_round_mode_32 0
		.amdhsa_float_round_mode_16_64 0
		.amdhsa_float_denorm_mode_32 3
		.amdhsa_float_denorm_mode_16_64 3
		.amdhsa_dx10_clamp 1
		.amdhsa_ieee_mode 1
		.amdhsa_fp16_overflow 0
		.amdhsa_workgroup_processor_mode 1
		.amdhsa_memory_ordered 1
		.amdhsa_forward_progress 0
		.amdhsa_shared_vgpr_count 0
		.amdhsa_exception_fp_ieee_invalid_op 0
		.amdhsa_exception_fp_denorm_src 0
		.amdhsa_exception_fp_ieee_div_zero 0
		.amdhsa_exception_fp_ieee_overflow 0
		.amdhsa_exception_fp_ieee_underflow 0
		.amdhsa_exception_fp_ieee_inexact 0
		.amdhsa_exception_int_div_zero 0
	.end_amdhsa_kernel
	.section	.text._ZN7rocprim17ROCPRIM_400000_NS6detail17trampoline_kernelINS0_14default_configENS1_25partition_config_selectorILNS1_17partition_subalgoE9EjjbEEZZNS1_14partition_implILS5_9ELb0ES3_jN6thrust23THRUST_200600_302600_NS6detail15normal_iteratorINS9_10device_ptrIjEEEESE_PNS0_10empty_typeENS0_5tupleIJSE_SF_EEENSH_IJSE_SG_EEENS0_18inequality_wrapperINS9_8equal_toIjEEEEPmJSF_EEE10hipError_tPvRmT3_T4_T5_T6_T7_T9_mT8_P12ihipStream_tbDpT10_ENKUlT_T0_E_clISt17integral_constantIbLb1EES18_EEDaS13_S14_EUlS13_E_NS1_11comp_targetILNS1_3genE5ELNS1_11target_archE942ELNS1_3gpuE9ELNS1_3repE0EEENS1_30default_config_static_selectorELNS0_4arch9wavefront6targetE0EEEvT1_,"axG",@progbits,_ZN7rocprim17ROCPRIM_400000_NS6detail17trampoline_kernelINS0_14default_configENS1_25partition_config_selectorILNS1_17partition_subalgoE9EjjbEEZZNS1_14partition_implILS5_9ELb0ES3_jN6thrust23THRUST_200600_302600_NS6detail15normal_iteratorINS9_10device_ptrIjEEEESE_PNS0_10empty_typeENS0_5tupleIJSE_SF_EEENSH_IJSE_SG_EEENS0_18inequality_wrapperINS9_8equal_toIjEEEEPmJSF_EEE10hipError_tPvRmT3_T4_T5_T6_T7_T9_mT8_P12ihipStream_tbDpT10_ENKUlT_T0_E_clISt17integral_constantIbLb1EES18_EEDaS13_S14_EUlS13_E_NS1_11comp_targetILNS1_3genE5ELNS1_11target_archE942ELNS1_3gpuE9ELNS1_3repE0EEENS1_30default_config_static_selectorELNS0_4arch9wavefront6targetE0EEEvT1_,comdat
.Lfunc_end219:
	.size	_ZN7rocprim17ROCPRIM_400000_NS6detail17trampoline_kernelINS0_14default_configENS1_25partition_config_selectorILNS1_17partition_subalgoE9EjjbEEZZNS1_14partition_implILS5_9ELb0ES3_jN6thrust23THRUST_200600_302600_NS6detail15normal_iteratorINS9_10device_ptrIjEEEESE_PNS0_10empty_typeENS0_5tupleIJSE_SF_EEENSH_IJSE_SG_EEENS0_18inequality_wrapperINS9_8equal_toIjEEEEPmJSF_EEE10hipError_tPvRmT3_T4_T5_T6_T7_T9_mT8_P12ihipStream_tbDpT10_ENKUlT_T0_E_clISt17integral_constantIbLb1EES18_EEDaS13_S14_EUlS13_E_NS1_11comp_targetILNS1_3genE5ELNS1_11target_archE942ELNS1_3gpuE9ELNS1_3repE0EEENS1_30default_config_static_selectorELNS0_4arch9wavefront6targetE0EEEvT1_, .Lfunc_end219-_ZN7rocprim17ROCPRIM_400000_NS6detail17trampoline_kernelINS0_14default_configENS1_25partition_config_selectorILNS1_17partition_subalgoE9EjjbEEZZNS1_14partition_implILS5_9ELb0ES3_jN6thrust23THRUST_200600_302600_NS6detail15normal_iteratorINS9_10device_ptrIjEEEESE_PNS0_10empty_typeENS0_5tupleIJSE_SF_EEENSH_IJSE_SG_EEENS0_18inequality_wrapperINS9_8equal_toIjEEEEPmJSF_EEE10hipError_tPvRmT3_T4_T5_T6_T7_T9_mT8_P12ihipStream_tbDpT10_ENKUlT_T0_E_clISt17integral_constantIbLb1EES18_EEDaS13_S14_EUlS13_E_NS1_11comp_targetILNS1_3genE5ELNS1_11target_archE942ELNS1_3gpuE9ELNS1_3repE0EEENS1_30default_config_static_selectorELNS0_4arch9wavefront6targetE0EEEvT1_
                                        ; -- End function
	.section	.AMDGPU.csdata,"",@progbits
; Kernel info:
; codeLenInByte = 0
; NumSgprs: 0
; NumVgprs: 0
; ScratchSize: 0
; MemoryBound: 0
; FloatMode: 240
; IeeeMode: 1
; LDSByteSize: 0 bytes/workgroup (compile time only)
; SGPRBlocks: 0
; VGPRBlocks: 0
; NumSGPRsForWavesPerEU: 1
; NumVGPRsForWavesPerEU: 1
; Occupancy: 16
; WaveLimiterHint : 0
; COMPUTE_PGM_RSRC2:SCRATCH_EN: 0
; COMPUTE_PGM_RSRC2:USER_SGPR: 15
; COMPUTE_PGM_RSRC2:TRAP_HANDLER: 0
; COMPUTE_PGM_RSRC2:TGID_X_EN: 1
; COMPUTE_PGM_RSRC2:TGID_Y_EN: 0
; COMPUTE_PGM_RSRC2:TGID_Z_EN: 0
; COMPUTE_PGM_RSRC2:TIDIG_COMP_CNT: 0
	.section	.text._ZN7rocprim17ROCPRIM_400000_NS6detail17trampoline_kernelINS0_14default_configENS1_25partition_config_selectorILNS1_17partition_subalgoE9EjjbEEZZNS1_14partition_implILS5_9ELb0ES3_jN6thrust23THRUST_200600_302600_NS6detail15normal_iteratorINS9_10device_ptrIjEEEESE_PNS0_10empty_typeENS0_5tupleIJSE_SF_EEENSH_IJSE_SG_EEENS0_18inequality_wrapperINS9_8equal_toIjEEEEPmJSF_EEE10hipError_tPvRmT3_T4_T5_T6_T7_T9_mT8_P12ihipStream_tbDpT10_ENKUlT_T0_E_clISt17integral_constantIbLb1EES18_EEDaS13_S14_EUlS13_E_NS1_11comp_targetILNS1_3genE4ELNS1_11target_archE910ELNS1_3gpuE8ELNS1_3repE0EEENS1_30default_config_static_selectorELNS0_4arch9wavefront6targetE0EEEvT1_,"axG",@progbits,_ZN7rocprim17ROCPRIM_400000_NS6detail17trampoline_kernelINS0_14default_configENS1_25partition_config_selectorILNS1_17partition_subalgoE9EjjbEEZZNS1_14partition_implILS5_9ELb0ES3_jN6thrust23THRUST_200600_302600_NS6detail15normal_iteratorINS9_10device_ptrIjEEEESE_PNS0_10empty_typeENS0_5tupleIJSE_SF_EEENSH_IJSE_SG_EEENS0_18inequality_wrapperINS9_8equal_toIjEEEEPmJSF_EEE10hipError_tPvRmT3_T4_T5_T6_T7_T9_mT8_P12ihipStream_tbDpT10_ENKUlT_T0_E_clISt17integral_constantIbLb1EES18_EEDaS13_S14_EUlS13_E_NS1_11comp_targetILNS1_3genE4ELNS1_11target_archE910ELNS1_3gpuE8ELNS1_3repE0EEENS1_30default_config_static_selectorELNS0_4arch9wavefront6targetE0EEEvT1_,comdat
	.protected	_ZN7rocprim17ROCPRIM_400000_NS6detail17trampoline_kernelINS0_14default_configENS1_25partition_config_selectorILNS1_17partition_subalgoE9EjjbEEZZNS1_14partition_implILS5_9ELb0ES3_jN6thrust23THRUST_200600_302600_NS6detail15normal_iteratorINS9_10device_ptrIjEEEESE_PNS0_10empty_typeENS0_5tupleIJSE_SF_EEENSH_IJSE_SG_EEENS0_18inequality_wrapperINS9_8equal_toIjEEEEPmJSF_EEE10hipError_tPvRmT3_T4_T5_T6_T7_T9_mT8_P12ihipStream_tbDpT10_ENKUlT_T0_E_clISt17integral_constantIbLb1EES18_EEDaS13_S14_EUlS13_E_NS1_11comp_targetILNS1_3genE4ELNS1_11target_archE910ELNS1_3gpuE8ELNS1_3repE0EEENS1_30default_config_static_selectorELNS0_4arch9wavefront6targetE0EEEvT1_ ; -- Begin function _ZN7rocprim17ROCPRIM_400000_NS6detail17trampoline_kernelINS0_14default_configENS1_25partition_config_selectorILNS1_17partition_subalgoE9EjjbEEZZNS1_14partition_implILS5_9ELb0ES3_jN6thrust23THRUST_200600_302600_NS6detail15normal_iteratorINS9_10device_ptrIjEEEESE_PNS0_10empty_typeENS0_5tupleIJSE_SF_EEENSH_IJSE_SG_EEENS0_18inequality_wrapperINS9_8equal_toIjEEEEPmJSF_EEE10hipError_tPvRmT3_T4_T5_T6_T7_T9_mT8_P12ihipStream_tbDpT10_ENKUlT_T0_E_clISt17integral_constantIbLb1EES18_EEDaS13_S14_EUlS13_E_NS1_11comp_targetILNS1_3genE4ELNS1_11target_archE910ELNS1_3gpuE8ELNS1_3repE0EEENS1_30default_config_static_selectorELNS0_4arch9wavefront6targetE0EEEvT1_
	.globl	_ZN7rocprim17ROCPRIM_400000_NS6detail17trampoline_kernelINS0_14default_configENS1_25partition_config_selectorILNS1_17partition_subalgoE9EjjbEEZZNS1_14partition_implILS5_9ELb0ES3_jN6thrust23THRUST_200600_302600_NS6detail15normal_iteratorINS9_10device_ptrIjEEEESE_PNS0_10empty_typeENS0_5tupleIJSE_SF_EEENSH_IJSE_SG_EEENS0_18inequality_wrapperINS9_8equal_toIjEEEEPmJSF_EEE10hipError_tPvRmT3_T4_T5_T6_T7_T9_mT8_P12ihipStream_tbDpT10_ENKUlT_T0_E_clISt17integral_constantIbLb1EES18_EEDaS13_S14_EUlS13_E_NS1_11comp_targetILNS1_3genE4ELNS1_11target_archE910ELNS1_3gpuE8ELNS1_3repE0EEENS1_30default_config_static_selectorELNS0_4arch9wavefront6targetE0EEEvT1_
	.p2align	8
	.type	_ZN7rocprim17ROCPRIM_400000_NS6detail17trampoline_kernelINS0_14default_configENS1_25partition_config_selectorILNS1_17partition_subalgoE9EjjbEEZZNS1_14partition_implILS5_9ELb0ES3_jN6thrust23THRUST_200600_302600_NS6detail15normal_iteratorINS9_10device_ptrIjEEEESE_PNS0_10empty_typeENS0_5tupleIJSE_SF_EEENSH_IJSE_SG_EEENS0_18inequality_wrapperINS9_8equal_toIjEEEEPmJSF_EEE10hipError_tPvRmT3_T4_T5_T6_T7_T9_mT8_P12ihipStream_tbDpT10_ENKUlT_T0_E_clISt17integral_constantIbLb1EES18_EEDaS13_S14_EUlS13_E_NS1_11comp_targetILNS1_3genE4ELNS1_11target_archE910ELNS1_3gpuE8ELNS1_3repE0EEENS1_30default_config_static_selectorELNS0_4arch9wavefront6targetE0EEEvT1_,@function
_ZN7rocprim17ROCPRIM_400000_NS6detail17trampoline_kernelINS0_14default_configENS1_25partition_config_selectorILNS1_17partition_subalgoE9EjjbEEZZNS1_14partition_implILS5_9ELb0ES3_jN6thrust23THRUST_200600_302600_NS6detail15normal_iteratorINS9_10device_ptrIjEEEESE_PNS0_10empty_typeENS0_5tupleIJSE_SF_EEENSH_IJSE_SG_EEENS0_18inequality_wrapperINS9_8equal_toIjEEEEPmJSF_EEE10hipError_tPvRmT3_T4_T5_T6_T7_T9_mT8_P12ihipStream_tbDpT10_ENKUlT_T0_E_clISt17integral_constantIbLb1EES18_EEDaS13_S14_EUlS13_E_NS1_11comp_targetILNS1_3genE4ELNS1_11target_archE910ELNS1_3gpuE8ELNS1_3repE0EEENS1_30default_config_static_selectorELNS0_4arch9wavefront6targetE0EEEvT1_: ; @_ZN7rocprim17ROCPRIM_400000_NS6detail17trampoline_kernelINS0_14default_configENS1_25partition_config_selectorILNS1_17partition_subalgoE9EjjbEEZZNS1_14partition_implILS5_9ELb0ES3_jN6thrust23THRUST_200600_302600_NS6detail15normal_iteratorINS9_10device_ptrIjEEEESE_PNS0_10empty_typeENS0_5tupleIJSE_SF_EEENSH_IJSE_SG_EEENS0_18inequality_wrapperINS9_8equal_toIjEEEEPmJSF_EEE10hipError_tPvRmT3_T4_T5_T6_T7_T9_mT8_P12ihipStream_tbDpT10_ENKUlT_T0_E_clISt17integral_constantIbLb1EES18_EEDaS13_S14_EUlS13_E_NS1_11comp_targetILNS1_3genE4ELNS1_11target_archE910ELNS1_3gpuE8ELNS1_3repE0EEENS1_30default_config_static_selectorELNS0_4arch9wavefront6targetE0EEEvT1_
; %bb.0:
	.section	.rodata,"a",@progbits
	.p2align	6, 0x0
	.amdhsa_kernel _ZN7rocprim17ROCPRIM_400000_NS6detail17trampoline_kernelINS0_14default_configENS1_25partition_config_selectorILNS1_17partition_subalgoE9EjjbEEZZNS1_14partition_implILS5_9ELb0ES3_jN6thrust23THRUST_200600_302600_NS6detail15normal_iteratorINS9_10device_ptrIjEEEESE_PNS0_10empty_typeENS0_5tupleIJSE_SF_EEENSH_IJSE_SG_EEENS0_18inequality_wrapperINS9_8equal_toIjEEEEPmJSF_EEE10hipError_tPvRmT3_T4_T5_T6_T7_T9_mT8_P12ihipStream_tbDpT10_ENKUlT_T0_E_clISt17integral_constantIbLb1EES18_EEDaS13_S14_EUlS13_E_NS1_11comp_targetILNS1_3genE4ELNS1_11target_archE910ELNS1_3gpuE8ELNS1_3repE0EEENS1_30default_config_static_selectorELNS0_4arch9wavefront6targetE0EEEvT1_
		.amdhsa_group_segment_fixed_size 0
		.amdhsa_private_segment_fixed_size 0
		.amdhsa_kernarg_size 128
		.amdhsa_user_sgpr_count 15
		.amdhsa_user_sgpr_dispatch_ptr 0
		.amdhsa_user_sgpr_queue_ptr 0
		.amdhsa_user_sgpr_kernarg_segment_ptr 1
		.amdhsa_user_sgpr_dispatch_id 0
		.amdhsa_user_sgpr_private_segment_size 0
		.amdhsa_wavefront_size32 1
		.amdhsa_uses_dynamic_stack 0
		.amdhsa_enable_private_segment 0
		.amdhsa_system_sgpr_workgroup_id_x 1
		.amdhsa_system_sgpr_workgroup_id_y 0
		.amdhsa_system_sgpr_workgroup_id_z 0
		.amdhsa_system_sgpr_workgroup_info 0
		.amdhsa_system_vgpr_workitem_id 0
		.amdhsa_next_free_vgpr 1
		.amdhsa_next_free_sgpr 1
		.amdhsa_reserve_vcc 0
		.amdhsa_float_round_mode_32 0
		.amdhsa_float_round_mode_16_64 0
		.amdhsa_float_denorm_mode_32 3
		.amdhsa_float_denorm_mode_16_64 3
		.amdhsa_dx10_clamp 1
		.amdhsa_ieee_mode 1
		.amdhsa_fp16_overflow 0
		.amdhsa_workgroup_processor_mode 1
		.amdhsa_memory_ordered 1
		.amdhsa_forward_progress 0
		.amdhsa_shared_vgpr_count 0
		.amdhsa_exception_fp_ieee_invalid_op 0
		.amdhsa_exception_fp_denorm_src 0
		.amdhsa_exception_fp_ieee_div_zero 0
		.amdhsa_exception_fp_ieee_overflow 0
		.amdhsa_exception_fp_ieee_underflow 0
		.amdhsa_exception_fp_ieee_inexact 0
		.amdhsa_exception_int_div_zero 0
	.end_amdhsa_kernel
	.section	.text._ZN7rocprim17ROCPRIM_400000_NS6detail17trampoline_kernelINS0_14default_configENS1_25partition_config_selectorILNS1_17partition_subalgoE9EjjbEEZZNS1_14partition_implILS5_9ELb0ES3_jN6thrust23THRUST_200600_302600_NS6detail15normal_iteratorINS9_10device_ptrIjEEEESE_PNS0_10empty_typeENS0_5tupleIJSE_SF_EEENSH_IJSE_SG_EEENS0_18inequality_wrapperINS9_8equal_toIjEEEEPmJSF_EEE10hipError_tPvRmT3_T4_T5_T6_T7_T9_mT8_P12ihipStream_tbDpT10_ENKUlT_T0_E_clISt17integral_constantIbLb1EES18_EEDaS13_S14_EUlS13_E_NS1_11comp_targetILNS1_3genE4ELNS1_11target_archE910ELNS1_3gpuE8ELNS1_3repE0EEENS1_30default_config_static_selectorELNS0_4arch9wavefront6targetE0EEEvT1_,"axG",@progbits,_ZN7rocprim17ROCPRIM_400000_NS6detail17trampoline_kernelINS0_14default_configENS1_25partition_config_selectorILNS1_17partition_subalgoE9EjjbEEZZNS1_14partition_implILS5_9ELb0ES3_jN6thrust23THRUST_200600_302600_NS6detail15normal_iteratorINS9_10device_ptrIjEEEESE_PNS0_10empty_typeENS0_5tupleIJSE_SF_EEENSH_IJSE_SG_EEENS0_18inequality_wrapperINS9_8equal_toIjEEEEPmJSF_EEE10hipError_tPvRmT3_T4_T5_T6_T7_T9_mT8_P12ihipStream_tbDpT10_ENKUlT_T0_E_clISt17integral_constantIbLb1EES18_EEDaS13_S14_EUlS13_E_NS1_11comp_targetILNS1_3genE4ELNS1_11target_archE910ELNS1_3gpuE8ELNS1_3repE0EEENS1_30default_config_static_selectorELNS0_4arch9wavefront6targetE0EEEvT1_,comdat
.Lfunc_end220:
	.size	_ZN7rocprim17ROCPRIM_400000_NS6detail17trampoline_kernelINS0_14default_configENS1_25partition_config_selectorILNS1_17partition_subalgoE9EjjbEEZZNS1_14partition_implILS5_9ELb0ES3_jN6thrust23THRUST_200600_302600_NS6detail15normal_iteratorINS9_10device_ptrIjEEEESE_PNS0_10empty_typeENS0_5tupleIJSE_SF_EEENSH_IJSE_SG_EEENS0_18inequality_wrapperINS9_8equal_toIjEEEEPmJSF_EEE10hipError_tPvRmT3_T4_T5_T6_T7_T9_mT8_P12ihipStream_tbDpT10_ENKUlT_T0_E_clISt17integral_constantIbLb1EES18_EEDaS13_S14_EUlS13_E_NS1_11comp_targetILNS1_3genE4ELNS1_11target_archE910ELNS1_3gpuE8ELNS1_3repE0EEENS1_30default_config_static_selectorELNS0_4arch9wavefront6targetE0EEEvT1_, .Lfunc_end220-_ZN7rocprim17ROCPRIM_400000_NS6detail17trampoline_kernelINS0_14default_configENS1_25partition_config_selectorILNS1_17partition_subalgoE9EjjbEEZZNS1_14partition_implILS5_9ELb0ES3_jN6thrust23THRUST_200600_302600_NS6detail15normal_iteratorINS9_10device_ptrIjEEEESE_PNS0_10empty_typeENS0_5tupleIJSE_SF_EEENSH_IJSE_SG_EEENS0_18inequality_wrapperINS9_8equal_toIjEEEEPmJSF_EEE10hipError_tPvRmT3_T4_T5_T6_T7_T9_mT8_P12ihipStream_tbDpT10_ENKUlT_T0_E_clISt17integral_constantIbLb1EES18_EEDaS13_S14_EUlS13_E_NS1_11comp_targetILNS1_3genE4ELNS1_11target_archE910ELNS1_3gpuE8ELNS1_3repE0EEENS1_30default_config_static_selectorELNS0_4arch9wavefront6targetE0EEEvT1_
                                        ; -- End function
	.section	.AMDGPU.csdata,"",@progbits
; Kernel info:
; codeLenInByte = 0
; NumSgprs: 0
; NumVgprs: 0
; ScratchSize: 0
; MemoryBound: 0
; FloatMode: 240
; IeeeMode: 1
; LDSByteSize: 0 bytes/workgroup (compile time only)
; SGPRBlocks: 0
; VGPRBlocks: 0
; NumSGPRsForWavesPerEU: 1
; NumVGPRsForWavesPerEU: 1
; Occupancy: 15
; WaveLimiterHint : 0
; COMPUTE_PGM_RSRC2:SCRATCH_EN: 0
; COMPUTE_PGM_RSRC2:USER_SGPR: 15
; COMPUTE_PGM_RSRC2:TRAP_HANDLER: 0
; COMPUTE_PGM_RSRC2:TGID_X_EN: 1
; COMPUTE_PGM_RSRC2:TGID_Y_EN: 0
; COMPUTE_PGM_RSRC2:TGID_Z_EN: 0
; COMPUTE_PGM_RSRC2:TIDIG_COMP_CNT: 0
	.section	.text._ZN7rocprim17ROCPRIM_400000_NS6detail17trampoline_kernelINS0_14default_configENS1_25partition_config_selectorILNS1_17partition_subalgoE9EjjbEEZZNS1_14partition_implILS5_9ELb0ES3_jN6thrust23THRUST_200600_302600_NS6detail15normal_iteratorINS9_10device_ptrIjEEEESE_PNS0_10empty_typeENS0_5tupleIJSE_SF_EEENSH_IJSE_SG_EEENS0_18inequality_wrapperINS9_8equal_toIjEEEEPmJSF_EEE10hipError_tPvRmT3_T4_T5_T6_T7_T9_mT8_P12ihipStream_tbDpT10_ENKUlT_T0_E_clISt17integral_constantIbLb1EES18_EEDaS13_S14_EUlS13_E_NS1_11comp_targetILNS1_3genE3ELNS1_11target_archE908ELNS1_3gpuE7ELNS1_3repE0EEENS1_30default_config_static_selectorELNS0_4arch9wavefront6targetE0EEEvT1_,"axG",@progbits,_ZN7rocprim17ROCPRIM_400000_NS6detail17trampoline_kernelINS0_14default_configENS1_25partition_config_selectorILNS1_17partition_subalgoE9EjjbEEZZNS1_14partition_implILS5_9ELb0ES3_jN6thrust23THRUST_200600_302600_NS6detail15normal_iteratorINS9_10device_ptrIjEEEESE_PNS0_10empty_typeENS0_5tupleIJSE_SF_EEENSH_IJSE_SG_EEENS0_18inequality_wrapperINS9_8equal_toIjEEEEPmJSF_EEE10hipError_tPvRmT3_T4_T5_T6_T7_T9_mT8_P12ihipStream_tbDpT10_ENKUlT_T0_E_clISt17integral_constantIbLb1EES18_EEDaS13_S14_EUlS13_E_NS1_11comp_targetILNS1_3genE3ELNS1_11target_archE908ELNS1_3gpuE7ELNS1_3repE0EEENS1_30default_config_static_selectorELNS0_4arch9wavefront6targetE0EEEvT1_,comdat
	.protected	_ZN7rocprim17ROCPRIM_400000_NS6detail17trampoline_kernelINS0_14default_configENS1_25partition_config_selectorILNS1_17partition_subalgoE9EjjbEEZZNS1_14partition_implILS5_9ELb0ES3_jN6thrust23THRUST_200600_302600_NS6detail15normal_iteratorINS9_10device_ptrIjEEEESE_PNS0_10empty_typeENS0_5tupleIJSE_SF_EEENSH_IJSE_SG_EEENS0_18inequality_wrapperINS9_8equal_toIjEEEEPmJSF_EEE10hipError_tPvRmT3_T4_T5_T6_T7_T9_mT8_P12ihipStream_tbDpT10_ENKUlT_T0_E_clISt17integral_constantIbLb1EES18_EEDaS13_S14_EUlS13_E_NS1_11comp_targetILNS1_3genE3ELNS1_11target_archE908ELNS1_3gpuE7ELNS1_3repE0EEENS1_30default_config_static_selectorELNS0_4arch9wavefront6targetE0EEEvT1_ ; -- Begin function _ZN7rocprim17ROCPRIM_400000_NS6detail17trampoline_kernelINS0_14default_configENS1_25partition_config_selectorILNS1_17partition_subalgoE9EjjbEEZZNS1_14partition_implILS5_9ELb0ES3_jN6thrust23THRUST_200600_302600_NS6detail15normal_iteratorINS9_10device_ptrIjEEEESE_PNS0_10empty_typeENS0_5tupleIJSE_SF_EEENSH_IJSE_SG_EEENS0_18inequality_wrapperINS9_8equal_toIjEEEEPmJSF_EEE10hipError_tPvRmT3_T4_T5_T6_T7_T9_mT8_P12ihipStream_tbDpT10_ENKUlT_T0_E_clISt17integral_constantIbLb1EES18_EEDaS13_S14_EUlS13_E_NS1_11comp_targetILNS1_3genE3ELNS1_11target_archE908ELNS1_3gpuE7ELNS1_3repE0EEENS1_30default_config_static_selectorELNS0_4arch9wavefront6targetE0EEEvT1_
	.globl	_ZN7rocprim17ROCPRIM_400000_NS6detail17trampoline_kernelINS0_14default_configENS1_25partition_config_selectorILNS1_17partition_subalgoE9EjjbEEZZNS1_14partition_implILS5_9ELb0ES3_jN6thrust23THRUST_200600_302600_NS6detail15normal_iteratorINS9_10device_ptrIjEEEESE_PNS0_10empty_typeENS0_5tupleIJSE_SF_EEENSH_IJSE_SG_EEENS0_18inequality_wrapperINS9_8equal_toIjEEEEPmJSF_EEE10hipError_tPvRmT3_T4_T5_T6_T7_T9_mT8_P12ihipStream_tbDpT10_ENKUlT_T0_E_clISt17integral_constantIbLb1EES18_EEDaS13_S14_EUlS13_E_NS1_11comp_targetILNS1_3genE3ELNS1_11target_archE908ELNS1_3gpuE7ELNS1_3repE0EEENS1_30default_config_static_selectorELNS0_4arch9wavefront6targetE0EEEvT1_
	.p2align	8
	.type	_ZN7rocprim17ROCPRIM_400000_NS6detail17trampoline_kernelINS0_14default_configENS1_25partition_config_selectorILNS1_17partition_subalgoE9EjjbEEZZNS1_14partition_implILS5_9ELb0ES3_jN6thrust23THRUST_200600_302600_NS6detail15normal_iteratorINS9_10device_ptrIjEEEESE_PNS0_10empty_typeENS0_5tupleIJSE_SF_EEENSH_IJSE_SG_EEENS0_18inequality_wrapperINS9_8equal_toIjEEEEPmJSF_EEE10hipError_tPvRmT3_T4_T5_T6_T7_T9_mT8_P12ihipStream_tbDpT10_ENKUlT_T0_E_clISt17integral_constantIbLb1EES18_EEDaS13_S14_EUlS13_E_NS1_11comp_targetILNS1_3genE3ELNS1_11target_archE908ELNS1_3gpuE7ELNS1_3repE0EEENS1_30default_config_static_selectorELNS0_4arch9wavefront6targetE0EEEvT1_,@function
_ZN7rocprim17ROCPRIM_400000_NS6detail17trampoline_kernelINS0_14default_configENS1_25partition_config_selectorILNS1_17partition_subalgoE9EjjbEEZZNS1_14partition_implILS5_9ELb0ES3_jN6thrust23THRUST_200600_302600_NS6detail15normal_iteratorINS9_10device_ptrIjEEEESE_PNS0_10empty_typeENS0_5tupleIJSE_SF_EEENSH_IJSE_SG_EEENS0_18inequality_wrapperINS9_8equal_toIjEEEEPmJSF_EEE10hipError_tPvRmT3_T4_T5_T6_T7_T9_mT8_P12ihipStream_tbDpT10_ENKUlT_T0_E_clISt17integral_constantIbLb1EES18_EEDaS13_S14_EUlS13_E_NS1_11comp_targetILNS1_3genE3ELNS1_11target_archE908ELNS1_3gpuE7ELNS1_3repE0EEENS1_30default_config_static_selectorELNS0_4arch9wavefront6targetE0EEEvT1_: ; @_ZN7rocprim17ROCPRIM_400000_NS6detail17trampoline_kernelINS0_14default_configENS1_25partition_config_selectorILNS1_17partition_subalgoE9EjjbEEZZNS1_14partition_implILS5_9ELb0ES3_jN6thrust23THRUST_200600_302600_NS6detail15normal_iteratorINS9_10device_ptrIjEEEESE_PNS0_10empty_typeENS0_5tupleIJSE_SF_EEENSH_IJSE_SG_EEENS0_18inequality_wrapperINS9_8equal_toIjEEEEPmJSF_EEE10hipError_tPvRmT3_T4_T5_T6_T7_T9_mT8_P12ihipStream_tbDpT10_ENKUlT_T0_E_clISt17integral_constantIbLb1EES18_EEDaS13_S14_EUlS13_E_NS1_11comp_targetILNS1_3genE3ELNS1_11target_archE908ELNS1_3gpuE7ELNS1_3repE0EEENS1_30default_config_static_selectorELNS0_4arch9wavefront6targetE0EEEvT1_
; %bb.0:
	.section	.rodata,"a",@progbits
	.p2align	6, 0x0
	.amdhsa_kernel _ZN7rocprim17ROCPRIM_400000_NS6detail17trampoline_kernelINS0_14default_configENS1_25partition_config_selectorILNS1_17partition_subalgoE9EjjbEEZZNS1_14partition_implILS5_9ELb0ES3_jN6thrust23THRUST_200600_302600_NS6detail15normal_iteratorINS9_10device_ptrIjEEEESE_PNS0_10empty_typeENS0_5tupleIJSE_SF_EEENSH_IJSE_SG_EEENS0_18inequality_wrapperINS9_8equal_toIjEEEEPmJSF_EEE10hipError_tPvRmT3_T4_T5_T6_T7_T9_mT8_P12ihipStream_tbDpT10_ENKUlT_T0_E_clISt17integral_constantIbLb1EES18_EEDaS13_S14_EUlS13_E_NS1_11comp_targetILNS1_3genE3ELNS1_11target_archE908ELNS1_3gpuE7ELNS1_3repE0EEENS1_30default_config_static_selectorELNS0_4arch9wavefront6targetE0EEEvT1_
		.amdhsa_group_segment_fixed_size 0
		.amdhsa_private_segment_fixed_size 0
		.amdhsa_kernarg_size 128
		.amdhsa_user_sgpr_count 15
		.amdhsa_user_sgpr_dispatch_ptr 0
		.amdhsa_user_sgpr_queue_ptr 0
		.amdhsa_user_sgpr_kernarg_segment_ptr 1
		.amdhsa_user_sgpr_dispatch_id 0
		.amdhsa_user_sgpr_private_segment_size 0
		.amdhsa_wavefront_size32 1
		.amdhsa_uses_dynamic_stack 0
		.amdhsa_enable_private_segment 0
		.amdhsa_system_sgpr_workgroup_id_x 1
		.amdhsa_system_sgpr_workgroup_id_y 0
		.amdhsa_system_sgpr_workgroup_id_z 0
		.amdhsa_system_sgpr_workgroup_info 0
		.amdhsa_system_vgpr_workitem_id 0
		.amdhsa_next_free_vgpr 1
		.amdhsa_next_free_sgpr 1
		.amdhsa_reserve_vcc 0
		.amdhsa_float_round_mode_32 0
		.amdhsa_float_round_mode_16_64 0
		.amdhsa_float_denorm_mode_32 3
		.amdhsa_float_denorm_mode_16_64 3
		.amdhsa_dx10_clamp 1
		.amdhsa_ieee_mode 1
		.amdhsa_fp16_overflow 0
		.amdhsa_workgroup_processor_mode 1
		.amdhsa_memory_ordered 1
		.amdhsa_forward_progress 0
		.amdhsa_shared_vgpr_count 0
		.amdhsa_exception_fp_ieee_invalid_op 0
		.amdhsa_exception_fp_denorm_src 0
		.amdhsa_exception_fp_ieee_div_zero 0
		.amdhsa_exception_fp_ieee_overflow 0
		.amdhsa_exception_fp_ieee_underflow 0
		.amdhsa_exception_fp_ieee_inexact 0
		.amdhsa_exception_int_div_zero 0
	.end_amdhsa_kernel
	.section	.text._ZN7rocprim17ROCPRIM_400000_NS6detail17trampoline_kernelINS0_14default_configENS1_25partition_config_selectorILNS1_17partition_subalgoE9EjjbEEZZNS1_14partition_implILS5_9ELb0ES3_jN6thrust23THRUST_200600_302600_NS6detail15normal_iteratorINS9_10device_ptrIjEEEESE_PNS0_10empty_typeENS0_5tupleIJSE_SF_EEENSH_IJSE_SG_EEENS0_18inequality_wrapperINS9_8equal_toIjEEEEPmJSF_EEE10hipError_tPvRmT3_T4_T5_T6_T7_T9_mT8_P12ihipStream_tbDpT10_ENKUlT_T0_E_clISt17integral_constantIbLb1EES18_EEDaS13_S14_EUlS13_E_NS1_11comp_targetILNS1_3genE3ELNS1_11target_archE908ELNS1_3gpuE7ELNS1_3repE0EEENS1_30default_config_static_selectorELNS0_4arch9wavefront6targetE0EEEvT1_,"axG",@progbits,_ZN7rocprim17ROCPRIM_400000_NS6detail17trampoline_kernelINS0_14default_configENS1_25partition_config_selectorILNS1_17partition_subalgoE9EjjbEEZZNS1_14partition_implILS5_9ELb0ES3_jN6thrust23THRUST_200600_302600_NS6detail15normal_iteratorINS9_10device_ptrIjEEEESE_PNS0_10empty_typeENS0_5tupleIJSE_SF_EEENSH_IJSE_SG_EEENS0_18inequality_wrapperINS9_8equal_toIjEEEEPmJSF_EEE10hipError_tPvRmT3_T4_T5_T6_T7_T9_mT8_P12ihipStream_tbDpT10_ENKUlT_T0_E_clISt17integral_constantIbLb1EES18_EEDaS13_S14_EUlS13_E_NS1_11comp_targetILNS1_3genE3ELNS1_11target_archE908ELNS1_3gpuE7ELNS1_3repE0EEENS1_30default_config_static_selectorELNS0_4arch9wavefront6targetE0EEEvT1_,comdat
.Lfunc_end221:
	.size	_ZN7rocprim17ROCPRIM_400000_NS6detail17trampoline_kernelINS0_14default_configENS1_25partition_config_selectorILNS1_17partition_subalgoE9EjjbEEZZNS1_14partition_implILS5_9ELb0ES3_jN6thrust23THRUST_200600_302600_NS6detail15normal_iteratorINS9_10device_ptrIjEEEESE_PNS0_10empty_typeENS0_5tupleIJSE_SF_EEENSH_IJSE_SG_EEENS0_18inequality_wrapperINS9_8equal_toIjEEEEPmJSF_EEE10hipError_tPvRmT3_T4_T5_T6_T7_T9_mT8_P12ihipStream_tbDpT10_ENKUlT_T0_E_clISt17integral_constantIbLb1EES18_EEDaS13_S14_EUlS13_E_NS1_11comp_targetILNS1_3genE3ELNS1_11target_archE908ELNS1_3gpuE7ELNS1_3repE0EEENS1_30default_config_static_selectorELNS0_4arch9wavefront6targetE0EEEvT1_, .Lfunc_end221-_ZN7rocprim17ROCPRIM_400000_NS6detail17trampoline_kernelINS0_14default_configENS1_25partition_config_selectorILNS1_17partition_subalgoE9EjjbEEZZNS1_14partition_implILS5_9ELb0ES3_jN6thrust23THRUST_200600_302600_NS6detail15normal_iteratorINS9_10device_ptrIjEEEESE_PNS0_10empty_typeENS0_5tupleIJSE_SF_EEENSH_IJSE_SG_EEENS0_18inequality_wrapperINS9_8equal_toIjEEEEPmJSF_EEE10hipError_tPvRmT3_T4_T5_T6_T7_T9_mT8_P12ihipStream_tbDpT10_ENKUlT_T0_E_clISt17integral_constantIbLb1EES18_EEDaS13_S14_EUlS13_E_NS1_11comp_targetILNS1_3genE3ELNS1_11target_archE908ELNS1_3gpuE7ELNS1_3repE0EEENS1_30default_config_static_selectorELNS0_4arch9wavefront6targetE0EEEvT1_
                                        ; -- End function
	.section	.AMDGPU.csdata,"",@progbits
; Kernel info:
; codeLenInByte = 0
; NumSgprs: 0
; NumVgprs: 0
; ScratchSize: 0
; MemoryBound: 0
; FloatMode: 240
; IeeeMode: 1
; LDSByteSize: 0 bytes/workgroup (compile time only)
; SGPRBlocks: 0
; VGPRBlocks: 0
; NumSGPRsForWavesPerEU: 1
; NumVGPRsForWavesPerEU: 1
; Occupancy: 16
; WaveLimiterHint : 0
; COMPUTE_PGM_RSRC2:SCRATCH_EN: 0
; COMPUTE_PGM_RSRC2:USER_SGPR: 15
; COMPUTE_PGM_RSRC2:TRAP_HANDLER: 0
; COMPUTE_PGM_RSRC2:TGID_X_EN: 1
; COMPUTE_PGM_RSRC2:TGID_Y_EN: 0
; COMPUTE_PGM_RSRC2:TGID_Z_EN: 0
; COMPUTE_PGM_RSRC2:TIDIG_COMP_CNT: 0
	.section	.text._ZN7rocprim17ROCPRIM_400000_NS6detail17trampoline_kernelINS0_14default_configENS1_25partition_config_selectorILNS1_17partition_subalgoE9EjjbEEZZNS1_14partition_implILS5_9ELb0ES3_jN6thrust23THRUST_200600_302600_NS6detail15normal_iteratorINS9_10device_ptrIjEEEESE_PNS0_10empty_typeENS0_5tupleIJSE_SF_EEENSH_IJSE_SG_EEENS0_18inequality_wrapperINS9_8equal_toIjEEEEPmJSF_EEE10hipError_tPvRmT3_T4_T5_T6_T7_T9_mT8_P12ihipStream_tbDpT10_ENKUlT_T0_E_clISt17integral_constantIbLb1EES18_EEDaS13_S14_EUlS13_E_NS1_11comp_targetILNS1_3genE2ELNS1_11target_archE906ELNS1_3gpuE6ELNS1_3repE0EEENS1_30default_config_static_selectorELNS0_4arch9wavefront6targetE0EEEvT1_,"axG",@progbits,_ZN7rocprim17ROCPRIM_400000_NS6detail17trampoline_kernelINS0_14default_configENS1_25partition_config_selectorILNS1_17partition_subalgoE9EjjbEEZZNS1_14partition_implILS5_9ELb0ES3_jN6thrust23THRUST_200600_302600_NS6detail15normal_iteratorINS9_10device_ptrIjEEEESE_PNS0_10empty_typeENS0_5tupleIJSE_SF_EEENSH_IJSE_SG_EEENS0_18inequality_wrapperINS9_8equal_toIjEEEEPmJSF_EEE10hipError_tPvRmT3_T4_T5_T6_T7_T9_mT8_P12ihipStream_tbDpT10_ENKUlT_T0_E_clISt17integral_constantIbLb1EES18_EEDaS13_S14_EUlS13_E_NS1_11comp_targetILNS1_3genE2ELNS1_11target_archE906ELNS1_3gpuE6ELNS1_3repE0EEENS1_30default_config_static_selectorELNS0_4arch9wavefront6targetE0EEEvT1_,comdat
	.protected	_ZN7rocprim17ROCPRIM_400000_NS6detail17trampoline_kernelINS0_14default_configENS1_25partition_config_selectorILNS1_17partition_subalgoE9EjjbEEZZNS1_14partition_implILS5_9ELb0ES3_jN6thrust23THRUST_200600_302600_NS6detail15normal_iteratorINS9_10device_ptrIjEEEESE_PNS0_10empty_typeENS0_5tupleIJSE_SF_EEENSH_IJSE_SG_EEENS0_18inequality_wrapperINS9_8equal_toIjEEEEPmJSF_EEE10hipError_tPvRmT3_T4_T5_T6_T7_T9_mT8_P12ihipStream_tbDpT10_ENKUlT_T0_E_clISt17integral_constantIbLb1EES18_EEDaS13_S14_EUlS13_E_NS1_11comp_targetILNS1_3genE2ELNS1_11target_archE906ELNS1_3gpuE6ELNS1_3repE0EEENS1_30default_config_static_selectorELNS0_4arch9wavefront6targetE0EEEvT1_ ; -- Begin function _ZN7rocprim17ROCPRIM_400000_NS6detail17trampoline_kernelINS0_14default_configENS1_25partition_config_selectorILNS1_17partition_subalgoE9EjjbEEZZNS1_14partition_implILS5_9ELb0ES3_jN6thrust23THRUST_200600_302600_NS6detail15normal_iteratorINS9_10device_ptrIjEEEESE_PNS0_10empty_typeENS0_5tupleIJSE_SF_EEENSH_IJSE_SG_EEENS0_18inequality_wrapperINS9_8equal_toIjEEEEPmJSF_EEE10hipError_tPvRmT3_T4_T5_T6_T7_T9_mT8_P12ihipStream_tbDpT10_ENKUlT_T0_E_clISt17integral_constantIbLb1EES18_EEDaS13_S14_EUlS13_E_NS1_11comp_targetILNS1_3genE2ELNS1_11target_archE906ELNS1_3gpuE6ELNS1_3repE0EEENS1_30default_config_static_selectorELNS0_4arch9wavefront6targetE0EEEvT1_
	.globl	_ZN7rocprim17ROCPRIM_400000_NS6detail17trampoline_kernelINS0_14default_configENS1_25partition_config_selectorILNS1_17partition_subalgoE9EjjbEEZZNS1_14partition_implILS5_9ELb0ES3_jN6thrust23THRUST_200600_302600_NS6detail15normal_iteratorINS9_10device_ptrIjEEEESE_PNS0_10empty_typeENS0_5tupleIJSE_SF_EEENSH_IJSE_SG_EEENS0_18inequality_wrapperINS9_8equal_toIjEEEEPmJSF_EEE10hipError_tPvRmT3_T4_T5_T6_T7_T9_mT8_P12ihipStream_tbDpT10_ENKUlT_T0_E_clISt17integral_constantIbLb1EES18_EEDaS13_S14_EUlS13_E_NS1_11comp_targetILNS1_3genE2ELNS1_11target_archE906ELNS1_3gpuE6ELNS1_3repE0EEENS1_30default_config_static_selectorELNS0_4arch9wavefront6targetE0EEEvT1_
	.p2align	8
	.type	_ZN7rocprim17ROCPRIM_400000_NS6detail17trampoline_kernelINS0_14default_configENS1_25partition_config_selectorILNS1_17partition_subalgoE9EjjbEEZZNS1_14partition_implILS5_9ELb0ES3_jN6thrust23THRUST_200600_302600_NS6detail15normal_iteratorINS9_10device_ptrIjEEEESE_PNS0_10empty_typeENS0_5tupleIJSE_SF_EEENSH_IJSE_SG_EEENS0_18inequality_wrapperINS9_8equal_toIjEEEEPmJSF_EEE10hipError_tPvRmT3_T4_T5_T6_T7_T9_mT8_P12ihipStream_tbDpT10_ENKUlT_T0_E_clISt17integral_constantIbLb1EES18_EEDaS13_S14_EUlS13_E_NS1_11comp_targetILNS1_3genE2ELNS1_11target_archE906ELNS1_3gpuE6ELNS1_3repE0EEENS1_30default_config_static_selectorELNS0_4arch9wavefront6targetE0EEEvT1_,@function
_ZN7rocprim17ROCPRIM_400000_NS6detail17trampoline_kernelINS0_14default_configENS1_25partition_config_selectorILNS1_17partition_subalgoE9EjjbEEZZNS1_14partition_implILS5_9ELb0ES3_jN6thrust23THRUST_200600_302600_NS6detail15normal_iteratorINS9_10device_ptrIjEEEESE_PNS0_10empty_typeENS0_5tupleIJSE_SF_EEENSH_IJSE_SG_EEENS0_18inequality_wrapperINS9_8equal_toIjEEEEPmJSF_EEE10hipError_tPvRmT3_T4_T5_T6_T7_T9_mT8_P12ihipStream_tbDpT10_ENKUlT_T0_E_clISt17integral_constantIbLb1EES18_EEDaS13_S14_EUlS13_E_NS1_11comp_targetILNS1_3genE2ELNS1_11target_archE906ELNS1_3gpuE6ELNS1_3repE0EEENS1_30default_config_static_selectorELNS0_4arch9wavefront6targetE0EEEvT1_: ; @_ZN7rocprim17ROCPRIM_400000_NS6detail17trampoline_kernelINS0_14default_configENS1_25partition_config_selectorILNS1_17partition_subalgoE9EjjbEEZZNS1_14partition_implILS5_9ELb0ES3_jN6thrust23THRUST_200600_302600_NS6detail15normal_iteratorINS9_10device_ptrIjEEEESE_PNS0_10empty_typeENS0_5tupleIJSE_SF_EEENSH_IJSE_SG_EEENS0_18inequality_wrapperINS9_8equal_toIjEEEEPmJSF_EEE10hipError_tPvRmT3_T4_T5_T6_T7_T9_mT8_P12ihipStream_tbDpT10_ENKUlT_T0_E_clISt17integral_constantIbLb1EES18_EEDaS13_S14_EUlS13_E_NS1_11comp_targetILNS1_3genE2ELNS1_11target_archE906ELNS1_3gpuE6ELNS1_3repE0EEENS1_30default_config_static_selectorELNS0_4arch9wavefront6targetE0EEEvT1_
; %bb.0:
	.section	.rodata,"a",@progbits
	.p2align	6, 0x0
	.amdhsa_kernel _ZN7rocprim17ROCPRIM_400000_NS6detail17trampoline_kernelINS0_14default_configENS1_25partition_config_selectorILNS1_17partition_subalgoE9EjjbEEZZNS1_14partition_implILS5_9ELb0ES3_jN6thrust23THRUST_200600_302600_NS6detail15normal_iteratorINS9_10device_ptrIjEEEESE_PNS0_10empty_typeENS0_5tupleIJSE_SF_EEENSH_IJSE_SG_EEENS0_18inequality_wrapperINS9_8equal_toIjEEEEPmJSF_EEE10hipError_tPvRmT3_T4_T5_T6_T7_T9_mT8_P12ihipStream_tbDpT10_ENKUlT_T0_E_clISt17integral_constantIbLb1EES18_EEDaS13_S14_EUlS13_E_NS1_11comp_targetILNS1_3genE2ELNS1_11target_archE906ELNS1_3gpuE6ELNS1_3repE0EEENS1_30default_config_static_selectorELNS0_4arch9wavefront6targetE0EEEvT1_
		.amdhsa_group_segment_fixed_size 0
		.amdhsa_private_segment_fixed_size 0
		.amdhsa_kernarg_size 128
		.amdhsa_user_sgpr_count 15
		.amdhsa_user_sgpr_dispatch_ptr 0
		.amdhsa_user_sgpr_queue_ptr 0
		.amdhsa_user_sgpr_kernarg_segment_ptr 1
		.amdhsa_user_sgpr_dispatch_id 0
		.amdhsa_user_sgpr_private_segment_size 0
		.amdhsa_wavefront_size32 1
		.amdhsa_uses_dynamic_stack 0
		.amdhsa_enable_private_segment 0
		.amdhsa_system_sgpr_workgroup_id_x 1
		.amdhsa_system_sgpr_workgroup_id_y 0
		.amdhsa_system_sgpr_workgroup_id_z 0
		.amdhsa_system_sgpr_workgroup_info 0
		.amdhsa_system_vgpr_workitem_id 0
		.amdhsa_next_free_vgpr 1
		.amdhsa_next_free_sgpr 1
		.amdhsa_reserve_vcc 0
		.amdhsa_float_round_mode_32 0
		.amdhsa_float_round_mode_16_64 0
		.amdhsa_float_denorm_mode_32 3
		.amdhsa_float_denorm_mode_16_64 3
		.amdhsa_dx10_clamp 1
		.amdhsa_ieee_mode 1
		.amdhsa_fp16_overflow 0
		.amdhsa_workgroup_processor_mode 1
		.amdhsa_memory_ordered 1
		.amdhsa_forward_progress 0
		.amdhsa_shared_vgpr_count 0
		.amdhsa_exception_fp_ieee_invalid_op 0
		.amdhsa_exception_fp_denorm_src 0
		.amdhsa_exception_fp_ieee_div_zero 0
		.amdhsa_exception_fp_ieee_overflow 0
		.amdhsa_exception_fp_ieee_underflow 0
		.amdhsa_exception_fp_ieee_inexact 0
		.amdhsa_exception_int_div_zero 0
	.end_amdhsa_kernel
	.section	.text._ZN7rocprim17ROCPRIM_400000_NS6detail17trampoline_kernelINS0_14default_configENS1_25partition_config_selectorILNS1_17partition_subalgoE9EjjbEEZZNS1_14partition_implILS5_9ELb0ES3_jN6thrust23THRUST_200600_302600_NS6detail15normal_iteratorINS9_10device_ptrIjEEEESE_PNS0_10empty_typeENS0_5tupleIJSE_SF_EEENSH_IJSE_SG_EEENS0_18inequality_wrapperINS9_8equal_toIjEEEEPmJSF_EEE10hipError_tPvRmT3_T4_T5_T6_T7_T9_mT8_P12ihipStream_tbDpT10_ENKUlT_T0_E_clISt17integral_constantIbLb1EES18_EEDaS13_S14_EUlS13_E_NS1_11comp_targetILNS1_3genE2ELNS1_11target_archE906ELNS1_3gpuE6ELNS1_3repE0EEENS1_30default_config_static_selectorELNS0_4arch9wavefront6targetE0EEEvT1_,"axG",@progbits,_ZN7rocprim17ROCPRIM_400000_NS6detail17trampoline_kernelINS0_14default_configENS1_25partition_config_selectorILNS1_17partition_subalgoE9EjjbEEZZNS1_14partition_implILS5_9ELb0ES3_jN6thrust23THRUST_200600_302600_NS6detail15normal_iteratorINS9_10device_ptrIjEEEESE_PNS0_10empty_typeENS0_5tupleIJSE_SF_EEENSH_IJSE_SG_EEENS0_18inequality_wrapperINS9_8equal_toIjEEEEPmJSF_EEE10hipError_tPvRmT3_T4_T5_T6_T7_T9_mT8_P12ihipStream_tbDpT10_ENKUlT_T0_E_clISt17integral_constantIbLb1EES18_EEDaS13_S14_EUlS13_E_NS1_11comp_targetILNS1_3genE2ELNS1_11target_archE906ELNS1_3gpuE6ELNS1_3repE0EEENS1_30default_config_static_selectorELNS0_4arch9wavefront6targetE0EEEvT1_,comdat
.Lfunc_end222:
	.size	_ZN7rocprim17ROCPRIM_400000_NS6detail17trampoline_kernelINS0_14default_configENS1_25partition_config_selectorILNS1_17partition_subalgoE9EjjbEEZZNS1_14partition_implILS5_9ELb0ES3_jN6thrust23THRUST_200600_302600_NS6detail15normal_iteratorINS9_10device_ptrIjEEEESE_PNS0_10empty_typeENS0_5tupleIJSE_SF_EEENSH_IJSE_SG_EEENS0_18inequality_wrapperINS9_8equal_toIjEEEEPmJSF_EEE10hipError_tPvRmT3_T4_T5_T6_T7_T9_mT8_P12ihipStream_tbDpT10_ENKUlT_T0_E_clISt17integral_constantIbLb1EES18_EEDaS13_S14_EUlS13_E_NS1_11comp_targetILNS1_3genE2ELNS1_11target_archE906ELNS1_3gpuE6ELNS1_3repE0EEENS1_30default_config_static_selectorELNS0_4arch9wavefront6targetE0EEEvT1_, .Lfunc_end222-_ZN7rocprim17ROCPRIM_400000_NS6detail17trampoline_kernelINS0_14default_configENS1_25partition_config_selectorILNS1_17partition_subalgoE9EjjbEEZZNS1_14partition_implILS5_9ELb0ES3_jN6thrust23THRUST_200600_302600_NS6detail15normal_iteratorINS9_10device_ptrIjEEEESE_PNS0_10empty_typeENS0_5tupleIJSE_SF_EEENSH_IJSE_SG_EEENS0_18inequality_wrapperINS9_8equal_toIjEEEEPmJSF_EEE10hipError_tPvRmT3_T4_T5_T6_T7_T9_mT8_P12ihipStream_tbDpT10_ENKUlT_T0_E_clISt17integral_constantIbLb1EES18_EEDaS13_S14_EUlS13_E_NS1_11comp_targetILNS1_3genE2ELNS1_11target_archE906ELNS1_3gpuE6ELNS1_3repE0EEENS1_30default_config_static_selectorELNS0_4arch9wavefront6targetE0EEEvT1_
                                        ; -- End function
	.section	.AMDGPU.csdata,"",@progbits
; Kernel info:
; codeLenInByte = 0
; NumSgprs: 0
; NumVgprs: 0
; ScratchSize: 0
; MemoryBound: 0
; FloatMode: 240
; IeeeMode: 1
; LDSByteSize: 0 bytes/workgroup (compile time only)
; SGPRBlocks: 0
; VGPRBlocks: 0
; NumSGPRsForWavesPerEU: 1
; NumVGPRsForWavesPerEU: 1
; Occupancy: 16
; WaveLimiterHint : 0
; COMPUTE_PGM_RSRC2:SCRATCH_EN: 0
; COMPUTE_PGM_RSRC2:USER_SGPR: 15
; COMPUTE_PGM_RSRC2:TRAP_HANDLER: 0
; COMPUTE_PGM_RSRC2:TGID_X_EN: 1
; COMPUTE_PGM_RSRC2:TGID_Y_EN: 0
; COMPUTE_PGM_RSRC2:TGID_Z_EN: 0
; COMPUTE_PGM_RSRC2:TIDIG_COMP_CNT: 0
	.section	.text._ZN7rocprim17ROCPRIM_400000_NS6detail17trampoline_kernelINS0_14default_configENS1_25partition_config_selectorILNS1_17partition_subalgoE9EjjbEEZZNS1_14partition_implILS5_9ELb0ES3_jN6thrust23THRUST_200600_302600_NS6detail15normal_iteratorINS9_10device_ptrIjEEEESE_PNS0_10empty_typeENS0_5tupleIJSE_SF_EEENSH_IJSE_SG_EEENS0_18inequality_wrapperINS9_8equal_toIjEEEEPmJSF_EEE10hipError_tPvRmT3_T4_T5_T6_T7_T9_mT8_P12ihipStream_tbDpT10_ENKUlT_T0_E_clISt17integral_constantIbLb1EES18_EEDaS13_S14_EUlS13_E_NS1_11comp_targetILNS1_3genE10ELNS1_11target_archE1200ELNS1_3gpuE4ELNS1_3repE0EEENS1_30default_config_static_selectorELNS0_4arch9wavefront6targetE0EEEvT1_,"axG",@progbits,_ZN7rocprim17ROCPRIM_400000_NS6detail17trampoline_kernelINS0_14default_configENS1_25partition_config_selectorILNS1_17partition_subalgoE9EjjbEEZZNS1_14partition_implILS5_9ELb0ES3_jN6thrust23THRUST_200600_302600_NS6detail15normal_iteratorINS9_10device_ptrIjEEEESE_PNS0_10empty_typeENS0_5tupleIJSE_SF_EEENSH_IJSE_SG_EEENS0_18inequality_wrapperINS9_8equal_toIjEEEEPmJSF_EEE10hipError_tPvRmT3_T4_T5_T6_T7_T9_mT8_P12ihipStream_tbDpT10_ENKUlT_T0_E_clISt17integral_constantIbLb1EES18_EEDaS13_S14_EUlS13_E_NS1_11comp_targetILNS1_3genE10ELNS1_11target_archE1200ELNS1_3gpuE4ELNS1_3repE0EEENS1_30default_config_static_selectorELNS0_4arch9wavefront6targetE0EEEvT1_,comdat
	.protected	_ZN7rocprim17ROCPRIM_400000_NS6detail17trampoline_kernelINS0_14default_configENS1_25partition_config_selectorILNS1_17partition_subalgoE9EjjbEEZZNS1_14partition_implILS5_9ELb0ES3_jN6thrust23THRUST_200600_302600_NS6detail15normal_iteratorINS9_10device_ptrIjEEEESE_PNS0_10empty_typeENS0_5tupleIJSE_SF_EEENSH_IJSE_SG_EEENS0_18inequality_wrapperINS9_8equal_toIjEEEEPmJSF_EEE10hipError_tPvRmT3_T4_T5_T6_T7_T9_mT8_P12ihipStream_tbDpT10_ENKUlT_T0_E_clISt17integral_constantIbLb1EES18_EEDaS13_S14_EUlS13_E_NS1_11comp_targetILNS1_3genE10ELNS1_11target_archE1200ELNS1_3gpuE4ELNS1_3repE0EEENS1_30default_config_static_selectorELNS0_4arch9wavefront6targetE0EEEvT1_ ; -- Begin function _ZN7rocprim17ROCPRIM_400000_NS6detail17trampoline_kernelINS0_14default_configENS1_25partition_config_selectorILNS1_17partition_subalgoE9EjjbEEZZNS1_14partition_implILS5_9ELb0ES3_jN6thrust23THRUST_200600_302600_NS6detail15normal_iteratorINS9_10device_ptrIjEEEESE_PNS0_10empty_typeENS0_5tupleIJSE_SF_EEENSH_IJSE_SG_EEENS0_18inequality_wrapperINS9_8equal_toIjEEEEPmJSF_EEE10hipError_tPvRmT3_T4_T5_T6_T7_T9_mT8_P12ihipStream_tbDpT10_ENKUlT_T0_E_clISt17integral_constantIbLb1EES18_EEDaS13_S14_EUlS13_E_NS1_11comp_targetILNS1_3genE10ELNS1_11target_archE1200ELNS1_3gpuE4ELNS1_3repE0EEENS1_30default_config_static_selectorELNS0_4arch9wavefront6targetE0EEEvT1_
	.globl	_ZN7rocprim17ROCPRIM_400000_NS6detail17trampoline_kernelINS0_14default_configENS1_25partition_config_selectorILNS1_17partition_subalgoE9EjjbEEZZNS1_14partition_implILS5_9ELb0ES3_jN6thrust23THRUST_200600_302600_NS6detail15normal_iteratorINS9_10device_ptrIjEEEESE_PNS0_10empty_typeENS0_5tupleIJSE_SF_EEENSH_IJSE_SG_EEENS0_18inequality_wrapperINS9_8equal_toIjEEEEPmJSF_EEE10hipError_tPvRmT3_T4_T5_T6_T7_T9_mT8_P12ihipStream_tbDpT10_ENKUlT_T0_E_clISt17integral_constantIbLb1EES18_EEDaS13_S14_EUlS13_E_NS1_11comp_targetILNS1_3genE10ELNS1_11target_archE1200ELNS1_3gpuE4ELNS1_3repE0EEENS1_30default_config_static_selectorELNS0_4arch9wavefront6targetE0EEEvT1_
	.p2align	8
	.type	_ZN7rocprim17ROCPRIM_400000_NS6detail17trampoline_kernelINS0_14default_configENS1_25partition_config_selectorILNS1_17partition_subalgoE9EjjbEEZZNS1_14partition_implILS5_9ELb0ES3_jN6thrust23THRUST_200600_302600_NS6detail15normal_iteratorINS9_10device_ptrIjEEEESE_PNS0_10empty_typeENS0_5tupleIJSE_SF_EEENSH_IJSE_SG_EEENS0_18inequality_wrapperINS9_8equal_toIjEEEEPmJSF_EEE10hipError_tPvRmT3_T4_T5_T6_T7_T9_mT8_P12ihipStream_tbDpT10_ENKUlT_T0_E_clISt17integral_constantIbLb1EES18_EEDaS13_S14_EUlS13_E_NS1_11comp_targetILNS1_3genE10ELNS1_11target_archE1200ELNS1_3gpuE4ELNS1_3repE0EEENS1_30default_config_static_selectorELNS0_4arch9wavefront6targetE0EEEvT1_,@function
_ZN7rocprim17ROCPRIM_400000_NS6detail17trampoline_kernelINS0_14default_configENS1_25partition_config_selectorILNS1_17partition_subalgoE9EjjbEEZZNS1_14partition_implILS5_9ELb0ES3_jN6thrust23THRUST_200600_302600_NS6detail15normal_iteratorINS9_10device_ptrIjEEEESE_PNS0_10empty_typeENS0_5tupleIJSE_SF_EEENSH_IJSE_SG_EEENS0_18inequality_wrapperINS9_8equal_toIjEEEEPmJSF_EEE10hipError_tPvRmT3_T4_T5_T6_T7_T9_mT8_P12ihipStream_tbDpT10_ENKUlT_T0_E_clISt17integral_constantIbLb1EES18_EEDaS13_S14_EUlS13_E_NS1_11comp_targetILNS1_3genE10ELNS1_11target_archE1200ELNS1_3gpuE4ELNS1_3repE0EEENS1_30default_config_static_selectorELNS0_4arch9wavefront6targetE0EEEvT1_: ; @_ZN7rocprim17ROCPRIM_400000_NS6detail17trampoline_kernelINS0_14default_configENS1_25partition_config_selectorILNS1_17partition_subalgoE9EjjbEEZZNS1_14partition_implILS5_9ELb0ES3_jN6thrust23THRUST_200600_302600_NS6detail15normal_iteratorINS9_10device_ptrIjEEEESE_PNS0_10empty_typeENS0_5tupleIJSE_SF_EEENSH_IJSE_SG_EEENS0_18inequality_wrapperINS9_8equal_toIjEEEEPmJSF_EEE10hipError_tPvRmT3_T4_T5_T6_T7_T9_mT8_P12ihipStream_tbDpT10_ENKUlT_T0_E_clISt17integral_constantIbLb1EES18_EEDaS13_S14_EUlS13_E_NS1_11comp_targetILNS1_3genE10ELNS1_11target_archE1200ELNS1_3gpuE4ELNS1_3repE0EEENS1_30default_config_static_selectorELNS0_4arch9wavefront6targetE0EEEvT1_
; %bb.0:
	.section	.rodata,"a",@progbits
	.p2align	6, 0x0
	.amdhsa_kernel _ZN7rocprim17ROCPRIM_400000_NS6detail17trampoline_kernelINS0_14default_configENS1_25partition_config_selectorILNS1_17partition_subalgoE9EjjbEEZZNS1_14partition_implILS5_9ELb0ES3_jN6thrust23THRUST_200600_302600_NS6detail15normal_iteratorINS9_10device_ptrIjEEEESE_PNS0_10empty_typeENS0_5tupleIJSE_SF_EEENSH_IJSE_SG_EEENS0_18inequality_wrapperINS9_8equal_toIjEEEEPmJSF_EEE10hipError_tPvRmT3_T4_T5_T6_T7_T9_mT8_P12ihipStream_tbDpT10_ENKUlT_T0_E_clISt17integral_constantIbLb1EES18_EEDaS13_S14_EUlS13_E_NS1_11comp_targetILNS1_3genE10ELNS1_11target_archE1200ELNS1_3gpuE4ELNS1_3repE0EEENS1_30default_config_static_selectorELNS0_4arch9wavefront6targetE0EEEvT1_
		.amdhsa_group_segment_fixed_size 0
		.amdhsa_private_segment_fixed_size 0
		.amdhsa_kernarg_size 128
		.amdhsa_user_sgpr_count 15
		.amdhsa_user_sgpr_dispatch_ptr 0
		.amdhsa_user_sgpr_queue_ptr 0
		.amdhsa_user_sgpr_kernarg_segment_ptr 1
		.amdhsa_user_sgpr_dispatch_id 0
		.amdhsa_user_sgpr_private_segment_size 0
		.amdhsa_wavefront_size32 1
		.amdhsa_uses_dynamic_stack 0
		.amdhsa_enable_private_segment 0
		.amdhsa_system_sgpr_workgroup_id_x 1
		.amdhsa_system_sgpr_workgroup_id_y 0
		.amdhsa_system_sgpr_workgroup_id_z 0
		.amdhsa_system_sgpr_workgroup_info 0
		.amdhsa_system_vgpr_workitem_id 0
		.amdhsa_next_free_vgpr 1
		.amdhsa_next_free_sgpr 1
		.amdhsa_reserve_vcc 0
		.amdhsa_float_round_mode_32 0
		.amdhsa_float_round_mode_16_64 0
		.amdhsa_float_denorm_mode_32 3
		.amdhsa_float_denorm_mode_16_64 3
		.amdhsa_dx10_clamp 1
		.amdhsa_ieee_mode 1
		.amdhsa_fp16_overflow 0
		.amdhsa_workgroup_processor_mode 1
		.amdhsa_memory_ordered 1
		.amdhsa_forward_progress 0
		.amdhsa_shared_vgpr_count 0
		.amdhsa_exception_fp_ieee_invalid_op 0
		.amdhsa_exception_fp_denorm_src 0
		.amdhsa_exception_fp_ieee_div_zero 0
		.amdhsa_exception_fp_ieee_overflow 0
		.amdhsa_exception_fp_ieee_underflow 0
		.amdhsa_exception_fp_ieee_inexact 0
		.amdhsa_exception_int_div_zero 0
	.end_amdhsa_kernel
	.section	.text._ZN7rocprim17ROCPRIM_400000_NS6detail17trampoline_kernelINS0_14default_configENS1_25partition_config_selectorILNS1_17partition_subalgoE9EjjbEEZZNS1_14partition_implILS5_9ELb0ES3_jN6thrust23THRUST_200600_302600_NS6detail15normal_iteratorINS9_10device_ptrIjEEEESE_PNS0_10empty_typeENS0_5tupleIJSE_SF_EEENSH_IJSE_SG_EEENS0_18inequality_wrapperINS9_8equal_toIjEEEEPmJSF_EEE10hipError_tPvRmT3_T4_T5_T6_T7_T9_mT8_P12ihipStream_tbDpT10_ENKUlT_T0_E_clISt17integral_constantIbLb1EES18_EEDaS13_S14_EUlS13_E_NS1_11comp_targetILNS1_3genE10ELNS1_11target_archE1200ELNS1_3gpuE4ELNS1_3repE0EEENS1_30default_config_static_selectorELNS0_4arch9wavefront6targetE0EEEvT1_,"axG",@progbits,_ZN7rocprim17ROCPRIM_400000_NS6detail17trampoline_kernelINS0_14default_configENS1_25partition_config_selectorILNS1_17partition_subalgoE9EjjbEEZZNS1_14partition_implILS5_9ELb0ES3_jN6thrust23THRUST_200600_302600_NS6detail15normal_iteratorINS9_10device_ptrIjEEEESE_PNS0_10empty_typeENS0_5tupleIJSE_SF_EEENSH_IJSE_SG_EEENS0_18inequality_wrapperINS9_8equal_toIjEEEEPmJSF_EEE10hipError_tPvRmT3_T4_T5_T6_T7_T9_mT8_P12ihipStream_tbDpT10_ENKUlT_T0_E_clISt17integral_constantIbLb1EES18_EEDaS13_S14_EUlS13_E_NS1_11comp_targetILNS1_3genE10ELNS1_11target_archE1200ELNS1_3gpuE4ELNS1_3repE0EEENS1_30default_config_static_selectorELNS0_4arch9wavefront6targetE0EEEvT1_,comdat
.Lfunc_end223:
	.size	_ZN7rocprim17ROCPRIM_400000_NS6detail17trampoline_kernelINS0_14default_configENS1_25partition_config_selectorILNS1_17partition_subalgoE9EjjbEEZZNS1_14partition_implILS5_9ELb0ES3_jN6thrust23THRUST_200600_302600_NS6detail15normal_iteratorINS9_10device_ptrIjEEEESE_PNS0_10empty_typeENS0_5tupleIJSE_SF_EEENSH_IJSE_SG_EEENS0_18inequality_wrapperINS9_8equal_toIjEEEEPmJSF_EEE10hipError_tPvRmT3_T4_T5_T6_T7_T9_mT8_P12ihipStream_tbDpT10_ENKUlT_T0_E_clISt17integral_constantIbLb1EES18_EEDaS13_S14_EUlS13_E_NS1_11comp_targetILNS1_3genE10ELNS1_11target_archE1200ELNS1_3gpuE4ELNS1_3repE0EEENS1_30default_config_static_selectorELNS0_4arch9wavefront6targetE0EEEvT1_, .Lfunc_end223-_ZN7rocprim17ROCPRIM_400000_NS6detail17trampoline_kernelINS0_14default_configENS1_25partition_config_selectorILNS1_17partition_subalgoE9EjjbEEZZNS1_14partition_implILS5_9ELb0ES3_jN6thrust23THRUST_200600_302600_NS6detail15normal_iteratorINS9_10device_ptrIjEEEESE_PNS0_10empty_typeENS0_5tupleIJSE_SF_EEENSH_IJSE_SG_EEENS0_18inequality_wrapperINS9_8equal_toIjEEEEPmJSF_EEE10hipError_tPvRmT3_T4_T5_T6_T7_T9_mT8_P12ihipStream_tbDpT10_ENKUlT_T0_E_clISt17integral_constantIbLb1EES18_EEDaS13_S14_EUlS13_E_NS1_11comp_targetILNS1_3genE10ELNS1_11target_archE1200ELNS1_3gpuE4ELNS1_3repE0EEENS1_30default_config_static_selectorELNS0_4arch9wavefront6targetE0EEEvT1_
                                        ; -- End function
	.section	.AMDGPU.csdata,"",@progbits
; Kernel info:
; codeLenInByte = 0
; NumSgprs: 0
; NumVgprs: 0
; ScratchSize: 0
; MemoryBound: 0
; FloatMode: 240
; IeeeMode: 1
; LDSByteSize: 0 bytes/workgroup (compile time only)
; SGPRBlocks: 0
; VGPRBlocks: 0
; NumSGPRsForWavesPerEU: 1
; NumVGPRsForWavesPerEU: 1
; Occupancy: 15
; WaveLimiterHint : 0
; COMPUTE_PGM_RSRC2:SCRATCH_EN: 0
; COMPUTE_PGM_RSRC2:USER_SGPR: 15
; COMPUTE_PGM_RSRC2:TRAP_HANDLER: 0
; COMPUTE_PGM_RSRC2:TGID_X_EN: 1
; COMPUTE_PGM_RSRC2:TGID_Y_EN: 0
; COMPUTE_PGM_RSRC2:TGID_Z_EN: 0
; COMPUTE_PGM_RSRC2:TIDIG_COMP_CNT: 0
	.section	.text._ZN7rocprim17ROCPRIM_400000_NS6detail17trampoline_kernelINS0_14default_configENS1_25partition_config_selectorILNS1_17partition_subalgoE9EjjbEEZZNS1_14partition_implILS5_9ELb0ES3_jN6thrust23THRUST_200600_302600_NS6detail15normal_iteratorINS9_10device_ptrIjEEEESE_PNS0_10empty_typeENS0_5tupleIJSE_SF_EEENSH_IJSE_SG_EEENS0_18inequality_wrapperINS9_8equal_toIjEEEEPmJSF_EEE10hipError_tPvRmT3_T4_T5_T6_T7_T9_mT8_P12ihipStream_tbDpT10_ENKUlT_T0_E_clISt17integral_constantIbLb1EES18_EEDaS13_S14_EUlS13_E_NS1_11comp_targetILNS1_3genE9ELNS1_11target_archE1100ELNS1_3gpuE3ELNS1_3repE0EEENS1_30default_config_static_selectorELNS0_4arch9wavefront6targetE0EEEvT1_,"axG",@progbits,_ZN7rocprim17ROCPRIM_400000_NS6detail17trampoline_kernelINS0_14default_configENS1_25partition_config_selectorILNS1_17partition_subalgoE9EjjbEEZZNS1_14partition_implILS5_9ELb0ES3_jN6thrust23THRUST_200600_302600_NS6detail15normal_iteratorINS9_10device_ptrIjEEEESE_PNS0_10empty_typeENS0_5tupleIJSE_SF_EEENSH_IJSE_SG_EEENS0_18inequality_wrapperINS9_8equal_toIjEEEEPmJSF_EEE10hipError_tPvRmT3_T4_T5_T6_T7_T9_mT8_P12ihipStream_tbDpT10_ENKUlT_T0_E_clISt17integral_constantIbLb1EES18_EEDaS13_S14_EUlS13_E_NS1_11comp_targetILNS1_3genE9ELNS1_11target_archE1100ELNS1_3gpuE3ELNS1_3repE0EEENS1_30default_config_static_selectorELNS0_4arch9wavefront6targetE0EEEvT1_,comdat
	.protected	_ZN7rocprim17ROCPRIM_400000_NS6detail17trampoline_kernelINS0_14default_configENS1_25partition_config_selectorILNS1_17partition_subalgoE9EjjbEEZZNS1_14partition_implILS5_9ELb0ES3_jN6thrust23THRUST_200600_302600_NS6detail15normal_iteratorINS9_10device_ptrIjEEEESE_PNS0_10empty_typeENS0_5tupleIJSE_SF_EEENSH_IJSE_SG_EEENS0_18inequality_wrapperINS9_8equal_toIjEEEEPmJSF_EEE10hipError_tPvRmT3_T4_T5_T6_T7_T9_mT8_P12ihipStream_tbDpT10_ENKUlT_T0_E_clISt17integral_constantIbLb1EES18_EEDaS13_S14_EUlS13_E_NS1_11comp_targetILNS1_3genE9ELNS1_11target_archE1100ELNS1_3gpuE3ELNS1_3repE0EEENS1_30default_config_static_selectorELNS0_4arch9wavefront6targetE0EEEvT1_ ; -- Begin function _ZN7rocprim17ROCPRIM_400000_NS6detail17trampoline_kernelINS0_14default_configENS1_25partition_config_selectorILNS1_17partition_subalgoE9EjjbEEZZNS1_14partition_implILS5_9ELb0ES3_jN6thrust23THRUST_200600_302600_NS6detail15normal_iteratorINS9_10device_ptrIjEEEESE_PNS0_10empty_typeENS0_5tupleIJSE_SF_EEENSH_IJSE_SG_EEENS0_18inequality_wrapperINS9_8equal_toIjEEEEPmJSF_EEE10hipError_tPvRmT3_T4_T5_T6_T7_T9_mT8_P12ihipStream_tbDpT10_ENKUlT_T0_E_clISt17integral_constantIbLb1EES18_EEDaS13_S14_EUlS13_E_NS1_11comp_targetILNS1_3genE9ELNS1_11target_archE1100ELNS1_3gpuE3ELNS1_3repE0EEENS1_30default_config_static_selectorELNS0_4arch9wavefront6targetE0EEEvT1_
	.globl	_ZN7rocprim17ROCPRIM_400000_NS6detail17trampoline_kernelINS0_14default_configENS1_25partition_config_selectorILNS1_17partition_subalgoE9EjjbEEZZNS1_14partition_implILS5_9ELb0ES3_jN6thrust23THRUST_200600_302600_NS6detail15normal_iteratorINS9_10device_ptrIjEEEESE_PNS0_10empty_typeENS0_5tupleIJSE_SF_EEENSH_IJSE_SG_EEENS0_18inequality_wrapperINS9_8equal_toIjEEEEPmJSF_EEE10hipError_tPvRmT3_T4_T5_T6_T7_T9_mT8_P12ihipStream_tbDpT10_ENKUlT_T0_E_clISt17integral_constantIbLb1EES18_EEDaS13_S14_EUlS13_E_NS1_11comp_targetILNS1_3genE9ELNS1_11target_archE1100ELNS1_3gpuE3ELNS1_3repE0EEENS1_30default_config_static_selectorELNS0_4arch9wavefront6targetE0EEEvT1_
	.p2align	8
	.type	_ZN7rocprim17ROCPRIM_400000_NS6detail17trampoline_kernelINS0_14default_configENS1_25partition_config_selectorILNS1_17partition_subalgoE9EjjbEEZZNS1_14partition_implILS5_9ELb0ES3_jN6thrust23THRUST_200600_302600_NS6detail15normal_iteratorINS9_10device_ptrIjEEEESE_PNS0_10empty_typeENS0_5tupleIJSE_SF_EEENSH_IJSE_SG_EEENS0_18inequality_wrapperINS9_8equal_toIjEEEEPmJSF_EEE10hipError_tPvRmT3_T4_T5_T6_T7_T9_mT8_P12ihipStream_tbDpT10_ENKUlT_T0_E_clISt17integral_constantIbLb1EES18_EEDaS13_S14_EUlS13_E_NS1_11comp_targetILNS1_3genE9ELNS1_11target_archE1100ELNS1_3gpuE3ELNS1_3repE0EEENS1_30default_config_static_selectorELNS0_4arch9wavefront6targetE0EEEvT1_,@function
_ZN7rocprim17ROCPRIM_400000_NS6detail17trampoline_kernelINS0_14default_configENS1_25partition_config_selectorILNS1_17partition_subalgoE9EjjbEEZZNS1_14partition_implILS5_9ELb0ES3_jN6thrust23THRUST_200600_302600_NS6detail15normal_iteratorINS9_10device_ptrIjEEEESE_PNS0_10empty_typeENS0_5tupleIJSE_SF_EEENSH_IJSE_SG_EEENS0_18inequality_wrapperINS9_8equal_toIjEEEEPmJSF_EEE10hipError_tPvRmT3_T4_T5_T6_T7_T9_mT8_P12ihipStream_tbDpT10_ENKUlT_T0_E_clISt17integral_constantIbLb1EES18_EEDaS13_S14_EUlS13_E_NS1_11comp_targetILNS1_3genE9ELNS1_11target_archE1100ELNS1_3gpuE3ELNS1_3repE0EEENS1_30default_config_static_selectorELNS0_4arch9wavefront6targetE0EEEvT1_: ; @_ZN7rocprim17ROCPRIM_400000_NS6detail17trampoline_kernelINS0_14default_configENS1_25partition_config_selectorILNS1_17partition_subalgoE9EjjbEEZZNS1_14partition_implILS5_9ELb0ES3_jN6thrust23THRUST_200600_302600_NS6detail15normal_iteratorINS9_10device_ptrIjEEEESE_PNS0_10empty_typeENS0_5tupleIJSE_SF_EEENSH_IJSE_SG_EEENS0_18inequality_wrapperINS9_8equal_toIjEEEEPmJSF_EEE10hipError_tPvRmT3_T4_T5_T6_T7_T9_mT8_P12ihipStream_tbDpT10_ENKUlT_T0_E_clISt17integral_constantIbLb1EES18_EEDaS13_S14_EUlS13_E_NS1_11comp_targetILNS1_3genE9ELNS1_11target_archE1100ELNS1_3gpuE3ELNS1_3repE0EEENS1_30default_config_static_selectorELNS0_4arch9wavefront6targetE0EEEvT1_
; %bb.0:
	s_clause 0x4
	s_load_b128 s[4:7], s[0:1], 0x8
	s_load_b64 s[8:9], s[0:1], 0x18
	s_load_b128 s[12:15], s[0:1], 0x40
	s_load_b64 s[10:11], s[0:1], 0x50
	s_load_b64 s[20:21], s[0:1], 0x60
	v_cmp_ne_u32_e64 s3, 0, v0
	v_cmp_eq_u32_e64 s2, 0, v0
	s_delay_alu instid0(VALU_DEP_1)
	s_and_saveexec_b32 s16, s2
	s_cbranch_execz .LBB224_4
; %bb.1:
	s_mov_b32 s18, exec_lo
	s_mov_b32 s17, exec_lo
	v_mbcnt_lo_u32_b32 v1, s18, 0
                                        ; implicit-def: $vgpr2
	s_delay_alu instid0(VALU_DEP_1)
	v_cmpx_eq_u32_e32 0, v1
	s_cbranch_execz .LBB224_3
; %bb.2:
	s_load_b64 s[22:23], s[0:1], 0x70
	s_bcnt1_i32_b32 s18, s18
	s_delay_alu instid0(SALU_CYCLE_1)
	v_dual_mov_b32 v2, 0 :: v_dual_mov_b32 v3, s18
	s_waitcnt lgkmcnt(0)
	global_atomic_add_u32 v2, v2, v3, s[22:23] glc
.LBB224_3:
	s_or_b32 exec_lo, exec_lo, s17
	s_waitcnt vmcnt(0)
	v_readfirstlane_b32 s17, v2
	s_delay_alu instid0(VALU_DEP_1)
	v_dual_mov_b32 v2, 0 :: v_dual_add_nc_u32 v1, s17, v1
	ds_store_b32 v2, v1
.LBB224_4:
	s_or_b32 exec_lo, exec_lo, s16
	v_dual_mov_b32 v1, 0 :: v_dual_add_nc_u32 v22, 0x300, v0
	s_clause 0x1
	s_load_b128 s[16:19], s[0:1], 0x28
	s_load_b32 s0, s[0:1], 0x68
	s_waitcnt lgkmcnt(0)
	s_barrier
	buffer_gl0_inv
	ds_load_b32 v3, v1
	s_waitcnt lgkmcnt(0)
	s_barrier
	buffer_gl0_inv
	global_load_b64 v[1:2], v1, s[14:15]
	s_lshl_b64 s[14:15], s[6:7], 2
	s_mov_b32 s1, 0
	s_add_u32 s27, s4, s14
	s_addc_u32 s28, s5, s15
	v_lshrrev_b32_e32 v20, 3, v0
	v_add_nc_u32_e32 v25, 0x180, v0
	v_add_nc_u32_e32 v21, 0x480, v0
	v_or_b32_e32 v23, 0x600, v0
	v_add_nc_u32_e32 v18, 0x780, v0
	v_add_nc_u32_e32 v17, 0x900, v0
	;; [unrolled: 1-line block ×3, first 2 shown]
	s_mul_i32 s22, s0, 0xc00
	s_add_i32 s0, s0, -1
	s_add_i32 s4, s22, s6
	s_delay_alu instid0(SALU_CYCLE_1) | instskip(SKIP_4) | instid1(SALU_CYCLE_1)
	s_sub_i32 s25, s10, s4
	v_readfirstlane_b32 s24, v3
	s_addk_i32 s25, 0xc00
	s_add_u32 s4, s6, s22
	s_addc_u32 s5, s7, 0
	v_cmp_ge_u64_e64 s4, s[4:5], s[10:11]
	s_cmp_eq_u32 s24, s0
	s_mul_i32 s0, s24, 0xc00
	s_cselect_b32 s22, -1, 0
	s_delay_alu instid0(VALU_DEP_1) | instid1(SALU_CYCLE_1)
	s_and_b32 s26, s4, s22
	s_lshl_b64 s[4:5], s[0:1], 2
	s_xor_b32 s23, s26, -1
	s_add_u32 s27, s27, s4
	s_addc_u32 s1, s28, s5
	s_and_b32 vcc_lo, exec_lo, s23
	s_mov_b32 s28, -1
	s_waitcnt vmcnt(0)
	v_readfirstlane_b32 s10, v1
	v_readfirstlane_b32 s11, v2
	s_cbranch_vccz .LBB224_6
; %bb.5:
	v_lshlrev_b32_e32 v7, 2, v0
	v_lshrrev_b32_e32 v11, 3, v25
	v_lshrrev_b32_e32 v12, 3, v22
	v_lshrrev_b32_e32 v13, 3, v21
	v_lshrrev_b32_e32 v14, 3, v23
	v_add_co_u32 v1, s0, s27, v7
	s_delay_alu instid0(VALU_DEP_1) | instskip(SKIP_1) | instid1(VALU_DEP_3)
	v_add_co_ci_u32_e64 v2, null, s1, 0, s0
	v_lshrrev_b32_e32 v15, 3, v18
	v_add_co_u32 v3, vcc_lo, 0x1000, v1
	s_delay_alu instid0(VALU_DEP_3)
	v_add_co_ci_u32_e32 v4, vcc_lo, 0, v2, vcc_lo
	v_add_co_u32 v5, vcc_lo, 0x2000, v1
	v_add_co_ci_u32_e32 v6, vcc_lo, 0, v2, vcc_lo
	s_clause 0x7
	flat_load_b32 v8, v[1:2]
	flat_load_b32 v9, v[1:2] offset:1536
	flat_load_b32 v1, v[1:2] offset:3072
	;; [unrolled: 1-line block ×7, first 2 shown]
	v_and_b32_e32 v6, 60, v20
	v_lshrrev_b32_e32 v16, 3, v17
	v_lshrrev_b32_e32 v19, 3, v24
	v_and_b32_e32 v11, 0x7c, v11
	v_and_b32_e32 v12, 0xfc, v12
	;; [unrolled: 1-line block ×4, first 2 shown]
	v_add_nc_u32_e32 v6, v6, v7
	v_and_b32_e32 v15, 0x1fc, v15
	v_and_b32_e32 v16, 0x17c, v16
	;; [unrolled: 1-line block ×3, first 2 shown]
	v_add_nc_u32_e32 v11, v11, v7
	v_add_nc_u32_e32 v12, v12, v7
	;; [unrolled: 1-line block ×4, first 2 shown]
	s_mov_b32 s28, 0
	v_add_nc_u32_e32 v15, v15, v7
	v_add_nc_u32_e32 v16, v16, v7
	v_add_nc_u32_e32 v7, v19, v7
	s_waitcnt vmcnt(7) lgkmcnt(7)
	ds_store_b32 v6, v8
	s_waitcnt vmcnt(6) lgkmcnt(7)
	ds_store_b32 v11, v9 offset:1536
	s_waitcnt vmcnt(5) lgkmcnt(7)
	ds_store_b32 v12, v1 offset:3072
	s_waitcnt vmcnt(4) lgkmcnt(7)
	ds_store_b32 v13, v2 offset:4608
	s_waitcnt vmcnt(3) lgkmcnt(7)
	ds_store_b32 v14, v10 offset:6144
	s_waitcnt vmcnt(2) lgkmcnt(7)
	ds_store_b32 v15, v3 offset:7680
	s_waitcnt vmcnt(1) lgkmcnt(7)
	ds_store_b32 v16, v4 offset:9216
	s_waitcnt vmcnt(0) lgkmcnt(7)
	ds_store_b32 v7, v5 offset:10752
	s_waitcnt lgkmcnt(0)
	s_barrier
.LBB224_6:
	v_cmp_gt_u32_e64 s0, s25, v0
	s_and_not1_b32 vcc_lo, exec_lo, s28
	s_cbranch_vccnz .LBB224_24
; %bb.7:
                                        ; implicit-def: $vgpr1_vgpr2_vgpr3_vgpr4_vgpr5_vgpr6_vgpr7_vgpr8
	s_delay_alu instid0(VALU_DEP_1)
	s_and_saveexec_b32 s28, s0
	s_cbranch_execz .LBB224_15
; %bb.8:
	v_lshlrev_b32_e32 v1, 2, v0
	s_delay_alu instid0(VALU_DEP_1) | instskip(NEXT) | instid1(VALU_DEP_1)
	v_add_co_u32 v1, s0, s27, v1
	v_add_co_ci_u32_e64 v2, null, s1, 0, s0
	flat_load_b32 v1, v[1:2]
	s_or_b32 exec_lo, exec_lo, s28
	s_delay_alu instid0(SALU_CYCLE_1)
	s_mov_b32 s0, exec_lo
	v_cmpx_gt_u32_e64 s25, v25
	s_cbranch_execnz .LBB224_16
.LBB224_9:
	s_or_b32 exec_lo, exec_lo, s0
	s_delay_alu instid0(SALU_CYCLE_1)
	s_mov_b32 s0, exec_lo
	v_cmpx_gt_u32_e64 s25, v22
	s_cbranch_execz .LBB224_17
.LBB224_10:
	v_lshlrev_b32_e32 v3, 2, v0
	s_delay_alu instid0(VALU_DEP_1) | instskip(NEXT) | instid1(VALU_DEP_1)
	v_add_co_u32 v9, s28, s27, v3
	v_add_co_ci_u32_e64 v10, null, s1, 0, s28
	flat_load_b32 v3, v[9:10] offset:3072
	s_or_b32 exec_lo, exec_lo, s0
	s_delay_alu instid0(SALU_CYCLE_1)
	s_mov_b32 s0, exec_lo
	v_cmpx_gt_u32_e64 s25, v21
	s_cbranch_execnz .LBB224_18
.LBB224_11:
	s_or_b32 exec_lo, exec_lo, s0
	s_delay_alu instid0(SALU_CYCLE_1)
	s_mov_b32 s0, exec_lo
	v_cmpx_gt_u32_e64 s25, v23
	s_cbranch_execz .LBB224_19
.LBB224_12:
	v_lshlrev_b32_e32 v5, 2, v23
	s_delay_alu instid0(VALU_DEP_1) | instskip(NEXT) | instid1(VALU_DEP_1)
	v_add_co_u32 v9, s28, s27, v5
	v_add_co_ci_u32_e64 v10, null, s1, 0, s28
	flat_load_b32 v5, v[9:10]
	s_or_b32 exec_lo, exec_lo, s0
	s_delay_alu instid0(SALU_CYCLE_1)
	s_mov_b32 s0, exec_lo
	v_cmpx_gt_u32_e64 s25, v18
	s_cbranch_execnz .LBB224_20
.LBB224_13:
	s_or_b32 exec_lo, exec_lo, s0
	s_delay_alu instid0(SALU_CYCLE_1)
	s_mov_b32 s0, exec_lo
	v_cmpx_gt_u32_e64 s25, v17
	s_cbranch_execz .LBB224_21
.LBB224_14:
	v_lshlrev_b32_e32 v7, 2, v17
	s_delay_alu instid0(VALU_DEP_1) | instskip(NEXT) | instid1(VALU_DEP_1)
	v_add_co_u32 v9, s28, s27, v7
	v_add_co_ci_u32_e64 v10, null, s1, 0, s28
	flat_load_b32 v7, v[9:10]
	s_or_b32 exec_lo, exec_lo, s0
	s_delay_alu instid0(SALU_CYCLE_1)
	s_mov_b32 s0, exec_lo
	v_cmpx_gt_u32_e64 s25, v24
	s_cbranch_execnz .LBB224_22
	s_branch .LBB224_23
.LBB224_15:
	s_or_b32 exec_lo, exec_lo, s28
	s_delay_alu instid0(SALU_CYCLE_1)
	s_mov_b32 s0, exec_lo
	v_cmpx_gt_u32_e64 s25, v25
	s_cbranch_execz .LBB224_9
.LBB224_16:
	v_lshlrev_b32_e32 v2, 2, v0
	s_delay_alu instid0(VALU_DEP_1) | instskip(NEXT) | instid1(VALU_DEP_1)
	v_add_co_u32 v9, s28, s27, v2
	v_add_co_ci_u32_e64 v10, null, s1, 0, s28
	flat_load_b32 v2, v[9:10] offset:1536
	s_or_b32 exec_lo, exec_lo, s0
	s_delay_alu instid0(SALU_CYCLE_1)
	s_mov_b32 s0, exec_lo
	v_cmpx_gt_u32_e64 s25, v22
	s_cbranch_execnz .LBB224_10
.LBB224_17:
	s_or_b32 exec_lo, exec_lo, s0
	s_delay_alu instid0(SALU_CYCLE_1)
	s_mov_b32 s0, exec_lo
	v_cmpx_gt_u32_e64 s25, v21
	s_cbranch_execz .LBB224_11
.LBB224_18:
	v_lshlrev_b32_e32 v4, 2, v21
	s_delay_alu instid0(VALU_DEP_1) | instskip(NEXT) | instid1(VALU_DEP_1)
	v_add_co_u32 v9, s28, s27, v4
	v_add_co_ci_u32_e64 v10, null, s1, 0, s28
	flat_load_b32 v4, v[9:10]
	s_or_b32 exec_lo, exec_lo, s0
	s_delay_alu instid0(SALU_CYCLE_1)
	s_mov_b32 s0, exec_lo
	v_cmpx_gt_u32_e64 s25, v23
	s_cbranch_execnz .LBB224_12
.LBB224_19:
	s_or_b32 exec_lo, exec_lo, s0
	s_delay_alu instid0(SALU_CYCLE_1)
	s_mov_b32 s0, exec_lo
	v_cmpx_gt_u32_e64 s25, v18
	s_cbranch_execz .LBB224_13
.LBB224_20:
	v_lshlrev_b32_e32 v6, 2, v18
	s_delay_alu instid0(VALU_DEP_1) | instskip(NEXT) | instid1(VALU_DEP_1)
	v_add_co_u32 v9, s28, s27, v6
	v_add_co_ci_u32_e64 v10, null, s1, 0, s28
	flat_load_b32 v6, v[9:10]
	s_or_b32 exec_lo, exec_lo, s0
	s_delay_alu instid0(SALU_CYCLE_1)
	s_mov_b32 s0, exec_lo
	v_cmpx_gt_u32_e64 s25, v17
	s_cbranch_execnz .LBB224_14
.LBB224_21:
	s_or_b32 exec_lo, exec_lo, s0
	s_delay_alu instid0(SALU_CYCLE_1)
	s_mov_b32 s0, exec_lo
	v_cmpx_gt_u32_e64 s25, v24
	s_cbranch_execz .LBB224_23
.LBB224_22:
	v_lshlrev_b32_e32 v8, 2, v24
	s_delay_alu instid0(VALU_DEP_1) | instskip(NEXT) | instid1(VALU_DEP_1)
	v_add_co_u32 v8, s28, s27, v8
	v_add_co_ci_u32_e64 v9, null, s1, 0, s28
	flat_load_b32 v8, v[8:9]
.LBB224_23:
	s_or_b32 exec_lo, exec_lo, s0
	v_lshrrev_b32_e32 v9, 3, v25
	v_lshrrev_b32_e32 v10, 3, v22
	v_lshrrev_b32_e32 v13, 3, v21
	v_lshrrev_b32_e32 v14, 3, v23
	v_and_b32_e32 v11, 60, v20
	v_lshlrev_b32_e32 v12, 2, v0
	v_lshrrev_b32_e32 v15, 3, v18
	v_lshrrev_b32_e32 v16, 3, v17
	;; [unrolled: 1-line block ×3, first 2 shown]
	v_and_b32_e32 v9, 0x7c, v9
	v_and_b32_e32 v10, 0xfc, v10
	;; [unrolled: 1-line block ×4, first 2 shown]
	v_add_nc_u32_e32 v11, v11, v12
	v_and_b32_e32 v15, 0x1fc, v15
	v_and_b32_e32 v16, 0x1fc, v16
	;; [unrolled: 1-line block ×3, first 2 shown]
	v_add_nc_u32_e32 v9, v9, v12
	v_add_nc_u32_e32 v10, v10, v12
	;; [unrolled: 1-line block ×7, first 2 shown]
	s_waitcnt vmcnt(0) lgkmcnt(0)
	ds_store_b32 v11, v1
	ds_store_b32 v9, v2 offset:1536
	ds_store_b32 v10, v3 offset:3072
	ds_store_b32 v13, v4 offset:4608
	ds_store_b32 v14, v5 offset:6144
	ds_store_b32 v15, v6 offset:7680
	ds_store_b32 v16, v7 offset:9216
	ds_store_b32 v12, v8 offset:10752
	s_waitcnt lgkmcnt(0)
	s_barrier
.LBB224_24:
	v_lshlrev_b32_e32 v19, 3, v0
	v_lshrrev_b32_e32 v1, 2, v0
	buffer_gl0_inv
	s_add_u32 s0, s8, s14
	s_addc_u32 s8, s9, s15
	s_add_u32 s0, s0, s4
	v_add_lshl_u32 v1, v1, v19, 2
	s_addc_u32 s4, s8, s5
	s_and_b32 vcc_lo, exec_lo, s23
	s_mov_b32 s5, -1
	ds_load_2addr_b32 v[15:16], v1 offset1:1
	ds_load_2addr_b32 v[13:14], v1 offset0:2 offset1:3
	ds_load_2addr_b32 v[11:12], v1 offset0:4 offset1:5
	;; [unrolled: 1-line block ×3, first 2 shown]
	s_waitcnt lgkmcnt(0)
	s_barrier
	buffer_gl0_inv
	s_cbranch_vccz .LBB224_26
; %bb.25:
	v_lshlrev_b32_e32 v8, 2, v0
	v_lshrrev_b32_e32 v29, 3, v25
	v_lshrrev_b32_e32 v30, 3, v22
	;; [unrolled: 1-line block ×4, first 2 shown]
	v_add_co_u32 v2, s5, s0, v8
	s_delay_alu instid0(VALU_DEP_1) | instskip(SKIP_1) | instid1(VALU_DEP_3)
	v_add_co_ci_u32_e64 v3, null, s4, 0, s5
	v_lshrrev_b32_e32 v33, 3, v18
	v_add_co_u32 v4, vcc_lo, 0x1000, v2
	s_delay_alu instid0(VALU_DEP_3)
	v_add_co_ci_u32_e32 v5, vcc_lo, 0, v3, vcc_lo
	v_add_co_u32 v6, vcc_lo, 0x2000, v2
	v_add_co_ci_u32_e32 v7, vcc_lo, 0, v3, vcc_lo
	s_clause 0x7
	flat_load_b32 v26, v[2:3]
	flat_load_b32 v27, v[2:3] offset:1536
	flat_load_b32 v2, v[2:3] offset:3072
	;; [unrolled: 1-line block ×7, first 2 shown]
	v_and_b32_e32 v7, 60, v20
	v_lshrrev_b32_e32 v34, 3, v17
	v_lshrrev_b32_e32 v35, 3, v24
	v_and_b32_e32 v29, 0x7c, v29
	v_and_b32_e32 v30, 0xfc, v30
	;; [unrolled: 1-line block ×4, first 2 shown]
	v_add_nc_u32_e32 v7, v7, v8
	v_and_b32_e32 v33, 0x1fc, v33
	v_and_b32_e32 v34, 0x17c, v34
	;; [unrolled: 1-line block ×3, first 2 shown]
	v_add_nc_u32_e32 v29, v29, v8
	v_add_nc_u32_e32 v30, v30, v8
	;; [unrolled: 1-line block ×4, first 2 shown]
	s_mov_b32 s5, 0
	v_add_nc_u32_e32 v33, v33, v8
	v_add_nc_u32_e32 v34, v34, v8
	;; [unrolled: 1-line block ×3, first 2 shown]
	s_waitcnt vmcnt(7) lgkmcnt(7)
	ds_store_b32 v7, v26
	s_waitcnt vmcnt(6) lgkmcnt(7)
	ds_store_b32 v29, v27 offset:1536
	s_waitcnt vmcnt(5) lgkmcnt(7)
	ds_store_b32 v30, v2 offset:3072
	;; [unrolled: 2-line block ×7, first 2 shown]
	s_waitcnt lgkmcnt(0)
	s_barrier
.LBB224_26:
	s_and_not1_b32 vcc_lo, exec_lo, s5
	s_cbranch_vccnz .LBB224_44
; %bb.27:
	s_mov_b32 s5, exec_lo
                                        ; implicit-def: $vgpr2
	v_cmpx_gt_u32_e64 s25, v0
	s_cbranch_execz .LBB224_29
; %bb.28:
	v_lshlrev_b32_e32 v2, 2, v0
	s_delay_alu instid0(VALU_DEP_1) | instskip(NEXT) | instid1(VALU_DEP_1)
	v_add_co_u32 v2, s8, s0, v2
	v_add_co_ci_u32_e64 v3, null, s4, 0, s8
	flat_load_b32 v2, v[2:3]
.LBB224_29:
	s_or_b32 exec_lo, exec_lo, s5
	s_delay_alu instid0(SALU_CYCLE_1)
	s_mov_b32 s5, exec_lo
                                        ; implicit-def: $vgpr3
	v_cmpx_gt_u32_e64 s25, v25
	s_cbranch_execz .LBB224_31
; %bb.30:
	v_lshlrev_b32_e32 v3, 2, v0
	s_delay_alu instid0(VALU_DEP_1) | instskip(NEXT) | instid1(VALU_DEP_1)
	v_add_co_u32 v3, s8, s0, v3
	v_add_co_ci_u32_e64 v4, null, s4, 0, s8
	flat_load_b32 v3, v[3:4] offset:1536
.LBB224_31:
	s_or_b32 exec_lo, exec_lo, s5
	s_delay_alu instid0(SALU_CYCLE_1)
	s_mov_b32 s5, exec_lo
                                        ; implicit-def: $vgpr4
	v_cmpx_gt_u32_e64 s25, v22
	s_cbranch_execz .LBB224_33
; %bb.32:
	v_lshlrev_b32_e32 v4, 2, v0
	s_delay_alu instid0(VALU_DEP_1) | instskip(NEXT) | instid1(VALU_DEP_1)
	v_add_co_u32 v4, s8, s0, v4
	v_add_co_ci_u32_e64 v5, null, s4, 0, s8
	flat_load_b32 v4, v[4:5] offset:3072
.LBB224_33:
	s_or_b32 exec_lo, exec_lo, s5
	s_delay_alu instid0(SALU_CYCLE_1)
	s_mov_b32 s5, exec_lo
                                        ; implicit-def: $vgpr5
	v_cmpx_gt_u32_e64 s25, v21
	s_cbranch_execz .LBB224_35
; %bb.34:
	v_lshlrev_b32_e32 v5, 2, v21
	s_delay_alu instid0(VALU_DEP_1) | instskip(NEXT) | instid1(VALU_DEP_1)
	v_add_co_u32 v5, s8, s0, v5
	v_add_co_ci_u32_e64 v6, null, s4, 0, s8
	flat_load_b32 v5, v[5:6]
.LBB224_35:
	s_or_b32 exec_lo, exec_lo, s5
	s_delay_alu instid0(SALU_CYCLE_1)
	s_mov_b32 s5, exec_lo
                                        ; implicit-def: $vgpr6
	v_cmpx_gt_u32_e64 s25, v23
	s_cbranch_execz .LBB224_37
; %bb.36:
	v_lshlrev_b32_e32 v6, 2, v23
	s_delay_alu instid0(VALU_DEP_1) | instskip(NEXT) | instid1(VALU_DEP_1)
	v_add_co_u32 v6, s8, s0, v6
	v_add_co_ci_u32_e64 v7, null, s4, 0, s8
	flat_load_b32 v6, v[6:7]
.LBB224_37:
	s_or_b32 exec_lo, exec_lo, s5
	s_delay_alu instid0(SALU_CYCLE_1)
	s_mov_b32 s5, exec_lo
                                        ; implicit-def: $vgpr7
	v_cmpx_gt_u32_e64 s25, v18
	s_cbranch_execz .LBB224_39
; %bb.38:
	v_lshlrev_b32_e32 v7, 2, v18
	s_delay_alu instid0(VALU_DEP_1) | instskip(NEXT) | instid1(VALU_DEP_1)
	v_add_co_u32 v7, s8, s0, v7
	v_add_co_ci_u32_e64 v8, null, s4, 0, s8
	flat_load_b32 v7, v[7:8]
.LBB224_39:
	s_or_b32 exec_lo, exec_lo, s5
	s_delay_alu instid0(SALU_CYCLE_1)
	s_mov_b32 s5, exec_lo
                                        ; implicit-def: $vgpr8
	v_cmpx_gt_u32_e64 s25, v17
	s_cbranch_execz .LBB224_41
; %bb.40:
	v_lshlrev_b32_e32 v8, 2, v17
	s_delay_alu instid0(VALU_DEP_1) | instskip(NEXT) | instid1(VALU_DEP_1)
	v_add_co_u32 v26, s8, s0, v8
	v_add_co_ci_u32_e64 v27, null, s4, 0, s8
	flat_load_b32 v8, v[26:27]
.LBB224_41:
	s_or_b32 exec_lo, exec_lo, s5
	s_delay_alu instid0(SALU_CYCLE_1)
	s_mov_b32 s5, exec_lo
                                        ; implicit-def: $vgpr26
	v_cmpx_gt_u32_e64 s25, v24
	s_cbranch_execz .LBB224_43
; %bb.42:
	v_lshlrev_b32_e32 v26, 2, v24
	s_delay_alu instid0(VALU_DEP_1) | instskip(NEXT) | instid1(VALU_DEP_1)
	v_add_co_u32 v26, s0, s0, v26
	v_add_co_ci_u32_e64 v27, null, s4, 0, s0
	flat_load_b32 v26, v[26:27]
.LBB224_43:
	s_or_b32 exec_lo, exec_lo, s5
	v_lshrrev_b32_e32 v25, 3, v25
	v_lshrrev_b32_e32 v22, 3, v22
	;; [unrolled: 1-line block ×4, first 2 shown]
	v_and_b32_e32 v20, 60, v20
	v_lshlrev_b32_e32 v27, 2, v0
	v_lshrrev_b32_e32 v18, 3, v18
	v_lshrrev_b32_e32 v17, 3, v17
	;; [unrolled: 1-line block ×3, first 2 shown]
	v_and_b32_e32 v25, 0x7c, v25
	v_and_b32_e32 v22, 0xfc, v22
	;; [unrolled: 1-line block ×4, first 2 shown]
	v_add_nc_u32_e32 v20, v20, v27
	v_and_b32_e32 v18, 0x1fc, v18
	v_and_b32_e32 v17, 0x1fc, v17
	v_and_b32_e32 v24, 0x1fc, v24
	v_add_nc_u32_e32 v25, v25, v27
	v_add_nc_u32_e32 v22, v22, v27
	;; [unrolled: 1-line block ×7, first 2 shown]
	s_waitcnt vmcnt(0) lgkmcnt(0)
	ds_store_b32 v20, v2
	ds_store_b32 v25, v3 offset:1536
	ds_store_b32 v22, v4 offset:3072
	;; [unrolled: 1-line block ×7, first 2 shown]
	s_waitcnt lgkmcnt(0)
	s_barrier
.LBB224_44:
	buffer_gl0_inv
	ds_load_2addr_b32 v[7:8], v1 offset1:1
	ds_load_2addr_b32 v[5:6], v1 offset0:2 offset1:3
	ds_load_2addr_b32 v[3:4], v1 offset0:4 offset1:5
	;; [unrolled: 1-line block ×3, first 2 shown]
	s_cmp_lg_u32 s24, 0
	s_mov_b32 s14, 0
	s_cselect_b32 s9, -1, 0
	s_cmp_lg_u64 s[6:7], 0
	s_waitcnt lgkmcnt(0)
	s_cselect_b32 s0, -1, 0
	s_barrier
	s_or_b32 s0, s0, s9
	buffer_gl0_inv
	s_and_b32 vcc_lo, exec_lo, s0
	s_cbranch_vccz .LBB224_49
; %bb.45:
	v_add_co_u32 v17, s0, -4, s27
	s_delay_alu instid0(VALU_DEP_1)
	v_add_co_ci_u32_e64 v18, null, -1, s1, s0
	v_lshlrev_b32_e32 v21, 2, v0
	s_mov_b32 s1, -1
	s_and_b32 vcc_lo, exec_lo, s23
	flat_load_b32 v20, v[17:18]
	ds_store_b32 v21, v10
	s_cbranch_vccz .LBB224_50
; %bb.46:
	s_waitcnt vmcnt(0) lgkmcnt(1)
	v_mov_b32_e32 v17, v20
	s_waitcnt lgkmcnt(0)
	s_barrier
	buffer_gl0_inv
	s_and_saveexec_b32 s0, s3
	s_cbranch_execz .LBB224_48
; %bb.47:
	v_add_nc_u32_e32 v17, -4, v21
	ds_load_b32 v17, v17
.LBB224_48:
	s_or_b32 exec_lo, exec_lo, s0
	v_cmp_ne_u32_e32 vcc_lo, v9, v10
	s_waitcnt lgkmcnt(0)
	v_cmp_ne_u32_e64 s0, v17, v15
	v_cndmask_b32_e64 v18, 0, 1, vcc_lo
	v_cmp_ne_u32_e32 vcc_lo, v12, v9
	s_delay_alu instid0(VALU_DEP_2) | instskip(SKIP_2) | instid1(VALU_DEP_2)
	v_lshlrev_b16 v18, 8, v18
	v_cndmask_b32_e64 v22, 0, 1, vcc_lo
	v_cmp_ne_u32_e32 vcc_lo, v11, v12
	v_or_b32_e32 v18, v22, v18
	v_cndmask_b32_e64 v23, 0, 1, vcc_lo
	v_cmp_ne_u32_e32 vcc_lo, v13, v14
	s_delay_alu instid0(VALU_DEP_3) | instskip(NEXT) | instid1(VALU_DEP_3)
	v_lshlrev_b32_e32 v18, 16, v18
	v_lshlrev_b16 v23, 8, v23
	v_cndmask_b32_e64 v24, 0, 1, vcc_lo
	v_cmp_ne_u32_e32 vcc_lo, v14, v11
	s_delay_alu instid0(VALU_DEP_2) | instskip(SKIP_2) | instid1(VALU_DEP_2)
	v_lshlrev_b16 v24, 8, v24
	v_cndmask_b32_e64 v25, 0, 1, vcc_lo
	v_cmp_ne_u32_e32 vcc_lo, v16, v13
	v_or_b32_e32 v23, v25, v23
	v_cndmask_b32_e64 v26, 0, 1, vcc_lo
	v_cmp_ne_u32_e32 vcc_lo, v15, v16
	s_delay_alu instid0(VALU_DEP_3) | instskip(NEXT) | instid1(VALU_DEP_3)
	v_and_b32_e32 v23, 0xffff, v23
	v_or_b32_e32 v24, v26, v24
	v_cndmask_b32_e64 v27, 0, 1, vcc_lo
	s_delay_alu instid0(VALU_DEP_3) | instskip(NEXT) | instid1(VALU_DEP_3)
	v_or_b32_e32 v18, v23, v18
	v_lshlrev_b32_e32 v22, 16, v24
	s_delay_alu instid0(VALU_DEP_3) | instskip(NEXT) | instid1(VALU_DEP_1)
	v_lshlrev_b16 v26, 8, v27
	v_and_b32_e32 v24, 0xffff, v26
	s_delay_alu instid0(VALU_DEP_1)
	v_or_b32_e32 v17, v24, v22
	s_branch .LBB224_54
.LBB224_49:
                                        ; implicit-def: $sgpr0
                                        ; implicit-def: $vgpr18
	s_branch .LBB224_55
.LBB224_50:
                                        ; implicit-def: $sgpr0
                                        ; implicit-def: $vgpr18
	s_and_b32 vcc_lo, exec_lo, s1
	s_cbranch_vccz .LBB224_54
; %bb.51:
	s_waitcnt vmcnt(0) lgkmcnt(0)
	s_barrier
	buffer_gl0_inv
	s_and_saveexec_b32 s0, s3
	s_cbranch_execz .LBB224_53
; %bb.52:
	v_add_nc_u32_e32 v17, -4, v21
	ds_load_b32 v20, v17
.LBB224_53:
	s_or_b32 exec_lo, exec_lo, s0
	v_or_b32_e32 v17, 7, v19
	v_or_b32_e32 v18, 6, v19
	;; [unrolled: 1-line block ×3, first 2 shown]
	v_cmp_ne_u32_e32 vcc_lo, v9, v10
	v_cmp_ne_u32_e64 s1, v12, v9
	v_cmp_gt_u32_e64 s0, s25, v17
	v_cmp_gt_u32_e64 s5, s25, v18
	v_cmp_ne_u32_e64 s4, v11, v12
	v_cmp_gt_u32_e64 s6, s25, v21
	v_or_b32_e32 v18, 3, v19
	s_and_b32 s0, s0, vcc_lo
	v_or_b32_e32 v22, 4, v19
	v_cndmask_b32_e64 v17, 0, 1, s0
	s_and_b32 s0, s5, s1
	v_cmp_gt_u32_e32 vcc_lo, s25, v18
	v_cndmask_b32_e64 v21, 0, 1, s0
	s_and_b32 s0, s6, s4
	v_or_b32_e32 v18, 2, v19
	v_cndmask_b32_e64 v23, 0, 1, s0
	v_cmp_ne_u32_e64 s0, v13, v14
	v_cmp_gt_u32_e64 s1, s25, v22
	v_or_b32_e32 v22, 1, v19
	v_cmp_ne_u32_e64 s4, v14, v11
	v_cmp_ne_u32_e64 s6, v15, v16
	s_and_b32 s0, vcc_lo, s0
	v_cmp_gt_u32_e32 vcc_lo, s25, v18
	v_cndmask_b32_e64 v24, 0, 1, s0
	v_cmp_ne_u32_e64 s0, v16, v13
	v_cmp_gt_u32_e64 s5, s25, v22
	s_and_b32 s1, s1, s4
	v_lshlrev_b16 v23, 8, v23
	v_cndmask_b32_e64 v18, 0, 1, s1
	s_and_b32 s0, vcc_lo, s0
	v_lshlrev_b16 v24, 8, v24
	v_cndmask_b32_e64 v22, 0, 1, s0
	s_and_b32 s0, s5, s6
	v_lshlrev_b16 v17, 8, v17
	v_cndmask_b32_e64 v25, 0, 1, s0
	v_or_b32_e32 v18, v18, v23
	v_or_b32_e32 v22, v22, v24
	v_cmp_gt_u32_e32 vcc_lo, s25, v19
	v_or_b32_e32 v17, v21, v17
	v_lshlrev_b16 v24, 8, v25
	v_and_b32_e32 v18, 0xffff, v18
	v_lshlrev_b32_e32 v21, 16, v22
	s_waitcnt lgkmcnt(0)
	v_cmp_ne_u32_e64 s0, v20, v15
	v_lshlrev_b32_e32 v23, 16, v17
	v_and_b32_e32 v22, 0xffff, v24
	s_delay_alu instid0(VALU_DEP_3) | instskip(NEXT) | instid1(VALU_DEP_2)
	s_and_b32 s0, vcc_lo, s0
	v_or_b32_e32 v18, v18, v23
	s_delay_alu instid0(VALU_DEP_2)
	v_or_b32_e32 v17, v22, v21
.LBB224_54:
	s_mov_b32 s14, -1
	s_cbranch_execnz .LBB224_63
.LBB224_55:
	s_waitcnt vmcnt(0) lgkmcnt(1)
	v_lshlrev_b32_e32 v20, 2, v0
	v_cmp_ne_u32_e64 s1, v9, v10
	v_cmp_ne_u32_e64 s4, v12, v9
	;; [unrolled: 1-line block ×7, first 2 shown]
	s_and_b32 vcc_lo, exec_lo, s23
	ds_store_b32 v20, v10
	s_cbranch_vccz .LBB224_59
; %bb.56:
	v_cndmask_b32_e64 v17, 0, 1, s1
	v_cndmask_b32_e64 v21, 0, 1, s5
	;; [unrolled: 1-line block ×7, first 2 shown]
	v_lshlrev_b16 v21, 8, v21
	v_lshlrev_b16 v17, 8, v17
	;; [unrolled: 1-line block ×4, first 2 shown]
	s_waitcnt lgkmcnt(0)
	v_or_b32_e32 v21, v22, v21
	v_or_b32_e32 v17, v18, v17
	;; [unrolled: 1-line block ×4, first 2 shown]
	s_barrier
	v_and_b32_e32 v21, 0xffff, v21
	v_lshlrev_b32_e32 v17, 16, v17
	v_lshlrev_b32_e32 v23, 16, v18
	v_and_b32_e32 v22, 0xffff, v22
	buffer_gl0_inv
                                        ; implicit-def: $sgpr0
	v_or_b32_e32 v18, v21, v17
	v_or_b32_e32 v17, v22, v23
	s_and_saveexec_b32 s1, s3
	s_delay_alu instid0(SALU_CYCLE_1)
	s_xor_b32 s1, exec_lo, s1
	s_cbranch_execz .LBB224_58
; %bb.57:
	v_add_nc_u32_e32 v21, -4, v20
	s_or_b32 s14, s14, exec_lo
	ds_load_b32 v21, v21
	s_waitcnt lgkmcnt(0)
	v_cmp_ne_u32_e32 vcc_lo, v21, v15
	s_and_b32 s0, vcc_lo, exec_lo
.LBB224_58:
	s_or_b32 exec_lo, exec_lo, s1
	s_branch .LBB224_63
.LBB224_59:
                                        ; implicit-def: $sgpr0
                                        ; implicit-def: $vgpr18
	s_cbranch_execz .LBB224_63
; %bb.60:
	v_or_b32_e32 v17, 7, v19
	v_or_b32_e32 v18, 6, v19
	v_cmp_ne_u32_e32 vcc_lo, v9, v10
	v_cmp_ne_u32_e64 s1, v12, v9
	v_or_b32_e32 v21, 5, v19
	v_cmp_gt_u32_e64 s0, s25, v17
	v_cmp_gt_u32_e64 s4, s25, v18
	v_or_b32_e32 v17, 4, v19
	v_or_b32_e32 v22, 3, v19
	v_cmp_gt_u32_e64 s5, s25, v21
	s_and_b32 s0, s0, vcc_lo
	v_cmp_ne_u32_e32 vcc_lo, v11, v12
	v_cndmask_b32_e64 v18, 0, 1, s0
	s_and_b32 s0, s4, s1
	v_cmp_ne_u32_e64 s1, v14, v11
	v_cndmask_b32_e64 v21, 0, 1, s0
	v_cmp_gt_u32_e64 s0, s25, v17
	v_or_b32_e32 v23, 1, v19
	s_and_b32 s4, s5, vcc_lo
	v_cmp_gt_u32_e32 vcc_lo, s25, v22
	v_cndmask_b32_e64 v17, 0, 1, s4
	s_and_b32 s0, s0, s1
	v_or_b32_e32 v25, 2, v19
	v_cndmask_b32_e64 v24, 0, 1, s0
	v_cmp_ne_u32_e64 s0, v13, v14
	v_cmp_gt_u32_e64 s1, s25, v23
	v_cmp_ne_u32_e64 s4, v15, v16
	v_cmp_gt_u32_e64 s5, s25, v25
	v_cmp_ne_u32_e64 s6, v16, v13
	s_and_b32 s0, vcc_lo, s0
	v_lshlrev_b16 v17, 8, v17
	v_cndmask_b32_e64 v22, 0, 1, s0
	s_and_b32 s0, s1, s4
	v_lshlrev_b16 v18, 8, v18
	v_cndmask_b32_e64 v23, 0, 1, s0
	s_and_b32 s0, s5, s6
	v_lshlrev_b16 v22, 8, v22
	v_cndmask_b32_e64 v25, 0, 1, s0
	v_or_b32_e32 v17, v24, v17
	v_lshlrev_b16 v23, 8, v23
	v_or_b32_e32 v18, v21, v18
	s_waitcnt lgkmcnt(0)
	v_or_b32_e32 v21, v25, v22
	v_and_b32_e32 v17, 0xffff, v17
	v_or_b32_e32 v22, 1, v23
	v_lshlrev_b32_e32 v18, 16, v18
	s_barrier
	v_lshlrev_b32_e32 v21, 16, v21
	buffer_gl0_inv
	v_and_b32_e32 v22, 0xffff, v22
	v_or_b32_e32 v18, v17, v18
                                        ; implicit-def: $sgpr0
	s_delay_alu instid0(VALU_DEP_2)
	v_or_b32_e32 v17, v22, v21
	s_and_saveexec_b32 s1, s3
	s_cbranch_execz .LBB224_62
; %bb.61:
	v_add_nc_u32_e32 v20, -4, v20
	v_cmp_gt_u32_e32 vcc_lo, s25, v19
	s_or_b32 s14, s14, exec_lo
	ds_load_b32 v20, v20
	s_waitcnt lgkmcnt(0)
	v_cmp_ne_u32_e64 s0, v20, v15
	s_delay_alu instid0(VALU_DEP_1) | instskip(NEXT) | instid1(SALU_CYCLE_1)
	s_and_b32 s0, vcc_lo, s0
	s_and_b32 s0, s0, exec_lo
.LBB224_62:
	s_or_b32 exec_lo, exec_lo, s1
.LBB224_63:
	s_and_saveexec_b32 s1, s14
	s_cbranch_execz .LBB224_65
; %bb.64:
	s_waitcnt vmcnt(0) lgkmcnt(1)
	v_and_b32_e32 v20, 0xffffff00, v17
	v_cndmask_b32_e64 v21, 0, 1, s0
	s_delay_alu instid0(VALU_DEP_1) | instskip(NEXT) | instid1(VALU_DEP_1)
	v_or_b32_e32 v20, v21, v20
	v_and_b32_e32 v20, 0xffff, v20
	s_delay_alu instid0(VALU_DEP_1)
	v_and_or_b32 v17, 0xffff0000, v17, v20
.LBB224_65:
	s_or_b32 exec_lo, exec_lo, s1
	s_delay_alu instid0(SALU_CYCLE_1)
	s_and_not1_b32 vcc_lo, exec_lo, s26
	s_cbranch_vccnz .LBB224_67
; %bb.66:
	v_cmp_gt_u32_e32 vcc_lo, s25, v19
	v_or_b32_e32 v21, 1, v19
	v_and_b32_e32 v22, 0xffffff00, v18
	v_or_b32_e32 v23, 2, v19
	s_waitcnt vmcnt(0) lgkmcnt(1)
	v_cndmask_b32_e32 v20, 0, v17, vcc_lo
	v_cmp_gt_u32_e32 vcc_lo, s25, v21
	v_or_b32_e32 v21, 4, v19
	v_cmp_gt_u32_e64 s0, s25, v23
	v_or_b32_e32 v23, 3, v19
	v_and_b32_e32 v20, 0xff, v20
	s_delay_alu instid0(VALU_DEP_2) | instskip(NEXT) | instid1(VALU_DEP_2)
	v_cmp_gt_u32_e64 s1, s25, v23
	v_cndmask_b32_e32 v20, v20, v17, vcc_lo
	v_cmp_gt_u32_e32 vcc_lo, s25, v21
	s_delay_alu instid0(VALU_DEP_2) | instskip(SKIP_1) | instid1(VALU_DEP_2)
	v_dual_cndmask_b32 v21, v22, v18 :: v_dual_and_b32 v20, 0xffff, v20
	v_or_b32_e32 v22, 5, v19
	v_cndmask_b32_e64 v20, v20, v17, s0
	s_delay_alu instid0(VALU_DEP_3) | instskip(NEXT) | instid1(VALU_DEP_3)
	v_and_b32_e32 v21, 0xffff00ff, v21
	v_cmp_gt_u32_e64 s0, s25, v22
	v_or_b32_e32 v22, 6, v19
	v_or_b32_e32 v19, 7, v19
	v_and_b32_e32 v20, 0xffffff, v20
	s_delay_alu instid0(VALU_DEP_4) | instskip(NEXT) | instid1(VALU_DEP_2)
	v_cndmask_b32_e64 v21, v21, v18, s0
	v_cndmask_b32_e64 v20, v20, v17, s1
	s_delay_alu instid0(VALU_DEP_2) | instskip(NEXT) | instid1(VALU_DEP_2)
	v_and_b32_e32 v21, 0xff00ffff, v21
	v_cndmask_b32_e32 v20, v20, v17, vcc_lo
	v_cmp_gt_u32_e32 vcc_lo, s25, v22
	s_delay_alu instid0(VALU_DEP_2) | instskip(NEXT) | instid1(VALU_DEP_1)
	v_cndmask_b32_e64 v20, v20, v17, s0
	v_dual_cndmask_b32 v21, v21, v18 :: v_dual_cndmask_b32 v20, v20, v17
	s_delay_alu instid0(VALU_DEP_1) | instskip(SKIP_1) | instid1(VALU_DEP_2)
	v_and_b32_e32 v21, 0xffffff, v21
	v_cmp_gt_u32_e32 vcc_lo, s25, v19
	v_dual_cndmask_b32 v18, v21, v18 :: v_dual_cndmask_b32 v17, v20, v17
.LBB224_67:
	s_delay_alu instid0(VALU_DEP_1) | instskip(NEXT) | instid1(VALU_DEP_2)
	v_and_b32_e32 v28, 0xff, v17
	v_alignbit_b32 v19, v18, v17, 24
	v_bfe_u32 v30, v17, 8, 8
	v_bfe_u32 v32, v17, 16, 8
	v_and_b32_e32 v36, 0xff, v18
	v_bfe_u32 v38, v18, 8, 8
	v_and_b32_e32 v34, 0xff, v19
	v_add_nc_u32_e32 v19, v30, v28
	s_waitcnt vmcnt(0) lgkmcnt(1)
	v_and_b32_e32 v20, 0x1e0, v0
	v_mbcnt_lo_u32_b32 v41, -1, 0
	v_bfe_u32 v40, v18, 16, 8
	v_lshrrev_b32_e32 v39, 24, v18
	v_add3_u32 v19, v19, v32, v34
	v_min_u32_e32 v20, 0x160, v20
	v_and_b32_e32 v21, 15, v41
	v_lshrrev_b32_e32 v42, 5, v0
	s_and_b32 vcc_lo, exec_lo, s9
	v_add3_u32 v19, v19, v36, v38
	v_or_b32_e32 v20, 31, v20
	v_cmp_eq_u32_e64 s3, 0, v21
	v_cmp_lt_u32_e64 s4, 1, v21
	v_cmp_lt_u32_e64 s1, 3, v21
	v_add3_u32 v43, v19, v40, v39
	v_and_b32_e32 v19, 16, v41
	v_cmp_lt_u32_e64 s0, 7, v21
	v_cmp_eq_u32_e64 s5, v20, v0
	s_mov_b32 s7, -1
	s_waitcnt lgkmcnt(0)
	v_cmp_eq_u32_e64 s6, 0, v19
	s_barrier
	buffer_gl0_inv
	s_cbranch_vccz .LBB224_98
; %bb.68:
	v_mov_b32_dpp v19, v43 row_shr:1 row_mask:0xf bank_mask:0xf
	s_delay_alu instid0(VALU_DEP_1) | instskip(NEXT) | instid1(VALU_DEP_1)
	v_cndmask_b32_e64 v19, v19, 0, s3
	v_add_nc_u32_e32 v19, v19, v43
	s_delay_alu instid0(VALU_DEP_1) | instskip(NEXT) | instid1(VALU_DEP_1)
	v_mov_b32_dpp v20, v19 row_shr:2 row_mask:0xf bank_mask:0xf
	v_cndmask_b32_e64 v20, 0, v20, s4
	s_delay_alu instid0(VALU_DEP_1) | instskip(NEXT) | instid1(VALU_DEP_1)
	v_add_nc_u32_e32 v19, v19, v20
	v_mov_b32_dpp v20, v19 row_shr:4 row_mask:0xf bank_mask:0xf
	s_delay_alu instid0(VALU_DEP_1) | instskip(NEXT) | instid1(VALU_DEP_1)
	v_cndmask_b32_e64 v20, 0, v20, s1
	v_add_nc_u32_e32 v19, v19, v20
	s_delay_alu instid0(VALU_DEP_1) | instskip(NEXT) | instid1(VALU_DEP_1)
	v_mov_b32_dpp v20, v19 row_shr:8 row_mask:0xf bank_mask:0xf
	v_cndmask_b32_e64 v20, 0, v20, s0
	s_delay_alu instid0(VALU_DEP_1) | instskip(SKIP_3) | instid1(VALU_DEP_1)
	v_add_nc_u32_e32 v19, v19, v20
	ds_swizzle_b32 v20, v19 offset:swizzle(BROADCAST,32,15)
	s_waitcnt lgkmcnt(0)
	v_cndmask_b32_e64 v20, v20, 0, s6
	v_add_nc_u32_e32 v19, v19, v20
	s_and_saveexec_b32 s7, s5
	s_cbranch_execz .LBB224_70
; %bb.69:
	v_lshlrev_b32_e32 v20, 2, v42
	ds_store_b32 v20, v19
.LBB224_70:
	s_or_b32 exec_lo, exec_lo, s7
	s_delay_alu instid0(SALU_CYCLE_1)
	s_mov_b32 s7, exec_lo
	s_waitcnt lgkmcnt(0)
	s_barrier
	buffer_gl0_inv
	v_cmpx_gt_u32_e32 12, v0
	s_cbranch_execz .LBB224_72
; %bb.71:
	v_lshlrev_b32_e32 v20, 2, v0
	ds_load_b32 v21, v20
	s_waitcnt lgkmcnt(0)
	v_mov_b32_dpp v22, v21 row_shr:1 row_mask:0xf bank_mask:0xf
	s_delay_alu instid0(VALU_DEP_1) | instskip(NEXT) | instid1(VALU_DEP_1)
	v_cndmask_b32_e64 v22, v22, 0, s3
	v_add_nc_u32_e32 v21, v22, v21
	s_delay_alu instid0(VALU_DEP_1) | instskip(NEXT) | instid1(VALU_DEP_1)
	v_mov_b32_dpp v22, v21 row_shr:2 row_mask:0xf bank_mask:0xf
	v_cndmask_b32_e64 v22, 0, v22, s4
	s_delay_alu instid0(VALU_DEP_1) | instskip(NEXT) | instid1(VALU_DEP_1)
	v_add_nc_u32_e32 v21, v21, v22
	v_mov_b32_dpp v22, v21 row_shr:4 row_mask:0xf bank_mask:0xf
	s_delay_alu instid0(VALU_DEP_1) | instskip(NEXT) | instid1(VALU_DEP_1)
	v_cndmask_b32_e64 v22, 0, v22, s1
	v_add_nc_u32_e32 v21, v21, v22
	s_delay_alu instid0(VALU_DEP_1) | instskip(NEXT) | instid1(VALU_DEP_1)
	v_mov_b32_dpp v22, v21 row_shr:8 row_mask:0xf bank_mask:0xf
	v_cndmask_b32_e64 v22, 0, v22, s0
	s_delay_alu instid0(VALU_DEP_1)
	v_add_nc_u32_e32 v21, v21, v22
	ds_store_b32 v20, v21
.LBB224_72:
	s_or_b32 exec_lo, exec_lo, s7
	v_cmp_gt_u32_e32 vcc_lo, 32, v0
	s_mov_b32 s8, exec_lo
	s_waitcnt lgkmcnt(0)
	s_barrier
	buffer_gl0_inv
                                        ; implicit-def: $vgpr27
	v_cmpx_lt_u32_e32 31, v0
	s_cbranch_execz .LBB224_74
; %bb.73:
	v_lshl_add_u32 v20, v42, 2, -4
	ds_load_b32 v27, v20
	s_waitcnt lgkmcnt(0)
	v_add_nc_u32_e32 v19, v27, v19
.LBB224_74:
	s_or_b32 exec_lo, exec_lo, s8
	v_add_nc_u32_e32 v20, -1, v41
	s_delay_alu instid0(VALU_DEP_1) | instskip(NEXT) | instid1(VALU_DEP_1)
	v_cmp_gt_i32_e64 s7, 0, v20
	v_cndmask_b32_e64 v20, v20, v41, s7
	v_cmp_eq_u32_e64 s7, 0, v41
	s_delay_alu instid0(VALU_DEP_2)
	v_lshlrev_b32_e32 v20, 2, v20
	ds_bpermute_b32 v29, v20, v19
	s_and_saveexec_b32 s8, vcc_lo
	s_cbranch_execz .LBB224_97
; %bb.75:
	v_mov_b32_e32 v23, 0
	ds_load_b32 v19, v23 offset:44
	s_and_saveexec_b32 s9, s7
	s_cbranch_execz .LBB224_77
; %bb.76:
	s_add_i32 s14, s24, 32
	s_mov_b32 s15, 0
	v_mov_b32_e32 v20, 1
	s_lshl_b64 s[14:15], s[14:15], 3
	s_delay_alu instid0(SALU_CYCLE_1)
	s_add_u32 s14, s20, s14
	s_addc_u32 s15, s21, s15
	s_waitcnt lgkmcnt(0)
	global_store_b64 v23, v[19:20], s[14:15]
.LBB224_77:
	s_or_b32 exec_lo, exec_lo, s9
	v_xad_u32 v21, v41, -1, s24
	s_mov_b32 s14, 0
	s_mov_b32 s9, exec_lo
	s_delay_alu instid0(VALU_DEP_1) | instskip(NEXT) | instid1(VALU_DEP_1)
	v_add_nc_u32_e32 v22, 32, v21
	v_lshlrev_b64 v[22:23], 3, v[22:23]
	s_delay_alu instid0(VALU_DEP_1) | instskip(NEXT) | instid1(VALU_DEP_2)
	v_add_co_u32 v25, vcc_lo, s20, v22
	v_add_co_ci_u32_e32 v26, vcc_lo, s21, v23, vcc_lo
	global_load_b64 v[23:24], v[25:26], off glc
	s_waitcnt vmcnt(0)
	v_and_b32_e32 v20, 0xff, v24
	s_delay_alu instid0(VALU_DEP_1)
	v_cmpx_eq_u16_e32 0, v20
	s_cbranch_execz .LBB224_83
; %bb.78:
	s_mov_b32 s15, 1
	.p2align	6
.LBB224_79:                             ; =>This Loop Header: Depth=1
                                        ;     Child Loop BB224_80 Depth 2
	s_delay_alu instid0(SALU_CYCLE_1)
	s_max_u32 s25, s15, 1
.LBB224_80:                             ;   Parent Loop BB224_79 Depth=1
                                        ; =>  This Inner Loop Header: Depth=2
	s_delay_alu instid0(SALU_CYCLE_1)
	s_add_i32 s25, s25, -1
	s_sleep 1
	s_cmp_eq_u32 s25, 0
	s_cbranch_scc0 .LBB224_80
; %bb.81:                               ;   in Loop: Header=BB224_79 Depth=1
	global_load_b64 v[23:24], v[25:26], off glc
	s_cmp_lt_u32 s15, 32
	s_cselect_b32 s25, -1, 0
	s_delay_alu instid0(SALU_CYCLE_1) | instskip(SKIP_3) | instid1(VALU_DEP_1)
	s_cmp_lg_u32 s25, 0
	s_addc_u32 s15, s15, 0
	s_waitcnt vmcnt(0)
	v_and_b32_e32 v20, 0xff, v24
	v_cmp_ne_u16_e32 vcc_lo, 0, v20
	s_or_b32 s14, vcc_lo, s14
	s_delay_alu instid0(SALU_CYCLE_1)
	s_and_not1_b32 exec_lo, exec_lo, s14
	s_cbranch_execnz .LBB224_79
; %bb.82:
	s_or_b32 exec_lo, exec_lo, s14
.LBB224_83:
	s_delay_alu instid0(SALU_CYCLE_1)
	s_or_b32 exec_lo, exec_lo, s9
	v_cmp_ne_u32_e32 vcc_lo, 31, v41
	v_lshlrev_b32_e64 v33, v41, -1
	v_add_nc_u32_e32 v37, 2, v41
	v_add_nc_u32_e32 v45, 4, v41
	v_add_nc_u32_e32 v47, 8, v41
	v_add_co_ci_u32_e32 v20, vcc_lo, 0, v41, vcc_lo
	v_add_nc_u32_e32 v49, 16, v41
	s_delay_alu instid0(VALU_DEP_2)
	v_lshlrev_b32_e32 v31, 2, v20
	v_and_b32_e32 v20, 0xff, v24
	ds_bpermute_b32 v22, v31, v23
	v_cmp_eq_u16_e32 vcc_lo, 2, v20
	v_and_or_b32 v20, vcc_lo, v33, 0x80000000
	v_cmp_gt_u32_e32 vcc_lo, 30, v41
	s_delay_alu instid0(VALU_DEP_2) | instskip(SKIP_1) | instid1(VALU_DEP_2)
	v_ctz_i32_b32_e32 v20, v20
	v_cndmask_b32_e64 v25, 0, 1, vcc_lo
	v_cmp_lt_u32_e32 vcc_lo, v41, v20
	s_waitcnt lgkmcnt(0)
	s_delay_alu instid0(VALU_DEP_2) | instskip(NEXT) | instid1(VALU_DEP_1)
	v_dual_cndmask_b32 v22, 0, v22 :: v_dual_lshlrev_b32 v25, 1, v25
	v_add_lshl_u32 v35, v25, v41, 2
	v_cmp_gt_u32_e32 vcc_lo, 28, v41
	s_delay_alu instid0(VALU_DEP_3) | instskip(SKIP_4) | instid1(VALU_DEP_1)
	v_add_nc_u32_e32 v22, v22, v23
	v_cndmask_b32_e64 v25, 0, 1, vcc_lo
	v_cmp_le_u32_e32 vcc_lo, v37, v20
	ds_bpermute_b32 v23, v35, v22
	v_lshlrev_b32_e32 v25, 2, v25
	v_add_lshl_u32 v44, v25, v41, 2
	s_waitcnt lgkmcnt(0)
	v_cndmask_b32_e32 v23, 0, v23, vcc_lo
	v_cmp_gt_u32_e32 vcc_lo, 24, v41
	s_delay_alu instid0(VALU_DEP_2) | instskip(SKIP_4) | instid1(VALU_DEP_1)
	v_add_nc_u32_e32 v22, v22, v23
	v_cndmask_b32_e64 v25, 0, 1, vcc_lo
	v_cmp_le_u32_e32 vcc_lo, v45, v20
	ds_bpermute_b32 v23, v44, v22
	v_lshlrev_b32_e32 v25, 3, v25
	v_add_lshl_u32 v46, v25, v41, 2
	s_waitcnt lgkmcnt(0)
	v_cndmask_b32_e32 v23, 0, v23, vcc_lo
	v_cmp_gt_u32_e32 vcc_lo, 16, v41
	s_delay_alu instid0(VALU_DEP_2) | instskip(SKIP_4) | instid1(VALU_DEP_1)
	v_add_nc_u32_e32 v22, v22, v23
	v_cndmask_b32_e64 v25, 0, 1, vcc_lo
	v_cmp_le_u32_e32 vcc_lo, v47, v20
	ds_bpermute_b32 v23, v46, v22
	v_lshlrev_b32_e32 v25, 4, v25
	v_add_lshl_u32 v48, v25, v41, 2
	s_waitcnt lgkmcnt(0)
	v_cndmask_b32_e32 v23, 0, v23, vcc_lo
	v_cmp_le_u32_e32 vcc_lo, v49, v20
	s_delay_alu instid0(VALU_DEP_2) | instskip(SKIP_3) | instid1(VALU_DEP_1)
	v_add_nc_u32_e32 v22, v22, v23
	ds_bpermute_b32 v23, v48, v22
	s_waitcnt lgkmcnt(0)
	v_cndmask_b32_e32 v20, 0, v23, vcc_lo
	v_dual_mov_b32 v22, 0 :: v_dual_add_nc_u32 v23, v22, v20
	s_branch .LBB224_85
.LBB224_84:                             ;   in Loop: Header=BB224_85 Depth=1
	s_or_b32 exec_lo, exec_lo, s9
	ds_bpermute_b32 v26, v31, v23
	v_and_b32_e32 v25, 0xff, v24
	v_subrev_nc_u32_e32 v21, 32, v21
	s_delay_alu instid0(VALU_DEP_2) | instskip(SKIP_1) | instid1(VALU_DEP_1)
	v_cmp_eq_u16_e32 vcc_lo, 2, v25
	v_and_or_b32 v25, vcc_lo, v33, 0x80000000
	v_ctz_i32_b32_e32 v25, v25
	s_delay_alu instid0(VALU_DEP_1) | instskip(SKIP_3) | instid1(VALU_DEP_2)
	v_cmp_lt_u32_e32 vcc_lo, v41, v25
	s_waitcnt lgkmcnt(0)
	v_cndmask_b32_e32 v26, 0, v26, vcc_lo
	v_cmp_le_u32_e32 vcc_lo, v37, v25
	v_add_nc_u32_e32 v23, v26, v23
	ds_bpermute_b32 v26, v35, v23
	s_waitcnt lgkmcnt(0)
	v_cndmask_b32_e32 v26, 0, v26, vcc_lo
	v_cmp_le_u32_e32 vcc_lo, v45, v25
	s_delay_alu instid0(VALU_DEP_2) | instskip(SKIP_4) | instid1(VALU_DEP_2)
	v_add_nc_u32_e32 v23, v23, v26
	ds_bpermute_b32 v26, v44, v23
	s_waitcnt lgkmcnt(0)
	v_cndmask_b32_e32 v26, 0, v26, vcc_lo
	v_cmp_le_u32_e32 vcc_lo, v47, v25
	v_add_nc_u32_e32 v23, v23, v26
	ds_bpermute_b32 v26, v46, v23
	s_waitcnt lgkmcnt(0)
	v_cndmask_b32_e32 v26, 0, v26, vcc_lo
	v_cmp_le_u32_e32 vcc_lo, v49, v25
	s_delay_alu instid0(VALU_DEP_2) | instskip(SKIP_3) | instid1(VALU_DEP_1)
	v_add_nc_u32_e32 v23, v23, v26
	ds_bpermute_b32 v26, v48, v23
	s_waitcnt lgkmcnt(0)
	v_cndmask_b32_e32 v25, 0, v26, vcc_lo
	v_add3_u32 v23, v25, v20, v23
.LBB224_85:                             ; =>This Loop Header: Depth=1
                                        ;     Child Loop BB224_88 Depth 2
                                        ;       Child Loop BB224_89 Depth 3
	v_and_b32_e32 v20, 0xff, v24
	s_delay_alu instid0(VALU_DEP_1) | instskip(SKIP_2) | instid1(VALU_DEP_1)
	v_cmp_ne_u16_e32 vcc_lo, 2, v20
	v_cndmask_b32_e64 v20, 0, 1, vcc_lo
	;;#ASMSTART
	;;#ASMEND
	v_cmp_ne_u32_e32 vcc_lo, 0, v20
	v_mov_b32_e32 v20, v23
	s_cmp_lg_u32 vcc_lo, exec_lo
	s_cbranch_scc1 .LBB224_92
; %bb.86:                               ;   in Loop: Header=BB224_85 Depth=1
	v_lshlrev_b64 v[23:24], 3, v[21:22]
	s_mov_b32 s9, exec_lo
	s_delay_alu instid0(VALU_DEP_1) | instskip(NEXT) | instid1(VALU_DEP_2)
	v_add_co_u32 v25, vcc_lo, s20, v23
	v_add_co_ci_u32_e32 v26, vcc_lo, s21, v24, vcc_lo
	global_load_b64 v[23:24], v[25:26], off glc
	s_waitcnt vmcnt(0)
	v_and_b32_e32 v50, 0xff, v24
	s_delay_alu instid0(VALU_DEP_1)
	v_cmpx_eq_u16_e32 0, v50
	s_cbranch_execz .LBB224_84
; %bb.87:                               ;   in Loop: Header=BB224_85 Depth=1
	s_mov_b32 s15, 1
	s_mov_b32 s14, 0
	.p2align	6
.LBB224_88:                             ;   Parent Loop BB224_85 Depth=1
                                        ; =>  This Loop Header: Depth=2
                                        ;       Child Loop BB224_89 Depth 3
	s_max_u32 s25, s15, 1
.LBB224_89:                             ;   Parent Loop BB224_85 Depth=1
                                        ;     Parent Loop BB224_88 Depth=2
                                        ; =>    This Inner Loop Header: Depth=3
	s_delay_alu instid0(SALU_CYCLE_1)
	s_add_i32 s25, s25, -1
	s_sleep 1
	s_cmp_eq_u32 s25, 0
	s_cbranch_scc0 .LBB224_89
; %bb.90:                               ;   in Loop: Header=BB224_88 Depth=2
	global_load_b64 v[23:24], v[25:26], off glc
	s_cmp_lt_u32 s15, 32
	s_cselect_b32 s25, -1, 0
	s_delay_alu instid0(SALU_CYCLE_1) | instskip(SKIP_3) | instid1(VALU_DEP_1)
	s_cmp_lg_u32 s25, 0
	s_addc_u32 s15, s15, 0
	s_waitcnt vmcnt(0)
	v_and_b32_e32 v50, 0xff, v24
	v_cmp_ne_u16_e32 vcc_lo, 0, v50
	s_or_b32 s14, vcc_lo, s14
	s_delay_alu instid0(SALU_CYCLE_1)
	s_and_not1_b32 exec_lo, exec_lo, s14
	s_cbranch_execnz .LBB224_88
; %bb.91:                               ;   in Loop: Header=BB224_85 Depth=1
	s_or_b32 exec_lo, exec_lo, s14
	s_branch .LBB224_84
.LBB224_92:                             ;   in Loop: Header=BB224_85 Depth=1
                                        ; implicit-def: $vgpr23
                                        ; implicit-def: $vgpr24
	s_cbranch_execz .LBB224_85
; %bb.93:
	s_and_saveexec_b32 s9, s7
	s_cbranch_execz .LBB224_95
; %bb.94:
	s_add_i32 s14, s24, 32
	s_mov_b32 s15, 0
	v_dual_mov_b32 v22, 2 :: v_dual_add_nc_u32 v21, v20, v19
	s_lshl_b64 s[14:15], s[14:15], 3
	v_mov_b32_e32 v23, 0
	s_add_u32 s14, s20, s14
	s_addc_u32 s15, s21, s15
	global_store_b64 v23, v[21:22], s[14:15]
	ds_store_b64 v23, v[19:20] offset:12672
.LBB224_95:
	s_or_b32 exec_lo, exec_lo, s9
	s_delay_alu instid0(SALU_CYCLE_1)
	s_and_b32 exec_lo, exec_lo, s2
	s_cbranch_execz .LBB224_97
; %bb.96:
	v_mov_b32_e32 v19, 0
	ds_store_b32 v19, v20 offset:44
.LBB224_97:
	s_or_b32 exec_lo, exec_lo, s8
	v_mov_b32_e32 v19, 0
	s_waitcnt lgkmcnt(0)
	s_waitcnt_vscnt null, 0x0
	s_barrier
	buffer_gl0_inv
	v_cndmask_b32_e64 v21, v29, v27, s7
	ds_load_b32 v20, v19 offset:44
	s_waitcnt lgkmcnt(0)
	s_barrier
	buffer_gl0_inv
	v_cndmask_b32_e64 v21, v21, 0, s2
	s_delay_alu instid0(VALU_DEP_1) | instskip(SKIP_2) | instid1(VALU_DEP_1)
	v_add_nc_u32_e32 v37, v20, v21
	ds_load_b64 v[19:20], v19 offset:12672
	v_add_nc_u32_e32 v35, v37, v28
	v_add_nc_u32_e32 v33, v35, v30
	s_delay_alu instid0(VALU_DEP_1) | instskip(NEXT) | instid1(VALU_DEP_1)
	v_add_nc_u32_e32 v31, v33, v32
	v_add_nc_u32_e32 v29, v31, v34
	s_delay_alu instid0(VALU_DEP_1) | instskip(NEXT) | instid1(VALU_DEP_1)
	v_add_nc_u32_e32 v27, v29, v36
	v_add_nc_u32_e32 v25, v27, v38
	s_delay_alu instid0(VALU_DEP_1)
	v_add_nc_u32_e32 v23, v25, v40
	v_lshrrev_b64 v[21:22], 24, v[17:18]
	s_branch .LBB224_108
.LBB224_98:
                                        ; implicit-def: $vgpr23
                                        ; implicit-def: $vgpr25
                                        ; implicit-def: $vgpr27
                                        ; implicit-def: $vgpr29
                                        ; implicit-def: $vgpr31
                                        ; implicit-def: $vgpr33
                                        ; implicit-def: $vgpr35
                                        ; implicit-def: $vgpr37
                                        ; implicit-def: $vgpr20
	v_lshrrev_b64 v[21:22], 24, v[17:18]
	s_and_b32 vcc_lo, exec_lo, s7
	s_cbranch_vccz .LBB224_108
; %bb.99:
	s_waitcnt lgkmcnt(0)
	v_mov_b32_dpp v19, v43 row_shr:1 row_mask:0xf bank_mask:0xf
	s_delay_alu instid0(VALU_DEP_1) | instskip(NEXT) | instid1(VALU_DEP_1)
	v_cndmask_b32_e64 v19, v19, 0, s3
	v_add_nc_u32_e32 v19, v19, v43
	s_delay_alu instid0(VALU_DEP_1) | instskip(NEXT) | instid1(VALU_DEP_1)
	v_mov_b32_dpp v20, v19 row_shr:2 row_mask:0xf bank_mask:0xf
	v_cndmask_b32_e64 v20, 0, v20, s4
	s_delay_alu instid0(VALU_DEP_1) | instskip(NEXT) | instid1(VALU_DEP_1)
	v_add_nc_u32_e32 v19, v19, v20
	v_mov_b32_dpp v20, v19 row_shr:4 row_mask:0xf bank_mask:0xf
	s_delay_alu instid0(VALU_DEP_1) | instskip(NEXT) | instid1(VALU_DEP_1)
	v_cndmask_b32_e64 v20, 0, v20, s1
	v_add_nc_u32_e32 v19, v19, v20
	s_delay_alu instid0(VALU_DEP_1) | instskip(NEXT) | instid1(VALU_DEP_1)
	v_mov_b32_dpp v20, v19 row_shr:8 row_mask:0xf bank_mask:0xf
	v_cndmask_b32_e64 v20, 0, v20, s0
	s_delay_alu instid0(VALU_DEP_1) | instskip(SKIP_3) | instid1(VALU_DEP_1)
	v_add_nc_u32_e32 v19, v19, v20
	ds_swizzle_b32 v20, v19 offset:swizzle(BROADCAST,32,15)
	s_waitcnt lgkmcnt(0)
	v_cndmask_b32_e64 v20, v20, 0, s6
	v_add_nc_u32_e32 v19, v19, v20
	s_and_saveexec_b32 s6, s5
	s_cbranch_execz .LBB224_101
; %bb.100:
	v_lshlrev_b32_e32 v20, 2, v42
	ds_store_b32 v20, v19
.LBB224_101:
	s_or_b32 exec_lo, exec_lo, s6
	s_delay_alu instid0(SALU_CYCLE_1)
	s_mov_b32 s5, exec_lo
	s_waitcnt lgkmcnt(0)
	s_barrier
	buffer_gl0_inv
	v_cmpx_gt_u32_e32 12, v0
	s_cbranch_execz .LBB224_103
; %bb.102:
	v_lshlrev_b32_e32 v20, 2, v0
	ds_load_b32 v22, v20
	s_waitcnt lgkmcnt(0)
	v_mov_b32_dpp v23, v22 row_shr:1 row_mask:0xf bank_mask:0xf
	s_delay_alu instid0(VALU_DEP_1) | instskip(NEXT) | instid1(VALU_DEP_1)
	v_cndmask_b32_e64 v23, v23, 0, s3
	v_add_nc_u32_e32 v22, v23, v22
	s_delay_alu instid0(VALU_DEP_1) | instskip(NEXT) | instid1(VALU_DEP_1)
	v_mov_b32_dpp v23, v22 row_shr:2 row_mask:0xf bank_mask:0xf
	v_cndmask_b32_e64 v23, 0, v23, s4
	s_delay_alu instid0(VALU_DEP_1) | instskip(NEXT) | instid1(VALU_DEP_1)
	v_add_nc_u32_e32 v22, v22, v23
	v_mov_b32_dpp v23, v22 row_shr:4 row_mask:0xf bank_mask:0xf
	s_delay_alu instid0(VALU_DEP_1) | instskip(NEXT) | instid1(VALU_DEP_1)
	v_cndmask_b32_e64 v23, 0, v23, s1
	v_add_nc_u32_e32 v22, v22, v23
	s_delay_alu instid0(VALU_DEP_1) | instskip(NEXT) | instid1(VALU_DEP_1)
	v_mov_b32_dpp v23, v22 row_shr:8 row_mask:0xf bank_mask:0xf
	v_cndmask_b32_e64 v23, 0, v23, s0
	s_delay_alu instid0(VALU_DEP_1)
	v_add_nc_u32_e32 v22, v22, v23
	ds_store_b32 v20, v22
.LBB224_103:
	s_or_b32 exec_lo, exec_lo, s5
	v_mov_b32_e32 v20, 0
	v_mov_b32_e32 v22, 0
	s_mov_b32 s0, exec_lo
	s_waitcnt lgkmcnt(0)
	s_barrier
	buffer_gl0_inv
	v_cmpx_lt_u32_e32 31, v0
	s_cbranch_execz .LBB224_105
; %bb.104:
	v_lshl_add_u32 v22, v42, 2, -4
	ds_load_b32 v22, v22
.LBB224_105:
	s_or_b32 exec_lo, exec_lo, s0
	v_add_nc_u32_e32 v23, -1, v41
	s_waitcnt lgkmcnt(0)
	v_add_nc_u32_e32 v19, v22, v19
	s_delay_alu instid0(VALU_DEP_2) | instskip(SKIP_1) | instid1(VALU_DEP_1)
	v_cmp_gt_i32_e32 vcc_lo, 0, v23
	v_cndmask_b32_e32 v23, v23, v41, vcc_lo
	v_lshlrev_b32_e32 v23, 2, v23
	ds_bpermute_b32 v23, v23, v19
	ds_load_b32 v19, v20 offset:44
	s_and_saveexec_b32 s0, s2
	s_cbranch_execz .LBB224_107
; %bb.106:
	v_mov_b32_e32 v24, 0
	v_mov_b32_e32 v20, 2
	s_waitcnt lgkmcnt(0)
	global_store_b64 v24, v[19:20], s[20:21] offset:256
.LBB224_107:
	s_or_b32 exec_lo, exec_lo, s0
	v_cmp_eq_u32_e32 vcc_lo, 0, v41
	s_waitcnt lgkmcnt(0)
	s_waitcnt_vscnt null, 0x0
	s_barrier
	buffer_gl0_inv
	v_cndmask_b32_e32 v20, v23, v22, vcc_lo
	s_delay_alu instid0(VALU_DEP_1) | instskip(NEXT) | instid1(VALU_DEP_1)
	v_cndmask_b32_e64 v37, v20, 0, s2
	v_dual_mov_b32 v20, 0 :: v_dual_add_nc_u32 v35, v37, v28
	s_delay_alu instid0(VALU_DEP_1) | instskip(NEXT) | instid1(VALU_DEP_1)
	v_add_nc_u32_e32 v33, v35, v30
	v_add_nc_u32_e32 v31, v33, v32
	s_delay_alu instid0(VALU_DEP_1) | instskip(NEXT) | instid1(VALU_DEP_1)
	v_add_nc_u32_e32 v29, v31, v34
	v_add_nc_u32_e32 v27, v29, v36
	;; [unrolled: 3-line block ×3, first 2 shown]
.LBB224_108:
	s_waitcnt lgkmcnt(0)
	v_add_nc_u32_e32 v43, v20, v19
	v_cmp_gt_u32_e64 s0, 0x181, v19
	v_lshrrev_b32_e32 v42, 8, v17
	v_lshrrev_b32_e32 v41, 16, v17
	;; [unrolled: 1-line block ×4, first 2 shown]
	v_cmp_lt_u32_e64 s1, v37, v43
	s_and_b32 vcc_lo, exec_lo, s0
	s_mov_b32 s3, -1
	s_cbranch_vccz .LBB224_134
; %bb.109:
	s_lshl_b64 s[4:5], s[10:11], 2
	s_delay_alu instid0(SALU_CYCLE_1) | instskip(SKIP_2) | instid1(SALU_CYCLE_1)
	s_add_u32 s3, s16, s4
	s_addc_u32 s4, s17, s5
	s_or_b32 s5, s23, s1
	s_and_saveexec_b32 s1, s5
	s_cbranch_execz .LBB224_112
; %bb.110:
	v_and_b32_e32 v24, 1, v17
	s_delay_alu instid0(VALU_DEP_1)
	v_cmp_eq_u32_e32 vcc_lo, 1, v24
	s_and_b32 exec_lo, exec_lo, vcc_lo
	s_cbranch_execz .LBB224_112
; %bb.111:
	v_mov_b32_e32 v38, 0
	s_delay_alu instid0(VALU_DEP_1) | instskip(NEXT) | instid1(VALU_DEP_1)
	v_lshlrev_b64 v[44:45], 2, v[37:38]
	v_add_co_u32 v44, vcc_lo, s3, v44
	s_delay_alu instid0(VALU_DEP_2)
	v_add_co_ci_u32_e32 v45, vcc_lo, s4, v45, vcc_lo
	global_store_b32 v[44:45], v15, off
.LBB224_112:
	s_or_b32 exec_lo, exec_lo, s1
	v_cmp_lt_u32_e32 vcc_lo, v35, v43
	s_or_b32 s5, s23, vcc_lo
	s_delay_alu instid0(SALU_CYCLE_1)
	s_and_saveexec_b32 s1, s5
	s_cbranch_execz .LBB224_115
; %bb.113:
	v_and_b32_e32 v24, 1, v42
	s_delay_alu instid0(VALU_DEP_1)
	v_cmp_eq_u32_e32 vcc_lo, 1, v24
	s_and_b32 exec_lo, exec_lo, vcc_lo
	s_cbranch_execz .LBB224_115
; %bb.114:
	v_mov_b32_e32 v36, 0
	s_delay_alu instid0(VALU_DEP_1) | instskip(NEXT) | instid1(VALU_DEP_1)
	v_lshlrev_b64 v[44:45], 2, v[35:36]
	v_add_co_u32 v44, vcc_lo, s3, v44
	s_delay_alu instid0(VALU_DEP_2)
	v_add_co_ci_u32_e32 v45, vcc_lo, s4, v45, vcc_lo
	global_store_b32 v[44:45], v16, off
.LBB224_115:
	s_or_b32 exec_lo, exec_lo, s1
	v_cmp_lt_u32_e32 vcc_lo, v33, v43
	s_or_b32 s5, s23, vcc_lo
	s_delay_alu instid0(SALU_CYCLE_1)
	;; [unrolled: 21-line block ×7, first 2 shown]
	s_and_saveexec_b32 s1, s5
	s_cbranch_execz .LBB224_133
; %bb.131:
	v_and_b32_e32 v24, 1, v39
	s_delay_alu instid0(VALU_DEP_1)
	v_cmp_eq_u32_e32 vcc_lo, 1, v24
	s_and_b32 exec_lo, exec_lo, vcc_lo
	s_cbranch_execz .LBB224_133
; %bb.132:
	v_mov_b32_e32 v24, 0
	s_delay_alu instid0(VALU_DEP_1) | instskip(NEXT) | instid1(VALU_DEP_1)
	v_lshlrev_b64 v[44:45], 2, v[23:24]
	v_add_co_u32 v44, vcc_lo, s3, v44
	s_delay_alu instid0(VALU_DEP_2)
	v_add_co_ci_u32_e32 v45, vcc_lo, s4, v45, vcc_lo
	global_store_b32 v[44:45], v10, off
.LBB224_133:
	s_or_b32 exec_lo, exec_lo, s1
	s_mov_b32 s3, 0
.LBB224_134:
	v_and_b32_e32 v17, 1, v17
	s_and_b32 vcc_lo, exec_lo, s3
	s_delay_alu instid0(VALU_DEP_1)
	v_cmp_eq_u32_e64 s1, 1, v17
	s_cbranch_vccz .LBB224_155
; %bb.135:
	s_delay_alu instid0(VALU_DEP_1)
	s_and_saveexec_b32 s3, s1
	s_cbranch_execz .LBB224_137
; %bb.136:
	v_sub_nc_u32_e32 v24, v37, v20
	s_delay_alu instid0(VALU_DEP_1)
	v_lshlrev_b32_e32 v24, 2, v24
	ds_store_b32 v24, v15
.LBB224_137:
	s_or_b32 exec_lo, exec_lo, s3
	v_and_b32_e32 v15, 1, v42
	s_mov_b32 s1, exec_lo
	s_delay_alu instid0(VALU_DEP_1)
	v_cmpx_eq_u32_e32 1, v15
	s_cbranch_execz .LBB224_139
; %bb.138:
	v_sub_nc_u32_e32 v15, v35, v20
	s_delay_alu instid0(VALU_DEP_1)
	v_lshlrev_b32_e32 v15, 2, v15
	ds_store_b32 v15, v16
.LBB224_139:
	s_or_b32 exec_lo, exec_lo, s1
	v_and_b32_e32 v15, 1, v41
	s_mov_b32 s1, exec_lo
	s_delay_alu instid0(VALU_DEP_1)
	v_cmpx_eq_u32_e32 1, v15
	;; [unrolled: 12-line block ×7, first 2 shown]
	s_cbranch_execz .LBB224_151
; %bb.150:
	v_sub_nc_u32_e32 v9, v23, v20
	s_delay_alu instid0(VALU_DEP_1)
	v_lshlrev_b32_e32 v9, 2, v9
	ds_store_b32 v9, v10
.LBB224_151:
	s_or_b32 exec_lo, exec_lo, s1
	s_delay_alu instid0(SALU_CYCLE_1)
	s_mov_b32 s3, exec_lo
	s_waitcnt lgkmcnt(0)
	s_waitcnt_vscnt null, 0x0
	s_barrier
	buffer_gl0_inv
	v_cmpx_lt_u32_e64 v0, v19
	s_cbranch_execz .LBB224_154
; %bb.152:
	v_dual_mov_b32 v10, 0 :: v_dual_mov_b32 v9, v20
	s_lshl_b64 s[4:5], s[10:11], 2
	v_lshlrev_b32_e32 v11, 2, v0
	s_add_u32 s1, s16, s4
	s_addc_u32 s4, s17, s5
	v_lshlrev_b64 v[12:13], 2, v[9:10]
	v_mov_b32_e32 v9, v0
	s_delay_alu instid0(VALU_DEP_2) | instskip(NEXT) | instid1(VALU_DEP_3)
	v_add_co_u32 v12, vcc_lo, s1, v12
	v_add_co_ci_u32_e32 v13, vcc_lo, s4, v13, vcc_lo
	s_mov_b32 s4, 0
	.p2align	6
.LBB224_153:                            ; =>This Inner Loop Header: Depth=1
	ds_load_b32 v16, v11
	v_lshlrev_b64 v[14:15], 2, v[9:10]
	v_add_nc_u32_e32 v9, 0x180, v9
	v_add_nc_u32_e32 v11, 0x600, v11
	s_delay_alu instid0(VALU_DEP_2) | instskip(NEXT) | instid1(VALU_DEP_4)
	v_cmp_ge_u32_e32 vcc_lo, v9, v19
	v_add_co_u32 v14, s1, v12, v14
	s_delay_alu instid0(VALU_DEP_1)
	v_add_co_ci_u32_e64 v15, s1, v13, v15, s1
	s_or_b32 s4, vcc_lo, s4
	s_waitcnt lgkmcnt(0)
	global_store_b32 v[14:15], v16, off
	s_and_not1_b32 exec_lo, exec_lo, s4
	s_cbranch_execnz .LBB224_153
.LBB224_154:
	s_or_b32 exec_lo, exec_lo, s3
.LBB224_155:
	s_delay_alu instid0(SALU_CYCLE_1)
	s_and_b32 vcc_lo, exec_lo, s0
	s_mov_b32 s0, -1
	s_waitcnt_vscnt null, 0x0
	s_barrier
	buffer_gl0_inv
	s_cbranch_vccz .LBB224_183
; %bb.156:
	v_cmp_lt_u32_e32 vcc_lo, v37, v43
	s_lshl_b64 s[0:1], s[10:11], 2
	s_delay_alu instid0(SALU_CYCLE_1) | instskip(SKIP_2) | instid1(SALU_CYCLE_1)
	s_add_u32 s0, s18, s0
	s_addc_u32 s1, s19, s1
	s_or_b32 s4, s23, vcc_lo
	s_and_saveexec_b32 s3, s4
	s_cbranch_execz .LBB224_159
; %bb.157:
	v_cmp_eq_u32_e32 vcc_lo, 1, v17
	s_and_b32 exec_lo, exec_lo, vcc_lo
	s_cbranch_execz .LBB224_159
; %bb.158:
	v_mov_b32_e32 v38, 0
	s_delay_alu instid0(VALU_DEP_1) | instskip(NEXT) | instid1(VALU_DEP_1)
	v_lshlrev_b64 v[9:10], 2, v[37:38]
	v_add_co_u32 v9, vcc_lo, s0, v9
	s_delay_alu instid0(VALU_DEP_2)
	v_add_co_ci_u32_e32 v10, vcc_lo, s1, v10, vcc_lo
	global_store_b32 v[9:10], v7, off
.LBB224_159:
	s_or_b32 exec_lo, exec_lo, s3
	v_cmp_lt_u32_e32 vcc_lo, v35, v43
	s_or_b32 s4, s23, vcc_lo
	s_delay_alu instid0(SALU_CYCLE_1)
	s_and_saveexec_b32 s3, s4
	s_cbranch_execz .LBB224_162
; %bb.160:
	v_and_b32_e32 v9, 1, v42
	s_delay_alu instid0(VALU_DEP_1)
	v_cmp_eq_u32_e32 vcc_lo, 1, v9
	s_and_b32 exec_lo, exec_lo, vcc_lo
	s_cbranch_execz .LBB224_162
; %bb.161:
	v_mov_b32_e32 v36, 0
	s_delay_alu instid0(VALU_DEP_1) | instskip(NEXT) | instid1(VALU_DEP_1)
	v_lshlrev_b64 v[9:10], 2, v[35:36]
	v_add_co_u32 v9, vcc_lo, s0, v9
	s_delay_alu instid0(VALU_DEP_2)
	v_add_co_ci_u32_e32 v10, vcc_lo, s1, v10, vcc_lo
	global_store_b32 v[9:10], v8, off
.LBB224_162:
	s_or_b32 exec_lo, exec_lo, s3
	v_cmp_lt_u32_e32 vcc_lo, v33, v43
	s_or_b32 s4, s23, vcc_lo
	s_delay_alu instid0(SALU_CYCLE_1)
	s_and_saveexec_b32 s3, s4
	s_cbranch_execz .LBB224_165
; %bb.163:
	v_and_b32_e32 v9, 1, v41
	s_delay_alu instid0(VALU_DEP_1)
	v_cmp_eq_u32_e32 vcc_lo, 1, v9
	s_and_b32 exec_lo, exec_lo, vcc_lo
	s_cbranch_execz .LBB224_165
; %bb.164:
	v_mov_b32_e32 v34, 0
	s_delay_alu instid0(VALU_DEP_1) | instskip(NEXT) | instid1(VALU_DEP_1)
	v_lshlrev_b64 v[9:10], 2, v[33:34]
	v_add_co_u32 v9, vcc_lo, s0, v9
	s_delay_alu instid0(VALU_DEP_2)
	v_add_co_ci_u32_e32 v10, vcc_lo, s1, v10, vcc_lo
	global_store_b32 v[9:10], v5, off
.LBB224_165:
	;; [unrolled: 21-line block ×7, first 2 shown]
	s_or_b32 exec_lo, exec_lo, s3
.LBB224_181:
	s_and_b32 s0, s2, s22
	s_delay_alu instid0(SALU_CYCLE_1)
	s_and_saveexec_b32 s1, s0
	s_cbranch_execz .LBB224_204
.LBB224_182:
	v_add_co_u32 v0, s0, s10, v19
	s_delay_alu instid0(VALU_DEP_1) | instskip(SKIP_1) | instid1(VALU_DEP_3)
	v_add_co_ci_u32_e64 v1, null, s11, 0, s0
	v_mov_b32_e32 v2, 0
	v_add_co_u32 v0, vcc_lo, v0, v20
	s_delay_alu instid0(VALU_DEP_3)
	v_add_co_ci_u32_e32 v1, vcc_lo, 0, v1, vcc_lo
	global_store_b64 v2, v[0:1], s[12:13]
	s_nop 0
	s_sendmsg sendmsg(MSG_DEALLOC_VGPRS)
	s_endpgm
.LBB224_183:
	s_and_b32 vcc_lo, exec_lo, s0
	s_cbranch_vccz .LBB224_181
; %bb.184:
	s_mov_b32 s0, exec_lo
	v_cmpx_eq_u32_e32 1, v17
	s_cbranch_execz .LBB224_186
; %bb.185:
	v_sub_nc_u32_e32 v9, v37, v20
	s_delay_alu instid0(VALU_DEP_1)
	v_lshlrev_b32_e32 v9, 2, v9
	ds_store_b32 v9, v7
.LBB224_186:
	s_or_b32 exec_lo, exec_lo, s0
	v_and_b32_e32 v7, 1, v42
	s_mov_b32 s0, exec_lo
	s_delay_alu instid0(VALU_DEP_1)
	v_cmpx_eq_u32_e32 1, v7
	s_cbranch_execz .LBB224_188
; %bb.187:
	v_sub_nc_u32_e32 v7, v35, v20
	s_delay_alu instid0(VALU_DEP_1)
	v_lshlrev_b32_e32 v7, 2, v7
	ds_store_b32 v7, v8
.LBB224_188:
	s_or_b32 exec_lo, exec_lo, s0
	v_and_b32_e32 v7, 1, v41
	s_mov_b32 s0, exec_lo
	s_delay_alu instid0(VALU_DEP_1)
	;; [unrolled: 12-line block ×7, first 2 shown]
	v_cmpx_eq_u32_e32 1, v1
	s_cbranch_execz .LBB224_200
; %bb.199:
	v_sub_nc_u32_e32 v1, v23, v20
	s_delay_alu instid0(VALU_DEP_1)
	v_lshlrev_b32_e32 v1, 2, v1
	ds_store_b32 v1, v2
.LBB224_200:
	s_or_b32 exec_lo, exec_lo, s0
	s_delay_alu instid0(SALU_CYCLE_1)
	s_mov_b32 s1, exec_lo
	s_waitcnt lgkmcnt(0)
	s_waitcnt_vscnt null, 0x0
	s_barrier
	buffer_gl0_inv
	v_cmpx_lt_u32_e64 v0, v19
	s_cbranch_execz .LBB224_203
; %bb.201:
	v_dual_mov_b32 v1, 0 :: v_dual_mov_b32 v2, v20
	s_lshl_b64 s[4:5], s[10:11], 2
	v_lshlrev_b32_e32 v4, 2, v0
	s_add_u32 s0, s18, s4
	s_delay_alu instid0(VALU_DEP_2) | instskip(SKIP_1) | instid1(VALU_DEP_1)
	v_mov_b32_e32 v3, v1
	s_addc_u32 s3, s19, s5
	v_lshlrev_b64 v[2:3], 2, v[2:3]
	s_delay_alu instid0(VALU_DEP_1) | instskip(NEXT) | instid1(VALU_DEP_2)
	v_add_co_u32 v2, vcc_lo, s0, v2
	v_add_co_ci_u32_e32 v3, vcc_lo, s3, v3, vcc_lo
	s_mov_b32 s3, 0
	.p2align	6
.LBB224_202:                            ; =>This Inner Loop Header: Depth=1
	ds_load_b32 v7, v4
	v_lshlrev_b64 v[5:6], 2, v[0:1]
	v_add_nc_u32_e32 v0, 0x180, v0
	v_add_nc_u32_e32 v4, 0x600, v4
	s_delay_alu instid0(VALU_DEP_2) | instskip(NEXT) | instid1(VALU_DEP_4)
	v_cmp_ge_u32_e32 vcc_lo, v0, v19
	v_add_co_u32 v5, s0, v2, v5
	s_delay_alu instid0(VALU_DEP_1)
	v_add_co_ci_u32_e64 v6, s0, v3, v6, s0
	s_or_b32 s3, vcc_lo, s3
	s_waitcnt lgkmcnt(0)
	global_store_b32 v[5:6], v7, off
	s_and_not1_b32 exec_lo, exec_lo, s3
	s_cbranch_execnz .LBB224_202
.LBB224_203:
	s_or_b32 exec_lo, exec_lo, s1
	s_and_b32 s0, s2, s22
	s_delay_alu instid0(SALU_CYCLE_1)
	s_and_saveexec_b32 s1, s0
	s_cbranch_execnz .LBB224_182
.LBB224_204:
	s_nop 0
	s_sendmsg sendmsg(MSG_DEALLOC_VGPRS)
	s_endpgm
	.section	.rodata,"a",@progbits
	.p2align	6, 0x0
	.amdhsa_kernel _ZN7rocprim17ROCPRIM_400000_NS6detail17trampoline_kernelINS0_14default_configENS1_25partition_config_selectorILNS1_17partition_subalgoE9EjjbEEZZNS1_14partition_implILS5_9ELb0ES3_jN6thrust23THRUST_200600_302600_NS6detail15normal_iteratorINS9_10device_ptrIjEEEESE_PNS0_10empty_typeENS0_5tupleIJSE_SF_EEENSH_IJSE_SG_EEENS0_18inequality_wrapperINS9_8equal_toIjEEEEPmJSF_EEE10hipError_tPvRmT3_T4_T5_T6_T7_T9_mT8_P12ihipStream_tbDpT10_ENKUlT_T0_E_clISt17integral_constantIbLb1EES18_EEDaS13_S14_EUlS13_E_NS1_11comp_targetILNS1_3genE9ELNS1_11target_archE1100ELNS1_3gpuE3ELNS1_3repE0EEENS1_30default_config_static_selectorELNS0_4arch9wavefront6targetE0EEEvT1_
		.amdhsa_group_segment_fixed_size 12680
		.amdhsa_private_segment_fixed_size 0
		.amdhsa_kernarg_size 128
		.amdhsa_user_sgpr_count 15
		.amdhsa_user_sgpr_dispatch_ptr 0
		.amdhsa_user_sgpr_queue_ptr 0
		.amdhsa_user_sgpr_kernarg_segment_ptr 1
		.amdhsa_user_sgpr_dispatch_id 0
		.amdhsa_user_sgpr_private_segment_size 0
		.amdhsa_wavefront_size32 1
		.amdhsa_uses_dynamic_stack 0
		.amdhsa_enable_private_segment 0
		.amdhsa_system_sgpr_workgroup_id_x 1
		.amdhsa_system_sgpr_workgroup_id_y 0
		.amdhsa_system_sgpr_workgroup_id_z 0
		.amdhsa_system_sgpr_workgroup_info 0
		.amdhsa_system_vgpr_workitem_id 0
		.amdhsa_next_free_vgpr 51
		.amdhsa_next_free_sgpr 29
		.amdhsa_reserve_vcc 1
		.amdhsa_float_round_mode_32 0
		.amdhsa_float_round_mode_16_64 0
		.amdhsa_float_denorm_mode_32 3
		.amdhsa_float_denorm_mode_16_64 3
		.amdhsa_dx10_clamp 1
		.amdhsa_ieee_mode 1
		.amdhsa_fp16_overflow 0
		.amdhsa_workgroup_processor_mode 1
		.amdhsa_memory_ordered 1
		.amdhsa_forward_progress 0
		.amdhsa_shared_vgpr_count 0
		.amdhsa_exception_fp_ieee_invalid_op 0
		.amdhsa_exception_fp_denorm_src 0
		.amdhsa_exception_fp_ieee_div_zero 0
		.amdhsa_exception_fp_ieee_overflow 0
		.amdhsa_exception_fp_ieee_underflow 0
		.amdhsa_exception_fp_ieee_inexact 0
		.amdhsa_exception_int_div_zero 0
	.end_amdhsa_kernel
	.section	.text._ZN7rocprim17ROCPRIM_400000_NS6detail17trampoline_kernelINS0_14default_configENS1_25partition_config_selectorILNS1_17partition_subalgoE9EjjbEEZZNS1_14partition_implILS5_9ELb0ES3_jN6thrust23THRUST_200600_302600_NS6detail15normal_iteratorINS9_10device_ptrIjEEEESE_PNS0_10empty_typeENS0_5tupleIJSE_SF_EEENSH_IJSE_SG_EEENS0_18inequality_wrapperINS9_8equal_toIjEEEEPmJSF_EEE10hipError_tPvRmT3_T4_T5_T6_T7_T9_mT8_P12ihipStream_tbDpT10_ENKUlT_T0_E_clISt17integral_constantIbLb1EES18_EEDaS13_S14_EUlS13_E_NS1_11comp_targetILNS1_3genE9ELNS1_11target_archE1100ELNS1_3gpuE3ELNS1_3repE0EEENS1_30default_config_static_selectorELNS0_4arch9wavefront6targetE0EEEvT1_,"axG",@progbits,_ZN7rocprim17ROCPRIM_400000_NS6detail17trampoline_kernelINS0_14default_configENS1_25partition_config_selectorILNS1_17partition_subalgoE9EjjbEEZZNS1_14partition_implILS5_9ELb0ES3_jN6thrust23THRUST_200600_302600_NS6detail15normal_iteratorINS9_10device_ptrIjEEEESE_PNS0_10empty_typeENS0_5tupleIJSE_SF_EEENSH_IJSE_SG_EEENS0_18inequality_wrapperINS9_8equal_toIjEEEEPmJSF_EEE10hipError_tPvRmT3_T4_T5_T6_T7_T9_mT8_P12ihipStream_tbDpT10_ENKUlT_T0_E_clISt17integral_constantIbLb1EES18_EEDaS13_S14_EUlS13_E_NS1_11comp_targetILNS1_3genE9ELNS1_11target_archE1100ELNS1_3gpuE3ELNS1_3repE0EEENS1_30default_config_static_selectorELNS0_4arch9wavefront6targetE0EEEvT1_,comdat
.Lfunc_end224:
	.size	_ZN7rocprim17ROCPRIM_400000_NS6detail17trampoline_kernelINS0_14default_configENS1_25partition_config_selectorILNS1_17partition_subalgoE9EjjbEEZZNS1_14partition_implILS5_9ELb0ES3_jN6thrust23THRUST_200600_302600_NS6detail15normal_iteratorINS9_10device_ptrIjEEEESE_PNS0_10empty_typeENS0_5tupleIJSE_SF_EEENSH_IJSE_SG_EEENS0_18inequality_wrapperINS9_8equal_toIjEEEEPmJSF_EEE10hipError_tPvRmT3_T4_T5_T6_T7_T9_mT8_P12ihipStream_tbDpT10_ENKUlT_T0_E_clISt17integral_constantIbLb1EES18_EEDaS13_S14_EUlS13_E_NS1_11comp_targetILNS1_3genE9ELNS1_11target_archE1100ELNS1_3gpuE3ELNS1_3repE0EEENS1_30default_config_static_selectorELNS0_4arch9wavefront6targetE0EEEvT1_, .Lfunc_end224-_ZN7rocprim17ROCPRIM_400000_NS6detail17trampoline_kernelINS0_14default_configENS1_25partition_config_selectorILNS1_17partition_subalgoE9EjjbEEZZNS1_14partition_implILS5_9ELb0ES3_jN6thrust23THRUST_200600_302600_NS6detail15normal_iteratorINS9_10device_ptrIjEEEESE_PNS0_10empty_typeENS0_5tupleIJSE_SF_EEENSH_IJSE_SG_EEENS0_18inequality_wrapperINS9_8equal_toIjEEEEPmJSF_EEE10hipError_tPvRmT3_T4_T5_T6_T7_T9_mT8_P12ihipStream_tbDpT10_ENKUlT_T0_E_clISt17integral_constantIbLb1EES18_EEDaS13_S14_EUlS13_E_NS1_11comp_targetILNS1_3genE9ELNS1_11target_archE1100ELNS1_3gpuE3ELNS1_3repE0EEENS1_30default_config_static_selectorELNS0_4arch9wavefront6targetE0EEEvT1_
                                        ; -- End function
	.section	.AMDGPU.csdata,"",@progbits
; Kernel info:
; codeLenInByte = 9460
; NumSgprs: 31
; NumVgprs: 51
; ScratchSize: 0
; MemoryBound: 0
; FloatMode: 240
; IeeeMode: 1
; LDSByteSize: 12680 bytes/workgroup (compile time only)
; SGPRBlocks: 3
; VGPRBlocks: 6
; NumSGPRsForWavesPerEU: 31
; NumVGPRsForWavesPerEU: 51
; Occupancy: 15
; WaveLimiterHint : 1
; COMPUTE_PGM_RSRC2:SCRATCH_EN: 0
; COMPUTE_PGM_RSRC2:USER_SGPR: 15
; COMPUTE_PGM_RSRC2:TRAP_HANDLER: 0
; COMPUTE_PGM_RSRC2:TGID_X_EN: 1
; COMPUTE_PGM_RSRC2:TGID_Y_EN: 0
; COMPUTE_PGM_RSRC2:TGID_Z_EN: 0
; COMPUTE_PGM_RSRC2:TIDIG_COMP_CNT: 0
	.section	.text._ZN7rocprim17ROCPRIM_400000_NS6detail17trampoline_kernelINS0_14default_configENS1_25partition_config_selectorILNS1_17partition_subalgoE9EjjbEEZZNS1_14partition_implILS5_9ELb0ES3_jN6thrust23THRUST_200600_302600_NS6detail15normal_iteratorINS9_10device_ptrIjEEEESE_PNS0_10empty_typeENS0_5tupleIJSE_SF_EEENSH_IJSE_SG_EEENS0_18inequality_wrapperINS9_8equal_toIjEEEEPmJSF_EEE10hipError_tPvRmT3_T4_T5_T6_T7_T9_mT8_P12ihipStream_tbDpT10_ENKUlT_T0_E_clISt17integral_constantIbLb1EES18_EEDaS13_S14_EUlS13_E_NS1_11comp_targetILNS1_3genE8ELNS1_11target_archE1030ELNS1_3gpuE2ELNS1_3repE0EEENS1_30default_config_static_selectorELNS0_4arch9wavefront6targetE0EEEvT1_,"axG",@progbits,_ZN7rocprim17ROCPRIM_400000_NS6detail17trampoline_kernelINS0_14default_configENS1_25partition_config_selectorILNS1_17partition_subalgoE9EjjbEEZZNS1_14partition_implILS5_9ELb0ES3_jN6thrust23THRUST_200600_302600_NS6detail15normal_iteratorINS9_10device_ptrIjEEEESE_PNS0_10empty_typeENS0_5tupleIJSE_SF_EEENSH_IJSE_SG_EEENS0_18inequality_wrapperINS9_8equal_toIjEEEEPmJSF_EEE10hipError_tPvRmT3_T4_T5_T6_T7_T9_mT8_P12ihipStream_tbDpT10_ENKUlT_T0_E_clISt17integral_constantIbLb1EES18_EEDaS13_S14_EUlS13_E_NS1_11comp_targetILNS1_3genE8ELNS1_11target_archE1030ELNS1_3gpuE2ELNS1_3repE0EEENS1_30default_config_static_selectorELNS0_4arch9wavefront6targetE0EEEvT1_,comdat
	.protected	_ZN7rocprim17ROCPRIM_400000_NS6detail17trampoline_kernelINS0_14default_configENS1_25partition_config_selectorILNS1_17partition_subalgoE9EjjbEEZZNS1_14partition_implILS5_9ELb0ES3_jN6thrust23THRUST_200600_302600_NS6detail15normal_iteratorINS9_10device_ptrIjEEEESE_PNS0_10empty_typeENS0_5tupleIJSE_SF_EEENSH_IJSE_SG_EEENS0_18inequality_wrapperINS9_8equal_toIjEEEEPmJSF_EEE10hipError_tPvRmT3_T4_T5_T6_T7_T9_mT8_P12ihipStream_tbDpT10_ENKUlT_T0_E_clISt17integral_constantIbLb1EES18_EEDaS13_S14_EUlS13_E_NS1_11comp_targetILNS1_3genE8ELNS1_11target_archE1030ELNS1_3gpuE2ELNS1_3repE0EEENS1_30default_config_static_selectorELNS0_4arch9wavefront6targetE0EEEvT1_ ; -- Begin function _ZN7rocprim17ROCPRIM_400000_NS6detail17trampoline_kernelINS0_14default_configENS1_25partition_config_selectorILNS1_17partition_subalgoE9EjjbEEZZNS1_14partition_implILS5_9ELb0ES3_jN6thrust23THRUST_200600_302600_NS6detail15normal_iteratorINS9_10device_ptrIjEEEESE_PNS0_10empty_typeENS0_5tupleIJSE_SF_EEENSH_IJSE_SG_EEENS0_18inequality_wrapperINS9_8equal_toIjEEEEPmJSF_EEE10hipError_tPvRmT3_T4_T5_T6_T7_T9_mT8_P12ihipStream_tbDpT10_ENKUlT_T0_E_clISt17integral_constantIbLb1EES18_EEDaS13_S14_EUlS13_E_NS1_11comp_targetILNS1_3genE8ELNS1_11target_archE1030ELNS1_3gpuE2ELNS1_3repE0EEENS1_30default_config_static_selectorELNS0_4arch9wavefront6targetE0EEEvT1_
	.globl	_ZN7rocprim17ROCPRIM_400000_NS6detail17trampoline_kernelINS0_14default_configENS1_25partition_config_selectorILNS1_17partition_subalgoE9EjjbEEZZNS1_14partition_implILS5_9ELb0ES3_jN6thrust23THRUST_200600_302600_NS6detail15normal_iteratorINS9_10device_ptrIjEEEESE_PNS0_10empty_typeENS0_5tupleIJSE_SF_EEENSH_IJSE_SG_EEENS0_18inequality_wrapperINS9_8equal_toIjEEEEPmJSF_EEE10hipError_tPvRmT3_T4_T5_T6_T7_T9_mT8_P12ihipStream_tbDpT10_ENKUlT_T0_E_clISt17integral_constantIbLb1EES18_EEDaS13_S14_EUlS13_E_NS1_11comp_targetILNS1_3genE8ELNS1_11target_archE1030ELNS1_3gpuE2ELNS1_3repE0EEENS1_30default_config_static_selectorELNS0_4arch9wavefront6targetE0EEEvT1_
	.p2align	8
	.type	_ZN7rocprim17ROCPRIM_400000_NS6detail17trampoline_kernelINS0_14default_configENS1_25partition_config_selectorILNS1_17partition_subalgoE9EjjbEEZZNS1_14partition_implILS5_9ELb0ES3_jN6thrust23THRUST_200600_302600_NS6detail15normal_iteratorINS9_10device_ptrIjEEEESE_PNS0_10empty_typeENS0_5tupleIJSE_SF_EEENSH_IJSE_SG_EEENS0_18inequality_wrapperINS9_8equal_toIjEEEEPmJSF_EEE10hipError_tPvRmT3_T4_T5_T6_T7_T9_mT8_P12ihipStream_tbDpT10_ENKUlT_T0_E_clISt17integral_constantIbLb1EES18_EEDaS13_S14_EUlS13_E_NS1_11comp_targetILNS1_3genE8ELNS1_11target_archE1030ELNS1_3gpuE2ELNS1_3repE0EEENS1_30default_config_static_selectorELNS0_4arch9wavefront6targetE0EEEvT1_,@function
_ZN7rocprim17ROCPRIM_400000_NS6detail17trampoline_kernelINS0_14default_configENS1_25partition_config_selectorILNS1_17partition_subalgoE9EjjbEEZZNS1_14partition_implILS5_9ELb0ES3_jN6thrust23THRUST_200600_302600_NS6detail15normal_iteratorINS9_10device_ptrIjEEEESE_PNS0_10empty_typeENS0_5tupleIJSE_SF_EEENSH_IJSE_SG_EEENS0_18inequality_wrapperINS9_8equal_toIjEEEEPmJSF_EEE10hipError_tPvRmT3_T4_T5_T6_T7_T9_mT8_P12ihipStream_tbDpT10_ENKUlT_T0_E_clISt17integral_constantIbLb1EES18_EEDaS13_S14_EUlS13_E_NS1_11comp_targetILNS1_3genE8ELNS1_11target_archE1030ELNS1_3gpuE2ELNS1_3repE0EEENS1_30default_config_static_selectorELNS0_4arch9wavefront6targetE0EEEvT1_: ; @_ZN7rocprim17ROCPRIM_400000_NS6detail17trampoline_kernelINS0_14default_configENS1_25partition_config_selectorILNS1_17partition_subalgoE9EjjbEEZZNS1_14partition_implILS5_9ELb0ES3_jN6thrust23THRUST_200600_302600_NS6detail15normal_iteratorINS9_10device_ptrIjEEEESE_PNS0_10empty_typeENS0_5tupleIJSE_SF_EEENSH_IJSE_SG_EEENS0_18inequality_wrapperINS9_8equal_toIjEEEEPmJSF_EEE10hipError_tPvRmT3_T4_T5_T6_T7_T9_mT8_P12ihipStream_tbDpT10_ENKUlT_T0_E_clISt17integral_constantIbLb1EES18_EEDaS13_S14_EUlS13_E_NS1_11comp_targetILNS1_3genE8ELNS1_11target_archE1030ELNS1_3gpuE2ELNS1_3repE0EEENS1_30default_config_static_selectorELNS0_4arch9wavefront6targetE0EEEvT1_
; %bb.0:
	.section	.rodata,"a",@progbits
	.p2align	6, 0x0
	.amdhsa_kernel _ZN7rocprim17ROCPRIM_400000_NS6detail17trampoline_kernelINS0_14default_configENS1_25partition_config_selectorILNS1_17partition_subalgoE9EjjbEEZZNS1_14partition_implILS5_9ELb0ES3_jN6thrust23THRUST_200600_302600_NS6detail15normal_iteratorINS9_10device_ptrIjEEEESE_PNS0_10empty_typeENS0_5tupleIJSE_SF_EEENSH_IJSE_SG_EEENS0_18inequality_wrapperINS9_8equal_toIjEEEEPmJSF_EEE10hipError_tPvRmT3_T4_T5_T6_T7_T9_mT8_P12ihipStream_tbDpT10_ENKUlT_T0_E_clISt17integral_constantIbLb1EES18_EEDaS13_S14_EUlS13_E_NS1_11comp_targetILNS1_3genE8ELNS1_11target_archE1030ELNS1_3gpuE2ELNS1_3repE0EEENS1_30default_config_static_selectorELNS0_4arch9wavefront6targetE0EEEvT1_
		.amdhsa_group_segment_fixed_size 0
		.amdhsa_private_segment_fixed_size 0
		.amdhsa_kernarg_size 128
		.amdhsa_user_sgpr_count 15
		.amdhsa_user_sgpr_dispatch_ptr 0
		.amdhsa_user_sgpr_queue_ptr 0
		.amdhsa_user_sgpr_kernarg_segment_ptr 1
		.amdhsa_user_sgpr_dispatch_id 0
		.amdhsa_user_sgpr_private_segment_size 0
		.amdhsa_wavefront_size32 1
		.amdhsa_uses_dynamic_stack 0
		.amdhsa_enable_private_segment 0
		.amdhsa_system_sgpr_workgroup_id_x 1
		.amdhsa_system_sgpr_workgroup_id_y 0
		.amdhsa_system_sgpr_workgroup_id_z 0
		.amdhsa_system_sgpr_workgroup_info 0
		.amdhsa_system_vgpr_workitem_id 0
		.amdhsa_next_free_vgpr 1
		.amdhsa_next_free_sgpr 1
		.amdhsa_reserve_vcc 0
		.amdhsa_float_round_mode_32 0
		.amdhsa_float_round_mode_16_64 0
		.amdhsa_float_denorm_mode_32 3
		.amdhsa_float_denorm_mode_16_64 3
		.amdhsa_dx10_clamp 1
		.amdhsa_ieee_mode 1
		.amdhsa_fp16_overflow 0
		.amdhsa_workgroup_processor_mode 1
		.amdhsa_memory_ordered 1
		.amdhsa_forward_progress 0
		.amdhsa_shared_vgpr_count 0
		.amdhsa_exception_fp_ieee_invalid_op 0
		.amdhsa_exception_fp_denorm_src 0
		.amdhsa_exception_fp_ieee_div_zero 0
		.amdhsa_exception_fp_ieee_overflow 0
		.amdhsa_exception_fp_ieee_underflow 0
		.amdhsa_exception_fp_ieee_inexact 0
		.amdhsa_exception_int_div_zero 0
	.end_amdhsa_kernel
	.section	.text._ZN7rocprim17ROCPRIM_400000_NS6detail17trampoline_kernelINS0_14default_configENS1_25partition_config_selectorILNS1_17partition_subalgoE9EjjbEEZZNS1_14partition_implILS5_9ELb0ES3_jN6thrust23THRUST_200600_302600_NS6detail15normal_iteratorINS9_10device_ptrIjEEEESE_PNS0_10empty_typeENS0_5tupleIJSE_SF_EEENSH_IJSE_SG_EEENS0_18inequality_wrapperINS9_8equal_toIjEEEEPmJSF_EEE10hipError_tPvRmT3_T4_T5_T6_T7_T9_mT8_P12ihipStream_tbDpT10_ENKUlT_T0_E_clISt17integral_constantIbLb1EES18_EEDaS13_S14_EUlS13_E_NS1_11comp_targetILNS1_3genE8ELNS1_11target_archE1030ELNS1_3gpuE2ELNS1_3repE0EEENS1_30default_config_static_selectorELNS0_4arch9wavefront6targetE0EEEvT1_,"axG",@progbits,_ZN7rocprim17ROCPRIM_400000_NS6detail17trampoline_kernelINS0_14default_configENS1_25partition_config_selectorILNS1_17partition_subalgoE9EjjbEEZZNS1_14partition_implILS5_9ELb0ES3_jN6thrust23THRUST_200600_302600_NS6detail15normal_iteratorINS9_10device_ptrIjEEEESE_PNS0_10empty_typeENS0_5tupleIJSE_SF_EEENSH_IJSE_SG_EEENS0_18inequality_wrapperINS9_8equal_toIjEEEEPmJSF_EEE10hipError_tPvRmT3_T4_T5_T6_T7_T9_mT8_P12ihipStream_tbDpT10_ENKUlT_T0_E_clISt17integral_constantIbLb1EES18_EEDaS13_S14_EUlS13_E_NS1_11comp_targetILNS1_3genE8ELNS1_11target_archE1030ELNS1_3gpuE2ELNS1_3repE0EEENS1_30default_config_static_selectorELNS0_4arch9wavefront6targetE0EEEvT1_,comdat
.Lfunc_end225:
	.size	_ZN7rocprim17ROCPRIM_400000_NS6detail17trampoline_kernelINS0_14default_configENS1_25partition_config_selectorILNS1_17partition_subalgoE9EjjbEEZZNS1_14partition_implILS5_9ELb0ES3_jN6thrust23THRUST_200600_302600_NS6detail15normal_iteratorINS9_10device_ptrIjEEEESE_PNS0_10empty_typeENS0_5tupleIJSE_SF_EEENSH_IJSE_SG_EEENS0_18inequality_wrapperINS9_8equal_toIjEEEEPmJSF_EEE10hipError_tPvRmT3_T4_T5_T6_T7_T9_mT8_P12ihipStream_tbDpT10_ENKUlT_T0_E_clISt17integral_constantIbLb1EES18_EEDaS13_S14_EUlS13_E_NS1_11comp_targetILNS1_3genE8ELNS1_11target_archE1030ELNS1_3gpuE2ELNS1_3repE0EEENS1_30default_config_static_selectorELNS0_4arch9wavefront6targetE0EEEvT1_, .Lfunc_end225-_ZN7rocprim17ROCPRIM_400000_NS6detail17trampoline_kernelINS0_14default_configENS1_25partition_config_selectorILNS1_17partition_subalgoE9EjjbEEZZNS1_14partition_implILS5_9ELb0ES3_jN6thrust23THRUST_200600_302600_NS6detail15normal_iteratorINS9_10device_ptrIjEEEESE_PNS0_10empty_typeENS0_5tupleIJSE_SF_EEENSH_IJSE_SG_EEENS0_18inequality_wrapperINS9_8equal_toIjEEEEPmJSF_EEE10hipError_tPvRmT3_T4_T5_T6_T7_T9_mT8_P12ihipStream_tbDpT10_ENKUlT_T0_E_clISt17integral_constantIbLb1EES18_EEDaS13_S14_EUlS13_E_NS1_11comp_targetILNS1_3genE8ELNS1_11target_archE1030ELNS1_3gpuE2ELNS1_3repE0EEENS1_30default_config_static_selectorELNS0_4arch9wavefront6targetE0EEEvT1_
                                        ; -- End function
	.section	.AMDGPU.csdata,"",@progbits
; Kernel info:
; codeLenInByte = 0
; NumSgprs: 0
; NumVgprs: 0
; ScratchSize: 0
; MemoryBound: 0
; FloatMode: 240
; IeeeMode: 1
; LDSByteSize: 0 bytes/workgroup (compile time only)
; SGPRBlocks: 0
; VGPRBlocks: 0
; NumSGPRsForWavesPerEU: 1
; NumVGPRsForWavesPerEU: 1
; Occupancy: 16
; WaveLimiterHint : 0
; COMPUTE_PGM_RSRC2:SCRATCH_EN: 0
; COMPUTE_PGM_RSRC2:USER_SGPR: 15
; COMPUTE_PGM_RSRC2:TRAP_HANDLER: 0
; COMPUTE_PGM_RSRC2:TGID_X_EN: 1
; COMPUTE_PGM_RSRC2:TGID_Y_EN: 0
; COMPUTE_PGM_RSRC2:TGID_Z_EN: 0
; COMPUTE_PGM_RSRC2:TIDIG_COMP_CNT: 0
	.section	.text._ZN7rocprim17ROCPRIM_400000_NS6detail17trampoline_kernelINS0_14default_configENS1_25partition_config_selectorILNS1_17partition_subalgoE9EjjbEEZZNS1_14partition_implILS5_9ELb0ES3_jN6thrust23THRUST_200600_302600_NS6detail15normal_iteratorINS9_10device_ptrIjEEEESE_PNS0_10empty_typeENS0_5tupleIJSE_SF_EEENSH_IJSE_SG_EEENS0_18inequality_wrapperINS9_8equal_toIjEEEEPmJSF_EEE10hipError_tPvRmT3_T4_T5_T6_T7_T9_mT8_P12ihipStream_tbDpT10_ENKUlT_T0_E_clISt17integral_constantIbLb1EES17_IbLb0EEEEDaS13_S14_EUlS13_E_NS1_11comp_targetILNS1_3genE0ELNS1_11target_archE4294967295ELNS1_3gpuE0ELNS1_3repE0EEENS1_30default_config_static_selectorELNS0_4arch9wavefront6targetE0EEEvT1_,"axG",@progbits,_ZN7rocprim17ROCPRIM_400000_NS6detail17trampoline_kernelINS0_14default_configENS1_25partition_config_selectorILNS1_17partition_subalgoE9EjjbEEZZNS1_14partition_implILS5_9ELb0ES3_jN6thrust23THRUST_200600_302600_NS6detail15normal_iteratorINS9_10device_ptrIjEEEESE_PNS0_10empty_typeENS0_5tupleIJSE_SF_EEENSH_IJSE_SG_EEENS0_18inequality_wrapperINS9_8equal_toIjEEEEPmJSF_EEE10hipError_tPvRmT3_T4_T5_T6_T7_T9_mT8_P12ihipStream_tbDpT10_ENKUlT_T0_E_clISt17integral_constantIbLb1EES17_IbLb0EEEEDaS13_S14_EUlS13_E_NS1_11comp_targetILNS1_3genE0ELNS1_11target_archE4294967295ELNS1_3gpuE0ELNS1_3repE0EEENS1_30default_config_static_selectorELNS0_4arch9wavefront6targetE0EEEvT1_,comdat
	.protected	_ZN7rocprim17ROCPRIM_400000_NS6detail17trampoline_kernelINS0_14default_configENS1_25partition_config_selectorILNS1_17partition_subalgoE9EjjbEEZZNS1_14partition_implILS5_9ELb0ES3_jN6thrust23THRUST_200600_302600_NS6detail15normal_iteratorINS9_10device_ptrIjEEEESE_PNS0_10empty_typeENS0_5tupleIJSE_SF_EEENSH_IJSE_SG_EEENS0_18inequality_wrapperINS9_8equal_toIjEEEEPmJSF_EEE10hipError_tPvRmT3_T4_T5_T6_T7_T9_mT8_P12ihipStream_tbDpT10_ENKUlT_T0_E_clISt17integral_constantIbLb1EES17_IbLb0EEEEDaS13_S14_EUlS13_E_NS1_11comp_targetILNS1_3genE0ELNS1_11target_archE4294967295ELNS1_3gpuE0ELNS1_3repE0EEENS1_30default_config_static_selectorELNS0_4arch9wavefront6targetE0EEEvT1_ ; -- Begin function _ZN7rocprim17ROCPRIM_400000_NS6detail17trampoline_kernelINS0_14default_configENS1_25partition_config_selectorILNS1_17partition_subalgoE9EjjbEEZZNS1_14partition_implILS5_9ELb0ES3_jN6thrust23THRUST_200600_302600_NS6detail15normal_iteratorINS9_10device_ptrIjEEEESE_PNS0_10empty_typeENS0_5tupleIJSE_SF_EEENSH_IJSE_SG_EEENS0_18inequality_wrapperINS9_8equal_toIjEEEEPmJSF_EEE10hipError_tPvRmT3_T4_T5_T6_T7_T9_mT8_P12ihipStream_tbDpT10_ENKUlT_T0_E_clISt17integral_constantIbLb1EES17_IbLb0EEEEDaS13_S14_EUlS13_E_NS1_11comp_targetILNS1_3genE0ELNS1_11target_archE4294967295ELNS1_3gpuE0ELNS1_3repE0EEENS1_30default_config_static_selectorELNS0_4arch9wavefront6targetE0EEEvT1_
	.globl	_ZN7rocprim17ROCPRIM_400000_NS6detail17trampoline_kernelINS0_14default_configENS1_25partition_config_selectorILNS1_17partition_subalgoE9EjjbEEZZNS1_14partition_implILS5_9ELb0ES3_jN6thrust23THRUST_200600_302600_NS6detail15normal_iteratorINS9_10device_ptrIjEEEESE_PNS0_10empty_typeENS0_5tupleIJSE_SF_EEENSH_IJSE_SG_EEENS0_18inequality_wrapperINS9_8equal_toIjEEEEPmJSF_EEE10hipError_tPvRmT3_T4_T5_T6_T7_T9_mT8_P12ihipStream_tbDpT10_ENKUlT_T0_E_clISt17integral_constantIbLb1EES17_IbLb0EEEEDaS13_S14_EUlS13_E_NS1_11comp_targetILNS1_3genE0ELNS1_11target_archE4294967295ELNS1_3gpuE0ELNS1_3repE0EEENS1_30default_config_static_selectorELNS0_4arch9wavefront6targetE0EEEvT1_
	.p2align	8
	.type	_ZN7rocprim17ROCPRIM_400000_NS6detail17trampoline_kernelINS0_14default_configENS1_25partition_config_selectorILNS1_17partition_subalgoE9EjjbEEZZNS1_14partition_implILS5_9ELb0ES3_jN6thrust23THRUST_200600_302600_NS6detail15normal_iteratorINS9_10device_ptrIjEEEESE_PNS0_10empty_typeENS0_5tupleIJSE_SF_EEENSH_IJSE_SG_EEENS0_18inequality_wrapperINS9_8equal_toIjEEEEPmJSF_EEE10hipError_tPvRmT3_T4_T5_T6_T7_T9_mT8_P12ihipStream_tbDpT10_ENKUlT_T0_E_clISt17integral_constantIbLb1EES17_IbLb0EEEEDaS13_S14_EUlS13_E_NS1_11comp_targetILNS1_3genE0ELNS1_11target_archE4294967295ELNS1_3gpuE0ELNS1_3repE0EEENS1_30default_config_static_selectorELNS0_4arch9wavefront6targetE0EEEvT1_,@function
_ZN7rocprim17ROCPRIM_400000_NS6detail17trampoline_kernelINS0_14default_configENS1_25partition_config_selectorILNS1_17partition_subalgoE9EjjbEEZZNS1_14partition_implILS5_9ELb0ES3_jN6thrust23THRUST_200600_302600_NS6detail15normal_iteratorINS9_10device_ptrIjEEEESE_PNS0_10empty_typeENS0_5tupleIJSE_SF_EEENSH_IJSE_SG_EEENS0_18inequality_wrapperINS9_8equal_toIjEEEEPmJSF_EEE10hipError_tPvRmT3_T4_T5_T6_T7_T9_mT8_P12ihipStream_tbDpT10_ENKUlT_T0_E_clISt17integral_constantIbLb1EES17_IbLb0EEEEDaS13_S14_EUlS13_E_NS1_11comp_targetILNS1_3genE0ELNS1_11target_archE4294967295ELNS1_3gpuE0ELNS1_3repE0EEENS1_30default_config_static_selectorELNS0_4arch9wavefront6targetE0EEEvT1_: ; @_ZN7rocprim17ROCPRIM_400000_NS6detail17trampoline_kernelINS0_14default_configENS1_25partition_config_selectorILNS1_17partition_subalgoE9EjjbEEZZNS1_14partition_implILS5_9ELb0ES3_jN6thrust23THRUST_200600_302600_NS6detail15normal_iteratorINS9_10device_ptrIjEEEESE_PNS0_10empty_typeENS0_5tupleIJSE_SF_EEENSH_IJSE_SG_EEENS0_18inequality_wrapperINS9_8equal_toIjEEEEPmJSF_EEE10hipError_tPvRmT3_T4_T5_T6_T7_T9_mT8_P12ihipStream_tbDpT10_ENKUlT_T0_E_clISt17integral_constantIbLb1EES17_IbLb0EEEEDaS13_S14_EUlS13_E_NS1_11comp_targetILNS1_3genE0ELNS1_11target_archE4294967295ELNS1_3gpuE0ELNS1_3repE0EEENS1_30default_config_static_selectorELNS0_4arch9wavefront6targetE0EEEvT1_
; %bb.0:
	.section	.rodata,"a",@progbits
	.p2align	6, 0x0
	.amdhsa_kernel _ZN7rocprim17ROCPRIM_400000_NS6detail17trampoline_kernelINS0_14default_configENS1_25partition_config_selectorILNS1_17partition_subalgoE9EjjbEEZZNS1_14partition_implILS5_9ELb0ES3_jN6thrust23THRUST_200600_302600_NS6detail15normal_iteratorINS9_10device_ptrIjEEEESE_PNS0_10empty_typeENS0_5tupleIJSE_SF_EEENSH_IJSE_SG_EEENS0_18inequality_wrapperINS9_8equal_toIjEEEEPmJSF_EEE10hipError_tPvRmT3_T4_T5_T6_T7_T9_mT8_P12ihipStream_tbDpT10_ENKUlT_T0_E_clISt17integral_constantIbLb1EES17_IbLb0EEEEDaS13_S14_EUlS13_E_NS1_11comp_targetILNS1_3genE0ELNS1_11target_archE4294967295ELNS1_3gpuE0ELNS1_3repE0EEENS1_30default_config_static_selectorELNS0_4arch9wavefront6targetE0EEEvT1_
		.amdhsa_group_segment_fixed_size 0
		.amdhsa_private_segment_fixed_size 0
		.amdhsa_kernarg_size 112
		.amdhsa_user_sgpr_count 15
		.amdhsa_user_sgpr_dispatch_ptr 0
		.amdhsa_user_sgpr_queue_ptr 0
		.amdhsa_user_sgpr_kernarg_segment_ptr 1
		.amdhsa_user_sgpr_dispatch_id 0
		.amdhsa_user_sgpr_private_segment_size 0
		.amdhsa_wavefront_size32 1
		.amdhsa_uses_dynamic_stack 0
		.amdhsa_enable_private_segment 0
		.amdhsa_system_sgpr_workgroup_id_x 1
		.amdhsa_system_sgpr_workgroup_id_y 0
		.amdhsa_system_sgpr_workgroup_id_z 0
		.amdhsa_system_sgpr_workgroup_info 0
		.amdhsa_system_vgpr_workitem_id 0
		.amdhsa_next_free_vgpr 1
		.amdhsa_next_free_sgpr 1
		.amdhsa_reserve_vcc 0
		.amdhsa_float_round_mode_32 0
		.amdhsa_float_round_mode_16_64 0
		.amdhsa_float_denorm_mode_32 3
		.amdhsa_float_denorm_mode_16_64 3
		.amdhsa_dx10_clamp 1
		.amdhsa_ieee_mode 1
		.amdhsa_fp16_overflow 0
		.amdhsa_workgroup_processor_mode 1
		.amdhsa_memory_ordered 1
		.amdhsa_forward_progress 0
		.amdhsa_shared_vgpr_count 0
		.amdhsa_exception_fp_ieee_invalid_op 0
		.amdhsa_exception_fp_denorm_src 0
		.amdhsa_exception_fp_ieee_div_zero 0
		.amdhsa_exception_fp_ieee_overflow 0
		.amdhsa_exception_fp_ieee_underflow 0
		.amdhsa_exception_fp_ieee_inexact 0
		.amdhsa_exception_int_div_zero 0
	.end_amdhsa_kernel
	.section	.text._ZN7rocprim17ROCPRIM_400000_NS6detail17trampoline_kernelINS0_14default_configENS1_25partition_config_selectorILNS1_17partition_subalgoE9EjjbEEZZNS1_14partition_implILS5_9ELb0ES3_jN6thrust23THRUST_200600_302600_NS6detail15normal_iteratorINS9_10device_ptrIjEEEESE_PNS0_10empty_typeENS0_5tupleIJSE_SF_EEENSH_IJSE_SG_EEENS0_18inequality_wrapperINS9_8equal_toIjEEEEPmJSF_EEE10hipError_tPvRmT3_T4_T5_T6_T7_T9_mT8_P12ihipStream_tbDpT10_ENKUlT_T0_E_clISt17integral_constantIbLb1EES17_IbLb0EEEEDaS13_S14_EUlS13_E_NS1_11comp_targetILNS1_3genE0ELNS1_11target_archE4294967295ELNS1_3gpuE0ELNS1_3repE0EEENS1_30default_config_static_selectorELNS0_4arch9wavefront6targetE0EEEvT1_,"axG",@progbits,_ZN7rocprim17ROCPRIM_400000_NS6detail17trampoline_kernelINS0_14default_configENS1_25partition_config_selectorILNS1_17partition_subalgoE9EjjbEEZZNS1_14partition_implILS5_9ELb0ES3_jN6thrust23THRUST_200600_302600_NS6detail15normal_iteratorINS9_10device_ptrIjEEEESE_PNS0_10empty_typeENS0_5tupleIJSE_SF_EEENSH_IJSE_SG_EEENS0_18inequality_wrapperINS9_8equal_toIjEEEEPmJSF_EEE10hipError_tPvRmT3_T4_T5_T6_T7_T9_mT8_P12ihipStream_tbDpT10_ENKUlT_T0_E_clISt17integral_constantIbLb1EES17_IbLb0EEEEDaS13_S14_EUlS13_E_NS1_11comp_targetILNS1_3genE0ELNS1_11target_archE4294967295ELNS1_3gpuE0ELNS1_3repE0EEENS1_30default_config_static_selectorELNS0_4arch9wavefront6targetE0EEEvT1_,comdat
.Lfunc_end226:
	.size	_ZN7rocprim17ROCPRIM_400000_NS6detail17trampoline_kernelINS0_14default_configENS1_25partition_config_selectorILNS1_17partition_subalgoE9EjjbEEZZNS1_14partition_implILS5_9ELb0ES3_jN6thrust23THRUST_200600_302600_NS6detail15normal_iteratorINS9_10device_ptrIjEEEESE_PNS0_10empty_typeENS0_5tupleIJSE_SF_EEENSH_IJSE_SG_EEENS0_18inequality_wrapperINS9_8equal_toIjEEEEPmJSF_EEE10hipError_tPvRmT3_T4_T5_T6_T7_T9_mT8_P12ihipStream_tbDpT10_ENKUlT_T0_E_clISt17integral_constantIbLb1EES17_IbLb0EEEEDaS13_S14_EUlS13_E_NS1_11comp_targetILNS1_3genE0ELNS1_11target_archE4294967295ELNS1_3gpuE0ELNS1_3repE0EEENS1_30default_config_static_selectorELNS0_4arch9wavefront6targetE0EEEvT1_, .Lfunc_end226-_ZN7rocprim17ROCPRIM_400000_NS6detail17trampoline_kernelINS0_14default_configENS1_25partition_config_selectorILNS1_17partition_subalgoE9EjjbEEZZNS1_14partition_implILS5_9ELb0ES3_jN6thrust23THRUST_200600_302600_NS6detail15normal_iteratorINS9_10device_ptrIjEEEESE_PNS0_10empty_typeENS0_5tupleIJSE_SF_EEENSH_IJSE_SG_EEENS0_18inequality_wrapperINS9_8equal_toIjEEEEPmJSF_EEE10hipError_tPvRmT3_T4_T5_T6_T7_T9_mT8_P12ihipStream_tbDpT10_ENKUlT_T0_E_clISt17integral_constantIbLb1EES17_IbLb0EEEEDaS13_S14_EUlS13_E_NS1_11comp_targetILNS1_3genE0ELNS1_11target_archE4294967295ELNS1_3gpuE0ELNS1_3repE0EEENS1_30default_config_static_selectorELNS0_4arch9wavefront6targetE0EEEvT1_
                                        ; -- End function
	.section	.AMDGPU.csdata,"",@progbits
; Kernel info:
; codeLenInByte = 0
; NumSgprs: 0
; NumVgprs: 0
; ScratchSize: 0
; MemoryBound: 0
; FloatMode: 240
; IeeeMode: 1
; LDSByteSize: 0 bytes/workgroup (compile time only)
; SGPRBlocks: 0
; VGPRBlocks: 0
; NumSGPRsForWavesPerEU: 1
; NumVGPRsForWavesPerEU: 1
; Occupancy: 16
; WaveLimiterHint : 0
; COMPUTE_PGM_RSRC2:SCRATCH_EN: 0
; COMPUTE_PGM_RSRC2:USER_SGPR: 15
; COMPUTE_PGM_RSRC2:TRAP_HANDLER: 0
; COMPUTE_PGM_RSRC2:TGID_X_EN: 1
; COMPUTE_PGM_RSRC2:TGID_Y_EN: 0
; COMPUTE_PGM_RSRC2:TGID_Z_EN: 0
; COMPUTE_PGM_RSRC2:TIDIG_COMP_CNT: 0
	.section	.text._ZN7rocprim17ROCPRIM_400000_NS6detail17trampoline_kernelINS0_14default_configENS1_25partition_config_selectorILNS1_17partition_subalgoE9EjjbEEZZNS1_14partition_implILS5_9ELb0ES3_jN6thrust23THRUST_200600_302600_NS6detail15normal_iteratorINS9_10device_ptrIjEEEESE_PNS0_10empty_typeENS0_5tupleIJSE_SF_EEENSH_IJSE_SG_EEENS0_18inequality_wrapperINS9_8equal_toIjEEEEPmJSF_EEE10hipError_tPvRmT3_T4_T5_T6_T7_T9_mT8_P12ihipStream_tbDpT10_ENKUlT_T0_E_clISt17integral_constantIbLb1EES17_IbLb0EEEEDaS13_S14_EUlS13_E_NS1_11comp_targetILNS1_3genE5ELNS1_11target_archE942ELNS1_3gpuE9ELNS1_3repE0EEENS1_30default_config_static_selectorELNS0_4arch9wavefront6targetE0EEEvT1_,"axG",@progbits,_ZN7rocprim17ROCPRIM_400000_NS6detail17trampoline_kernelINS0_14default_configENS1_25partition_config_selectorILNS1_17partition_subalgoE9EjjbEEZZNS1_14partition_implILS5_9ELb0ES3_jN6thrust23THRUST_200600_302600_NS6detail15normal_iteratorINS9_10device_ptrIjEEEESE_PNS0_10empty_typeENS0_5tupleIJSE_SF_EEENSH_IJSE_SG_EEENS0_18inequality_wrapperINS9_8equal_toIjEEEEPmJSF_EEE10hipError_tPvRmT3_T4_T5_T6_T7_T9_mT8_P12ihipStream_tbDpT10_ENKUlT_T0_E_clISt17integral_constantIbLb1EES17_IbLb0EEEEDaS13_S14_EUlS13_E_NS1_11comp_targetILNS1_3genE5ELNS1_11target_archE942ELNS1_3gpuE9ELNS1_3repE0EEENS1_30default_config_static_selectorELNS0_4arch9wavefront6targetE0EEEvT1_,comdat
	.protected	_ZN7rocprim17ROCPRIM_400000_NS6detail17trampoline_kernelINS0_14default_configENS1_25partition_config_selectorILNS1_17partition_subalgoE9EjjbEEZZNS1_14partition_implILS5_9ELb0ES3_jN6thrust23THRUST_200600_302600_NS6detail15normal_iteratorINS9_10device_ptrIjEEEESE_PNS0_10empty_typeENS0_5tupleIJSE_SF_EEENSH_IJSE_SG_EEENS0_18inequality_wrapperINS9_8equal_toIjEEEEPmJSF_EEE10hipError_tPvRmT3_T4_T5_T6_T7_T9_mT8_P12ihipStream_tbDpT10_ENKUlT_T0_E_clISt17integral_constantIbLb1EES17_IbLb0EEEEDaS13_S14_EUlS13_E_NS1_11comp_targetILNS1_3genE5ELNS1_11target_archE942ELNS1_3gpuE9ELNS1_3repE0EEENS1_30default_config_static_selectorELNS0_4arch9wavefront6targetE0EEEvT1_ ; -- Begin function _ZN7rocprim17ROCPRIM_400000_NS6detail17trampoline_kernelINS0_14default_configENS1_25partition_config_selectorILNS1_17partition_subalgoE9EjjbEEZZNS1_14partition_implILS5_9ELb0ES3_jN6thrust23THRUST_200600_302600_NS6detail15normal_iteratorINS9_10device_ptrIjEEEESE_PNS0_10empty_typeENS0_5tupleIJSE_SF_EEENSH_IJSE_SG_EEENS0_18inequality_wrapperINS9_8equal_toIjEEEEPmJSF_EEE10hipError_tPvRmT3_T4_T5_T6_T7_T9_mT8_P12ihipStream_tbDpT10_ENKUlT_T0_E_clISt17integral_constantIbLb1EES17_IbLb0EEEEDaS13_S14_EUlS13_E_NS1_11comp_targetILNS1_3genE5ELNS1_11target_archE942ELNS1_3gpuE9ELNS1_3repE0EEENS1_30default_config_static_selectorELNS0_4arch9wavefront6targetE0EEEvT1_
	.globl	_ZN7rocprim17ROCPRIM_400000_NS6detail17trampoline_kernelINS0_14default_configENS1_25partition_config_selectorILNS1_17partition_subalgoE9EjjbEEZZNS1_14partition_implILS5_9ELb0ES3_jN6thrust23THRUST_200600_302600_NS6detail15normal_iteratorINS9_10device_ptrIjEEEESE_PNS0_10empty_typeENS0_5tupleIJSE_SF_EEENSH_IJSE_SG_EEENS0_18inequality_wrapperINS9_8equal_toIjEEEEPmJSF_EEE10hipError_tPvRmT3_T4_T5_T6_T7_T9_mT8_P12ihipStream_tbDpT10_ENKUlT_T0_E_clISt17integral_constantIbLb1EES17_IbLb0EEEEDaS13_S14_EUlS13_E_NS1_11comp_targetILNS1_3genE5ELNS1_11target_archE942ELNS1_3gpuE9ELNS1_3repE0EEENS1_30default_config_static_selectorELNS0_4arch9wavefront6targetE0EEEvT1_
	.p2align	8
	.type	_ZN7rocprim17ROCPRIM_400000_NS6detail17trampoline_kernelINS0_14default_configENS1_25partition_config_selectorILNS1_17partition_subalgoE9EjjbEEZZNS1_14partition_implILS5_9ELb0ES3_jN6thrust23THRUST_200600_302600_NS6detail15normal_iteratorINS9_10device_ptrIjEEEESE_PNS0_10empty_typeENS0_5tupleIJSE_SF_EEENSH_IJSE_SG_EEENS0_18inequality_wrapperINS9_8equal_toIjEEEEPmJSF_EEE10hipError_tPvRmT3_T4_T5_T6_T7_T9_mT8_P12ihipStream_tbDpT10_ENKUlT_T0_E_clISt17integral_constantIbLb1EES17_IbLb0EEEEDaS13_S14_EUlS13_E_NS1_11comp_targetILNS1_3genE5ELNS1_11target_archE942ELNS1_3gpuE9ELNS1_3repE0EEENS1_30default_config_static_selectorELNS0_4arch9wavefront6targetE0EEEvT1_,@function
_ZN7rocprim17ROCPRIM_400000_NS6detail17trampoline_kernelINS0_14default_configENS1_25partition_config_selectorILNS1_17partition_subalgoE9EjjbEEZZNS1_14partition_implILS5_9ELb0ES3_jN6thrust23THRUST_200600_302600_NS6detail15normal_iteratorINS9_10device_ptrIjEEEESE_PNS0_10empty_typeENS0_5tupleIJSE_SF_EEENSH_IJSE_SG_EEENS0_18inequality_wrapperINS9_8equal_toIjEEEEPmJSF_EEE10hipError_tPvRmT3_T4_T5_T6_T7_T9_mT8_P12ihipStream_tbDpT10_ENKUlT_T0_E_clISt17integral_constantIbLb1EES17_IbLb0EEEEDaS13_S14_EUlS13_E_NS1_11comp_targetILNS1_3genE5ELNS1_11target_archE942ELNS1_3gpuE9ELNS1_3repE0EEENS1_30default_config_static_selectorELNS0_4arch9wavefront6targetE0EEEvT1_: ; @_ZN7rocprim17ROCPRIM_400000_NS6detail17trampoline_kernelINS0_14default_configENS1_25partition_config_selectorILNS1_17partition_subalgoE9EjjbEEZZNS1_14partition_implILS5_9ELb0ES3_jN6thrust23THRUST_200600_302600_NS6detail15normal_iteratorINS9_10device_ptrIjEEEESE_PNS0_10empty_typeENS0_5tupleIJSE_SF_EEENSH_IJSE_SG_EEENS0_18inequality_wrapperINS9_8equal_toIjEEEEPmJSF_EEE10hipError_tPvRmT3_T4_T5_T6_T7_T9_mT8_P12ihipStream_tbDpT10_ENKUlT_T0_E_clISt17integral_constantIbLb1EES17_IbLb0EEEEDaS13_S14_EUlS13_E_NS1_11comp_targetILNS1_3genE5ELNS1_11target_archE942ELNS1_3gpuE9ELNS1_3repE0EEENS1_30default_config_static_selectorELNS0_4arch9wavefront6targetE0EEEvT1_
; %bb.0:
	.section	.rodata,"a",@progbits
	.p2align	6, 0x0
	.amdhsa_kernel _ZN7rocprim17ROCPRIM_400000_NS6detail17trampoline_kernelINS0_14default_configENS1_25partition_config_selectorILNS1_17partition_subalgoE9EjjbEEZZNS1_14partition_implILS5_9ELb0ES3_jN6thrust23THRUST_200600_302600_NS6detail15normal_iteratorINS9_10device_ptrIjEEEESE_PNS0_10empty_typeENS0_5tupleIJSE_SF_EEENSH_IJSE_SG_EEENS0_18inequality_wrapperINS9_8equal_toIjEEEEPmJSF_EEE10hipError_tPvRmT3_T4_T5_T6_T7_T9_mT8_P12ihipStream_tbDpT10_ENKUlT_T0_E_clISt17integral_constantIbLb1EES17_IbLb0EEEEDaS13_S14_EUlS13_E_NS1_11comp_targetILNS1_3genE5ELNS1_11target_archE942ELNS1_3gpuE9ELNS1_3repE0EEENS1_30default_config_static_selectorELNS0_4arch9wavefront6targetE0EEEvT1_
		.amdhsa_group_segment_fixed_size 0
		.amdhsa_private_segment_fixed_size 0
		.amdhsa_kernarg_size 112
		.amdhsa_user_sgpr_count 15
		.amdhsa_user_sgpr_dispatch_ptr 0
		.amdhsa_user_sgpr_queue_ptr 0
		.amdhsa_user_sgpr_kernarg_segment_ptr 1
		.amdhsa_user_sgpr_dispatch_id 0
		.amdhsa_user_sgpr_private_segment_size 0
		.amdhsa_wavefront_size32 1
		.amdhsa_uses_dynamic_stack 0
		.amdhsa_enable_private_segment 0
		.amdhsa_system_sgpr_workgroup_id_x 1
		.amdhsa_system_sgpr_workgroup_id_y 0
		.amdhsa_system_sgpr_workgroup_id_z 0
		.amdhsa_system_sgpr_workgroup_info 0
		.amdhsa_system_vgpr_workitem_id 0
		.amdhsa_next_free_vgpr 1
		.amdhsa_next_free_sgpr 1
		.amdhsa_reserve_vcc 0
		.amdhsa_float_round_mode_32 0
		.amdhsa_float_round_mode_16_64 0
		.amdhsa_float_denorm_mode_32 3
		.amdhsa_float_denorm_mode_16_64 3
		.amdhsa_dx10_clamp 1
		.amdhsa_ieee_mode 1
		.amdhsa_fp16_overflow 0
		.amdhsa_workgroup_processor_mode 1
		.amdhsa_memory_ordered 1
		.amdhsa_forward_progress 0
		.amdhsa_shared_vgpr_count 0
		.amdhsa_exception_fp_ieee_invalid_op 0
		.amdhsa_exception_fp_denorm_src 0
		.amdhsa_exception_fp_ieee_div_zero 0
		.amdhsa_exception_fp_ieee_overflow 0
		.amdhsa_exception_fp_ieee_underflow 0
		.amdhsa_exception_fp_ieee_inexact 0
		.amdhsa_exception_int_div_zero 0
	.end_amdhsa_kernel
	.section	.text._ZN7rocprim17ROCPRIM_400000_NS6detail17trampoline_kernelINS0_14default_configENS1_25partition_config_selectorILNS1_17partition_subalgoE9EjjbEEZZNS1_14partition_implILS5_9ELb0ES3_jN6thrust23THRUST_200600_302600_NS6detail15normal_iteratorINS9_10device_ptrIjEEEESE_PNS0_10empty_typeENS0_5tupleIJSE_SF_EEENSH_IJSE_SG_EEENS0_18inequality_wrapperINS9_8equal_toIjEEEEPmJSF_EEE10hipError_tPvRmT3_T4_T5_T6_T7_T9_mT8_P12ihipStream_tbDpT10_ENKUlT_T0_E_clISt17integral_constantIbLb1EES17_IbLb0EEEEDaS13_S14_EUlS13_E_NS1_11comp_targetILNS1_3genE5ELNS1_11target_archE942ELNS1_3gpuE9ELNS1_3repE0EEENS1_30default_config_static_selectorELNS0_4arch9wavefront6targetE0EEEvT1_,"axG",@progbits,_ZN7rocprim17ROCPRIM_400000_NS6detail17trampoline_kernelINS0_14default_configENS1_25partition_config_selectorILNS1_17partition_subalgoE9EjjbEEZZNS1_14partition_implILS5_9ELb0ES3_jN6thrust23THRUST_200600_302600_NS6detail15normal_iteratorINS9_10device_ptrIjEEEESE_PNS0_10empty_typeENS0_5tupleIJSE_SF_EEENSH_IJSE_SG_EEENS0_18inequality_wrapperINS9_8equal_toIjEEEEPmJSF_EEE10hipError_tPvRmT3_T4_T5_T6_T7_T9_mT8_P12ihipStream_tbDpT10_ENKUlT_T0_E_clISt17integral_constantIbLb1EES17_IbLb0EEEEDaS13_S14_EUlS13_E_NS1_11comp_targetILNS1_3genE5ELNS1_11target_archE942ELNS1_3gpuE9ELNS1_3repE0EEENS1_30default_config_static_selectorELNS0_4arch9wavefront6targetE0EEEvT1_,comdat
.Lfunc_end227:
	.size	_ZN7rocprim17ROCPRIM_400000_NS6detail17trampoline_kernelINS0_14default_configENS1_25partition_config_selectorILNS1_17partition_subalgoE9EjjbEEZZNS1_14partition_implILS5_9ELb0ES3_jN6thrust23THRUST_200600_302600_NS6detail15normal_iteratorINS9_10device_ptrIjEEEESE_PNS0_10empty_typeENS0_5tupleIJSE_SF_EEENSH_IJSE_SG_EEENS0_18inequality_wrapperINS9_8equal_toIjEEEEPmJSF_EEE10hipError_tPvRmT3_T4_T5_T6_T7_T9_mT8_P12ihipStream_tbDpT10_ENKUlT_T0_E_clISt17integral_constantIbLb1EES17_IbLb0EEEEDaS13_S14_EUlS13_E_NS1_11comp_targetILNS1_3genE5ELNS1_11target_archE942ELNS1_3gpuE9ELNS1_3repE0EEENS1_30default_config_static_selectorELNS0_4arch9wavefront6targetE0EEEvT1_, .Lfunc_end227-_ZN7rocprim17ROCPRIM_400000_NS6detail17trampoline_kernelINS0_14default_configENS1_25partition_config_selectorILNS1_17partition_subalgoE9EjjbEEZZNS1_14partition_implILS5_9ELb0ES3_jN6thrust23THRUST_200600_302600_NS6detail15normal_iteratorINS9_10device_ptrIjEEEESE_PNS0_10empty_typeENS0_5tupleIJSE_SF_EEENSH_IJSE_SG_EEENS0_18inequality_wrapperINS9_8equal_toIjEEEEPmJSF_EEE10hipError_tPvRmT3_T4_T5_T6_T7_T9_mT8_P12ihipStream_tbDpT10_ENKUlT_T0_E_clISt17integral_constantIbLb1EES17_IbLb0EEEEDaS13_S14_EUlS13_E_NS1_11comp_targetILNS1_3genE5ELNS1_11target_archE942ELNS1_3gpuE9ELNS1_3repE0EEENS1_30default_config_static_selectorELNS0_4arch9wavefront6targetE0EEEvT1_
                                        ; -- End function
	.section	.AMDGPU.csdata,"",@progbits
; Kernel info:
; codeLenInByte = 0
; NumSgprs: 0
; NumVgprs: 0
; ScratchSize: 0
; MemoryBound: 0
; FloatMode: 240
; IeeeMode: 1
; LDSByteSize: 0 bytes/workgroup (compile time only)
; SGPRBlocks: 0
; VGPRBlocks: 0
; NumSGPRsForWavesPerEU: 1
; NumVGPRsForWavesPerEU: 1
; Occupancy: 16
; WaveLimiterHint : 0
; COMPUTE_PGM_RSRC2:SCRATCH_EN: 0
; COMPUTE_PGM_RSRC2:USER_SGPR: 15
; COMPUTE_PGM_RSRC2:TRAP_HANDLER: 0
; COMPUTE_PGM_RSRC2:TGID_X_EN: 1
; COMPUTE_PGM_RSRC2:TGID_Y_EN: 0
; COMPUTE_PGM_RSRC2:TGID_Z_EN: 0
; COMPUTE_PGM_RSRC2:TIDIG_COMP_CNT: 0
	.section	.text._ZN7rocprim17ROCPRIM_400000_NS6detail17trampoline_kernelINS0_14default_configENS1_25partition_config_selectorILNS1_17partition_subalgoE9EjjbEEZZNS1_14partition_implILS5_9ELb0ES3_jN6thrust23THRUST_200600_302600_NS6detail15normal_iteratorINS9_10device_ptrIjEEEESE_PNS0_10empty_typeENS0_5tupleIJSE_SF_EEENSH_IJSE_SG_EEENS0_18inequality_wrapperINS9_8equal_toIjEEEEPmJSF_EEE10hipError_tPvRmT3_T4_T5_T6_T7_T9_mT8_P12ihipStream_tbDpT10_ENKUlT_T0_E_clISt17integral_constantIbLb1EES17_IbLb0EEEEDaS13_S14_EUlS13_E_NS1_11comp_targetILNS1_3genE4ELNS1_11target_archE910ELNS1_3gpuE8ELNS1_3repE0EEENS1_30default_config_static_selectorELNS0_4arch9wavefront6targetE0EEEvT1_,"axG",@progbits,_ZN7rocprim17ROCPRIM_400000_NS6detail17trampoline_kernelINS0_14default_configENS1_25partition_config_selectorILNS1_17partition_subalgoE9EjjbEEZZNS1_14partition_implILS5_9ELb0ES3_jN6thrust23THRUST_200600_302600_NS6detail15normal_iteratorINS9_10device_ptrIjEEEESE_PNS0_10empty_typeENS0_5tupleIJSE_SF_EEENSH_IJSE_SG_EEENS0_18inequality_wrapperINS9_8equal_toIjEEEEPmJSF_EEE10hipError_tPvRmT3_T4_T5_T6_T7_T9_mT8_P12ihipStream_tbDpT10_ENKUlT_T0_E_clISt17integral_constantIbLb1EES17_IbLb0EEEEDaS13_S14_EUlS13_E_NS1_11comp_targetILNS1_3genE4ELNS1_11target_archE910ELNS1_3gpuE8ELNS1_3repE0EEENS1_30default_config_static_selectorELNS0_4arch9wavefront6targetE0EEEvT1_,comdat
	.protected	_ZN7rocprim17ROCPRIM_400000_NS6detail17trampoline_kernelINS0_14default_configENS1_25partition_config_selectorILNS1_17partition_subalgoE9EjjbEEZZNS1_14partition_implILS5_9ELb0ES3_jN6thrust23THRUST_200600_302600_NS6detail15normal_iteratorINS9_10device_ptrIjEEEESE_PNS0_10empty_typeENS0_5tupleIJSE_SF_EEENSH_IJSE_SG_EEENS0_18inequality_wrapperINS9_8equal_toIjEEEEPmJSF_EEE10hipError_tPvRmT3_T4_T5_T6_T7_T9_mT8_P12ihipStream_tbDpT10_ENKUlT_T0_E_clISt17integral_constantIbLb1EES17_IbLb0EEEEDaS13_S14_EUlS13_E_NS1_11comp_targetILNS1_3genE4ELNS1_11target_archE910ELNS1_3gpuE8ELNS1_3repE0EEENS1_30default_config_static_selectorELNS0_4arch9wavefront6targetE0EEEvT1_ ; -- Begin function _ZN7rocprim17ROCPRIM_400000_NS6detail17trampoline_kernelINS0_14default_configENS1_25partition_config_selectorILNS1_17partition_subalgoE9EjjbEEZZNS1_14partition_implILS5_9ELb0ES3_jN6thrust23THRUST_200600_302600_NS6detail15normal_iteratorINS9_10device_ptrIjEEEESE_PNS0_10empty_typeENS0_5tupleIJSE_SF_EEENSH_IJSE_SG_EEENS0_18inequality_wrapperINS9_8equal_toIjEEEEPmJSF_EEE10hipError_tPvRmT3_T4_T5_T6_T7_T9_mT8_P12ihipStream_tbDpT10_ENKUlT_T0_E_clISt17integral_constantIbLb1EES17_IbLb0EEEEDaS13_S14_EUlS13_E_NS1_11comp_targetILNS1_3genE4ELNS1_11target_archE910ELNS1_3gpuE8ELNS1_3repE0EEENS1_30default_config_static_selectorELNS0_4arch9wavefront6targetE0EEEvT1_
	.globl	_ZN7rocprim17ROCPRIM_400000_NS6detail17trampoline_kernelINS0_14default_configENS1_25partition_config_selectorILNS1_17partition_subalgoE9EjjbEEZZNS1_14partition_implILS5_9ELb0ES3_jN6thrust23THRUST_200600_302600_NS6detail15normal_iteratorINS9_10device_ptrIjEEEESE_PNS0_10empty_typeENS0_5tupleIJSE_SF_EEENSH_IJSE_SG_EEENS0_18inequality_wrapperINS9_8equal_toIjEEEEPmJSF_EEE10hipError_tPvRmT3_T4_T5_T6_T7_T9_mT8_P12ihipStream_tbDpT10_ENKUlT_T0_E_clISt17integral_constantIbLb1EES17_IbLb0EEEEDaS13_S14_EUlS13_E_NS1_11comp_targetILNS1_3genE4ELNS1_11target_archE910ELNS1_3gpuE8ELNS1_3repE0EEENS1_30default_config_static_selectorELNS0_4arch9wavefront6targetE0EEEvT1_
	.p2align	8
	.type	_ZN7rocprim17ROCPRIM_400000_NS6detail17trampoline_kernelINS0_14default_configENS1_25partition_config_selectorILNS1_17partition_subalgoE9EjjbEEZZNS1_14partition_implILS5_9ELb0ES3_jN6thrust23THRUST_200600_302600_NS6detail15normal_iteratorINS9_10device_ptrIjEEEESE_PNS0_10empty_typeENS0_5tupleIJSE_SF_EEENSH_IJSE_SG_EEENS0_18inequality_wrapperINS9_8equal_toIjEEEEPmJSF_EEE10hipError_tPvRmT3_T4_T5_T6_T7_T9_mT8_P12ihipStream_tbDpT10_ENKUlT_T0_E_clISt17integral_constantIbLb1EES17_IbLb0EEEEDaS13_S14_EUlS13_E_NS1_11comp_targetILNS1_3genE4ELNS1_11target_archE910ELNS1_3gpuE8ELNS1_3repE0EEENS1_30default_config_static_selectorELNS0_4arch9wavefront6targetE0EEEvT1_,@function
_ZN7rocprim17ROCPRIM_400000_NS6detail17trampoline_kernelINS0_14default_configENS1_25partition_config_selectorILNS1_17partition_subalgoE9EjjbEEZZNS1_14partition_implILS5_9ELb0ES3_jN6thrust23THRUST_200600_302600_NS6detail15normal_iteratorINS9_10device_ptrIjEEEESE_PNS0_10empty_typeENS0_5tupleIJSE_SF_EEENSH_IJSE_SG_EEENS0_18inequality_wrapperINS9_8equal_toIjEEEEPmJSF_EEE10hipError_tPvRmT3_T4_T5_T6_T7_T9_mT8_P12ihipStream_tbDpT10_ENKUlT_T0_E_clISt17integral_constantIbLb1EES17_IbLb0EEEEDaS13_S14_EUlS13_E_NS1_11comp_targetILNS1_3genE4ELNS1_11target_archE910ELNS1_3gpuE8ELNS1_3repE0EEENS1_30default_config_static_selectorELNS0_4arch9wavefront6targetE0EEEvT1_: ; @_ZN7rocprim17ROCPRIM_400000_NS6detail17trampoline_kernelINS0_14default_configENS1_25partition_config_selectorILNS1_17partition_subalgoE9EjjbEEZZNS1_14partition_implILS5_9ELb0ES3_jN6thrust23THRUST_200600_302600_NS6detail15normal_iteratorINS9_10device_ptrIjEEEESE_PNS0_10empty_typeENS0_5tupleIJSE_SF_EEENSH_IJSE_SG_EEENS0_18inequality_wrapperINS9_8equal_toIjEEEEPmJSF_EEE10hipError_tPvRmT3_T4_T5_T6_T7_T9_mT8_P12ihipStream_tbDpT10_ENKUlT_T0_E_clISt17integral_constantIbLb1EES17_IbLb0EEEEDaS13_S14_EUlS13_E_NS1_11comp_targetILNS1_3genE4ELNS1_11target_archE910ELNS1_3gpuE8ELNS1_3repE0EEENS1_30default_config_static_selectorELNS0_4arch9wavefront6targetE0EEEvT1_
; %bb.0:
	.section	.rodata,"a",@progbits
	.p2align	6, 0x0
	.amdhsa_kernel _ZN7rocprim17ROCPRIM_400000_NS6detail17trampoline_kernelINS0_14default_configENS1_25partition_config_selectorILNS1_17partition_subalgoE9EjjbEEZZNS1_14partition_implILS5_9ELb0ES3_jN6thrust23THRUST_200600_302600_NS6detail15normal_iteratorINS9_10device_ptrIjEEEESE_PNS0_10empty_typeENS0_5tupleIJSE_SF_EEENSH_IJSE_SG_EEENS0_18inequality_wrapperINS9_8equal_toIjEEEEPmJSF_EEE10hipError_tPvRmT3_T4_T5_T6_T7_T9_mT8_P12ihipStream_tbDpT10_ENKUlT_T0_E_clISt17integral_constantIbLb1EES17_IbLb0EEEEDaS13_S14_EUlS13_E_NS1_11comp_targetILNS1_3genE4ELNS1_11target_archE910ELNS1_3gpuE8ELNS1_3repE0EEENS1_30default_config_static_selectorELNS0_4arch9wavefront6targetE0EEEvT1_
		.amdhsa_group_segment_fixed_size 0
		.amdhsa_private_segment_fixed_size 0
		.amdhsa_kernarg_size 112
		.amdhsa_user_sgpr_count 15
		.amdhsa_user_sgpr_dispatch_ptr 0
		.amdhsa_user_sgpr_queue_ptr 0
		.amdhsa_user_sgpr_kernarg_segment_ptr 1
		.amdhsa_user_sgpr_dispatch_id 0
		.amdhsa_user_sgpr_private_segment_size 0
		.amdhsa_wavefront_size32 1
		.amdhsa_uses_dynamic_stack 0
		.amdhsa_enable_private_segment 0
		.amdhsa_system_sgpr_workgroup_id_x 1
		.amdhsa_system_sgpr_workgroup_id_y 0
		.amdhsa_system_sgpr_workgroup_id_z 0
		.amdhsa_system_sgpr_workgroup_info 0
		.amdhsa_system_vgpr_workitem_id 0
		.amdhsa_next_free_vgpr 1
		.amdhsa_next_free_sgpr 1
		.amdhsa_reserve_vcc 0
		.amdhsa_float_round_mode_32 0
		.amdhsa_float_round_mode_16_64 0
		.amdhsa_float_denorm_mode_32 3
		.amdhsa_float_denorm_mode_16_64 3
		.amdhsa_dx10_clamp 1
		.amdhsa_ieee_mode 1
		.amdhsa_fp16_overflow 0
		.amdhsa_workgroup_processor_mode 1
		.amdhsa_memory_ordered 1
		.amdhsa_forward_progress 0
		.amdhsa_shared_vgpr_count 0
		.amdhsa_exception_fp_ieee_invalid_op 0
		.amdhsa_exception_fp_denorm_src 0
		.amdhsa_exception_fp_ieee_div_zero 0
		.amdhsa_exception_fp_ieee_overflow 0
		.amdhsa_exception_fp_ieee_underflow 0
		.amdhsa_exception_fp_ieee_inexact 0
		.amdhsa_exception_int_div_zero 0
	.end_amdhsa_kernel
	.section	.text._ZN7rocprim17ROCPRIM_400000_NS6detail17trampoline_kernelINS0_14default_configENS1_25partition_config_selectorILNS1_17partition_subalgoE9EjjbEEZZNS1_14partition_implILS5_9ELb0ES3_jN6thrust23THRUST_200600_302600_NS6detail15normal_iteratorINS9_10device_ptrIjEEEESE_PNS0_10empty_typeENS0_5tupleIJSE_SF_EEENSH_IJSE_SG_EEENS0_18inequality_wrapperINS9_8equal_toIjEEEEPmJSF_EEE10hipError_tPvRmT3_T4_T5_T6_T7_T9_mT8_P12ihipStream_tbDpT10_ENKUlT_T0_E_clISt17integral_constantIbLb1EES17_IbLb0EEEEDaS13_S14_EUlS13_E_NS1_11comp_targetILNS1_3genE4ELNS1_11target_archE910ELNS1_3gpuE8ELNS1_3repE0EEENS1_30default_config_static_selectorELNS0_4arch9wavefront6targetE0EEEvT1_,"axG",@progbits,_ZN7rocprim17ROCPRIM_400000_NS6detail17trampoline_kernelINS0_14default_configENS1_25partition_config_selectorILNS1_17partition_subalgoE9EjjbEEZZNS1_14partition_implILS5_9ELb0ES3_jN6thrust23THRUST_200600_302600_NS6detail15normal_iteratorINS9_10device_ptrIjEEEESE_PNS0_10empty_typeENS0_5tupleIJSE_SF_EEENSH_IJSE_SG_EEENS0_18inequality_wrapperINS9_8equal_toIjEEEEPmJSF_EEE10hipError_tPvRmT3_T4_T5_T6_T7_T9_mT8_P12ihipStream_tbDpT10_ENKUlT_T0_E_clISt17integral_constantIbLb1EES17_IbLb0EEEEDaS13_S14_EUlS13_E_NS1_11comp_targetILNS1_3genE4ELNS1_11target_archE910ELNS1_3gpuE8ELNS1_3repE0EEENS1_30default_config_static_selectorELNS0_4arch9wavefront6targetE0EEEvT1_,comdat
.Lfunc_end228:
	.size	_ZN7rocprim17ROCPRIM_400000_NS6detail17trampoline_kernelINS0_14default_configENS1_25partition_config_selectorILNS1_17partition_subalgoE9EjjbEEZZNS1_14partition_implILS5_9ELb0ES3_jN6thrust23THRUST_200600_302600_NS6detail15normal_iteratorINS9_10device_ptrIjEEEESE_PNS0_10empty_typeENS0_5tupleIJSE_SF_EEENSH_IJSE_SG_EEENS0_18inequality_wrapperINS9_8equal_toIjEEEEPmJSF_EEE10hipError_tPvRmT3_T4_T5_T6_T7_T9_mT8_P12ihipStream_tbDpT10_ENKUlT_T0_E_clISt17integral_constantIbLb1EES17_IbLb0EEEEDaS13_S14_EUlS13_E_NS1_11comp_targetILNS1_3genE4ELNS1_11target_archE910ELNS1_3gpuE8ELNS1_3repE0EEENS1_30default_config_static_selectorELNS0_4arch9wavefront6targetE0EEEvT1_, .Lfunc_end228-_ZN7rocprim17ROCPRIM_400000_NS6detail17trampoline_kernelINS0_14default_configENS1_25partition_config_selectorILNS1_17partition_subalgoE9EjjbEEZZNS1_14partition_implILS5_9ELb0ES3_jN6thrust23THRUST_200600_302600_NS6detail15normal_iteratorINS9_10device_ptrIjEEEESE_PNS0_10empty_typeENS0_5tupleIJSE_SF_EEENSH_IJSE_SG_EEENS0_18inequality_wrapperINS9_8equal_toIjEEEEPmJSF_EEE10hipError_tPvRmT3_T4_T5_T6_T7_T9_mT8_P12ihipStream_tbDpT10_ENKUlT_T0_E_clISt17integral_constantIbLb1EES17_IbLb0EEEEDaS13_S14_EUlS13_E_NS1_11comp_targetILNS1_3genE4ELNS1_11target_archE910ELNS1_3gpuE8ELNS1_3repE0EEENS1_30default_config_static_selectorELNS0_4arch9wavefront6targetE0EEEvT1_
                                        ; -- End function
	.section	.AMDGPU.csdata,"",@progbits
; Kernel info:
; codeLenInByte = 0
; NumSgprs: 0
; NumVgprs: 0
; ScratchSize: 0
; MemoryBound: 0
; FloatMode: 240
; IeeeMode: 1
; LDSByteSize: 0 bytes/workgroup (compile time only)
; SGPRBlocks: 0
; VGPRBlocks: 0
; NumSGPRsForWavesPerEU: 1
; NumVGPRsForWavesPerEU: 1
; Occupancy: 15
; WaveLimiterHint : 0
; COMPUTE_PGM_RSRC2:SCRATCH_EN: 0
; COMPUTE_PGM_RSRC2:USER_SGPR: 15
; COMPUTE_PGM_RSRC2:TRAP_HANDLER: 0
; COMPUTE_PGM_RSRC2:TGID_X_EN: 1
; COMPUTE_PGM_RSRC2:TGID_Y_EN: 0
; COMPUTE_PGM_RSRC2:TGID_Z_EN: 0
; COMPUTE_PGM_RSRC2:TIDIG_COMP_CNT: 0
	.section	.text._ZN7rocprim17ROCPRIM_400000_NS6detail17trampoline_kernelINS0_14default_configENS1_25partition_config_selectorILNS1_17partition_subalgoE9EjjbEEZZNS1_14partition_implILS5_9ELb0ES3_jN6thrust23THRUST_200600_302600_NS6detail15normal_iteratorINS9_10device_ptrIjEEEESE_PNS0_10empty_typeENS0_5tupleIJSE_SF_EEENSH_IJSE_SG_EEENS0_18inequality_wrapperINS9_8equal_toIjEEEEPmJSF_EEE10hipError_tPvRmT3_T4_T5_T6_T7_T9_mT8_P12ihipStream_tbDpT10_ENKUlT_T0_E_clISt17integral_constantIbLb1EES17_IbLb0EEEEDaS13_S14_EUlS13_E_NS1_11comp_targetILNS1_3genE3ELNS1_11target_archE908ELNS1_3gpuE7ELNS1_3repE0EEENS1_30default_config_static_selectorELNS0_4arch9wavefront6targetE0EEEvT1_,"axG",@progbits,_ZN7rocprim17ROCPRIM_400000_NS6detail17trampoline_kernelINS0_14default_configENS1_25partition_config_selectorILNS1_17partition_subalgoE9EjjbEEZZNS1_14partition_implILS5_9ELb0ES3_jN6thrust23THRUST_200600_302600_NS6detail15normal_iteratorINS9_10device_ptrIjEEEESE_PNS0_10empty_typeENS0_5tupleIJSE_SF_EEENSH_IJSE_SG_EEENS0_18inequality_wrapperINS9_8equal_toIjEEEEPmJSF_EEE10hipError_tPvRmT3_T4_T5_T6_T7_T9_mT8_P12ihipStream_tbDpT10_ENKUlT_T0_E_clISt17integral_constantIbLb1EES17_IbLb0EEEEDaS13_S14_EUlS13_E_NS1_11comp_targetILNS1_3genE3ELNS1_11target_archE908ELNS1_3gpuE7ELNS1_3repE0EEENS1_30default_config_static_selectorELNS0_4arch9wavefront6targetE0EEEvT1_,comdat
	.protected	_ZN7rocprim17ROCPRIM_400000_NS6detail17trampoline_kernelINS0_14default_configENS1_25partition_config_selectorILNS1_17partition_subalgoE9EjjbEEZZNS1_14partition_implILS5_9ELb0ES3_jN6thrust23THRUST_200600_302600_NS6detail15normal_iteratorINS9_10device_ptrIjEEEESE_PNS0_10empty_typeENS0_5tupleIJSE_SF_EEENSH_IJSE_SG_EEENS0_18inequality_wrapperINS9_8equal_toIjEEEEPmJSF_EEE10hipError_tPvRmT3_T4_T5_T6_T7_T9_mT8_P12ihipStream_tbDpT10_ENKUlT_T0_E_clISt17integral_constantIbLb1EES17_IbLb0EEEEDaS13_S14_EUlS13_E_NS1_11comp_targetILNS1_3genE3ELNS1_11target_archE908ELNS1_3gpuE7ELNS1_3repE0EEENS1_30default_config_static_selectorELNS0_4arch9wavefront6targetE0EEEvT1_ ; -- Begin function _ZN7rocprim17ROCPRIM_400000_NS6detail17trampoline_kernelINS0_14default_configENS1_25partition_config_selectorILNS1_17partition_subalgoE9EjjbEEZZNS1_14partition_implILS5_9ELb0ES3_jN6thrust23THRUST_200600_302600_NS6detail15normal_iteratorINS9_10device_ptrIjEEEESE_PNS0_10empty_typeENS0_5tupleIJSE_SF_EEENSH_IJSE_SG_EEENS0_18inequality_wrapperINS9_8equal_toIjEEEEPmJSF_EEE10hipError_tPvRmT3_T4_T5_T6_T7_T9_mT8_P12ihipStream_tbDpT10_ENKUlT_T0_E_clISt17integral_constantIbLb1EES17_IbLb0EEEEDaS13_S14_EUlS13_E_NS1_11comp_targetILNS1_3genE3ELNS1_11target_archE908ELNS1_3gpuE7ELNS1_3repE0EEENS1_30default_config_static_selectorELNS0_4arch9wavefront6targetE0EEEvT1_
	.globl	_ZN7rocprim17ROCPRIM_400000_NS6detail17trampoline_kernelINS0_14default_configENS1_25partition_config_selectorILNS1_17partition_subalgoE9EjjbEEZZNS1_14partition_implILS5_9ELb0ES3_jN6thrust23THRUST_200600_302600_NS6detail15normal_iteratorINS9_10device_ptrIjEEEESE_PNS0_10empty_typeENS0_5tupleIJSE_SF_EEENSH_IJSE_SG_EEENS0_18inequality_wrapperINS9_8equal_toIjEEEEPmJSF_EEE10hipError_tPvRmT3_T4_T5_T6_T7_T9_mT8_P12ihipStream_tbDpT10_ENKUlT_T0_E_clISt17integral_constantIbLb1EES17_IbLb0EEEEDaS13_S14_EUlS13_E_NS1_11comp_targetILNS1_3genE3ELNS1_11target_archE908ELNS1_3gpuE7ELNS1_3repE0EEENS1_30default_config_static_selectorELNS0_4arch9wavefront6targetE0EEEvT1_
	.p2align	8
	.type	_ZN7rocprim17ROCPRIM_400000_NS6detail17trampoline_kernelINS0_14default_configENS1_25partition_config_selectorILNS1_17partition_subalgoE9EjjbEEZZNS1_14partition_implILS5_9ELb0ES3_jN6thrust23THRUST_200600_302600_NS6detail15normal_iteratorINS9_10device_ptrIjEEEESE_PNS0_10empty_typeENS0_5tupleIJSE_SF_EEENSH_IJSE_SG_EEENS0_18inequality_wrapperINS9_8equal_toIjEEEEPmJSF_EEE10hipError_tPvRmT3_T4_T5_T6_T7_T9_mT8_P12ihipStream_tbDpT10_ENKUlT_T0_E_clISt17integral_constantIbLb1EES17_IbLb0EEEEDaS13_S14_EUlS13_E_NS1_11comp_targetILNS1_3genE3ELNS1_11target_archE908ELNS1_3gpuE7ELNS1_3repE0EEENS1_30default_config_static_selectorELNS0_4arch9wavefront6targetE0EEEvT1_,@function
_ZN7rocprim17ROCPRIM_400000_NS6detail17trampoline_kernelINS0_14default_configENS1_25partition_config_selectorILNS1_17partition_subalgoE9EjjbEEZZNS1_14partition_implILS5_9ELb0ES3_jN6thrust23THRUST_200600_302600_NS6detail15normal_iteratorINS9_10device_ptrIjEEEESE_PNS0_10empty_typeENS0_5tupleIJSE_SF_EEENSH_IJSE_SG_EEENS0_18inequality_wrapperINS9_8equal_toIjEEEEPmJSF_EEE10hipError_tPvRmT3_T4_T5_T6_T7_T9_mT8_P12ihipStream_tbDpT10_ENKUlT_T0_E_clISt17integral_constantIbLb1EES17_IbLb0EEEEDaS13_S14_EUlS13_E_NS1_11comp_targetILNS1_3genE3ELNS1_11target_archE908ELNS1_3gpuE7ELNS1_3repE0EEENS1_30default_config_static_selectorELNS0_4arch9wavefront6targetE0EEEvT1_: ; @_ZN7rocprim17ROCPRIM_400000_NS6detail17trampoline_kernelINS0_14default_configENS1_25partition_config_selectorILNS1_17partition_subalgoE9EjjbEEZZNS1_14partition_implILS5_9ELb0ES3_jN6thrust23THRUST_200600_302600_NS6detail15normal_iteratorINS9_10device_ptrIjEEEESE_PNS0_10empty_typeENS0_5tupleIJSE_SF_EEENSH_IJSE_SG_EEENS0_18inequality_wrapperINS9_8equal_toIjEEEEPmJSF_EEE10hipError_tPvRmT3_T4_T5_T6_T7_T9_mT8_P12ihipStream_tbDpT10_ENKUlT_T0_E_clISt17integral_constantIbLb1EES17_IbLb0EEEEDaS13_S14_EUlS13_E_NS1_11comp_targetILNS1_3genE3ELNS1_11target_archE908ELNS1_3gpuE7ELNS1_3repE0EEENS1_30default_config_static_selectorELNS0_4arch9wavefront6targetE0EEEvT1_
; %bb.0:
	.section	.rodata,"a",@progbits
	.p2align	6, 0x0
	.amdhsa_kernel _ZN7rocprim17ROCPRIM_400000_NS6detail17trampoline_kernelINS0_14default_configENS1_25partition_config_selectorILNS1_17partition_subalgoE9EjjbEEZZNS1_14partition_implILS5_9ELb0ES3_jN6thrust23THRUST_200600_302600_NS6detail15normal_iteratorINS9_10device_ptrIjEEEESE_PNS0_10empty_typeENS0_5tupleIJSE_SF_EEENSH_IJSE_SG_EEENS0_18inequality_wrapperINS9_8equal_toIjEEEEPmJSF_EEE10hipError_tPvRmT3_T4_T5_T6_T7_T9_mT8_P12ihipStream_tbDpT10_ENKUlT_T0_E_clISt17integral_constantIbLb1EES17_IbLb0EEEEDaS13_S14_EUlS13_E_NS1_11comp_targetILNS1_3genE3ELNS1_11target_archE908ELNS1_3gpuE7ELNS1_3repE0EEENS1_30default_config_static_selectorELNS0_4arch9wavefront6targetE0EEEvT1_
		.amdhsa_group_segment_fixed_size 0
		.amdhsa_private_segment_fixed_size 0
		.amdhsa_kernarg_size 112
		.amdhsa_user_sgpr_count 15
		.amdhsa_user_sgpr_dispatch_ptr 0
		.amdhsa_user_sgpr_queue_ptr 0
		.amdhsa_user_sgpr_kernarg_segment_ptr 1
		.amdhsa_user_sgpr_dispatch_id 0
		.amdhsa_user_sgpr_private_segment_size 0
		.amdhsa_wavefront_size32 1
		.amdhsa_uses_dynamic_stack 0
		.amdhsa_enable_private_segment 0
		.amdhsa_system_sgpr_workgroup_id_x 1
		.amdhsa_system_sgpr_workgroup_id_y 0
		.amdhsa_system_sgpr_workgroup_id_z 0
		.amdhsa_system_sgpr_workgroup_info 0
		.amdhsa_system_vgpr_workitem_id 0
		.amdhsa_next_free_vgpr 1
		.amdhsa_next_free_sgpr 1
		.amdhsa_reserve_vcc 0
		.amdhsa_float_round_mode_32 0
		.amdhsa_float_round_mode_16_64 0
		.amdhsa_float_denorm_mode_32 3
		.amdhsa_float_denorm_mode_16_64 3
		.amdhsa_dx10_clamp 1
		.amdhsa_ieee_mode 1
		.amdhsa_fp16_overflow 0
		.amdhsa_workgroup_processor_mode 1
		.amdhsa_memory_ordered 1
		.amdhsa_forward_progress 0
		.amdhsa_shared_vgpr_count 0
		.amdhsa_exception_fp_ieee_invalid_op 0
		.amdhsa_exception_fp_denorm_src 0
		.amdhsa_exception_fp_ieee_div_zero 0
		.amdhsa_exception_fp_ieee_overflow 0
		.amdhsa_exception_fp_ieee_underflow 0
		.amdhsa_exception_fp_ieee_inexact 0
		.amdhsa_exception_int_div_zero 0
	.end_amdhsa_kernel
	.section	.text._ZN7rocprim17ROCPRIM_400000_NS6detail17trampoline_kernelINS0_14default_configENS1_25partition_config_selectorILNS1_17partition_subalgoE9EjjbEEZZNS1_14partition_implILS5_9ELb0ES3_jN6thrust23THRUST_200600_302600_NS6detail15normal_iteratorINS9_10device_ptrIjEEEESE_PNS0_10empty_typeENS0_5tupleIJSE_SF_EEENSH_IJSE_SG_EEENS0_18inequality_wrapperINS9_8equal_toIjEEEEPmJSF_EEE10hipError_tPvRmT3_T4_T5_T6_T7_T9_mT8_P12ihipStream_tbDpT10_ENKUlT_T0_E_clISt17integral_constantIbLb1EES17_IbLb0EEEEDaS13_S14_EUlS13_E_NS1_11comp_targetILNS1_3genE3ELNS1_11target_archE908ELNS1_3gpuE7ELNS1_3repE0EEENS1_30default_config_static_selectorELNS0_4arch9wavefront6targetE0EEEvT1_,"axG",@progbits,_ZN7rocprim17ROCPRIM_400000_NS6detail17trampoline_kernelINS0_14default_configENS1_25partition_config_selectorILNS1_17partition_subalgoE9EjjbEEZZNS1_14partition_implILS5_9ELb0ES3_jN6thrust23THRUST_200600_302600_NS6detail15normal_iteratorINS9_10device_ptrIjEEEESE_PNS0_10empty_typeENS0_5tupleIJSE_SF_EEENSH_IJSE_SG_EEENS0_18inequality_wrapperINS9_8equal_toIjEEEEPmJSF_EEE10hipError_tPvRmT3_T4_T5_T6_T7_T9_mT8_P12ihipStream_tbDpT10_ENKUlT_T0_E_clISt17integral_constantIbLb1EES17_IbLb0EEEEDaS13_S14_EUlS13_E_NS1_11comp_targetILNS1_3genE3ELNS1_11target_archE908ELNS1_3gpuE7ELNS1_3repE0EEENS1_30default_config_static_selectorELNS0_4arch9wavefront6targetE0EEEvT1_,comdat
.Lfunc_end229:
	.size	_ZN7rocprim17ROCPRIM_400000_NS6detail17trampoline_kernelINS0_14default_configENS1_25partition_config_selectorILNS1_17partition_subalgoE9EjjbEEZZNS1_14partition_implILS5_9ELb0ES3_jN6thrust23THRUST_200600_302600_NS6detail15normal_iteratorINS9_10device_ptrIjEEEESE_PNS0_10empty_typeENS0_5tupleIJSE_SF_EEENSH_IJSE_SG_EEENS0_18inequality_wrapperINS9_8equal_toIjEEEEPmJSF_EEE10hipError_tPvRmT3_T4_T5_T6_T7_T9_mT8_P12ihipStream_tbDpT10_ENKUlT_T0_E_clISt17integral_constantIbLb1EES17_IbLb0EEEEDaS13_S14_EUlS13_E_NS1_11comp_targetILNS1_3genE3ELNS1_11target_archE908ELNS1_3gpuE7ELNS1_3repE0EEENS1_30default_config_static_selectorELNS0_4arch9wavefront6targetE0EEEvT1_, .Lfunc_end229-_ZN7rocprim17ROCPRIM_400000_NS6detail17trampoline_kernelINS0_14default_configENS1_25partition_config_selectorILNS1_17partition_subalgoE9EjjbEEZZNS1_14partition_implILS5_9ELb0ES3_jN6thrust23THRUST_200600_302600_NS6detail15normal_iteratorINS9_10device_ptrIjEEEESE_PNS0_10empty_typeENS0_5tupleIJSE_SF_EEENSH_IJSE_SG_EEENS0_18inequality_wrapperINS9_8equal_toIjEEEEPmJSF_EEE10hipError_tPvRmT3_T4_T5_T6_T7_T9_mT8_P12ihipStream_tbDpT10_ENKUlT_T0_E_clISt17integral_constantIbLb1EES17_IbLb0EEEEDaS13_S14_EUlS13_E_NS1_11comp_targetILNS1_3genE3ELNS1_11target_archE908ELNS1_3gpuE7ELNS1_3repE0EEENS1_30default_config_static_selectorELNS0_4arch9wavefront6targetE0EEEvT1_
                                        ; -- End function
	.section	.AMDGPU.csdata,"",@progbits
; Kernel info:
; codeLenInByte = 0
; NumSgprs: 0
; NumVgprs: 0
; ScratchSize: 0
; MemoryBound: 0
; FloatMode: 240
; IeeeMode: 1
; LDSByteSize: 0 bytes/workgroup (compile time only)
; SGPRBlocks: 0
; VGPRBlocks: 0
; NumSGPRsForWavesPerEU: 1
; NumVGPRsForWavesPerEU: 1
; Occupancy: 16
; WaveLimiterHint : 0
; COMPUTE_PGM_RSRC2:SCRATCH_EN: 0
; COMPUTE_PGM_RSRC2:USER_SGPR: 15
; COMPUTE_PGM_RSRC2:TRAP_HANDLER: 0
; COMPUTE_PGM_RSRC2:TGID_X_EN: 1
; COMPUTE_PGM_RSRC2:TGID_Y_EN: 0
; COMPUTE_PGM_RSRC2:TGID_Z_EN: 0
; COMPUTE_PGM_RSRC2:TIDIG_COMP_CNT: 0
	.section	.text._ZN7rocprim17ROCPRIM_400000_NS6detail17trampoline_kernelINS0_14default_configENS1_25partition_config_selectorILNS1_17partition_subalgoE9EjjbEEZZNS1_14partition_implILS5_9ELb0ES3_jN6thrust23THRUST_200600_302600_NS6detail15normal_iteratorINS9_10device_ptrIjEEEESE_PNS0_10empty_typeENS0_5tupleIJSE_SF_EEENSH_IJSE_SG_EEENS0_18inequality_wrapperINS9_8equal_toIjEEEEPmJSF_EEE10hipError_tPvRmT3_T4_T5_T6_T7_T9_mT8_P12ihipStream_tbDpT10_ENKUlT_T0_E_clISt17integral_constantIbLb1EES17_IbLb0EEEEDaS13_S14_EUlS13_E_NS1_11comp_targetILNS1_3genE2ELNS1_11target_archE906ELNS1_3gpuE6ELNS1_3repE0EEENS1_30default_config_static_selectorELNS0_4arch9wavefront6targetE0EEEvT1_,"axG",@progbits,_ZN7rocprim17ROCPRIM_400000_NS6detail17trampoline_kernelINS0_14default_configENS1_25partition_config_selectorILNS1_17partition_subalgoE9EjjbEEZZNS1_14partition_implILS5_9ELb0ES3_jN6thrust23THRUST_200600_302600_NS6detail15normal_iteratorINS9_10device_ptrIjEEEESE_PNS0_10empty_typeENS0_5tupleIJSE_SF_EEENSH_IJSE_SG_EEENS0_18inequality_wrapperINS9_8equal_toIjEEEEPmJSF_EEE10hipError_tPvRmT3_T4_T5_T6_T7_T9_mT8_P12ihipStream_tbDpT10_ENKUlT_T0_E_clISt17integral_constantIbLb1EES17_IbLb0EEEEDaS13_S14_EUlS13_E_NS1_11comp_targetILNS1_3genE2ELNS1_11target_archE906ELNS1_3gpuE6ELNS1_3repE0EEENS1_30default_config_static_selectorELNS0_4arch9wavefront6targetE0EEEvT1_,comdat
	.protected	_ZN7rocprim17ROCPRIM_400000_NS6detail17trampoline_kernelINS0_14default_configENS1_25partition_config_selectorILNS1_17partition_subalgoE9EjjbEEZZNS1_14partition_implILS5_9ELb0ES3_jN6thrust23THRUST_200600_302600_NS6detail15normal_iteratorINS9_10device_ptrIjEEEESE_PNS0_10empty_typeENS0_5tupleIJSE_SF_EEENSH_IJSE_SG_EEENS0_18inequality_wrapperINS9_8equal_toIjEEEEPmJSF_EEE10hipError_tPvRmT3_T4_T5_T6_T7_T9_mT8_P12ihipStream_tbDpT10_ENKUlT_T0_E_clISt17integral_constantIbLb1EES17_IbLb0EEEEDaS13_S14_EUlS13_E_NS1_11comp_targetILNS1_3genE2ELNS1_11target_archE906ELNS1_3gpuE6ELNS1_3repE0EEENS1_30default_config_static_selectorELNS0_4arch9wavefront6targetE0EEEvT1_ ; -- Begin function _ZN7rocprim17ROCPRIM_400000_NS6detail17trampoline_kernelINS0_14default_configENS1_25partition_config_selectorILNS1_17partition_subalgoE9EjjbEEZZNS1_14partition_implILS5_9ELb0ES3_jN6thrust23THRUST_200600_302600_NS6detail15normal_iteratorINS9_10device_ptrIjEEEESE_PNS0_10empty_typeENS0_5tupleIJSE_SF_EEENSH_IJSE_SG_EEENS0_18inequality_wrapperINS9_8equal_toIjEEEEPmJSF_EEE10hipError_tPvRmT3_T4_T5_T6_T7_T9_mT8_P12ihipStream_tbDpT10_ENKUlT_T0_E_clISt17integral_constantIbLb1EES17_IbLb0EEEEDaS13_S14_EUlS13_E_NS1_11comp_targetILNS1_3genE2ELNS1_11target_archE906ELNS1_3gpuE6ELNS1_3repE0EEENS1_30default_config_static_selectorELNS0_4arch9wavefront6targetE0EEEvT1_
	.globl	_ZN7rocprim17ROCPRIM_400000_NS6detail17trampoline_kernelINS0_14default_configENS1_25partition_config_selectorILNS1_17partition_subalgoE9EjjbEEZZNS1_14partition_implILS5_9ELb0ES3_jN6thrust23THRUST_200600_302600_NS6detail15normal_iteratorINS9_10device_ptrIjEEEESE_PNS0_10empty_typeENS0_5tupleIJSE_SF_EEENSH_IJSE_SG_EEENS0_18inequality_wrapperINS9_8equal_toIjEEEEPmJSF_EEE10hipError_tPvRmT3_T4_T5_T6_T7_T9_mT8_P12ihipStream_tbDpT10_ENKUlT_T0_E_clISt17integral_constantIbLb1EES17_IbLb0EEEEDaS13_S14_EUlS13_E_NS1_11comp_targetILNS1_3genE2ELNS1_11target_archE906ELNS1_3gpuE6ELNS1_3repE0EEENS1_30default_config_static_selectorELNS0_4arch9wavefront6targetE0EEEvT1_
	.p2align	8
	.type	_ZN7rocprim17ROCPRIM_400000_NS6detail17trampoline_kernelINS0_14default_configENS1_25partition_config_selectorILNS1_17partition_subalgoE9EjjbEEZZNS1_14partition_implILS5_9ELb0ES3_jN6thrust23THRUST_200600_302600_NS6detail15normal_iteratorINS9_10device_ptrIjEEEESE_PNS0_10empty_typeENS0_5tupleIJSE_SF_EEENSH_IJSE_SG_EEENS0_18inequality_wrapperINS9_8equal_toIjEEEEPmJSF_EEE10hipError_tPvRmT3_T4_T5_T6_T7_T9_mT8_P12ihipStream_tbDpT10_ENKUlT_T0_E_clISt17integral_constantIbLb1EES17_IbLb0EEEEDaS13_S14_EUlS13_E_NS1_11comp_targetILNS1_3genE2ELNS1_11target_archE906ELNS1_3gpuE6ELNS1_3repE0EEENS1_30default_config_static_selectorELNS0_4arch9wavefront6targetE0EEEvT1_,@function
_ZN7rocprim17ROCPRIM_400000_NS6detail17trampoline_kernelINS0_14default_configENS1_25partition_config_selectorILNS1_17partition_subalgoE9EjjbEEZZNS1_14partition_implILS5_9ELb0ES3_jN6thrust23THRUST_200600_302600_NS6detail15normal_iteratorINS9_10device_ptrIjEEEESE_PNS0_10empty_typeENS0_5tupleIJSE_SF_EEENSH_IJSE_SG_EEENS0_18inequality_wrapperINS9_8equal_toIjEEEEPmJSF_EEE10hipError_tPvRmT3_T4_T5_T6_T7_T9_mT8_P12ihipStream_tbDpT10_ENKUlT_T0_E_clISt17integral_constantIbLb1EES17_IbLb0EEEEDaS13_S14_EUlS13_E_NS1_11comp_targetILNS1_3genE2ELNS1_11target_archE906ELNS1_3gpuE6ELNS1_3repE0EEENS1_30default_config_static_selectorELNS0_4arch9wavefront6targetE0EEEvT1_: ; @_ZN7rocprim17ROCPRIM_400000_NS6detail17trampoline_kernelINS0_14default_configENS1_25partition_config_selectorILNS1_17partition_subalgoE9EjjbEEZZNS1_14partition_implILS5_9ELb0ES3_jN6thrust23THRUST_200600_302600_NS6detail15normal_iteratorINS9_10device_ptrIjEEEESE_PNS0_10empty_typeENS0_5tupleIJSE_SF_EEENSH_IJSE_SG_EEENS0_18inequality_wrapperINS9_8equal_toIjEEEEPmJSF_EEE10hipError_tPvRmT3_T4_T5_T6_T7_T9_mT8_P12ihipStream_tbDpT10_ENKUlT_T0_E_clISt17integral_constantIbLb1EES17_IbLb0EEEEDaS13_S14_EUlS13_E_NS1_11comp_targetILNS1_3genE2ELNS1_11target_archE906ELNS1_3gpuE6ELNS1_3repE0EEENS1_30default_config_static_selectorELNS0_4arch9wavefront6targetE0EEEvT1_
; %bb.0:
	.section	.rodata,"a",@progbits
	.p2align	6, 0x0
	.amdhsa_kernel _ZN7rocprim17ROCPRIM_400000_NS6detail17trampoline_kernelINS0_14default_configENS1_25partition_config_selectorILNS1_17partition_subalgoE9EjjbEEZZNS1_14partition_implILS5_9ELb0ES3_jN6thrust23THRUST_200600_302600_NS6detail15normal_iteratorINS9_10device_ptrIjEEEESE_PNS0_10empty_typeENS0_5tupleIJSE_SF_EEENSH_IJSE_SG_EEENS0_18inequality_wrapperINS9_8equal_toIjEEEEPmJSF_EEE10hipError_tPvRmT3_T4_T5_T6_T7_T9_mT8_P12ihipStream_tbDpT10_ENKUlT_T0_E_clISt17integral_constantIbLb1EES17_IbLb0EEEEDaS13_S14_EUlS13_E_NS1_11comp_targetILNS1_3genE2ELNS1_11target_archE906ELNS1_3gpuE6ELNS1_3repE0EEENS1_30default_config_static_selectorELNS0_4arch9wavefront6targetE0EEEvT1_
		.amdhsa_group_segment_fixed_size 0
		.amdhsa_private_segment_fixed_size 0
		.amdhsa_kernarg_size 112
		.amdhsa_user_sgpr_count 15
		.amdhsa_user_sgpr_dispatch_ptr 0
		.amdhsa_user_sgpr_queue_ptr 0
		.amdhsa_user_sgpr_kernarg_segment_ptr 1
		.amdhsa_user_sgpr_dispatch_id 0
		.amdhsa_user_sgpr_private_segment_size 0
		.amdhsa_wavefront_size32 1
		.amdhsa_uses_dynamic_stack 0
		.amdhsa_enable_private_segment 0
		.amdhsa_system_sgpr_workgroup_id_x 1
		.amdhsa_system_sgpr_workgroup_id_y 0
		.amdhsa_system_sgpr_workgroup_id_z 0
		.amdhsa_system_sgpr_workgroup_info 0
		.amdhsa_system_vgpr_workitem_id 0
		.amdhsa_next_free_vgpr 1
		.amdhsa_next_free_sgpr 1
		.amdhsa_reserve_vcc 0
		.amdhsa_float_round_mode_32 0
		.amdhsa_float_round_mode_16_64 0
		.amdhsa_float_denorm_mode_32 3
		.amdhsa_float_denorm_mode_16_64 3
		.amdhsa_dx10_clamp 1
		.amdhsa_ieee_mode 1
		.amdhsa_fp16_overflow 0
		.amdhsa_workgroup_processor_mode 1
		.amdhsa_memory_ordered 1
		.amdhsa_forward_progress 0
		.amdhsa_shared_vgpr_count 0
		.amdhsa_exception_fp_ieee_invalid_op 0
		.amdhsa_exception_fp_denorm_src 0
		.amdhsa_exception_fp_ieee_div_zero 0
		.amdhsa_exception_fp_ieee_overflow 0
		.amdhsa_exception_fp_ieee_underflow 0
		.amdhsa_exception_fp_ieee_inexact 0
		.amdhsa_exception_int_div_zero 0
	.end_amdhsa_kernel
	.section	.text._ZN7rocprim17ROCPRIM_400000_NS6detail17trampoline_kernelINS0_14default_configENS1_25partition_config_selectorILNS1_17partition_subalgoE9EjjbEEZZNS1_14partition_implILS5_9ELb0ES3_jN6thrust23THRUST_200600_302600_NS6detail15normal_iteratorINS9_10device_ptrIjEEEESE_PNS0_10empty_typeENS0_5tupleIJSE_SF_EEENSH_IJSE_SG_EEENS0_18inequality_wrapperINS9_8equal_toIjEEEEPmJSF_EEE10hipError_tPvRmT3_T4_T5_T6_T7_T9_mT8_P12ihipStream_tbDpT10_ENKUlT_T0_E_clISt17integral_constantIbLb1EES17_IbLb0EEEEDaS13_S14_EUlS13_E_NS1_11comp_targetILNS1_3genE2ELNS1_11target_archE906ELNS1_3gpuE6ELNS1_3repE0EEENS1_30default_config_static_selectorELNS0_4arch9wavefront6targetE0EEEvT1_,"axG",@progbits,_ZN7rocprim17ROCPRIM_400000_NS6detail17trampoline_kernelINS0_14default_configENS1_25partition_config_selectorILNS1_17partition_subalgoE9EjjbEEZZNS1_14partition_implILS5_9ELb0ES3_jN6thrust23THRUST_200600_302600_NS6detail15normal_iteratorINS9_10device_ptrIjEEEESE_PNS0_10empty_typeENS0_5tupleIJSE_SF_EEENSH_IJSE_SG_EEENS0_18inequality_wrapperINS9_8equal_toIjEEEEPmJSF_EEE10hipError_tPvRmT3_T4_T5_T6_T7_T9_mT8_P12ihipStream_tbDpT10_ENKUlT_T0_E_clISt17integral_constantIbLb1EES17_IbLb0EEEEDaS13_S14_EUlS13_E_NS1_11comp_targetILNS1_3genE2ELNS1_11target_archE906ELNS1_3gpuE6ELNS1_3repE0EEENS1_30default_config_static_selectorELNS0_4arch9wavefront6targetE0EEEvT1_,comdat
.Lfunc_end230:
	.size	_ZN7rocprim17ROCPRIM_400000_NS6detail17trampoline_kernelINS0_14default_configENS1_25partition_config_selectorILNS1_17partition_subalgoE9EjjbEEZZNS1_14partition_implILS5_9ELb0ES3_jN6thrust23THRUST_200600_302600_NS6detail15normal_iteratorINS9_10device_ptrIjEEEESE_PNS0_10empty_typeENS0_5tupleIJSE_SF_EEENSH_IJSE_SG_EEENS0_18inequality_wrapperINS9_8equal_toIjEEEEPmJSF_EEE10hipError_tPvRmT3_T4_T5_T6_T7_T9_mT8_P12ihipStream_tbDpT10_ENKUlT_T0_E_clISt17integral_constantIbLb1EES17_IbLb0EEEEDaS13_S14_EUlS13_E_NS1_11comp_targetILNS1_3genE2ELNS1_11target_archE906ELNS1_3gpuE6ELNS1_3repE0EEENS1_30default_config_static_selectorELNS0_4arch9wavefront6targetE0EEEvT1_, .Lfunc_end230-_ZN7rocprim17ROCPRIM_400000_NS6detail17trampoline_kernelINS0_14default_configENS1_25partition_config_selectorILNS1_17partition_subalgoE9EjjbEEZZNS1_14partition_implILS5_9ELb0ES3_jN6thrust23THRUST_200600_302600_NS6detail15normal_iteratorINS9_10device_ptrIjEEEESE_PNS0_10empty_typeENS0_5tupleIJSE_SF_EEENSH_IJSE_SG_EEENS0_18inequality_wrapperINS9_8equal_toIjEEEEPmJSF_EEE10hipError_tPvRmT3_T4_T5_T6_T7_T9_mT8_P12ihipStream_tbDpT10_ENKUlT_T0_E_clISt17integral_constantIbLb1EES17_IbLb0EEEEDaS13_S14_EUlS13_E_NS1_11comp_targetILNS1_3genE2ELNS1_11target_archE906ELNS1_3gpuE6ELNS1_3repE0EEENS1_30default_config_static_selectorELNS0_4arch9wavefront6targetE0EEEvT1_
                                        ; -- End function
	.section	.AMDGPU.csdata,"",@progbits
; Kernel info:
; codeLenInByte = 0
; NumSgprs: 0
; NumVgprs: 0
; ScratchSize: 0
; MemoryBound: 0
; FloatMode: 240
; IeeeMode: 1
; LDSByteSize: 0 bytes/workgroup (compile time only)
; SGPRBlocks: 0
; VGPRBlocks: 0
; NumSGPRsForWavesPerEU: 1
; NumVGPRsForWavesPerEU: 1
; Occupancy: 16
; WaveLimiterHint : 0
; COMPUTE_PGM_RSRC2:SCRATCH_EN: 0
; COMPUTE_PGM_RSRC2:USER_SGPR: 15
; COMPUTE_PGM_RSRC2:TRAP_HANDLER: 0
; COMPUTE_PGM_RSRC2:TGID_X_EN: 1
; COMPUTE_PGM_RSRC2:TGID_Y_EN: 0
; COMPUTE_PGM_RSRC2:TGID_Z_EN: 0
; COMPUTE_PGM_RSRC2:TIDIG_COMP_CNT: 0
	.section	.text._ZN7rocprim17ROCPRIM_400000_NS6detail17trampoline_kernelINS0_14default_configENS1_25partition_config_selectorILNS1_17partition_subalgoE9EjjbEEZZNS1_14partition_implILS5_9ELb0ES3_jN6thrust23THRUST_200600_302600_NS6detail15normal_iteratorINS9_10device_ptrIjEEEESE_PNS0_10empty_typeENS0_5tupleIJSE_SF_EEENSH_IJSE_SG_EEENS0_18inequality_wrapperINS9_8equal_toIjEEEEPmJSF_EEE10hipError_tPvRmT3_T4_T5_T6_T7_T9_mT8_P12ihipStream_tbDpT10_ENKUlT_T0_E_clISt17integral_constantIbLb1EES17_IbLb0EEEEDaS13_S14_EUlS13_E_NS1_11comp_targetILNS1_3genE10ELNS1_11target_archE1200ELNS1_3gpuE4ELNS1_3repE0EEENS1_30default_config_static_selectorELNS0_4arch9wavefront6targetE0EEEvT1_,"axG",@progbits,_ZN7rocprim17ROCPRIM_400000_NS6detail17trampoline_kernelINS0_14default_configENS1_25partition_config_selectorILNS1_17partition_subalgoE9EjjbEEZZNS1_14partition_implILS5_9ELb0ES3_jN6thrust23THRUST_200600_302600_NS6detail15normal_iteratorINS9_10device_ptrIjEEEESE_PNS0_10empty_typeENS0_5tupleIJSE_SF_EEENSH_IJSE_SG_EEENS0_18inequality_wrapperINS9_8equal_toIjEEEEPmJSF_EEE10hipError_tPvRmT3_T4_T5_T6_T7_T9_mT8_P12ihipStream_tbDpT10_ENKUlT_T0_E_clISt17integral_constantIbLb1EES17_IbLb0EEEEDaS13_S14_EUlS13_E_NS1_11comp_targetILNS1_3genE10ELNS1_11target_archE1200ELNS1_3gpuE4ELNS1_3repE0EEENS1_30default_config_static_selectorELNS0_4arch9wavefront6targetE0EEEvT1_,comdat
	.protected	_ZN7rocprim17ROCPRIM_400000_NS6detail17trampoline_kernelINS0_14default_configENS1_25partition_config_selectorILNS1_17partition_subalgoE9EjjbEEZZNS1_14partition_implILS5_9ELb0ES3_jN6thrust23THRUST_200600_302600_NS6detail15normal_iteratorINS9_10device_ptrIjEEEESE_PNS0_10empty_typeENS0_5tupleIJSE_SF_EEENSH_IJSE_SG_EEENS0_18inequality_wrapperINS9_8equal_toIjEEEEPmJSF_EEE10hipError_tPvRmT3_T4_T5_T6_T7_T9_mT8_P12ihipStream_tbDpT10_ENKUlT_T0_E_clISt17integral_constantIbLb1EES17_IbLb0EEEEDaS13_S14_EUlS13_E_NS1_11comp_targetILNS1_3genE10ELNS1_11target_archE1200ELNS1_3gpuE4ELNS1_3repE0EEENS1_30default_config_static_selectorELNS0_4arch9wavefront6targetE0EEEvT1_ ; -- Begin function _ZN7rocprim17ROCPRIM_400000_NS6detail17trampoline_kernelINS0_14default_configENS1_25partition_config_selectorILNS1_17partition_subalgoE9EjjbEEZZNS1_14partition_implILS5_9ELb0ES3_jN6thrust23THRUST_200600_302600_NS6detail15normal_iteratorINS9_10device_ptrIjEEEESE_PNS0_10empty_typeENS0_5tupleIJSE_SF_EEENSH_IJSE_SG_EEENS0_18inequality_wrapperINS9_8equal_toIjEEEEPmJSF_EEE10hipError_tPvRmT3_T4_T5_T6_T7_T9_mT8_P12ihipStream_tbDpT10_ENKUlT_T0_E_clISt17integral_constantIbLb1EES17_IbLb0EEEEDaS13_S14_EUlS13_E_NS1_11comp_targetILNS1_3genE10ELNS1_11target_archE1200ELNS1_3gpuE4ELNS1_3repE0EEENS1_30default_config_static_selectorELNS0_4arch9wavefront6targetE0EEEvT1_
	.globl	_ZN7rocprim17ROCPRIM_400000_NS6detail17trampoline_kernelINS0_14default_configENS1_25partition_config_selectorILNS1_17partition_subalgoE9EjjbEEZZNS1_14partition_implILS5_9ELb0ES3_jN6thrust23THRUST_200600_302600_NS6detail15normal_iteratorINS9_10device_ptrIjEEEESE_PNS0_10empty_typeENS0_5tupleIJSE_SF_EEENSH_IJSE_SG_EEENS0_18inequality_wrapperINS9_8equal_toIjEEEEPmJSF_EEE10hipError_tPvRmT3_T4_T5_T6_T7_T9_mT8_P12ihipStream_tbDpT10_ENKUlT_T0_E_clISt17integral_constantIbLb1EES17_IbLb0EEEEDaS13_S14_EUlS13_E_NS1_11comp_targetILNS1_3genE10ELNS1_11target_archE1200ELNS1_3gpuE4ELNS1_3repE0EEENS1_30default_config_static_selectorELNS0_4arch9wavefront6targetE0EEEvT1_
	.p2align	8
	.type	_ZN7rocprim17ROCPRIM_400000_NS6detail17trampoline_kernelINS0_14default_configENS1_25partition_config_selectorILNS1_17partition_subalgoE9EjjbEEZZNS1_14partition_implILS5_9ELb0ES3_jN6thrust23THRUST_200600_302600_NS6detail15normal_iteratorINS9_10device_ptrIjEEEESE_PNS0_10empty_typeENS0_5tupleIJSE_SF_EEENSH_IJSE_SG_EEENS0_18inequality_wrapperINS9_8equal_toIjEEEEPmJSF_EEE10hipError_tPvRmT3_T4_T5_T6_T7_T9_mT8_P12ihipStream_tbDpT10_ENKUlT_T0_E_clISt17integral_constantIbLb1EES17_IbLb0EEEEDaS13_S14_EUlS13_E_NS1_11comp_targetILNS1_3genE10ELNS1_11target_archE1200ELNS1_3gpuE4ELNS1_3repE0EEENS1_30default_config_static_selectorELNS0_4arch9wavefront6targetE0EEEvT1_,@function
_ZN7rocprim17ROCPRIM_400000_NS6detail17trampoline_kernelINS0_14default_configENS1_25partition_config_selectorILNS1_17partition_subalgoE9EjjbEEZZNS1_14partition_implILS5_9ELb0ES3_jN6thrust23THRUST_200600_302600_NS6detail15normal_iteratorINS9_10device_ptrIjEEEESE_PNS0_10empty_typeENS0_5tupleIJSE_SF_EEENSH_IJSE_SG_EEENS0_18inequality_wrapperINS9_8equal_toIjEEEEPmJSF_EEE10hipError_tPvRmT3_T4_T5_T6_T7_T9_mT8_P12ihipStream_tbDpT10_ENKUlT_T0_E_clISt17integral_constantIbLb1EES17_IbLb0EEEEDaS13_S14_EUlS13_E_NS1_11comp_targetILNS1_3genE10ELNS1_11target_archE1200ELNS1_3gpuE4ELNS1_3repE0EEENS1_30default_config_static_selectorELNS0_4arch9wavefront6targetE0EEEvT1_: ; @_ZN7rocprim17ROCPRIM_400000_NS6detail17trampoline_kernelINS0_14default_configENS1_25partition_config_selectorILNS1_17partition_subalgoE9EjjbEEZZNS1_14partition_implILS5_9ELb0ES3_jN6thrust23THRUST_200600_302600_NS6detail15normal_iteratorINS9_10device_ptrIjEEEESE_PNS0_10empty_typeENS0_5tupleIJSE_SF_EEENSH_IJSE_SG_EEENS0_18inequality_wrapperINS9_8equal_toIjEEEEPmJSF_EEE10hipError_tPvRmT3_T4_T5_T6_T7_T9_mT8_P12ihipStream_tbDpT10_ENKUlT_T0_E_clISt17integral_constantIbLb1EES17_IbLb0EEEEDaS13_S14_EUlS13_E_NS1_11comp_targetILNS1_3genE10ELNS1_11target_archE1200ELNS1_3gpuE4ELNS1_3repE0EEENS1_30default_config_static_selectorELNS0_4arch9wavefront6targetE0EEEvT1_
; %bb.0:
	.section	.rodata,"a",@progbits
	.p2align	6, 0x0
	.amdhsa_kernel _ZN7rocprim17ROCPRIM_400000_NS6detail17trampoline_kernelINS0_14default_configENS1_25partition_config_selectorILNS1_17partition_subalgoE9EjjbEEZZNS1_14partition_implILS5_9ELb0ES3_jN6thrust23THRUST_200600_302600_NS6detail15normal_iteratorINS9_10device_ptrIjEEEESE_PNS0_10empty_typeENS0_5tupleIJSE_SF_EEENSH_IJSE_SG_EEENS0_18inequality_wrapperINS9_8equal_toIjEEEEPmJSF_EEE10hipError_tPvRmT3_T4_T5_T6_T7_T9_mT8_P12ihipStream_tbDpT10_ENKUlT_T0_E_clISt17integral_constantIbLb1EES17_IbLb0EEEEDaS13_S14_EUlS13_E_NS1_11comp_targetILNS1_3genE10ELNS1_11target_archE1200ELNS1_3gpuE4ELNS1_3repE0EEENS1_30default_config_static_selectorELNS0_4arch9wavefront6targetE0EEEvT1_
		.amdhsa_group_segment_fixed_size 0
		.amdhsa_private_segment_fixed_size 0
		.amdhsa_kernarg_size 112
		.amdhsa_user_sgpr_count 15
		.amdhsa_user_sgpr_dispatch_ptr 0
		.amdhsa_user_sgpr_queue_ptr 0
		.amdhsa_user_sgpr_kernarg_segment_ptr 1
		.amdhsa_user_sgpr_dispatch_id 0
		.amdhsa_user_sgpr_private_segment_size 0
		.amdhsa_wavefront_size32 1
		.amdhsa_uses_dynamic_stack 0
		.amdhsa_enable_private_segment 0
		.amdhsa_system_sgpr_workgroup_id_x 1
		.amdhsa_system_sgpr_workgroup_id_y 0
		.amdhsa_system_sgpr_workgroup_id_z 0
		.amdhsa_system_sgpr_workgroup_info 0
		.amdhsa_system_vgpr_workitem_id 0
		.amdhsa_next_free_vgpr 1
		.amdhsa_next_free_sgpr 1
		.amdhsa_reserve_vcc 0
		.amdhsa_float_round_mode_32 0
		.amdhsa_float_round_mode_16_64 0
		.amdhsa_float_denorm_mode_32 3
		.amdhsa_float_denorm_mode_16_64 3
		.amdhsa_dx10_clamp 1
		.amdhsa_ieee_mode 1
		.amdhsa_fp16_overflow 0
		.amdhsa_workgroup_processor_mode 1
		.amdhsa_memory_ordered 1
		.amdhsa_forward_progress 0
		.amdhsa_shared_vgpr_count 0
		.amdhsa_exception_fp_ieee_invalid_op 0
		.amdhsa_exception_fp_denorm_src 0
		.amdhsa_exception_fp_ieee_div_zero 0
		.amdhsa_exception_fp_ieee_overflow 0
		.amdhsa_exception_fp_ieee_underflow 0
		.amdhsa_exception_fp_ieee_inexact 0
		.amdhsa_exception_int_div_zero 0
	.end_amdhsa_kernel
	.section	.text._ZN7rocprim17ROCPRIM_400000_NS6detail17trampoline_kernelINS0_14default_configENS1_25partition_config_selectorILNS1_17partition_subalgoE9EjjbEEZZNS1_14partition_implILS5_9ELb0ES3_jN6thrust23THRUST_200600_302600_NS6detail15normal_iteratorINS9_10device_ptrIjEEEESE_PNS0_10empty_typeENS0_5tupleIJSE_SF_EEENSH_IJSE_SG_EEENS0_18inequality_wrapperINS9_8equal_toIjEEEEPmJSF_EEE10hipError_tPvRmT3_T4_T5_T6_T7_T9_mT8_P12ihipStream_tbDpT10_ENKUlT_T0_E_clISt17integral_constantIbLb1EES17_IbLb0EEEEDaS13_S14_EUlS13_E_NS1_11comp_targetILNS1_3genE10ELNS1_11target_archE1200ELNS1_3gpuE4ELNS1_3repE0EEENS1_30default_config_static_selectorELNS0_4arch9wavefront6targetE0EEEvT1_,"axG",@progbits,_ZN7rocprim17ROCPRIM_400000_NS6detail17trampoline_kernelINS0_14default_configENS1_25partition_config_selectorILNS1_17partition_subalgoE9EjjbEEZZNS1_14partition_implILS5_9ELb0ES3_jN6thrust23THRUST_200600_302600_NS6detail15normal_iteratorINS9_10device_ptrIjEEEESE_PNS0_10empty_typeENS0_5tupleIJSE_SF_EEENSH_IJSE_SG_EEENS0_18inequality_wrapperINS9_8equal_toIjEEEEPmJSF_EEE10hipError_tPvRmT3_T4_T5_T6_T7_T9_mT8_P12ihipStream_tbDpT10_ENKUlT_T0_E_clISt17integral_constantIbLb1EES17_IbLb0EEEEDaS13_S14_EUlS13_E_NS1_11comp_targetILNS1_3genE10ELNS1_11target_archE1200ELNS1_3gpuE4ELNS1_3repE0EEENS1_30default_config_static_selectorELNS0_4arch9wavefront6targetE0EEEvT1_,comdat
.Lfunc_end231:
	.size	_ZN7rocprim17ROCPRIM_400000_NS6detail17trampoline_kernelINS0_14default_configENS1_25partition_config_selectorILNS1_17partition_subalgoE9EjjbEEZZNS1_14partition_implILS5_9ELb0ES3_jN6thrust23THRUST_200600_302600_NS6detail15normal_iteratorINS9_10device_ptrIjEEEESE_PNS0_10empty_typeENS0_5tupleIJSE_SF_EEENSH_IJSE_SG_EEENS0_18inequality_wrapperINS9_8equal_toIjEEEEPmJSF_EEE10hipError_tPvRmT3_T4_T5_T6_T7_T9_mT8_P12ihipStream_tbDpT10_ENKUlT_T0_E_clISt17integral_constantIbLb1EES17_IbLb0EEEEDaS13_S14_EUlS13_E_NS1_11comp_targetILNS1_3genE10ELNS1_11target_archE1200ELNS1_3gpuE4ELNS1_3repE0EEENS1_30default_config_static_selectorELNS0_4arch9wavefront6targetE0EEEvT1_, .Lfunc_end231-_ZN7rocprim17ROCPRIM_400000_NS6detail17trampoline_kernelINS0_14default_configENS1_25partition_config_selectorILNS1_17partition_subalgoE9EjjbEEZZNS1_14partition_implILS5_9ELb0ES3_jN6thrust23THRUST_200600_302600_NS6detail15normal_iteratorINS9_10device_ptrIjEEEESE_PNS0_10empty_typeENS0_5tupleIJSE_SF_EEENSH_IJSE_SG_EEENS0_18inequality_wrapperINS9_8equal_toIjEEEEPmJSF_EEE10hipError_tPvRmT3_T4_T5_T6_T7_T9_mT8_P12ihipStream_tbDpT10_ENKUlT_T0_E_clISt17integral_constantIbLb1EES17_IbLb0EEEEDaS13_S14_EUlS13_E_NS1_11comp_targetILNS1_3genE10ELNS1_11target_archE1200ELNS1_3gpuE4ELNS1_3repE0EEENS1_30default_config_static_selectorELNS0_4arch9wavefront6targetE0EEEvT1_
                                        ; -- End function
	.section	.AMDGPU.csdata,"",@progbits
; Kernel info:
; codeLenInByte = 0
; NumSgprs: 0
; NumVgprs: 0
; ScratchSize: 0
; MemoryBound: 0
; FloatMode: 240
; IeeeMode: 1
; LDSByteSize: 0 bytes/workgroup (compile time only)
; SGPRBlocks: 0
; VGPRBlocks: 0
; NumSGPRsForWavesPerEU: 1
; NumVGPRsForWavesPerEU: 1
; Occupancy: 15
; WaveLimiterHint : 0
; COMPUTE_PGM_RSRC2:SCRATCH_EN: 0
; COMPUTE_PGM_RSRC2:USER_SGPR: 15
; COMPUTE_PGM_RSRC2:TRAP_HANDLER: 0
; COMPUTE_PGM_RSRC2:TGID_X_EN: 1
; COMPUTE_PGM_RSRC2:TGID_Y_EN: 0
; COMPUTE_PGM_RSRC2:TGID_Z_EN: 0
; COMPUTE_PGM_RSRC2:TIDIG_COMP_CNT: 0
	.section	.text._ZN7rocprim17ROCPRIM_400000_NS6detail17trampoline_kernelINS0_14default_configENS1_25partition_config_selectorILNS1_17partition_subalgoE9EjjbEEZZNS1_14partition_implILS5_9ELb0ES3_jN6thrust23THRUST_200600_302600_NS6detail15normal_iteratorINS9_10device_ptrIjEEEESE_PNS0_10empty_typeENS0_5tupleIJSE_SF_EEENSH_IJSE_SG_EEENS0_18inequality_wrapperINS9_8equal_toIjEEEEPmJSF_EEE10hipError_tPvRmT3_T4_T5_T6_T7_T9_mT8_P12ihipStream_tbDpT10_ENKUlT_T0_E_clISt17integral_constantIbLb1EES17_IbLb0EEEEDaS13_S14_EUlS13_E_NS1_11comp_targetILNS1_3genE9ELNS1_11target_archE1100ELNS1_3gpuE3ELNS1_3repE0EEENS1_30default_config_static_selectorELNS0_4arch9wavefront6targetE0EEEvT1_,"axG",@progbits,_ZN7rocprim17ROCPRIM_400000_NS6detail17trampoline_kernelINS0_14default_configENS1_25partition_config_selectorILNS1_17partition_subalgoE9EjjbEEZZNS1_14partition_implILS5_9ELb0ES3_jN6thrust23THRUST_200600_302600_NS6detail15normal_iteratorINS9_10device_ptrIjEEEESE_PNS0_10empty_typeENS0_5tupleIJSE_SF_EEENSH_IJSE_SG_EEENS0_18inequality_wrapperINS9_8equal_toIjEEEEPmJSF_EEE10hipError_tPvRmT3_T4_T5_T6_T7_T9_mT8_P12ihipStream_tbDpT10_ENKUlT_T0_E_clISt17integral_constantIbLb1EES17_IbLb0EEEEDaS13_S14_EUlS13_E_NS1_11comp_targetILNS1_3genE9ELNS1_11target_archE1100ELNS1_3gpuE3ELNS1_3repE0EEENS1_30default_config_static_selectorELNS0_4arch9wavefront6targetE0EEEvT1_,comdat
	.protected	_ZN7rocprim17ROCPRIM_400000_NS6detail17trampoline_kernelINS0_14default_configENS1_25partition_config_selectorILNS1_17partition_subalgoE9EjjbEEZZNS1_14partition_implILS5_9ELb0ES3_jN6thrust23THRUST_200600_302600_NS6detail15normal_iteratorINS9_10device_ptrIjEEEESE_PNS0_10empty_typeENS0_5tupleIJSE_SF_EEENSH_IJSE_SG_EEENS0_18inequality_wrapperINS9_8equal_toIjEEEEPmJSF_EEE10hipError_tPvRmT3_T4_T5_T6_T7_T9_mT8_P12ihipStream_tbDpT10_ENKUlT_T0_E_clISt17integral_constantIbLb1EES17_IbLb0EEEEDaS13_S14_EUlS13_E_NS1_11comp_targetILNS1_3genE9ELNS1_11target_archE1100ELNS1_3gpuE3ELNS1_3repE0EEENS1_30default_config_static_selectorELNS0_4arch9wavefront6targetE0EEEvT1_ ; -- Begin function _ZN7rocprim17ROCPRIM_400000_NS6detail17trampoline_kernelINS0_14default_configENS1_25partition_config_selectorILNS1_17partition_subalgoE9EjjbEEZZNS1_14partition_implILS5_9ELb0ES3_jN6thrust23THRUST_200600_302600_NS6detail15normal_iteratorINS9_10device_ptrIjEEEESE_PNS0_10empty_typeENS0_5tupleIJSE_SF_EEENSH_IJSE_SG_EEENS0_18inequality_wrapperINS9_8equal_toIjEEEEPmJSF_EEE10hipError_tPvRmT3_T4_T5_T6_T7_T9_mT8_P12ihipStream_tbDpT10_ENKUlT_T0_E_clISt17integral_constantIbLb1EES17_IbLb0EEEEDaS13_S14_EUlS13_E_NS1_11comp_targetILNS1_3genE9ELNS1_11target_archE1100ELNS1_3gpuE3ELNS1_3repE0EEENS1_30default_config_static_selectorELNS0_4arch9wavefront6targetE0EEEvT1_
	.globl	_ZN7rocprim17ROCPRIM_400000_NS6detail17trampoline_kernelINS0_14default_configENS1_25partition_config_selectorILNS1_17partition_subalgoE9EjjbEEZZNS1_14partition_implILS5_9ELb0ES3_jN6thrust23THRUST_200600_302600_NS6detail15normal_iteratorINS9_10device_ptrIjEEEESE_PNS0_10empty_typeENS0_5tupleIJSE_SF_EEENSH_IJSE_SG_EEENS0_18inequality_wrapperINS9_8equal_toIjEEEEPmJSF_EEE10hipError_tPvRmT3_T4_T5_T6_T7_T9_mT8_P12ihipStream_tbDpT10_ENKUlT_T0_E_clISt17integral_constantIbLb1EES17_IbLb0EEEEDaS13_S14_EUlS13_E_NS1_11comp_targetILNS1_3genE9ELNS1_11target_archE1100ELNS1_3gpuE3ELNS1_3repE0EEENS1_30default_config_static_selectorELNS0_4arch9wavefront6targetE0EEEvT1_
	.p2align	8
	.type	_ZN7rocprim17ROCPRIM_400000_NS6detail17trampoline_kernelINS0_14default_configENS1_25partition_config_selectorILNS1_17partition_subalgoE9EjjbEEZZNS1_14partition_implILS5_9ELb0ES3_jN6thrust23THRUST_200600_302600_NS6detail15normal_iteratorINS9_10device_ptrIjEEEESE_PNS0_10empty_typeENS0_5tupleIJSE_SF_EEENSH_IJSE_SG_EEENS0_18inequality_wrapperINS9_8equal_toIjEEEEPmJSF_EEE10hipError_tPvRmT3_T4_T5_T6_T7_T9_mT8_P12ihipStream_tbDpT10_ENKUlT_T0_E_clISt17integral_constantIbLb1EES17_IbLb0EEEEDaS13_S14_EUlS13_E_NS1_11comp_targetILNS1_3genE9ELNS1_11target_archE1100ELNS1_3gpuE3ELNS1_3repE0EEENS1_30default_config_static_selectorELNS0_4arch9wavefront6targetE0EEEvT1_,@function
_ZN7rocprim17ROCPRIM_400000_NS6detail17trampoline_kernelINS0_14default_configENS1_25partition_config_selectorILNS1_17partition_subalgoE9EjjbEEZZNS1_14partition_implILS5_9ELb0ES3_jN6thrust23THRUST_200600_302600_NS6detail15normal_iteratorINS9_10device_ptrIjEEEESE_PNS0_10empty_typeENS0_5tupleIJSE_SF_EEENSH_IJSE_SG_EEENS0_18inequality_wrapperINS9_8equal_toIjEEEEPmJSF_EEE10hipError_tPvRmT3_T4_T5_T6_T7_T9_mT8_P12ihipStream_tbDpT10_ENKUlT_T0_E_clISt17integral_constantIbLb1EES17_IbLb0EEEEDaS13_S14_EUlS13_E_NS1_11comp_targetILNS1_3genE9ELNS1_11target_archE1100ELNS1_3gpuE3ELNS1_3repE0EEENS1_30default_config_static_selectorELNS0_4arch9wavefront6targetE0EEEvT1_: ; @_ZN7rocprim17ROCPRIM_400000_NS6detail17trampoline_kernelINS0_14default_configENS1_25partition_config_selectorILNS1_17partition_subalgoE9EjjbEEZZNS1_14partition_implILS5_9ELb0ES3_jN6thrust23THRUST_200600_302600_NS6detail15normal_iteratorINS9_10device_ptrIjEEEESE_PNS0_10empty_typeENS0_5tupleIJSE_SF_EEENSH_IJSE_SG_EEENS0_18inequality_wrapperINS9_8equal_toIjEEEEPmJSF_EEE10hipError_tPvRmT3_T4_T5_T6_T7_T9_mT8_P12ihipStream_tbDpT10_ENKUlT_T0_E_clISt17integral_constantIbLb1EES17_IbLb0EEEEDaS13_S14_EUlS13_E_NS1_11comp_targetILNS1_3genE9ELNS1_11target_archE1100ELNS1_3gpuE3ELNS1_3repE0EEENS1_30default_config_static_selectorELNS0_4arch9wavefront6targetE0EEEvT1_
; %bb.0:
	s_clause 0x4
	s_load_b128 s[4:7], s[0:1], 0x8
	s_load_b32 s14, s[0:1], 0x68
	s_load_b128 s[16:19], s[0:1], 0x40
	s_load_b64 s[2:3], s[0:1], 0x50
	s_load_b64 s[8:9], s[0:1], 0x18
	s_mov_b32 s23, 0
	s_mul_i32 s22, s15, 0xc00
	v_lshrrev_b32_e32 v18, 3, v0
	v_add_nc_u32_e32 v23, 0x180, v0
	v_add_nc_u32_e32 v22, 0x300, v0
	;; [unrolled: 1-line block ×3, first 2 shown]
	v_or_b32_e32 v24, 0x600, v0
	v_add_nc_u32_e32 v20, 0x780, v0
	v_add_nc_u32_e32 v17, 0x900, v0
	;; [unrolled: 1-line block ×3, first 2 shown]
	s_waitcnt lgkmcnt(0)
	s_lshl_b64 s[12:13], s[6:7], 2
	s_mul_i32 s20, s14, 0xc00
	s_add_u32 s21, s4, s12
	s_addc_u32 s24, s5, s13
	s_add_i32 s4, s20, s6
	s_load_b64 s[10:11], s[18:19], 0x0
	s_sub_i32 s19, s2, s4
	s_add_i32 s14, s14, -1
	s_addk_i32 s19, 0xc00
	s_add_u32 s4, s6, s20
	s_addc_u32 s5, s7, 0
	s_cmp_eq_u32 s15, s14
	v_cmp_ge_u64_e64 s2, s[4:5], s[2:3]
	s_cselect_b32 s14, -1, 0
	s_lshl_b64 s[4:5], s[22:23], 2
	s_mov_b32 s22, -1
	s_delay_alu instid0(VALU_DEP_1) | instskip(NEXT) | instid1(SALU_CYCLE_1)
	s_and_b32 s20, s14, s2
	s_xor_b32 s18, s20, -1
	s_add_u32 s21, s21, s4
	s_addc_u32 s3, s24, s5
	s_and_b32 vcc_lo, exec_lo, s18
	s_cbranch_vccz .LBB232_2
; %bb.1:
	v_lshlrev_b32_e32 v7, 2, v0
	v_lshrrev_b32_e32 v11, 3, v23
	v_lshrrev_b32_e32 v12, 3, v22
	;; [unrolled: 1-line block ×4, first 2 shown]
	v_add_co_u32 v1, s2, s21, v7
	s_delay_alu instid0(VALU_DEP_1) | instskip(SKIP_1) | instid1(VALU_DEP_3)
	v_add_co_ci_u32_e64 v2, null, s3, 0, s2
	v_lshrrev_b32_e32 v15, 3, v20
	v_add_co_u32 v3, vcc_lo, 0x1000, v1
	s_delay_alu instid0(VALU_DEP_3)
	v_add_co_ci_u32_e32 v4, vcc_lo, 0, v2, vcc_lo
	v_add_co_u32 v5, vcc_lo, 0x2000, v1
	v_add_co_ci_u32_e32 v6, vcc_lo, 0, v2, vcc_lo
	s_clause 0x7
	flat_load_b32 v8, v[1:2]
	flat_load_b32 v9, v[1:2] offset:1536
	flat_load_b32 v1, v[1:2] offset:3072
	;; [unrolled: 1-line block ×7, first 2 shown]
	v_and_b32_e32 v6, 60, v18
	v_lshrrev_b32_e32 v16, 3, v17
	v_lshrrev_b32_e32 v19, 3, v21
	v_and_b32_e32 v11, 0x7c, v11
	v_and_b32_e32 v12, 0xfc, v12
	;; [unrolled: 1-line block ×4, first 2 shown]
	v_add_nc_u32_e32 v6, v6, v7
	v_and_b32_e32 v15, 0x1fc, v15
	v_and_b32_e32 v16, 0x17c, v16
	;; [unrolled: 1-line block ×3, first 2 shown]
	v_add_nc_u32_e32 v11, v11, v7
	v_add_nc_u32_e32 v12, v12, v7
	;; [unrolled: 1-line block ×4, first 2 shown]
	s_mov_b32 s22, 0
	v_add_nc_u32_e32 v15, v15, v7
	v_add_nc_u32_e32 v16, v16, v7
	;; [unrolled: 1-line block ×3, first 2 shown]
	s_waitcnt vmcnt(7) lgkmcnt(0)
	ds_store_b32 v6, v8
	s_waitcnt vmcnt(6)
	ds_store_b32 v11, v9 offset:1536
	s_waitcnt vmcnt(5)
	ds_store_b32 v12, v1 offset:3072
	;; [unrolled: 2-line block ×7, first 2 shown]
	s_waitcnt lgkmcnt(0)
	s_barrier
.LBB232_2:
	v_cmp_gt_u32_e64 s2, s19, v0
	s_and_not1_b32 vcc_lo, exec_lo, s22
	s_cbranch_vccnz .LBB232_20
; %bb.3:
                                        ; implicit-def: $vgpr1_vgpr2_vgpr3_vgpr4_vgpr5_vgpr6_vgpr7_vgpr8
	s_delay_alu instid0(VALU_DEP_1)
	s_and_saveexec_b32 s22, s2
	s_cbranch_execz .LBB232_11
; %bb.4:
	v_lshlrev_b32_e32 v1, 2, v0
	s_delay_alu instid0(VALU_DEP_1) | instskip(NEXT) | instid1(VALU_DEP_1)
	v_add_co_u32 v1, s2, s21, v1
	v_add_co_ci_u32_e64 v2, null, s3, 0, s2
	flat_load_b32 v1, v[1:2]
	s_or_b32 exec_lo, exec_lo, s22
	s_delay_alu instid0(SALU_CYCLE_1)
	s_mov_b32 s2, exec_lo
	v_cmpx_gt_u32_e64 s19, v23
	s_cbranch_execnz .LBB232_12
.LBB232_5:
	s_or_b32 exec_lo, exec_lo, s2
	s_delay_alu instid0(SALU_CYCLE_1)
	s_mov_b32 s2, exec_lo
	v_cmpx_gt_u32_e64 s19, v22
	s_cbranch_execz .LBB232_13
.LBB232_6:
	v_lshlrev_b32_e32 v3, 2, v0
	s_delay_alu instid0(VALU_DEP_1) | instskip(NEXT) | instid1(VALU_DEP_1)
	v_add_co_u32 v9, s22, s21, v3
	v_add_co_ci_u32_e64 v10, null, s3, 0, s22
	flat_load_b32 v3, v[9:10] offset:3072
	s_or_b32 exec_lo, exec_lo, s2
	s_delay_alu instid0(SALU_CYCLE_1)
	s_mov_b32 s2, exec_lo
	v_cmpx_gt_u32_e64 s19, v25
	s_cbranch_execnz .LBB232_14
.LBB232_7:
	s_or_b32 exec_lo, exec_lo, s2
	s_delay_alu instid0(SALU_CYCLE_1)
	s_mov_b32 s2, exec_lo
	v_cmpx_gt_u32_e64 s19, v24
	s_cbranch_execz .LBB232_15
.LBB232_8:
	v_lshlrev_b32_e32 v5, 2, v24
	s_delay_alu instid0(VALU_DEP_1) | instskip(NEXT) | instid1(VALU_DEP_1)
	v_add_co_u32 v9, s22, s21, v5
	v_add_co_ci_u32_e64 v10, null, s3, 0, s22
	flat_load_b32 v5, v[9:10]
	s_or_b32 exec_lo, exec_lo, s2
	s_delay_alu instid0(SALU_CYCLE_1)
	s_mov_b32 s2, exec_lo
	v_cmpx_gt_u32_e64 s19, v20
	s_cbranch_execnz .LBB232_16
.LBB232_9:
	s_or_b32 exec_lo, exec_lo, s2
	s_delay_alu instid0(SALU_CYCLE_1)
	s_mov_b32 s2, exec_lo
	v_cmpx_gt_u32_e64 s19, v17
	s_cbranch_execz .LBB232_17
.LBB232_10:
	v_lshlrev_b32_e32 v7, 2, v17
	s_delay_alu instid0(VALU_DEP_1) | instskip(NEXT) | instid1(VALU_DEP_1)
	v_add_co_u32 v9, s22, s21, v7
	v_add_co_ci_u32_e64 v10, null, s3, 0, s22
	flat_load_b32 v7, v[9:10]
	s_or_b32 exec_lo, exec_lo, s2
	s_delay_alu instid0(SALU_CYCLE_1)
	s_mov_b32 s2, exec_lo
	v_cmpx_gt_u32_e64 s19, v21
	s_cbranch_execnz .LBB232_18
	s_branch .LBB232_19
.LBB232_11:
	s_or_b32 exec_lo, exec_lo, s22
	s_delay_alu instid0(SALU_CYCLE_1)
	s_mov_b32 s2, exec_lo
	v_cmpx_gt_u32_e64 s19, v23
	s_cbranch_execz .LBB232_5
.LBB232_12:
	v_lshlrev_b32_e32 v2, 2, v0
	s_delay_alu instid0(VALU_DEP_1) | instskip(NEXT) | instid1(VALU_DEP_1)
	v_add_co_u32 v9, s22, s21, v2
	v_add_co_ci_u32_e64 v10, null, s3, 0, s22
	flat_load_b32 v2, v[9:10] offset:1536
	s_or_b32 exec_lo, exec_lo, s2
	s_delay_alu instid0(SALU_CYCLE_1)
	s_mov_b32 s2, exec_lo
	v_cmpx_gt_u32_e64 s19, v22
	s_cbranch_execnz .LBB232_6
.LBB232_13:
	s_or_b32 exec_lo, exec_lo, s2
	s_delay_alu instid0(SALU_CYCLE_1)
	s_mov_b32 s2, exec_lo
	v_cmpx_gt_u32_e64 s19, v25
	s_cbranch_execz .LBB232_7
.LBB232_14:
	v_lshlrev_b32_e32 v4, 2, v25
	s_delay_alu instid0(VALU_DEP_1) | instskip(NEXT) | instid1(VALU_DEP_1)
	v_add_co_u32 v9, s22, s21, v4
	v_add_co_ci_u32_e64 v10, null, s3, 0, s22
	flat_load_b32 v4, v[9:10]
	s_or_b32 exec_lo, exec_lo, s2
	s_delay_alu instid0(SALU_CYCLE_1)
	s_mov_b32 s2, exec_lo
	v_cmpx_gt_u32_e64 s19, v24
	s_cbranch_execnz .LBB232_8
.LBB232_15:
	s_or_b32 exec_lo, exec_lo, s2
	s_delay_alu instid0(SALU_CYCLE_1)
	s_mov_b32 s2, exec_lo
	v_cmpx_gt_u32_e64 s19, v20
	s_cbranch_execz .LBB232_9
.LBB232_16:
	v_lshlrev_b32_e32 v6, 2, v20
	s_delay_alu instid0(VALU_DEP_1) | instskip(NEXT) | instid1(VALU_DEP_1)
	v_add_co_u32 v9, s22, s21, v6
	v_add_co_ci_u32_e64 v10, null, s3, 0, s22
	flat_load_b32 v6, v[9:10]
	s_or_b32 exec_lo, exec_lo, s2
	s_delay_alu instid0(SALU_CYCLE_1)
	s_mov_b32 s2, exec_lo
	v_cmpx_gt_u32_e64 s19, v17
	s_cbranch_execnz .LBB232_10
.LBB232_17:
	s_or_b32 exec_lo, exec_lo, s2
	s_delay_alu instid0(SALU_CYCLE_1)
	s_mov_b32 s2, exec_lo
	v_cmpx_gt_u32_e64 s19, v21
	s_cbranch_execz .LBB232_19
.LBB232_18:
	v_lshlrev_b32_e32 v8, 2, v21
	s_delay_alu instid0(VALU_DEP_1) | instskip(NEXT) | instid1(VALU_DEP_1)
	v_add_co_u32 v8, s22, s21, v8
	v_add_co_ci_u32_e64 v9, null, s3, 0, s22
	flat_load_b32 v8, v[8:9]
.LBB232_19:
	s_or_b32 exec_lo, exec_lo, s2
	v_lshrrev_b32_e32 v9, 3, v23
	v_lshrrev_b32_e32 v10, 3, v22
	;; [unrolled: 1-line block ×4, first 2 shown]
	v_and_b32_e32 v11, 60, v18
	v_lshlrev_b32_e32 v12, 2, v0
	v_lshrrev_b32_e32 v15, 3, v20
	v_lshrrev_b32_e32 v16, 3, v17
	v_lshrrev_b32_e32 v19, 3, v21
	v_and_b32_e32 v9, 0x7c, v9
	v_and_b32_e32 v10, 0xfc, v10
	;; [unrolled: 1-line block ×4, first 2 shown]
	v_add_nc_u32_e32 v11, v11, v12
	v_and_b32_e32 v15, 0x1fc, v15
	v_and_b32_e32 v16, 0x1fc, v16
	;; [unrolled: 1-line block ×3, first 2 shown]
	v_add_nc_u32_e32 v9, v9, v12
	v_add_nc_u32_e32 v10, v10, v12
	;; [unrolled: 1-line block ×7, first 2 shown]
	s_waitcnt vmcnt(0) lgkmcnt(0)
	ds_store_b32 v11, v1
	ds_store_b32 v9, v2 offset:1536
	ds_store_b32 v10, v3 offset:3072
	;; [unrolled: 1-line block ×7, first 2 shown]
	s_waitcnt lgkmcnt(0)
	s_barrier
.LBB232_20:
	v_lshlrev_b32_e32 v19, 3, v0
	v_lshrrev_b32_e32 v1, 2, v0
	s_waitcnt lgkmcnt(0)
	buffer_gl0_inv
	s_add_u32 s2, s8, s12
	s_addc_u32 s8, s9, s13
	s_add_u32 s2, s2, s4
	v_add_lshl_u32 v1, v1, v19, 2
	s_addc_u32 s4, s8, s5
	s_and_b32 vcc_lo, exec_lo, s18
	s_mov_b32 s5, -1
	ds_load_2addr_b32 v[15:16], v1 offset1:1
	ds_load_2addr_b32 v[13:14], v1 offset0:2 offset1:3
	ds_load_2addr_b32 v[11:12], v1 offset0:4 offset1:5
	;; [unrolled: 1-line block ×3, first 2 shown]
	s_waitcnt lgkmcnt(0)
	s_barrier
	buffer_gl0_inv
	s_cbranch_vccz .LBB232_22
; %bb.21:
	v_lshlrev_b32_e32 v8, 2, v0
	v_lshrrev_b32_e32 v29, 3, v23
	v_lshrrev_b32_e32 v30, 3, v22
	;; [unrolled: 1-line block ×4, first 2 shown]
	v_add_co_u32 v2, s5, s2, v8
	s_delay_alu instid0(VALU_DEP_1) | instskip(SKIP_1) | instid1(VALU_DEP_3)
	v_add_co_ci_u32_e64 v3, null, s4, 0, s5
	v_lshrrev_b32_e32 v33, 3, v20
	v_add_co_u32 v4, vcc_lo, 0x1000, v2
	s_delay_alu instid0(VALU_DEP_3)
	v_add_co_ci_u32_e32 v5, vcc_lo, 0, v3, vcc_lo
	v_add_co_u32 v6, vcc_lo, 0x2000, v2
	v_add_co_ci_u32_e32 v7, vcc_lo, 0, v3, vcc_lo
	s_clause 0x7
	flat_load_b32 v26, v[2:3]
	flat_load_b32 v27, v[2:3] offset:1536
	flat_load_b32 v2, v[2:3] offset:3072
	;; [unrolled: 1-line block ×7, first 2 shown]
	v_and_b32_e32 v7, 60, v18
	v_lshrrev_b32_e32 v34, 3, v17
	v_lshrrev_b32_e32 v35, 3, v21
	v_and_b32_e32 v29, 0x7c, v29
	v_and_b32_e32 v30, 0xfc, v30
	v_and_b32_e32 v31, 0xfc, v31
	v_and_b32_e32 v32, 0xfc, v32
	v_add_nc_u32_e32 v7, v7, v8
	v_and_b32_e32 v33, 0x1fc, v33
	v_and_b32_e32 v34, 0x17c, v34
	;; [unrolled: 1-line block ×3, first 2 shown]
	v_add_nc_u32_e32 v29, v29, v8
	v_add_nc_u32_e32 v30, v30, v8
	;; [unrolled: 1-line block ×4, first 2 shown]
	s_mov_b32 s5, 0
	v_add_nc_u32_e32 v33, v33, v8
	v_add_nc_u32_e32 v34, v34, v8
	;; [unrolled: 1-line block ×3, first 2 shown]
	s_waitcnt vmcnt(7) lgkmcnt(7)
	ds_store_b32 v7, v26
	s_waitcnt vmcnt(6) lgkmcnt(7)
	ds_store_b32 v29, v27 offset:1536
	s_waitcnt vmcnt(5) lgkmcnt(7)
	ds_store_b32 v30, v2 offset:3072
	;; [unrolled: 2-line block ×7, first 2 shown]
	s_waitcnt lgkmcnt(0)
	s_barrier
.LBB232_22:
	s_and_not1_b32 vcc_lo, exec_lo, s5
	s_cbranch_vccnz .LBB232_40
; %bb.23:
	s_mov_b32 s5, exec_lo
                                        ; implicit-def: $vgpr2
	v_cmpx_gt_u32_e64 s19, v0
	s_cbranch_execz .LBB232_25
; %bb.24:
	v_lshlrev_b32_e32 v2, 2, v0
	s_delay_alu instid0(VALU_DEP_1) | instskip(NEXT) | instid1(VALU_DEP_1)
	v_add_co_u32 v2, s8, s2, v2
	v_add_co_ci_u32_e64 v3, null, s4, 0, s8
	flat_load_b32 v2, v[2:3]
.LBB232_25:
	s_or_b32 exec_lo, exec_lo, s5
	s_delay_alu instid0(SALU_CYCLE_1)
	s_mov_b32 s5, exec_lo
                                        ; implicit-def: $vgpr3
	v_cmpx_gt_u32_e64 s19, v23
	s_cbranch_execz .LBB232_27
; %bb.26:
	v_lshlrev_b32_e32 v3, 2, v0
	s_delay_alu instid0(VALU_DEP_1) | instskip(NEXT) | instid1(VALU_DEP_1)
	v_add_co_u32 v3, s8, s2, v3
	v_add_co_ci_u32_e64 v4, null, s4, 0, s8
	flat_load_b32 v3, v[3:4] offset:1536
.LBB232_27:
	s_or_b32 exec_lo, exec_lo, s5
	s_delay_alu instid0(SALU_CYCLE_1)
	s_mov_b32 s5, exec_lo
                                        ; implicit-def: $vgpr4
	v_cmpx_gt_u32_e64 s19, v22
	s_cbranch_execz .LBB232_29
; %bb.28:
	v_lshlrev_b32_e32 v4, 2, v0
	s_delay_alu instid0(VALU_DEP_1) | instskip(NEXT) | instid1(VALU_DEP_1)
	v_add_co_u32 v4, s8, s2, v4
	v_add_co_ci_u32_e64 v5, null, s4, 0, s8
	flat_load_b32 v4, v[4:5] offset:3072
.LBB232_29:
	s_or_b32 exec_lo, exec_lo, s5
	s_delay_alu instid0(SALU_CYCLE_1)
	s_mov_b32 s5, exec_lo
                                        ; implicit-def: $vgpr5
	v_cmpx_gt_u32_e64 s19, v25
	s_cbranch_execz .LBB232_31
; %bb.30:
	v_lshlrev_b32_e32 v5, 2, v25
	s_delay_alu instid0(VALU_DEP_1) | instskip(NEXT) | instid1(VALU_DEP_1)
	v_add_co_u32 v5, s8, s2, v5
	v_add_co_ci_u32_e64 v6, null, s4, 0, s8
	flat_load_b32 v5, v[5:6]
.LBB232_31:
	s_or_b32 exec_lo, exec_lo, s5
	s_delay_alu instid0(SALU_CYCLE_1)
	s_mov_b32 s5, exec_lo
                                        ; implicit-def: $vgpr6
	v_cmpx_gt_u32_e64 s19, v24
	s_cbranch_execz .LBB232_33
; %bb.32:
	v_lshlrev_b32_e32 v6, 2, v24
	s_delay_alu instid0(VALU_DEP_1) | instskip(NEXT) | instid1(VALU_DEP_1)
	v_add_co_u32 v6, s8, s2, v6
	v_add_co_ci_u32_e64 v7, null, s4, 0, s8
	flat_load_b32 v6, v[6:7]
.LBB232_33:
	s_or_b32 exec_lo, exec_lo, s5
	s_delay_alu instid0(SALU_CYCLE_1)
	s_mov_b32 s5, exec_lo
                                        ; implicit-def: $vgpr7
	v_cmpx_gt_u32_e64 s19, v20
	s_cbranch_execz .LBB232_35
; %bb.34:
	v_lshlrev_b32_e32 v7, 2, v20
	s_delay_alu instid0(VALU_DEP_1) | instskip(NEXT) | instid1(VALU_DEP_1)
	v_add_co_u32 v7, s8, s2, v7
	v_add_co_ci_u32_e64 v8, null, s4, 0, s8
	flat_load_b32 v7, v[7:8]
.LBB232_35:
	s_or_b32 exec_lo, exec_lo, s5
	s_delay_alu instid0(SALU_CYCLE_1)
	s_mov_b32 s5, exec_lo
                                        ; implicit-def: $vgpr8
	v_cmpx_gt_u32_e64 s19, v17
	s_cbranch_execz .LBB232_37
; %bb.36:
	v_lshlrev_b32_e32 v8, 2, v17
	s_delay_alu instid0(VALU_DEP_1) | instskip(NEXT) | instid1(VALU_DEP_1)
	v_add_co_u32 v26, s8, s2, v8
	v_add_co_ci_u32_e64 v27, null, s4, 0, s8
	flat_load_b32 v8, v[26:27]
.LBB232_37:
	s_or_b32 exec_lo, exec_lo, s5
	s_delay_alu instid0(SALU_CYCLE_1)
	s_mov_b32 s5, exec_lo
                                        ; implicit-def: $vgpr26
	v_cmpx_gt_u32_e64 s19, v21
	s_cbranch_execz .LBB232_39
; %bb.38:
	v_lshlrev_b32_e32 v26, 2, v21
	s_delay_alu instid0(VALU_DEP_1) | instskip(NEXT) | instid1(VALU_DEP_1)
	v_add_co_u32 v26, s2, s2, v26
	v_add_co_ci_u32_e64 v27, null, s4, 0, s2
	flat_load_b32 v26, v[26:27]
.LBB232_39:
	s_or_b32 exec_lo, exec_lo, s5
	v_lshrrev_b32_e32 v23, 3, v23
	v_lshrrev_b32_e32 v22, 3, v22
	;; [unrolled: 1-line block ×4, first 2 shown]
	v_and_b32_e32 v18, 60, v18
	v_lshlrev_b32_e32 v27, 2, v0
	v_lshrrev_b32_e32 v20, 3, v20
	v_lshrrev_b32_e32 v17, 3, v17
	;; [unrolled: 1-line block ×3, first 2 shown]
	v_and_b32_e32 v23, 0x7c, v23
	v_and_b32_e32 v22, 0xfc, v22
	;; [unrolled: 1-line block ×4, first 2 shown]
	v_add_nc_u32_e32 v18, v18, v27
	v_and_b32_e32 v20, 0x1fc, v20
	v_and_b32_e32 v17, 0x1fc, v17
	;; [unrolled: 1-line block ×3, first 2 shown]
	v_add_nc_u32_e32 v23, v23, v27
	v_add_nc_u32_e32 v22, v22, v27
	v_add_nc_u32_e32 v25, v25, v27
	v_add_nc_u32_e32 v24, v24, v27
	v_add_nc_u32_e32 v20, v20, v27
	v_add_nc_u32_e32 v17, v17, v27
	v_add_nc_u32_e32 v21, v21, v27
	s_waitcnt vmcnt(0) lgkmcnt(0)
	ds_store_b32 v18, v2
	ds_store_b32 v23, v3 offset:1536
	ds_store_b32 v22, v4 offset:3072
	ds_store_b32 v25, v5 offset:4608
	ds_store_b32 v24, v6 offset:6144
	ds_store_b32 v20, v7 offset:7680
	ds_store_b32 v17, v8 offset:9216
	ds_store_b32 v21, v26 offset:10752
	s_waitcnt lgkmcnt(0)
	s_barrier
.LBB232_40:
	buffer_gl0_inv
	ds_load_2addr_b32 v[7:8], v1 offset1:1
	ds_load_2addr_b32 v[5:6], v1 offset0:2 offset1:3
	ds_load_2addr_b32 v[3:4], v1 offset0:4 offset1:5
	;; [unrolled: 1-line block ×3, first 2 shown]
	s_cmp_lg_u32 s15, 0
	s_mov_b32 s12, 0
	s_cselect_b32 s9, -1, 0
	s_cmp_lg_u64 s[6:7], 0
	s_waitcnt lgkmcnt(0)
	s_cselect_b32 s2, -1, 0
	s_barrier
	s_or_b32 s2, s9, s2
	buffer_gl0_inv
	s_and_b32 vcc_lo, exec_lo, s2
	s_cbranch_vccz .LBB232_45
; %bb.41:
	v_add_co_u32 v17, s2, -4, s21
	s_delay_alu instid0(VALU_DEP_1)
	v_add_co_ci_u32_e64 v18, null, -1, s3, s2
	v_lshlrev_b32_e32 v21, 2, v0
	s_mov_b32 s3, -1
	s_and_b32 vcc_lo, exec_lo, s18
	flat_load_b32 v20, v[17:18]
	ds_store_b32 v21, v10
	s_cbranch_vccz .LBB232_46
; %bb.42:
	s_waitcnt vmcnt(0) lgkmcnt(1)
	v_mov_b32_e32 v17, v20
	s_mov_b32 s3, 0
	s_mov_b32 s2, exec_lo
	s_waitcnt lgkmcnt(0)
	s_barrier
	buffer_gl0_inv
	v_cmpx_ne_u32_e32 0, v0
	s_cbranch_execz .LBB232_44
; %bb.43:
	v_add_nc_u32_e32 v17, -4, v21
	ds_load_b32 v17, v17
.LBB232_44:
	s_or_b32 exec_lo, exec_lo, s2
	v_cmp_ne_u32_e32 vcc_lo, v9, v10
	s_waitcnt lgkmcnt(0)
	v_cmp_ne_u32_e64 s2, v17, v15
	v_cndmask_b32_e64 v18, 0, 1, vcc_lo
	v_cmp_ne_u32_e32 vcc_lo, v12, v9
	s_delay_alu instid0(VALU_DEP_2) | instskip(SKIP_2) | instid1(VALU_DEP_2)
	v_lshlrev_b16 v18, 8, v18
	v_cndmask_b32_e64 v22, 0, 1, vcc_lo
	v_cmp_ne_u32_e32 vcc_lo, v11, v12
	v_or_b32_e32 v18, v22, v18
	v_cndmask_b32_e64 v23, 0, 1, vcc_lo
	v_cmp_ne_u32_e32 vcc_lo, v13, v14
	s_delay_alu instid0(VALU_DEP_3) | instskip(NEXT) | instid1(VALU_DEP_3)
	v_lshlrev_b32_e32 v18, 16, v18
	v_lshlrev_b16 v23, 8, v23
	v_cndmask_b32_e64 v24, 0, 1, vcc_lo
	v_cmp_ne_u32_e32 vcc_lo, v14, v11
	s_delay_alu instid0(VALU_DEP_2) | instskip(SKIP_2) | instid1(VALU_DEP_2)
	v_lshlrev_b16 v24, 8, v24
	v_cndmask_b32_e64 v25, 0, 1, vcc_lo
	v_cmp_ne_u32_e32 vcc_lo, v16, v13
	v_or_b32_e32 v23, v25, v23
	v_cndmask_b32_e64 v26, 0, 1, vcc_lo
	v_cmp_ne_u32_e32 vcc_lo, v15, v16
	s_delay_alu instid0(VALU_DEP_3) | instskip(NEXT) | instid1(VALU_DEP_3)
	v_and_b32_e32 v23, 0xffff, v23
	v_or_b32_e32 v24, v26, v24
	v_cndmask_b32_e64 v27, 0, 1, vcc_lo
	s_delay_alu instid0(VALU_DEP_3) | instskip(NEXT) | instid1(VALU_DEP_3)
	v_or_b32_e32 v18, v23, v18
	v_lshlrev_b32_e32 v22, 16, v24
	s_delay_alu instid0(VALU_DEP_3) | instskip(NEXT) | instid1(VALU_DEP_1)
	v_lshlrev_b16 v26, 8, v27
	v_and_b32_e32 v24, 0xffff, v26
	s_delay_alu instid0(VALU_DEP_1)
	v_or_b32_e32 v17, v24, v22
	s_and_b32 vcc_lo, exec_lo, s3
	s_cbranch_vccnz .LBB232_47
	s_branch .LBB232_50
.LBB232_45:
                                        ; implicit-def: $sgpr2
                                        ; implicit-def: $vgpr18
	s_branch .LBB232_51
.LBB232_46:
                                        ; implicit-def: $sgpr2
                                        ; implicit-def: $vgpr18
	s_and_b32 vcc_lo, exec_lo, s3
	s_cbranch_vccz .LBB232_50
.LBB232_47:
	s_mov_b32 s2, exec_lo
	s_waitcnt vmcnt(0) lgkmcnt(0)
	s_barrier
	buffer_gl0_inv
	v_cmpx_ne_u32_e32 0, v0
	s_cbranch_execz .LBB232_49
; %bb.48:
	v_add_nc_u32_e32 v17, -4, v21
	ds_load_b32 v20, v17
.LBB232_49:
	s_or_b32 exec_lo, exec_lo, s2
	v_or_b32_e32 v17, 7, v19
	v_or_b32_e32 v18, 6, v19
	;; [unrolled: 1-line block ×3, first 2 shown]
	v_cmp_ne_u32_e32 vcc_lo, v9, v10
	v_cmp_ne_u32_e64 s3, v12, v9
	v_cmp_gt_u32_e64 s2, s19, v17
	v_cmp_gt_u32_e64 s5, s19, v18
	v_cmp_ne_u32_e64 s4, v11, v12
	v_cmp_gt_u32_e64 s6, s19, v21
	v_or_b32_e32 v18, 3, v19
	s_and_b32 s2, s2, vcc_lo
	v_or_b32_e32 v22, 4, v19
	v_cndmask_b32_e64 v17, 0, 1, s2
	s_and_b32 s2, s5, s3
	v_cmp_gt_u32_e32 vcc_lo, s19, v18
	v_cndmask_b32_e64 v21, 0, 1, s2
	s_and_b32 s2, s6, s4
	v_or_b32_e32 v18, 2, v19
	v_cndmask_b32_e64 v23, 0, 1, s2
	v_cmp_ne_u32_e64 s2, v13, v14
	v_cmp_gt_u32_e64 s3, s19, v22
	v_or_b32_e32 v22, 1, v19
	v_cmp_ne_u32_e64 s4, v14, v11
	v_cmp_ne_u32_e64 s6, v15, v16
	s_and_b32 s2, vcc_lo, s2
	v_cmp_gt_u32_e32 vcc_lo, s19, v18
	v_cndmask_b32_e64 v24, 0, 1, s2
	v_cmp_ne_u32_e64 s2, v16, v13
	v_cmp_gt_u32_e64 s5, s19, v22
	s_and_b32 s3, s3, s4
	v_lshlrev_b16 v23, 8, v23
	v_cndmask_b32_e64 v18, 0, 1, s3
	s_and_b32 s2, vcc_lo, s2
	v_lshlrev_b16 v24, 8, v24
	v_cndmask_b32_e64 v22, 0, 1, s2
	s_and_b32 s2, s5, s6
	v_lshlrev_b16 v17, 8, v17
	v_cndmask_b32_e64 v25, 0, 1, s2
	v_or_b32_e32 v18, v18, v23
	v_or_b32_e32 v22, v22, v24
	v_cmp_gt_u32_e32 vcc_lo, s19, v19
	v_or_b32_e32 v17, v21, v17
	v_lshlrev_b16 v24, 8, v25
	v_and_b32_e32 v18, 0xffff, v18
	v_lshlrev_b32_e32 v21, 16, v22
	s_waitcnt lgkmcnt(0)
	v_cmp_ne_u32_e64 s2, v20, v15
	v_lshlrev_b32_e32 v23, 16, v17
	v_and_b32_e32 v22, 0xffff, v24
	s_delay_alu instid0(VALU_DEP_3) | instskip(NEXT) | instid1(VALU_DEP_2)
	s_and_b32 s2, vcc_lo, s2
	v_or_b32_e32 v18, v18, v23
	s_delay_alu instid0(VALU_DEP_2)
	v_or_b32_e32 v17, v22, v21
.LBB232_50:
	s_mov_b32 s12, -1
	s_cbranch_execnz .LBB232_59
.LBB232_51:
	s_waitcnt vmcnt(0) lgkmcnt(1)
	v_lshlrev_b32_e32 v20, 2, v0
	v_cmp_ne_u32_e64 s3, v9, v10
	v_cmp_ne_u32_e64 s4, v12, v9
	;; [unrolled: 1-line block ×7, first 2 shown]
	s_and_b32 vcc_lo, exec_lo, s18
	ds_store_b32 v20, v10
	s_cbranch_vccz .LBB232_55
; %bb.52:
	v_cndmask_b32_e64 v17, 0, 1, s3
	v_cndmask_b32_e64 v21, 0, 1, s5
	;; [unrolled: 1-line block ×7, first 2 shown]
	v_lshlrev_b16 v21, 8, v21
	v_lshlrev_b16 v17, 8, v17
	;; [unrolled: 1-line block ×4, first 2 shown]
	s_mov_b32 s3, 0
	v_or_b32_e32 v21, v22, v21
	v_or_b32_e32 v17, v18, v17
	;; [unrolled: 1-line block ×4, first 2 shown]
	s_mov_b32 s4, exec_lo
	v_and_b32_e32 v21, 0xffff, v21
	v_lshlrev_b32_e32 v17, 16, v17
	v_lshlrev_b32_e32 v23, 16, v18
	v_and_b32_e32 v22, 0xffff, v22
	s_waitcnt lgkmcnt(0)
	s_barrier
	v_or_b32_e32 v18, v21, v17
	buffer_gl0_inv
	v_or_b32_e32 v17, v22, v23
                                        ; implicit-def: $sgpr2
	v_cmpx_ne_u32_e32 0, v0
	s_xor_b32 s4, exec_lo, s4
	s_cbranch_execz .LBB232_54
; %bb.53:
	v_add_nc_u32_e32 v21, -4, v20
	s_or_b32 s12, s12, exec_lo
	ds_load_b32 v21, v21
	s_waitcnt lgkmcnt(0)
	v_cmp_ne_u32_e32 vcc_lo, v21, v15
	s_and_b32 s2, vcc_lo, exec_lo
.LBB232_54:
	s_or_b32 exec_lo, exec_lo, s4
	s_delay_alu instid0(SALU_CYCLE_1)
	s_and_b32 vcc_lo, exec_lo, s3
	s_cbranch_vccnz .LBB232_56
	s_branch .LBB232_59
.LBB232_55:
                                        ; implicit-def: $sgpr2
                                        ; implicit-def: $vgpr18
	s_cbranch_execz .LBB232_59
.LBB232_56:
	v_or_b32_e32 v17, 7, v19
	v_or_b32_e32 v18, 6, v19
	v_cmp_ne_u32_e32 vcc_lo, v9, v10
	v_cmp_ne_u32_e64 s3, v12, v9
	v_or_b32_e32 v21, 5, v19
	v_cmp_gt_u32_e64 s2, s19, v17
	v_cmp_gt_u32_e64 s4, s19, v18
	v_or_b32_e32 v17, 4, v19
	v_or_b32_e32 v22, 3, v19
	v_cmp_gt_u32_e64 s5, s19, v21
	s_and_b32 s2, s2, vcc_lo
	v_cmp_ne_u32_e32 vcc_lo, v11, v12
	v_cndmask_b32_e64 v18, 0, 1, s2
	s_and_b32 s2, s4, s3
	v_cmp_ne_u32_e64 s3, v14, v11
	v_cndmask_b32_e64 v21, 0, 1, s2
	v_cmp_gt_u32_e64 s2, s19, v17
	v_or_b32_e32 v23, 1, v19
	s_and_b32 s4, s5, vcc_lo
	v_cmp_gt_u32_e32 vcc_lo, s19, v22
	v_cndmask_b32_e64 v17, 0, 1, s4
	s_and_b32 s2, s2, s3
	v_or_b32_e32 v25, 2, v19
	v_cndmask_b32_e64 v24, 0, 1, s2
	v_cmp_ne_u32_e64 s2, v13, v14
	v_cmp_gt_u32_e64 s3, s19, v23
	v_cmp_ne_u32_e64 s4, v15, v16
	v_cmp_gt_u32_e64 s5, s19, v25
	v_cmp_ne_u32_e64 s6, v16, v13
	s_and_b32 s2, vcc_lo, s2
	v_lshlrev_b16 v17, 8, v17
	v_cndmask_b32_e64 v22, 0, 1, s2
	s_and_b32 s2, s3, s4
	v_lshlrev_b16 v18, 8, v18
	v_cndmask_b32_e64 v23, 0, 1, s2
	s_and_b32 s2, s5, s6
	v_lshlrev_b16 v22, 8, v22
	v_cndmask_b32_e64 v25, 0, 1, s2
	v_or_b32_e32 v17, v24, v17
	v_lshlrev_b16 v23, 8, v23
	v_or_b32_e32 v18, v21, v18
	s_mov_b32 s3, exec_lo
	v_or_b32_e32 v21, v25, v22
	v_and_b32_e32 v17, 0xffff, v17
	v_or_b32_e32 v22, 1, v23
	v_lshlrev_b32_e32 v18, 16, v18
	s_waitcnt lgkmcnt(0)
	v_lshlrev_b32_e32 v21, 16, v21
	s_barrier
	v_and_b32_e32 v22, 0xffff, v22
	v_or_b32_e32 v18, v17, v18
	buffer_gl0_inv
                                        ; implicit-def: $sgpr2
	v_or_b32_e32 v17, v22, v21
	v_cmpx_ne_u32_e32 0, v0
	s_cbranch_execz .LBB232_58
; %bb.57:
	v_add_nc_u32_e32 v20, -4, v20
	v_cmp_gt_u32_e32 vcc_lo, s19, v19
	s_or_b32 s12, s12, exec_lo
	ds_load_b32 v20, v20
	s_waitcnt lgkmcnt(0)
	v_cmp_ne_u32_e64 s2, v20, v15
	s_delay_alu instid0(VALU_DEP_1) | instskip(NEXT) | instid1(SALU_CYCLE_1)
	s_and_b32 s2, vcc_lo, s2
	s_and_b32 s2, s2, exec_lo
.LBB232_58:
	s_or_b32 exec_lo, exec_lo, s3
.LBB232_59:
	s_and_saveexec_b32 s3, s12
	s_cbranch_execz .LBB232_61
; %bb.60:
	s_waitcnt vmcnt(0) lgkmcnt(1)
	v_and_b32_e32 v20, 0xffffff00, v17
	v_cndmask_b32_e64 v21, 0, 1, s2
	s_delay_alu instid0(VALU_DEP_1) | instskip(NEXT) | instid1(VALU_DEP_1)
	v_or_b32_e32 v20, v21, v20
	v_and_b32_e32 v20, 0xffff, v20
	s_delay_alu instid0(VALU_DEP_1)
	v_and_or_b32 v17, 0xffff0000, v17, v20
.LBB232_61:
	s_or_b32 exec_lo, exec_lo, s3
	s_load_b64 s[12:13], s[0:1], 0x60
	s_and_not1_b32 vcc_lo, exec_lo, s20
	s_cbranch_vccnz .LBB232_63
; %bb.62:
	v_cmp_gt_u32_e32 vcc_lo, s19, v19
	v_or_b32_e32 v21, 1, v19
	v_and_b32_e32 v22, 0xffffff00, v18
	v_or_b32_e32 v23, 2, v19
	s_waitcnt vmcnt(0) lgkmcnt(0)
	v_cndmask_b32_e32 v20, 0, v17, vcc_lo
	v_cmp_gt_u32_e32 vcc_lo, s19, v21
	v_or_b32_e32 v21, 4, v19
	v_cmp_gt_u32_e64 s2, s19, v23
	v_or_b32_e32 v23, 3, v19
	v_and_b32_e32 v20, 0xff, v20
	s_delay_alu instid0(VALU_DEP_2) | instskip(NEXT) | instid1(VALU_DEP_2)
	v_cmp_gt_u32_e64 s3, s19, v23
	v_cndmask_b32_e32 v20, v20, v17, vcc_lo
	v_cmp_gt_u32_e32 vcc_lo, s19, v21
	s_delay_alu instid0(VALU_DEP_2) | instskip(SKIP_1) | instid1(VALU_DEP_2)
	v_dual_cndmask_b32 v21, v22, v18 :: v_dual_and_b32 v20, 0xffff, v20
	v_or_b32_e32 v22, 5, v19
	v_cndmask_b32_e64 v20, v20, v17, s2
	s_delay_alu instid0(VALU_DEP_3) | instskip(NEXT) | instid1(VALU_DEP_3)
	v_and_b32_e32 v21, 0xffff00ff, v21
	v_cmp_gt_u32_e64 s2, s19, v22
	v_or_b32_e32 v22, 6, v19
	v_or_b32_e32 v19, 7, v19
	v_and_b32_e32 v20, 0xffffff, v20
	s_delay_alu instid0(VALU_DEP_4) | instskip(NEXT) | instid1(VALU_DEP_2)
	v_cndmask_b32_e64 v21, v21, v18, s2
	v_cndmask_b32_e64 v20, v20, v17, s3
	s_delay_alu instid0(VALU_DEP_2) | instskip(NEXT) | instid1(VALU_DEP_2)
	v_and_b32_e32 v21, 0xff00ffff, v21
	v_cndmask_b32_e32 v20, v20, v17, vcc_lo
	v_cmp_gt_u32_e32 vcc_lo, s19, v22
	s_delay_alu instid0(VALU_DEP_2) | instskip(NEXT) | instid1(VALU_DEP_1)
	v_cndmask_b32_e64 v20, v20, v17, s2
	v_dual_cndmask_b32 v21, v21, v18 :: v_dual_cndmask_b32 v20, v20, v17
	s_delay_alu instid0(VALU_DEP_1) | instskip(SKIP_1) | instid1(VALU_DEP_2)
	v_and_b32_e32 v21, 0xffffff, v21
	v_cmp_gt_u32_e32 vcc_lo, s19, v19
	v_dual_cndmask_b32 v18, v21, v18 :: v_dual_cndmask_b32 v17, v20, v17
.LBB232_63:
	s_delay_alu instid0(VALU_DEP_1) | instskip(NEXT) | instid1(VALU_DEP_2)
	v_and_b32_e32 v28, 0xff, v17
	v_alignbit_b32 v19, v18, v17, 24
	v_bfe_u32 v30, v17, 8, 8
	v_bfe_u32 v32, v17, 16, 8
	v_and_b32_e32 v36, 0xff, v18
	v_bfe_u32 v38, v18, 8, 8
	v_and_b32_e32 v34, 0xff, v19
	v_add_nc_u32_e32 v19, v30, v28
	s_waitcnt vmcnt(0) lgkmcnt(0)
	v_and_b32_e32 v20, 0x1e0, v0
	v_mbcnt_lo_u32_b32 v41, -1, 0
	v_bfe_u32 v40, v18, 16, 8
	v_lshrrev_b32_e32 v39, 24, v18
	v_add3_u32 v19, v19, v32, v34
	v_min_u32_e32 v20, 0x160, v20
	v_and_b32_e32 v21, 15, v41
	v_lshrrev_b32_e32 v42, 5, v0
	s_and_b32 vcc_lo, exec_lo, s9
	v_add3_u32 v19, v19, v36, v38
	v_or_b32_e32 v20, 31, v20
	v_cmp_eq_u32_e64 s4, 0, v21
	v_cmp_lt_u32_e64 s5, 1, v21
	v_cmp_lt_u32_e64 s3, 3, v21
	v_add3_u32 v43, v19, v40, v39
	v_and_b32_e32 v19, 16, v41
	v_cmp_lt_u32_e64 s2, 7, v21
	v_cmp_eq_u32_e64 s6, v20, v0
	s_mov_b32 s8, -1
	s_delay_alu instid0(VALU_DEP_3)
	v_cmp_eq_u32_e64 s7, 0, v19
	s_barrier
	buffer_gl0_inv
	s_cbranch_vccz .LBB232_94
; %bb.64:
	v_mov_b32_dpp v19, v43 row_shr:1 row_mask:0xf bank_mask:0xf
	s_delay_alu instid0(VALU_DEP_1) | instskip(NEXT) | instid1(VALU_DEP_1)
	v_cndmask_b32_e64 v19, v19, 0, s4
	v_add_nc_u32_e32 v19, v19, v43
	s_delay_alu instid0(VALU_DEP_1) | instskip(NEXT) | instid1(VALU_DEP_1)
	v_mov_b32_dpp v20, v19 row_shr:2 row_mask:0xf bank_mask:0xf
	v_cndmask_b32_e64 v20, 0, v20, s5
	s_delay_alu instid0(VALU_DEP_1) | instskip(NEXT) | instid1(VALU_DEP_1)
	v_add_nc_u32_e32 v19, v19, v20
	v_mov_b32_dpp v20, v19 row_shr:4 row_mask:0xf bank_mask:0xf
	s_delay_alu instid0(VALU_DEP_1) | instskip(NEXT) | instid1(VALU_DEP_1)
	v_cndmask_b32_e64 v20, 0, v20, s3
	v_add_nc_u32_e32 v19, v19, v20
	s_delay_alu instid0(VALU_DEP_1) | instskip(NEXT) | instid1(VALU_DEP_1)
	v_mov_b32_dpp v20, v19 row_shr:8 row_mask:0xf bank_mask:0xf
	v_cndmask_b32_e64 v20, 0, v20, s2
	s_delay_alu instid0(VALU_DEP_1) | instskip(SKIP_3) | instid1(VALU_DEP_1)
	v_add_nc_u32_e32 v19, v19, v20
	ds_swizzle_b32 v20, v19 offset:swizzle(BROADCAST,32,15)
	s_waitcnt lgkmcnt(0)
	v_cndmask_b32_e64 v20, v20, 0, s7
	v_add_nc_u32_e32 v19, v19, v20
	s_and_saveexec_b32 s8, s6
	s_cbranch_execz .LBB232_66
; %bb.65:
	v_lshlrev_b32_e32 v20, 2, v42
	ds_store_b32 v20, v19
.LBB232_66:
	s_or_b32 exec_lo, exec_lo, s8
	s_delay_alu instid0(SALU_CYCLE_1)
	s_mov_b32 s8, exec_lo
	s_waitcnt lgkmcnt(0)
	s_barrier
	buffer_gl0_inv
	v_cmpx_gt_u32_e32 12, v0
	s_cbranch_execz .LBB232_68
; %bb.67:
	v_lshlrev_b32_e32 v20, 2, v0
	ds_load_b32 v21, v20
	s_waitcnt lgkmcnt(0)
	v_mov_b32_dpp v22, v21 row_shr:1 row_mask:0xf bank_mask:0xf
	s_delay_alu instid0(VALU_DEP_1) | instskip(NEXT) | instid1(VALU_DEP_1)
	v_cndmask_b32_e64 v22, v22, 0, s4
	v_add_nc_u32_e32 v21, v22, v21
	s_delay_alu instid0(VALU_DEP_1) | instskip(NEXT) | instid1(VALU_DEP_1)
	v_mov_b32_dpp v22, v21 row_shr:2 row_mask:0xf bank_mask:0xf
	v_cndmask_b32_e64 v22, 0, v22, s5
	s_delay_alu instid0(VALU_DEP_1) | instskip(NEXT) | instid1(VALU_DEP_1)
	v_add_nc_u32_e32 v21, v21, v22
	v_mov_b32_dpp v22, v21 row_shr:4 row_mask:0xf bank_mask:0xf
	s_delay_alu instid0(VALU_DEP_1) | instskip(NEXT) | instid1(VALU_DEP_1)
	v_cndmask_b32_e64 v22, 0, v22, s3
	v_add_nc_u32_e32 v21, v21, v22
	s_delay_alu instid0(VALU_DEP_1) | instskip(NEXT) | instid1(VALU_DEP_1)
	v_mov_b32_dpp v22, v21 row_shr:8 row_mask:0xf bank_mask:0xf
	v_cndmask_b32_e64 v22, 0, v22, s2
	s_delay_alu instid0(VALU_DEP_1)
	v_add_nc_u32_e32 v21, v21, v22
	ds_store_b32 v20, v21
.LBB232_68:
	s_or_b32 exec_lo, exec_lo, s8
	v_cmp_gt_u32_e32 vcc_lo, 32, v0
	s_mov_b32 s9, exec_lo
	s_waitcnt lgkmcnt(0)
	s_barrier
	buffer_gl0_inv
                                        ; implicit-def: $vgpr27
	v_cmpx_lt_u32_e32 31, v0
	s_cbranch_execz .LBB232_70
; %bb.69:
	v_lshl_add_u32 v20, v42, 2, -4
	ds_load_b32 v27, v20
	s_waitcnt lgkmcnt(0)
	v_add_nc_u32_e32 v19, v27, v19
.LBB232_70:
	s_or_b32 exec_lo, exec_lo, s9
	v_add_nc_u32_e32 v20, -1, v41
	s_delay_alu instid0(VALU_DEP_1) | instskip(NEXT) | instid1(VALU_DEP_1)
	v_cmp_gt_i32_e64 s8, 0, v20
	v_cndmask_b32_e64 v20, v20, v41, s8
	v_cmp_eq_u32_e64 s8, 0, v41
	s_delay_alu instid0(VALU_DEP_2)
	v_lshlrev_b32_e32 v20, 2, v20
	ds_bpermute_b32 v29, v20, v19
	s_and_saveexec_b32 s9, vcc_lo
	s_cbranch_execz .LBB232_93
; %bb.71:
	v_mov_b32_e32 v23, 0
	ds_load_b32 v19, v23 offset:44
	s_and_saveexec_b32 s19, s8
	s_cbranch_execz .LBB232_73
; %bb.72:
	s_add_i32 s20, s15, 32
	s_mov_b32 s21, 0
	v_mov_b32_e32 v20, 1
	s_lshl_b64 s[20:21], s[20:21], 3
	s_delay_alu instid0(SALU_CYCLE_1)
	s_add_u32 s20, s12, s20
	s_addc_u32 s21, s13, s21
	s_waitcnt lgkmcnt(0)
	global_store_b64 v23, v[19:20], s[20:21]
.LBB232_73:
	s_or_b32 exec_lo, exec_lo, s19
	v_xad_u32 v21, v41, -1, s15
	s_mov_b32 s20, 0
	s_mov_b32 s19, exec_lo
	s_delay_alu instid0(VALU_DEP_1) | instskip(NEXT) | instid1(VALU_DEP_1)
	v_add_nc_u32_e32 v22, 32, v21
	v_lshlrev_b64 v[22:23], 3, v[22:23]
	s_delay_alu instid0(VALU_DEP_1) | instskip(NEXT) | instid1(VALU_DEP_2)
	v_add_co_u32 v25, vcc_lo, s12, v22
	v_add_co_ci_u32_e32 v26, vcc_lo, s13, v23, vcc_lo
	global_load_b64 v[23:24], v[25:26], off glc
	s_waitcnt vmcnt(0)
	v_and_b32_e32 v20, 0xff, v24
	s_delay_alu instid0(VALU_DEP_1)
	v_cmpx_eq_u16_e32 0, v20
	s_cbranch_execz .LBB232_79
; %bb.74:
	s_mov_b32 s21, 1
	.p2align	6
.LBB232_75:                             ; =>This Loop Header: Depth=1
                                        ;     Child Loop BB232_76 Depth 2
	s_delay_alu instid0(SALU_CYCLE_1)
	s_max_u32 s22, s21, 1
.LBB232_76:                             ;   Parent Loop BB232_75 Depth=1
                                        ; =>  This Inner Loop Header: Depth=2
	s_delay_alu instid0(SALU_CYCLE_1)
	s_add_i32 s22, s22, -1
	s_sleep 1
	s_cmp_eq_u32 s22, 0
	s_cbranch_scc0 .LBB232_76
; %bb.77:                               ;   in Loop: Header=BB232_75 Depth=1
	global_load_b64 v[23:24], v[25:26], off glc
	s_cmp_lt_u32 s21, 32
	s_cselect_b32 s22, -1, 0
	s_delay_alu instid0(SALU_CYCLE_1) | instskip(SKIP_3) | instid1(VALU_DEP_1)
	s_cmp_lg_u32 s22, 0
	s_addc_u32 s21, s21, 0
	s_waitcnt vmcnt(0)
	v_and_b32_e32 v20, 0xff, v24
	v_cmp_ne_u16_e32 vcc_lo, 0, v20
	s_or_b32 s20, vcc_lo, s20
	s_delay_alu instid0(SALU_CYCLE_1)
	s_and_not1_b32 exec_lo, exec_lo, s20
	s_cbranch_execnz .LBB232_75
; %bb.78:
	s_or_b32 exec_lo, exec_lo, s20
.LBB232_79:
	s_delay_alu instid0(SALU_CYCLE_1)
	s_or_b32 exec_lo, exec_lo, s19
	v_cmp_ne_u32_e32 vcc_lo, 31, v41
	v_lshlrev_b32_e64 v33, v41, -1
	v_add_nc_u32_e32 v37, 2, v41
	v_add_nc_u32_e32 v45, 4, v41
	v_add_nc_u32_e32 v47, 8, v41
	v_add_co_ci_u32_e32 v20, vcc_lo, 0, v41, vcc_lo
	v_add_nc_u32_e32 v49, 16, v41
	s_delay_alu instid0(VALU_DEP_2)
	v_lshlrev_b32_e32 v31, 2, v20
	v_and_b32_e32 v20, 0xff, v24
	ds_bpermute_b32 v22, v31, v23
	v_cmp_eq_u16_e32 vcc_lo, 2, v20
	v_and_or_b32 v20, vcc_lo, v33, 0x80000000
	v_cmp_gt_u32_e32 vcc_lo, 30, v41
	s_delay_alu instid0(VALU_DEP_2) | instskip(SKIP_1) | instid1(VALU_DEP_2)
	v_ctz_i32_b32_e32 v20, v20
	v_cndmask_b32_e64 v25, 0, 1, vcc_lo
	v_cmp_lt_u32_e32 vcc_lo, v41, v20
	s_waitcnt lgkmcnt(0)
	s_delay_alu instid0(VALU_DEP_2) | instskip(NEXT) | instid1(VALU_DEP_1)
	v_dual_cndmask_b32 v22, 0, v22 :: v_dual_lshlrev_b32 v25, 1, v25
	v_add_lshl_u32 v35, v25, v41, 2
	v_cmp_gt_u32_e32 vcc_lo, 28, v41
	s_delay_alu instid0(VALU_DEP_3) | instskip(SKIP_4) | instid1(VALU_DEP_1)
	v_add_nc_u32_e32 v22, v22, v23
	v_cndmask_b32_e64 v25, 0, 1, vcc_lo
	v_cmp_le_u32_e32 vcc_lo, v37, v20
	ds_bpermute_b32 v23, v35, v22
	v_lshlrev_b32_e32 v25, 2, v25
	v_add_lshl_u32 v44, v25, v41, 2
	s_waitcnt lgkmcnt(0)
	v_cndmask_b32_e32 v23, 0, v23, vcc_lo
	v_cmp_gt_u32_e32 vcc_lo, 24, v41
	s_delay_alu instid0(VALU_DEP_2) | instskip(SKIP_4) | instid1(VALU_DEP_1)
	v_add_nc_u32_e32 v22, v22, v23
	v_cndmask_b32_e64 v25, 0, 1, vcc_lo
	v_cmp_le_u32_e32 vcc_lo, v45, v20
	ds_bpermute_b32 v23, v44, v22
	v_lshlrev_b32_e32 v25, 3, v25
	v_add_lshl_u32 v46, v25, v41, 2
	s_waitcnt lgkmcnt(0)
	v_cndmask_b32_e32 v23, 0, v23, vcc_lo
	v_cmp_gt_u32_e32 vcc_lo, 16, v41
	s_delay_alu instid0(VALU_DEP_2) | instskip(SKIP_4) | instid1(VALU_DEP_1)
	v_add_nc_u32_e32 v22, v22, v23
	v_cndmask_b32_e64 v25, 0, 1, vcc_lo
	v_cmp_le_u32_e32 vcc_lo, v47, v20
	ds_bpermute_b32 v23, v46, v22
	v_lshlrev_b32_e32 v25, 4, v25
	v_add_lshl_u32 v48, v25, v41, 2
	s_waitcnt lgkmcnt(0)
	v_cndmask_b32_e32 v23, 0, v23, vcc_lo
	v_cmp_le_u32_e32 vcc_lo, v49, v20
	s_delay_alu instid0(VALU_DEP_2) | instskip(SKIP_3) | instid1(VALU_DEP_1)
	v_add_nc_u32_e32 v22, v22, v23
	ds_bpermute_b32 v23, v48, v22
	s_waitcnt lgkmcnt(0)
	v_cndmask_b32_e32 v20, 0, v23, vcc_lo
	v_dual_mov_b32 v22, 0 :: v_dual_add_nc_u32 v23, v22, v20
	s_branch .LBB232_81
.LBB232_80:                             ;   in Loop: Header=BB232_81 Depth=1
	s_or_b32 exec_lo, exec_lo, s19
	ds_bpermute_b32 v26, v31, v23
	v_and_b32_e32 v25, 0xff, v24
	v_subrev_nc_u32_e32 v21, 32, v21
	s_delay_alu instid0(VALU_DEP_2) | instskip(SKIP_1) | instid1(VALU_DEP_1)
	v_cmp_eq_u16_e32 vcc_lo, 2, v25
	v_and_or_b32 v25, vcc_lo, v33, 0x80000000
	v_ctz_i32_b32_e32 v25, v25
	s_delay_alu instid0(VALU_DEP_1) | instskip(SKIP_3) | instid1(VALU_DEP_2)
	v_cmp_lt_u32_e32 vcc_lo, v41, v25
	s_waitcnt lgkmcnt(0)
	v_cndmask_b32_e32 v26, 0, v26, vcc_lo
	v_cmp_le_u32_e32 vcc_lo, v37, v25
	v_add_nc_u32_e32 v23, v26, v23
	ds_bpermute_b32 v26, v35, v23
	s_waitcnt lgkmcnt(0)
	v_cndmask_b32_e32 v26, 0, v26, vcc_lo
	v_cmp_le_u32_e32 vcc_lo, v45, v25
	s_delay_alu instid0(VALU_DEP_2) | instskip(SKIP_4) | instid1(VALU_DEP_2)
	v_add_nc_u32_e32 v23, v23, v26
	ds_bpermute_b32 v26, v44, v23
	s_waitcnt lgkmcnt(0)
	v_cndmask_b32_e32 v26, 0, v26, vcc_lo
	v_cmp_le_u32_e32 vcc_lo, v47, v25
	v_add_nc_u32_e32 v23, v23, v26
	ds_bpermute_b32 v26, v46, v23
	s_waitcnt lgkmcnt(0)
	v_cndmask_b32_e32 v26, 0, v26, vcc_lo
	v_cmp_le_u32_e32 vcc_lo, v49, v25
	s_delay_alu instid0(VALU_DEP_2) | instskip(SKIP_3) | instid1(VALU_DEP_1)
	v_add_nc_u32_e32 v23, v23, v26
	ds_bpermute_b32 v26, v48, v23
	s_waitcnt lgkmcnt(0)
	v_cndmask_b32_e32 v25, 0, v26, vcc_lo
	v_add3_u32 v23, v25, v20, v23
.LBB232_81:                             ; =>This Loop Header: Depth=1
                                        ;     Child Loop BB232_84 Depth 2
                                        ;       Child Loop BB232_85 Depth 3
	v_and_b32_e32 v20, 0xff, v24
	s_delay_alu instid0(VALU_DEP_1) | instskip(SKIP_2) | instid1(VALU_DEP_1)
	v_cmp_ne_u16_e32 vcc_lo, 2, v20
	v_cndmask_b32_e64 v20, 0, 1, vcc_lo
	;;#ASMSTART
	;;#ASMEND
	v_cmp_ne_u32_e32 vcc_lo, 0, v20
	v_mov_b32_e32 v20, v23
	s_cmp_lg_u32 vcc_lo, exec_lo
	s_cbranch_scc1 .LBB232_88
; %bb.82:                               ;   in Loop: Header=BB232_81 Depth=1
	v_lshlrev_b64 v[23:24], 3, v[21:22]
	s_mov_b32 s19, exec_lo
	s_delay_alu instid0(VALU_DEP_1) | instskip(NEXT) | instid1(VALU_DEP_2)
	v_add_co_u32 v25, vcc_lo, s12, v23
	v_add_co_ci_u32_e32 v26, vcc_lo, s13, v24, vcc_lo
	global_load_b64 v[23:24], v[25:26], off glc
	s_waitcnt vmcnt(0)
	v_and_b32_e32 v50, 0xff, v24
	s_delay_alu instid0(VALU_DEP_1)
	v_cmpx_eq_u16_e32 0, v50
	s_cbranch_execz .LBB232_80
; %bb.83:                               ;   in Loop: Header=BB232_81 Depth=1
	s_mov_b32 s21, 1
	s_mov_b32 s20, 0
	.p2align	6
.LBB232_84:                             ;   Parent Loop BB232_81 Depth=1
                                        ; =>  This Loop Header: Depth=2
                                        ;       Child Loop BB232_85 Depth 3
	s_max_u32 s22, s21, 1
.LBB232_85:                             ;   Parent Loop BB232_81 Depth=1
                                        ;     Parent Loop BB232_84 Depth=2
                                        ; =>    This Inner Loop Header: Depth=3
	s_delay_alu instid0(SALU_CYCLE_1)
	s_add_i32 s22, s22, -1
	s_sleep 1
	s_cmp_eq_u32 s22, 0
	s_cbranch_scc0 .LBB232_85
; %bb.86:                               ;   in Loop: Header=BB232_84 Depth=2
	global_load_b64 v[23:24], v[25:26], off glc
	s_cmp_lt_u32 s21, 32
	s_cselect_b32 s22, -1, 0
	s_delay_alu instid0(SALU_CYCLE_1) | instskip(SKIP_3) | instid1(VALU_DEP_1)
	s_cmp_lg_u32 s22, 0
	s_addc_u32 s21, s21, 0
	s_waitcnt vmcnt(0)
	v_and_b32_e32 v50, 0xff, v24
	v_cmp_ne_u16_e32 vcc_lo, 0, v50
	s_or_b32 s20, vcc_lo, s20
	s_delay_alu instid0(SALU_CYCLE_1)
	s_and_not1_b32 exec_lo, exec_lo, s20
	s_cbranch_execnz .LBB232_84
; %bb.87:                               ;   in Loop: Header=BB232_81 Depth=1
	s_or_b32 exec_lo, exec_lo, s20
	s_branch .LBB232_80
.LBB232_88:                             ;   in Loop: Header=BB232_81 Depth=1
                                        ; implicit-def: $vgpr23
                                        ; implicit-def: $vgpr24
	s_cbranch_execz .LBB232_81
; %bb.89:
	s_and_saveexec_b32 s19, s8
	s_cbranch_execz .LBB232_91
; %bb.90:
	s_add_i32 s20, s15, 32
	s_mov_b32 s21, 0
	v_dual_mov_b32 v22, 2 :: v_dual_add_nc_u32 v21, v20, v19
	s_lshl_b64 s[20:21], s[20:21], 3
	v_mov_b32_e32 v23, 0
	s_add_u32 s20, s12, s20
	s_addc_u32 s21, s13, s21
	global_store_b64 v23, v[21:22], s[20:21]
	ds_store_b64 v23, v[19:20] offset:12672
.LBB232_91:
	s_or_b32 exec_lo, exec_lo, s19
	v_cmp_eq_u32_e32 vcc_lo, 0, v0
	s_and_b32 exec_lo, exec_lo, vcc_lo
	s_cbranch_execz .LBB232_93
; %bb.92:
	v_mov_b32_e32 v19, 0
	ds_store_b32 v19, v20 offset:44
.LBB232_93:
	s_or_b32 exec_lo, exec_lo, s9
	v_mov_b32_e32 v19, 0
	s_waitcnt lgkmcnt(0)
	s_waitcnt_vscnt null, 0x0
	s_barrier
	buffer_gl0_inv
	v_cndmask_b32_e64 v21, v29, v27, s8
	ds_load_b32 v20, v19 offset:44
	v_cmp_ne_u32_e32 vcc_lo, 0, v0
	s_waitcnt lgkmcnt(0)
	s_barrier
	buffer_gl0_inv
	v_cndmask_b32_e32 v21, 0, v21, vcc_lo
	s_delay_alu instid0(VALU_DEP_1) | instskip(SKIP_2) | instid1(VALU_DEP_1)
	v_add_nc_u32_e32 v37, v20, v21
	ds_load_b64 v[19:20], v19 offset:12672
	v_add_nc_u32_e32 v35, v37, v28
	v_add_nc_u32_e32 v33, v35, v30
	s_delay_alu instid0(VALU_DEP_1) | instskip(NEXT) | instid1(VALU_DEP_1)
	v_add_nc_u32_e32 v31, v33, v32
	v_add_nc_u32_e32 v29, v31, v34
	s_delay_alu instid0(VALU_DEP_1) | instskip(NEXT) | instid1(VALU_DEP_1)
	v_add_nc_u32_e32 v27, v29, v36
	v_add_nc_u32_e32 v25, v27, v38
	s_delay_alu instid0(VALU_DEP_1)
	v_add_nc_u32_e32 v23, v25, v40
	v_lshrrev_b64 v[21:22], 24, v[17:18]
	s_branch .LBB232_104
.LBB232_94:
                                        ; implicit-def: $vgpr23
                                        ; implicit-def: $vgpr25
                                        ; implicit-def: $vgpr27
                                        ; implicit-def: $vgpr29
                                        ; implicit-def: $vgpr31
                                        ; implicit-def: $vgpr33
                                        ; implicit-def: $vgpr35
                                        ; implicit-def: $vgpr37
                                        ; implicit-def: $vgpr20
	v_lshrrev_b64 v[21:22], 24, v[17:18]
	s_and_b32 vcc_lo, exec_lo, s8
	s_cbranch_vccz .LBB232_104
; %bb.95:
	s_waitcnt lgkmcnt(0)
	v_mov_b32_dpp v19, v43 row_shr:1 row_mask:0xf bank_mask:0xf
	s_delay_alu instid0(VALU_DEP_1) | instskip(NEXT) | instid1(VALU_DEP_1)
	v_cndmask_b32_e64 v19, v19, 0, s4
	v_add_nc_u32_e32 v19, v19, v43
	s_delay_alu instid0(VALU_DEP_1) | instskip(NEXT) | instid1(VALU_DEP_1)
	v_mov_b32_dpp v20, v19 row_shr:2 row_mask:0xf bank_mask:0xf
	v_cndmask_b32_e64 v20, 0, v20, s5
	s_delay_alu instid0(VALU_DEP_1) | instskip(NEXT) | instid1(VALU_DEP_1)
	v_add_nc_u32_e32 v19, v19, v20
	v_mov_b32_dpp v20, v19 row_shr:4 row_mask:0xf bank_mask:0xf
	s_delay_alu instid0(VALU_DEP_1) | instskip(NEXT) | instid1(VALU_DEP_1)
	v_cndmask_b32_e64 v20, 0, v20, s3
	v_add_nc_u32_e32 v19, v19, v20
	s_delay_alu instid0(VALU_DEP_1) | instskip(NEXT) | instid1(VALU_DEP_1)
	v_mov_b32_dpp v20, v19 row_shr:8 row_mask:0xf bank_mask:0xf
	v_cndmask_b32_e64 v20, 0, v20, s2
	s_delay_alu instid0(VALU_DEP_1) | instskip(SKIP_3) | instid1(VALU_DEP_1)
	v_add_nc_u32_e32 v19, v19, v20
	ds_swizzle_b32 v20, v19 offset:swizzle(BROADCAST,32,15)
	s_waitcnt lgkmcnt(0)
	v_cndmask_b32_e64 v20, v20, 0, s7
	v_add_nc_u32_e32 v19, v19, v20
	s_and_saveexec_b32 s7, s6
	s_cbranch_execz .LBB232_97
; %bb.96:
	v_lshlrev_b32_e32 v20, 2, v42
	ds_store_b32 v20, v19
.LBB232_97:
	s_or_b32 exec_lo, exec_lo, s7
	s_delay_alu instid0(SALU_CYCLE_1)
	s_mov_b32 s6, exec_lo
	s_waitcnt lgkmcnt(0)
	s_barrier
	buffer_gl0_inv
	v_cmpx_gt_u32_e32 12, v0
	s_cbranch_execz .LBB232_99
; %bb.98:
	v_lshlrev_b32_e32 v20, 2, v0
	ds_load_b32 v22, v20
	s_waitcnt lgkmcnt(0)
	v_mov_b32_dpp v23, v22 row_shr:1 row_mask:0xf bank_mask:0xf
	s_delay_alu instid0(VALU_DEP_1) | instskip(NEXT) | instid1(VALU_DEP_1)
	v_cndmask_b32_e64 v23, v23, 0, s4
	v_add_nc_u32_e32 v22, v23, v22
	s_delay_alu instid0(VALU_DEP_1) | instskip(NEXT) | instid1(VALU_DEP_1)
	v_mov_b32_dpp v23, v22 row_shr:2 row_mask:0xf bank_mask:0xf
	v_cndmask_b32_e64 v23, 0, v23, s5
	s_delay_alu instid0(VALU_DEP_1) | instskip(NEXT) | instid1(VALU_DEP_1)
	v_add_nc_u32_e32 v22, v22, v23
	v_mov_b32_dpp v23, v22 row_shr:4 row_mask:0xf bank_mask:0xf
	s_delay_alu instid0(VALU_DEP_1) | instskip(NEXT) | instid1(VALU_DEP_1)
	v_cndmask_b32_e64 v23, 0, v23, s3
	v_add_nc_u32_e32 v22, v22, v23
	s_delay_alu instid0(VALU_DEP_1) | instskip(NEXT) | instid1(VALU_DEP_1)
	v_mov_b32_dpp v23, v22 row_shr:8 row_mask:0xf bank_mask:0xf
	v_cndmask_b32_e64 v23, 0, v23, s2
	s_delay_alu instid0(VALU_DEP_1)
	v_add_nc_u32_e32 v22, v22, v23
	ds_store_b32 v20, v22
.LBB232_99:
	s_or_b32 exec_lo, exec_lo, s6
	v_mov_b32_e32 v20, 0
	v_mov_b32_e32 v22, 0
	s_mov_b32 s2, exec_lo
	s_waitcnt lgkmcnt(0)
	s_barrier
	buffer_gl0_inv
	v_cmpx_lt_u32_e32 31, v0
	s_cbranch_execz .LBB232_101
; %bb.100:
	v_lshl_add_u32 v22, v42, 2, -4
	ds_load_b32 v22, v22
.LBB232_101:
	s_or_b32 exec_lo, exec_lo, s2
	v_add_nc_u32_e32 v23, -1, v41
	s_waitcnt lgkmcnt(0)
	v_add_nc_u32_e32 v19, v22, v19
	s_delay_alu instid0(VALU_DEP_2) | instskip(SKIP_2) | instid1(VALU_DEP_2)
	v_cmp_gt_i32_e32 vcc_lo, 0, v23
	v_cndmask_b32_e32 v23, v23, v41, vcc_lo
	v_cmp_eq_u32_e32 vcc_lo, 0, v0
	v_lshlrev_b32_e32 v23, 2, v23
	ds_bpermute_b32 v23, v23, v19
	ds_load_b32 v19, v20 offset:44
	s_and_saveexec_b32 s2, vcc_lo
	s_cbranch_execz .LBB232_103
; %bb.102:
	v_mov_b32_e32 v24, 0
	v_mov_b32_e32 v20, 2
	s_waitcnt lgkmcnt(0)
	global_store_b64 v24, v[19:20], s[12:13] offset:256
.LBB232_103:
	s_or_b32 exec_lo, exec_lo, s2
	v_cmp_eq_u32_e64 s2, 0, v41
	s_waitcnt lgkmcnt(0)
	s_waitcnt_vscnt null, 0x0
	s_barrier
	buffer_gl0_inv
	v_cndmask_b32_e64 v20, v23, v22, s2
	s_delay_alu instid0(VALU_DEP_1) | instskip(NEXT) | instid1(VALU_DEP_1)
	v_cndmask_b32_e64 v37, v20, 0, vcc_lo
	v_dual_mov_b32 v20, 0 :: v_dual_add_nc_u32 v35, v37, v28
	s_delay_alu instid0(VALU_DEP_1) | instskip(NEXT) | instid1(VALU_DEP_1)
	v_add_nc_u32_e32 v33, v35, v30
	v_add_nc_u32_e32 v31, v33, v32
	s_delay_alu instid0(VALU_DEP_1) | instskip(NEXT) | instid1(VALU_DEP_1)
	v_add_nc_u32_e32 v29, v31, v34
	v_add_nc_u32_e32 v27, v29, v36
	;; [unrolled: 3-line block ×3, first 2 shown]
.LBB232_104:
	s_load_b128 s[4:7], s[0:1], 0x28
	s_waitcnt lgkmcnt(0)
	v_add_nc_u32_e32 v43, v20, v19
	v_cmp_gt_u32_e64 s0, 0x181, v19
	v_lshrrev_b32_e32 v42, 8, v17
	v_lshrrev_b32_e32 v41, 16, v17
	;; [unrolled: 1-line block ×4, first 2 shown]
	v_cmp_lt_u32_e64 s1, v37, v43
	s_and_b32 vcc_lo, exec_lo, s0
	s_mov_b32 s2, -1
	s_cbranch_vccz .LBB232_130
; %bb.105:
	s_lshl_b64 s[2:3], s[10:11], 2
	s_delay_alu instid0(SALU_CYCLE_1) | instskip(SKIP_2) | instid1(SALU_CYCLE_1)
	s_add_u32 s2, s4, s2
	s_addc_u32 s3, s5, s3
	s_or_b32 s8, s18, s1
	s_and_saveexec_b32 s1, s8
	s_cbranch_execz .LBB232_108
; %bb.106:
	v_and_b32_e32 v24, 1, v17
	s_delay_alu instid0(VALU_DEP_1)
	v_cmp_eq_u32_e32 vcc_lo, 1, v24
	s_and_b32 exec_lo, exec_lo, vcc_lo
	s_cbranch_execz .LBB232_108
; %bb.107:
	v_mov_b32_e32 v38, 0
	s_delay_alu instid0(VALU_DEP_1) | instskip(NEXT) | instid1(VALU_DEP_1)
	v_lshlrev_b64 v[44:45], 2, v[37:38]
	v_add_co_u32 v44, vcc_lo, s2, v44
	s_delay_alu instid0(VALU_DEP_2)
	v_add_co_ci_u32_e32 v45, vcc_lo, s3, v45, vcc_lo
	global_store_b32 v[44:45], v15, off
.LBB232_108:
	s_or_b32 exec_lo, exec_lo, s1
	v_cmp_lt_u32_e32 vcc_lo, v35, v43
	s_or_b32 s8, s18, vcc_lo
	s_delay_alu instid0(SALU_CYCLE_1)
	s_and_saveexec_b32 s1, s8
	s_cbranch_execz .LBB232_111
; %bb.109:
	v_and_b32_e32 v24, 1, v42
	s_delay_alu instid0(VALU_DEP_1)
	v_cmp_eq_u32_e32 vcc_lo, 1, v24
	s_and_b32 exec_lo, exec_lo, vcc_lo
	s_cbranch_execz .LBB232_111
; %bb.110:
	v_mov_b32_e32 v36, 0
	s_delay_alu instid0(VALU_DEP_1) | instskip(NEXT) | instid1(VALU_DEP_1)
	v_lshlrev_b64 v[44:45], 2, v[35:36]
	v_add_co_u32 v44, vcc_lo, s2, v44
	s_delay_alu instid0(VALU_DEP_2)
	v_add_co_ci_u32_e32 v45, vcc_lo, s3, v45, vcc_lo
	global_store_b32 v[44:45], v16, off
.LBB232_111:
	s_or_b32 exec_lo, exec_lo, s1
	v_cmp_lt_u32_e32 vcc_lo, v33, v43
	s_or_b32 s8, s18, vcc_lo
	s_delay_alu instid0(SALU_CYCLE_1)
	s_and_saveexec_b32 s1, s8
	s_cbranch_execz .LBB232_114
; %bb.112:
	v_and_b32_e32 v24, 1, v41
	s_delay_alu instid0(VALU_DEP_1)
	v_cmp_eq_u32_e32 vcc_lo, 1, v24
	s_and_b32 exec_lo, exec_lo, vcc_lo
	s_cbranch_execz .LBB232_114
; %bb.113:
	v_mov_b32_e32 v34, 0
	s_delay_alu instid0(VALU_DEP_1) | instskip(NEXT) | instid1(VALU_DEP_1)
	v_lshlrev_b64 v[44:45], 2, v[33:34]
	v_add_co_u32 v44, vcc_lo, s2, v44
	s_delay_alu instid0(VALU_DEP_2)
	v_add_co_ci_u32_e32 v45, vcc_lo, s3, v45, vcc_lo
	global_store_b32 v[44:45], v13, off
.LBB232_114:
	s_or_b32 exec_lo, exec_lo, s1
	v_cmp_lt_u32_e32 vcc_lo, v31, v43
	s_or_b32 s8, s18, vcc_lo
	s_delay_alu instid0(SALU_CYCLE_1)
	s_and_saveexec_b32 s1, s8
	s_cbranch_execz .LBB232_117
; %bb.115:
	v_and_b32_e32 v24, 1, v21
	s_delay_alu instid0(VALU_DEP_1)
	v_cmp_eq_u32_e32 vcc_lo, 1, v24
	s_and_b32 exec_lo, exec_lo, vcc_lo
	s_cbranch_execz .LBB232_117
; %bb.116:
	v_mov_b32_e32 v32, 0
	s_delay_alu instid0(VALU_DEP_1) | instskip(NEXT) | instid1(VALU_DEP_1)
	v_lshlrev_b64 v[44:45], 2, v[31:32]
	v_add_co_u32 v44, vcc_lo, s2, v44
	s_delay_alu instid0(VALU_DEP_2)
	v_add_co_ci_u32_e32 v45, vcc_lo, s3, v45, vcc_lo
	global_store_b32 v[44:45], v14, off
.LBB232_117:
	s_or_b32 exec_lo, exec_lo, s1
	v_cmp_lt_u32_e32 vcc_lo, v29, v43
	s_or_b32 s8, s18, vcc_lo
	s_delay_alu instid0(SALU_CYCLE_1)
	s_and_saveexec_b32 s1, s8
	s_cbranch_execz .LBB232_120
; %bb.118:
	v_and_b32_e32 v24, 1, v18
	s_delay_alu instid0(VALU_DEP_1)
	v_cmp_eq_u32_e32 vcc_lo, 1, v24
	s_and_b32 exec_lo, exec_lo, vcc_lo
	s_cbranch_execz .LBB232_120
; %bb.119:
	v_mov_b32_e32 v30, 0
	s_delay_alu instid0(VALU_DEP_1) | instskip(NEXT) | instid1(VALU_DEP_1)
	v_lshlrev_b64 v[44:45], 2, v[29:30]
	v_add_co_u32 v44, vcc_lo, s2, v44
	s_delay_alu instid0(VALU_DEP_2)
	v_add_co_ci_u32_e32 v45, vcc_lo, s3, v45, vcc_lo
	global_store_b32 v[44:45], v11, off
.LBB232_120:
	s_or_b32 exec_lo, exec_lo, s1
	v_cmp_lt_u32_e32 vcc_lo, v27, v43
	s_or_b32 s8, s18, vcc_lo
	s_delay_alu instid0(SALU_CYCLE_1)
	s_and_saveexec_b32 s1, s8
	s_cbranch_execz .LBB232_123
; %bb.121:
	v_and_b32_e32 v24, 1, v40
	s_delay_alu instid0(VALU_DEP_1)
	v_cmp_eq_u32_e32 vcc_lo, 1, v24
	s_and_b32 exec_lo, exec_lo, vcc_lo
	s_cbranch_execz .LBB232_123
; %bb.122:
	v_mov_b32_e32 v28, 0
	s_delay_alu instid0(VALU_DEP_1) | instskip(NEXT) | instid1(VALU_DEP_1)
	v_lshlrev_b64 v[44:45], 2, v[27:28]
	v_add_co_u32 v44, vcc_lo, s2, v44
	s_delay_alu instid0(VALU_DEP_2)
	v_add_co_ci_u32_e32 v45, vcc_lo, s3, v45, vcc_lo
	global_store_b32 v[44:45], v12, off
.LBB232_123:
	s_or_b32 exec_lo, exec_lo, s1
	v_cmp_lt_u32_e32 vcc_lo, v25, v43
	s_or_b32 s8, s18, vcc_lo
	s_delay_alu instid0(SALU_CYCLE_1)
	s_and_saveexec_b32 s1, s8
	s_cbranch_execz .LBB232_126
; %bb.124:
	v_and_b32_e32 v24, 1, v22
	s_delay_alu instid0(VALU_DEP_1)
	v_cmp_eq_u32_e32 vcc_lo, 1, v24
	s_and_b32 exec_lo, exec_lo, vcc_lo
	s_cbranch_execz .LBB232_126
; %bb.125:
	v_mov_b32_e32 v26, 0
	s_delay_alu instid0(VALU_DEP_1) | instskip(NEXT) | instid1(VALU_DEP_1)
	v_lshlrev_b64 v[44:45], 2, v[25:26]
	v_add_co_u32 v44, vcc_lo, s2, v44
	s_delay_alu instid0(VALU_DEP_2)
	v_add_co_ci_u32_e32 v45, vcc_lo, s3, v45, vcc_lo
	global_store_b32 v[44:45], v9, off
.LBB232_126:
	s_or_b32 exec_lo, exec_lo, s1
	v_cmp_lt_u32_e32 vcc_lo, v23, v43
	s_or_b32 s8, s18, vcc_lo
	s_delay_alu instid0(SALU_CYCLE_1)
	s_and_saveexec_b32 s1, s8
	s_cbranch_execz .LBB232_129
; %bb.127:
	v_and_b32_e32 v24, 1, v39
	s_delay_alu instid0(VALU_DEP_1)
	v_cmp_eq_u32_e32 vcc_lo, 1, v24
	s_and_b32 exec_lo, exec_lo, vcc_lo
	s_cbranch_execz .LBB232_129
; %bb.128:
	v_mov_b32_e32 v24, 0
	s_delay_alu instid0(VALU_DEP_1) | instskip(NEXT) | instid1(VALU_DEP_1)
	v_lshlrev_b64 v[44:45], 2, v[23:24]
	v_add_co_u32 v44, vcc_lo, s2, v44
	s_delay_alu instid0(VALU_DEP_2)
	v_add_co_ci_u32_e32 v45, vcc_lo, s3, v45, vcc_lo
	global_store_b32 v[44:45], v10, off
.LBB232_129:
	s_or_b32 exec_lo, exec_lo, s1
	s_mov_b32 s2, 0
.LBB232_130:
	v_and_b32_e32 v17, 1, v17
	s_and_b32 vcc_lo, exec_lo, s2
	s_delay_alu instid0(VALU_DEP_1)
	v_cmp_eq_u32_e64 s1, 1, v17
	s_cbranch_vccz .LBB232_151
; %bb.131:
	s_delay_alu instid0(VALU_DEP_1)
	s_and_saveexec_b32 s2, s1
	s_cbranch_execz .LBB232_133
; %bb.132:
	v_sub_nc_u32_e32 v24, v37, v20
	s_delay_alu instid0(VALU_DEP_1)
	v_lshlrev_b32_e32 v24, 2, v24
	ds_store_b32 v24, v15
.LBB232_133:
	s_or_b32 exec_lo, exec_lo, s2
	v_and_b32_e32 v15, 1, v42
	s_mov_b32 s1, exec_lo
	s_delay_alu instid0(VALU_DEP_1)
	v_cmpx_eq_u32_e32 1, v15
	s_cbranch_execz .LBB232_135
; %bb.134:
	v_sub_nc_u32_e32 v15, v35, v20
	s_delay_alu instid0(VALU_DEP_1)
	v_lshlrev_b32_e32 v15, 2, v15
	ds_store_b32 v15, v16
.LBB232_135:
	s_or_b32 exec_lo, exec_lo, s1
	v_and_b32_e32 v15, 1, v41
	s_mov_b32 s1, exec_lo
	s_delay_alu instid0(VALU_DEP_1)
	v_cmpx_eq_u32_e32 1, v15
	;; [unrolled: 12-line block ×7, first 2 shown]
	s_cbranch_execz .LBB232_147
; %bb.146:
	v_sub_nc_u32_e32 v9, v23, v20
	s_delay_alu instid0(VALU_DEP_1)
	v_lshlrev_b32_e32 v9, 2, v9
	ds_store_b32 v9, v10
.LBB232_147:
	s_or_b32 exec_lo, exec_lo, s1
	s_delay_alu instid0(SALU_CYCLE_1)
	s_mov_b32 s2, exec_lo
	s_waitcnt lgkmcnt(0)
	s_waitcnt_vscnt null, 0x0
	s_barrier
	buffer_gl0_inv
	v_cmpx_lt_u32_e64 v0, v19
	s_cbranch_execz .LBB232_150
; %bb.148:
	v_dual_mov_b32 v10, 0 :: v_dual_mov_b32 v9, v20
	s_lshl_b64 s[8:9], s[10:11], 2
	v_lshlrev_b32_e32 v11, 2, v0
	s_add_u32 s1, s4, s8
	s_addc_u32 s3, s5, s9
	v_lshlrev_b64 v[12:13], 2, v[9:10]
	v_mov_b32_e32 v9, v0
	s_delay_alu instid0(VALU_DEP_2) | instskip(NEXT) | instid1(VALU_DEP_3)
	v_add_co_u32 v12, vcc_lo, s1, v12
	v_add_co_ci_u32_e32 v13, vcc_lo, s3, v13, vcc_lo
	s_mov_b32 s3, 0
	.p2align	6
.LBB232_149:                            ; =>This Inner Loop Header: Depth=1
	ds_load_b32 v16, v11
	v_lshlrev_b64 v[14:15], 2, v[9:10]
	v_add_nc_u32_e32 v9, 0x180, v9
	v_add_nc_u32_e32 v11, 0x600, v11
	s_delay_alu instid0(VALU_DEP_2) | instskip(NEXT) | instid1(VALU_DEP_4)
	v_cmp_ge_u32_e32 vcc_lo, v9, v19
	v_add_co_u32 v14, s1, v12, v14
	s_delay_alu instid0(VALU_DEP_1)
	v_add_co_ci_u32_e64 v15, s1, v13, v15, s1
	s_or_b32 s3, vcc_lo, s3
	s_waitcnt lgkmcnt(0)
	global_store_b32 v[14:15], v16, off
	s_and_not1_b32 exec_lo, exec_lo, s3
	s_cbranch_execnz .LBB232_149
.LBB232_150:
	s_or_b32 exec_lo, exec_lo, s2
.LBB232_151:
	s_delay_alu instid0(SALU_CYCLE_1)
	s_and_b32 vcc_lo, exec_lo, s0
	s_mov_b32 s0, -1
	s_waitcnt_vscnt null, 0x0
	s_barrier
	buffer_gl0_inv
	s_cbranch_vccz .LBB232_179
; %bb.152:
	v_cmp_lt_u32_e32 vcc_lo, v37, v43
	s_lshl_b64 s[0:1], s[10:11], 2
	s_delay_alu instid0(SALU_CYCLE_1) | instskip(SKIP_2) | instid1(SALU_CYCLE_1)
	s_add_u32 s0, s6, s0
	s_addc_u32 s1, s7, s1
	s_or_b32 s3, s18, vcc_lo
	s_and_saveexec_b32 s2, s3
	s_cbranch_execz .LBB232_155
; %bb.153:
	v_cmp_eq_u32_e32 vcc_lo, 1, v17
	s_and_b32 exec_lo, exec_lo, vcc_lo
	s_cbranch_execz .LBB232_155
; %bb.154:
	v_mov_b32_e32 v38, 0
	s_delay_alu instid0(VALU_DEP_1) | instskip(NEXT) | instid1(VALU_DEP_1)
	v_lshlrev_b64 v[9:10], 2, v[37:38]
	v_add_co_u32 v9, vcc_lo, s0, v9
	s_delay_alu instid0(VALU_DEP_2)
	v_add_co_ci_u32_e32 v10, vcc_lo, s1, v10, vcc_lo
	global_store_b32 v[9:10], v7, off
.LBB232_155:
	s_or_b32 exec_lo, exec_lo, s2
	v_cmp_lt_u32_e32 vcc_lo, v35, v43
	s_or_b32 s3, s18, vcc_lo
	s_delay_alu instid0(SALU_CYCLE_1)
	s_and_saveexec_b32 s2, s3
	s_cbranch_execz .LBB232_158
; %bb.156:
	v_and_b32_e32 v9, 1, v42
	s_delay_alu instid0(VALU_DEP_1)
	v_cmp_eq_u32_e32 vcc_lo, 1, v9
	s_and_b32 exec_lo, exec_lo, vcc_lo
	s_cbranch_execz .LBB232_158
; %bb.157:
	v_mov_b32_e32 v36, 0
	s_delay_alu instid0(VALU_DEP_1) | instskip(NEXT) | instid1(VALU_DEP_1)
	v_lshlrev_b64 v[9:10], 2, v[35:36]
	v_add_co_u32 v9, vcc_lo, s0, v9
	s_delay_alu instid0(VALU_DEP_2)
	v_add_co_ci_u32_e32 v10, vcc_lo, s1, v10, vcc_lo
	global_store_b32 v[9:10], v8, off
.LBB232_158:
	s_or_b32 exec_lo, exec_lo, s2
	v_cmp_lt_u32_e32 vcc_lo, v33, v43
	s_or_b32 s3, s18, vcc_lo
	s_delay_alu instid0(SALU_CYCLE_1)
	s_and_saveexec_b32 s2, s3
	s_cbranch_execz .LBB232_161
; %bb.159:
	v_and_b32_e32 v9, 1, v41
	s_delay_alu instid0(VALU_DEP_1)
	v_cmp_eq_u32_e32 vcc_lo, 1, v9
	s_and_b32 exec_lo, exec_lo, vcc_lo
	s_cbranch_execz .LBB232_161
; %bb.160:
	v_mov_b32_e32 v34, 0
	s_delay_alu instid0(VALU_DEP_1) | instskip(NEXT) | instid1(VALU_DEP_1)
	v_lshlrev_b64 v[9:10], 2, v[33:34]
	v_add_co_u32 v9, vcc_lo, s0, v9
	s_delay_alu instid0(VALU_DEP_2)
	v_add_co_ci_u32_e32 v10, vcc_lo, s1, v10, vcc_lo
	global_store_b32 v[9:10], v5, off
.LBB232_161:
	;; [unrolled: 21-line block ×7, first 2 shown]
	s_or_b32 exec_lo, exec_lo, s2
.LBB232_177:
	v_cmp_eq_u32_e32 vcc_lo, 0, v0
	s_and_b32 s0, vcc_lo, s14
	s_delay_alu instid0(SALU_CYCLE_1)
	s_and_saveexec_b32 s1, s0
	s_cbranch_execz .LBB232_200
.LBB232_178:
	v_add_co_u32 v0, s0, s10, v19
	s_delay_alu instid0(VALU_DEP_1) | instskip(SKIP_1) | instid1(VALU_DEP_3)
	v_add_co_ci_u32_e64 v1, null, s11, 0, s0
	v_mov_b32_e32 v2, 0
	v_add_co_u32 v0, vcc_lo, v0, v20
	s_delay_alu instid0(VALU_DEP_3)
	v_add_co_ci_u32_e32 v1, vcc_lo, 0, v1, vcc_lo
	global_store_b64 v2, v[0:1], s[16:17]
	s_nop 0
	s_sendmsg sendmsg(MSG_DEALLOC_VGPRS)
	s_endpgm
.LBB232_179:
	s_and_b32 vcc_lo, exec_lo, s0
	s_cbranch_vccz .LBB232_177
; %bb.180:
	s_mov_b32 s0, exec_lo
	v_cmpx_eq_u32_e32 1, v17
	s_cbranch_execz .LBB232_182
; %bb.181:
	v_sub_nc_u32_e32 v9, v37, v20
	s_delay_alu instid0(VALU_DEP_1)
	v_lshlrev_b32_e32 v9, 2, v9
	ds_store_b32 v9, v7
.LBB232_182:
	s_or_b32 exec_lo, exec_lo, s0
	v_and_b32_e32 v7, 1, v42
	s_mov_b32 s0, exec_lo
	s_delay_alu instid0(VALU_DEP_1)
	v_cmpx_eq_u32_e32 1, v7
	s_cbranch_execz .LBB232_184
; %bb.183:
	v_sub_nc_u32_e32 v7, v35, v20
	s_delay_alu instid0(VALU_DEP_1)
	v_lshlrev_b32_e32 v7, 2, v7
	ds_store_b32 v7, v8
.LBB232_184:
	s_or_b32 exec_lo, exec_lo, s0
	v_and_b32_e32 v7, 1, v41
	s_mov_b32 s0, exec_lo
	s_delay_alu instid0(VALU_DEP_1)
	;; [unrolled: 12-line block ×7, first 2 shown]
	v_cmpx_eq_u32_e32 1, v1
	s_cbranch_execz .LBB232_196
; %bb.195:
	v_sub_nc_u32_e32 v1, v23, v20
	s_delay_alu instid0(VALU_DEP_1)
	v_lshlrev_b32_e32 v1, 2, v1
	ds_store_b32 v1, v2
.LBB232_196:
	s_or_b32 exec_lo, exec_lo, s0
	s_delay_alu instid0(SALU_CYCLE_1)
	s_mov_b32 s1, exec_lo
	s_waitcnt lgkmcnt(0)
	s_waitcnt_vscnt null, 0x0
	s_barrier
	buffer_gl0_inv
	v_cmpx_lt_u32_e64 v0, v19
	s_cbranch_execz .LBB232_199
; %bb.197:
	v_dual_mov_b32 v2, 0 :: v_dual_mov_b32 v1, v20
	s_lshl_b64 s[2:3], s[10:11], 2
	v_lshlrev_b32_e32 v3, 2, v0
	s_add_u32 s0, s6, s2
	s_addc_u32 s2, s7, s3
	v_lshlrev_b64 v[4:5], 2, v[1:2]
	v_mov_b32_e32 v1, v0
	s_delay_alu instid0(VALU_DEP_2) | instskip(NEXT) | instid1(VALU_DEP_3)
	v_add_co_u32 v4, vcc_lo, s0, v4
	v_add_co_ci_u32_e32 v5, vcc_lo, s2, v5, vcc_lo
	s_mov_b32 s2, 0
	.p2align	6
.LBB232_198:                            ; =>This Inner Loop Header: Depth=1
	ds_load_b32 v8, v3
	v_lshlrev_b64 v[6:7], 2, v[1:2]
	v_add_nc_u32_e32 v1, 0x180, v1
	v_add_nc_u32_e32 v3, 0x600, v3
	s_delay_alu instid0(VALU_DEP_2) | instskip(NEXT) | instid1(VALU_DEP_4)
	v_cmp_ge_u32_e32 vcc_lo, v1, v19
	v_add_co_u32 v6, s0, v4, v6
	s_delay_alu instid0(VALU_DEP_1)
	v_add_co_ci_u32_e64 v7, s0, v5, v7, s0
	s_or_b32 s2, vcc_lo, s2
	s_waitcnt lgkmcnt(0)
	global_store_b32 v[6:7], v8, off
	s_and_not1_b32 exec_lo, exec_lo, s2
	s_cbranch_execnz .LBB232_198
.LBB232_199:
	s_or_b32 exec_lo, exec_lo, s1
	v_cmp_eq_u32_e32 vcc_lo, 0, v0
	s_and_b32 s0, vcc_lo, s14
	s_delay_alu instid0(SALU_CYCLE_1)
	s_and_saveexec_b32 s1, s0
	s_cbranch_execnz .LBB232_178
.LBB232_200:
	s_nop 0
	s_sendmsg sendmsg(MSG_DEALLOC_VGPRS)
	s_endpgm
	.section	.rodata,"a",@progbits
	.p2align	6, 0x0
	.amdhsa_kernel _ZN7rocprim17ROCPRIM_400000_NS6detail17trampoline_kernelINS0_14default_configENS1_25partition_config_selectorILNS1_17partition_subalgoE9EjjbEEZZNS1_14partition_implILS5_9ELb0ES3_jN6thrust23THRUST_200600_302600_NS6detail15normal_iteratorINS9_10device_ptrIjEEEESE_PNS0_10empty_typeENS0_5tupleIJSE_SF_EEENSH_IJSE_SG_EEENS0_18inequality_wrapperINS9_8equal_toIjEEEEPmJSF_EEE10hipError_tPvRmT3_T4_T5_T6_T7_T9_mT8_P12ihipStream_tbDpT10_ENKUlT_T0_E_clISt17integral_constantIbLb1EES17_IbLb0EEEEDaS13_S14_EUlS13_E_NS1_11comp_targetILNS1_3genE9ELNS1_11target_archE1100ELNS1_3gpuE3ELNS1_3repE0EEENS1_30default_config_static_selectorELNS0_4arch9wavefront6targetE0EEEvT1_
		.amdhsa_group_segment_fixed_size 12680
		.amdhsa_private_segment_fixed_size 0
		.amdhsa_kernarg_size 112
		.amdhsa_user_sgpr_count 15
		.amdhsa_user_sgpr_dispatch_ptr 0
		.amdhsa_user_sgpr_queue_ptr 0
		.amdhsa_user_sgpr_kernarg_segment_ptr 1
		.amdhsa_user_sgpr_dispatch_id 0
		.amdhsa_user_sgpr_private_segment_size 0
		.amdhsa_wavefront_size32 1
		.amdhsa_uses_dynamic_stack 0
		.amdhsa_enable_private_segment 0
		.amdhsa_system_sgpr_workgroup_id_x 1
		.amdhsa_system_sgpr_workgroup_id_y 0
		.amdhsa_system_sgpr_workgroup_id_z 0
		.amdhsa_system_sgpr_workgroup_info 0
		.amdhsa_system_vgpr_workitem_id 0
		.amdhsa_next_free_vgpr 51
		.amdhsa_next_free_sgpr 25
		.amdhsa_reserve_vcc 1
		.amdhsa_float_round_mode_32 0
		.amdhsa_float_round_mode_16_64 0
		.amdhsa_float_denorm_mode_32 3
		.amdhsa_float_denorm_mode_16_64 3
		.amdhsa_dx10_clamp 1
		.amdhsa_ieee_mode 1
		.amdhsa_fp16_overflow 0
		.amdhsa_workgroup_processor_mode 1
		.amdhsa_memory_ordered 1
		.amdhsa_forward_progress 0
		.amdhsa_shared_vgpr_count 0
		.amdhsa_exception_fp_ieee_invalid_op 0
		.amdhsa_exception_fp_denorm_src 0
		.amdhsa_exception_fp_ieee_div_zero 0
		.amdhsa_exception_fp_ieee_overflow 0
		.amdhsa_exception_fp_ieee_underflow 0
		.amdhsa_exception_fp_ieee_inexact 0
		.amdhsa_exception_int_div_zero 0
	.end_amdhsa_kernel
	.section	.text._ZN7rocprim17ROCPRIM_400000_NS6detail17trampoline_kernelINS0_14default_configENS1_25partition_config_selectorILNS1_17partition_subalgoE9EjjbEEZZNS1_14partition_implILS5_9ELb0ES3_jN6thrust23THRUST_200600_302600_NS6detail15normal_iteratorINS9_10device_ptrIjEEEESE_PNS0_10empty_typeENS0_5tupleIJSE_SF_EEENSH_IJSE_SG_EEENS0_18inequality_wrapperINS9_8equal_toIjEEEEPmJSF_EEE10hipError_tPvRmT3_T4_T5_T6_T7_T9_mT8_P12ihipStream_tbDpT10_ENKUlT_T0_E_clISt17integral_constantIbLb1EES17_IbLb0EEEEDaS13_S14_EUlS13_E_NS1_11comp_targetILNS1_3genE9ELNS1_11target_archE1100ELNS1_3gpuE3ELNS1_3repE0EEENS1_30default_config_static_selectorELNS0_4arch9wavefront6targetE0EEEvT1_,"axG",@progbits,_ZN7rocprim17ROCPRIM_400000_NS6detail17trampoline_kernelINS0_14default_configENS1_25partition_config_selectorILNS1_17partition_subalgoE9EjjbEEZZNS1_14partition_implILS5_9ELb0ES3_jN6thrust23THRUST_200600_302600_NS6detail15normal_iteratorINS9_10device_ptrIjEEEESE_PNS0_10empty_typeENS0_5tupleIJSE_SF_EEENSH_IJSE_SG_EEENS0_18inequality_wrapperINS9_8equal_toIjEEEEPmJSF_EEE10hipError_tPvRmT3_T4_T5_T6_T7_T9_mT8_P12ihipStream_tbDpT10_ENKUlT_T0_E_clISt17integral_constantIbLb1EES17_IbLb0EEEEDaS13_S14_EUlS13_E_NS1_11comp_targetILNS1_3genE9ELNS1_11target_archE1100ELNS1_3gpuE3ELNS1_3repE0EEENS1_30default_config_static_selectorELNS0_4arch9wavefront6targetE0EEEvT1_,comdat
.Lfunc_end232:
	.size	_ZN7rocprim17ROCPRIM_400000_NS6detail17trampoline_kernelINS0_14default_configENS1_25partition_config_selectorILNS1_17partition_subalgoE9EjjbEEZZNS1_14partition_implILS5_9ELb0ES3_jN6thrust23THRUST_200600_302600_NS6detail15normal_iteratorINS9_10device_ptrIjEEEESE_PNS0_10empty_typeENS0_5tupleIJSE_SF_EEENSH_IJSE_SG_EEENS0_18inequality_wrapperINS9_8equal_toIjEEEEPmJSF_EEE10hipError_tPvRmT3_T4_T5_T6_T7_T9_mT8_P12ihipStream_tbDpT10_ENKUlT_T0_E_clISt17integral_constantIbLb1EES17_IbLb0EEEEDaS13_S14_EUlS13_E_NS1_11comp_targetILNS1_3genE9ELNS1_11target_archE1100ELNS1_3gpuE3ELNS1_3repE0EEENS1_30default_config_static_selectorELNS0_4arch9wavefront6targetE0EEEvT1_, .Lfunc_end232-_ZN7rocprim17ROCPRIM_400000_NS6detail17trampoline_kernelINS0_14default_configENS1_25partition_config_selectorILNS1_17partition_subalgoE9EjjbEEZZNS1_14partition_implILS5_9ELb0ES3_jN6thrust23THRUST_200600_302600_NS6detail15normal_iteratorINS9_10device_ptrIjEEEESE_PNS0_10empty_typeENS0_5tupleIJSE_SF_EEENSH_IJSE_SG_EEENS0_18inequality_wrapperINS9_8equal_toIjEEEEPmJSF_EEE10hipError_tPvRmT3_T4_T5_T6_T7_T9_mT8_P12ihipStream_tbDpT10_ENKUlT_T0_E_clISt17integral_constantIbLb1EES17_IbLb0EEEEDaS13_S14_EUlS13_E_NS1_11comp_targetILNS1_3genE9ELNS1_11target_archE1100ELNS1_3gpuE3ELNS1_3repE0EEENS1_30default_config_static_selectorELNS0_4arch9wavefront6targetE0EEEvT1_
                                        ; -- End function
	.section	.AMDGPU.csdata,"",@progbits
; Kernel info:
; codeLenInByte = 9320
; NumSgprs: 27
; NumVgprs: 51
; ScratchSize: 0
; MemoryBound: 0
; FloatMode: 240
; IeeeMode: 1
; LDSByteSize: 12680 bytes/workgroup (compile time only)
; SGPRBlocks: 3
; VGPRBlocks: 6
; NumSGPRsForWavesPerEU: 27
; NumVGPRsForWavesPerEU: 51
; Occupancy: 15
; WaveLimiterHint : 1
; COMPUTE_PGM_RSRC2:SCRATCH_EN: 0
; COMPUTE_PGM_RSRC2:USER_SGPR: 15
; COMPUTE_PGM_RSRC2:TRAP_HANDLER: 0
; COMPUTE_PGM_RSRC2:TGID_X_EN: 1
; COMPUTE_PGM_RSRC2:TGID_Y_EN: 0
; COMPUTE_PGM_RSRC2:TGID_Z_EN: 0
; COMPUTE_PGM_RSRC2:TIDIG_COMP_CNT: 0
	.section	.text._ZN7rocprim17ROCPRIM_400000_NS6detail17trampoline_kernelINS0_14default_configENS1_25partition_config_selectorILNS1_17partition_subalgoE9EjjbEEZZNS1_14partition_implILS5_9ELb0ES3_jN6thrust23THRUST_200600_302600_NS6detail15normal_iteratorINS9_10device_ptrIjEEEESE_PNS0_10empty_typeENS0_5tupleIJSE_SF_EEENSH_IJSE_SG_EEENS0_18inequality_wrapperINS9_8equal_toIjEEEEPmJSF_EEE10hipError_tPvRmT3_T4_T5_T6_T7_T9_mT8_P12ihipStream_tbDpT10_ENKUlT_T0_E_clISt17integral_constantIbLb1EES17_IbLb0EEEEDaS13_S14_EUlS13_E_NS1_11comp_targetILNS1_3genE8ELNS1_11target_archE1030ELNS1_3gpuE2ELNS1_3repE0EEENS1_30default_config_static_selectorELNS0_4arch9wavefront6targetE0EEEvT1_,"axG",@progbits,_ZN7rocprim17ROCPRIM_400000_NS6detail17trampoline_kernelINS0_14default_configENS1_25partition_config_selectorILNS1_17partition_subalgoE9EjjbEEZZNS1_14partition_implILS5_9ELb0ES3_jN6thrust23THRUST_200600_302600_NS6detail15normal_iteratorINS9_10device_ptrIjEEEESE_PNS0_10empty_typeENS0_5tupleIJSE_SF_EEENSH_IJSE_SG_EEENS0_18inequality_wrapperINS9_8equal_toIjEEEEPmJSF_EEE10hipError_tPvRmT3_T4_T5_T6_T7_T9_mT8_P12ihipStream_tbDpT10_ENKUlT_T0_E_clISt17integral_constantIbLb1EES17_IbLb0EEEEDaS13_S14_EUlS13_E_NS1_11comp_targetILNS1_3genE8ELNS1_11target_archE1030ELNS1_3gpuE2ELNS1_3repE0EEENS1_30default_config_static_selectorELNS0_4arch9wavefront6targetE0EEEvT1_,comdat
	.protected	_ZN7rocprim17ROCPRIM_400000_NS6detail17trampoline_kernelINS0_14default_configENS1_25partition_config_selectorILNS1_17partition_subalgoE9EjjbEEZZNS1_14partition_implILS5_9ELb0ES3_jN6thrust23THRUST_200600_302600_NS6detail15normal_iteratorINS9_10device_ptrIjEEEESE_PNS0_10empty_typeENS0_5tupleIJSE_SF_EEENSH_IJSE_SG_EEENS0_18inequality_wrapperINS9_8equal_toIjEEEEPmJSF_EEE10hipError_tPvRmT3_T4_T5_T6_T7_T9_mT8_P12ihipStream_tbDpT10_ENKUlT_T0_E_clISt17integral_constantIbLb1EES17_IbLb0EEEEDaS13_S14_EUlS13_E_NS1_11comp_targetILNS1_3genE8ELNS1_11target_archE1030ELNS1_3gpuE2ELNS1_3repE0EEENS1_30default_config_static_selectorELNS0_4arch9wavefront6targetE0EEEvT1_ ; -- Begin function _ZN7rocprim17ROCPRIM_400000_NS6detail17trampoline_kernelINS0_14default_configENS1_25partition_config_selectorILNS1_17partition_subalgoE9EjjbEEZZNS1_14partition_implILS5_9ELb0ES3_jN6thrust23THRUST_200600_302600_NS6detail15normal_iteratorINS9_10device_ptrIjEEEESE_PNS0_10empty_typeENS0_5tupleIJSE_SF_EEENSH_IJSE_SG_EEENS0_18inequality_wrapperINS9_8equal_toIjEEEEPmJSF_EEE10hipError_tPvRmT3_T4_T5_T6_T7_T9_mT8_P12ihipStream_tbDpT10_ENKUlT_T0_E_clISt17integral_constantIbLb1EES17_IbLb0EEEEDaS13_S14_EUlS13_E_NS1_11comp_targetILNS1_3genE8ELNS1_11target_archE1030ELNS1_3gpuE2ELNS1_3repE0EEENS1_30default_config_static_selectorELNS0_4arch9wavefront6targetE0EEEvT1_
	.globl	_ZN7rocprim17ROCPRIM_400000_NS6detail17trampoline_kernelINS0_14default_configENS1_25partition_config_selectorILNS1_17partition_subalgoE9EjjbEEZZNS1_14partition_implILS5_9ELb0ES3_jN6thrust23THRUST_200600_302600_NS6detail15normal_iteratorINS9_10device_ptrIjEEEESE_PNS0_10empty_typeENS0_5tupleIJSE_SF_EEENSH_IJSE_SG_EEENS0_18inequality_wrapperINS9_8equal_toIjEEEEPmJSF_EEE10hipError_tPvRmT3_T4_T5_T6_T7_T9_mT8_P12ihipStream_tbDpT10_ENKUlT_T0_E_clISt17integral_constantIbLb1EES17_IbLb0EEEEDaS13_S14_EUlS13_E_NS1_11comp_targetILNS1_3genE8ELNS1_11target_archE1030ELNS1_3gpuE2ELNS1_3repE0EEENS1_30default_config_static_selectorELNS0_4arch9wavefront6targetE0EEEvT1_
	.p2align	8
	.type	_ZN7rocprim17ROCPRIM_400000_NS6detail17trampoline_kernelINS0_14default_configENS1_25partition_config_selectorILNS1_17partition_subalgoE9EjjbEEZZNS1_14partition_implILS5_9ELb0ES3_jN6thrust23THRUST_200600_302600_NS6detail15normal_iteratorINS9_10device_ptrIjEEEESE_PNS0_10empty_typeENS0_5tupleIJSE_SF_EEENSH_IJSE_SG_EEENS0_18inequality_wrapperINS9_8equal_toIjEEEEPmJSF_EEE10hipError_tPvRmT3_T4_T5_T6_T7_T9_mT8_P12ihipStream_tbDpT10_ENKUlT_T0_E_clISt17integral_constantIbLb1EES17_IbLb0EEEEDaS13_S14_EUlS13_E_NS1_11comp_targetILNS1_3genE8ELNS1_11target_archE1030ELNS1_3gpuE2ELNS1_3repE0EEENS1_30default_config_static_selectorELNS0_4arch9wavefront6targetE0EEEvT1_,@function
_ZN7rocprim17ROCPRIM_400000_NS6detail17trampoline_kernelINS0_14default_configENS1_25partition_config_selectorILNS1_17partition_subalgoE9EjjbEEZZNS1_14partition_implILS5_9ELb0ES3_jN6thrust23THRUST_200600_302600_NS6detail15normal_iteratorINS9_10device_ptrIjEEEESE_PNS0_10empty_typeENS0_5tupleIJSE_SF_EEENSH_IJSE_SG_EEENS0_18inequality_wrapperINS9_8equal_toIjEEEEPmJSF_EEE10hipError_tPvRmT3_T4_T5_T6_T7_T9_mT8_P12ihipStream_tbDpT10_ENKUlT_T0_E_clISt17integral_constantIbLb1EES17_IbLb0EEEEDaS13_S14_EUlS13_E_NS1_11comp_targetILNS1_3genE8ELNS1_11target_archE1030ELNS1_3gpuE2ELNS1_3repE0EEENS1_30default_config_static_selectorELNS0_4arch9wavefront6targetE0EEEvT1_: ; @_ZN7rocprim17ROCPRIM_400000_NS6detail17trampoline_kernelINS0_14default_configENS1_25partition_config_selectorILNS1_17partition_subalgoE9EjjbEEZZNS1_14partition_implILS5_9ELb0ES3_jN6thrust23THRUST_200600_302600_NS6detail15normal_iteratorINS9_10device_ptrIjEEEESE_PNS0_10empty_typeENS0_5tupleIJSE_SF_EEENSH_IJSE_SG_EEENS0_18inequality_wrapperINS9_8equal_toIjEEEEPmJSF_EEE10hipError_tPvRmT3_T4_T5_T6_T7_T9_mT8_P12ihipStream_tbDpT10_ENKUlT_T0_E_clISt17integral_constantIbLb1EES17_IbLb0EEEEDaS13_S14_EUlS13_E_NS1_11comp_targetILNS1_3genE8ELNS1_11target_archE1030ELNS1_3gpuE2ELNS1_3repE0EEENS1_30default_config_static_selectorELNS0_4arch9wavefront6targetE0EEEvT1_
; %bb.0:
	.section	.rodata,"a",@progbits
	.p2align	6, 0x0
	.amdhsa_kernel _ZN7rocprim17ROCPRIM_400000_NS6detail17trampoline_kernelINS0_14default_configENS1_25partition_config_selectorILNS1_17partition_subalgoE9EjjbEEZZNS1_14partition_implILS5_9ELb0ES3_jN6thrust23THRUST_200600_302600_NS6detail15normal_iteratorINS9_10device_ptrIjEEEESE_PNS0_10empty_typeENS0_5tupleIJSE_SF_EEENSH_IJSE_SG_EEENS0_18inequality_wrapperINS9_8equal_toIjEEEEPmJSF_EEE10hipError_tPvRmT3_T4_T5_T6_T7_T9_mT8_P12ihipStream_tbDpT10_ENKUlT_T0_E_clISt17integral_constantIbLb1EES17_IbLb0EEEEDaS13_S14_EUlS13_E_NS1_11comp_targetILNS1_3genE8ELNS1_11target_archE1030ELNS1_3gpuE2ELNS1_3repE0EEENS1_30default_config_static_selectorELNS0_4arch9wavefront6targetE0EEEvT1_
		.amdhsa_group_segment_fixed_size 0
		.amdhsa_private_segment_fixed_size 0
		.amdhsa_kernarg_size 112
		.amdhsa_user_sgpr_count 15
		.amdhsa_user_sgpr_dispatch_ptr 0
		.amdhsa_user_sgpr_queue_ptr 0
		.amdhsa_user_sgpr_kernarg_segment_ptr 1
		.amdhsa_user_sgpr_dispatch_id 0
		.amdhsa_user_sgpr_private_segment_size 0
		.amdhsa_wavefront_size32 1
		.amdhsa_uses_dynamic_stack 0
		.amdhsa_enable_private_segment 0
		.amdhsa_system_sgpr_workgroup_id_x 1
		.amdhsa_system_sgpr_workgroup_id_y 0
		.amdhsa_system_sgpr_workgroup_id_z 0
		.amdhsa_system_sgpr_workgroup_info 0
		.amdhsa_system_vgpr_workitem_id 0
		.amdhsa_next_free_vgpr 1
		.amdhsa_next_free_sgpr 1
		.amdhsa_reserve_vcc 0
		.amdhsa_float_round_mode_32 0
		.amdhsa_float_round_mode_16_64 0
		.amdhsa_float_denorm_mode_32 3
		.amdhsa_float_denorm_mode_16_64 3
		.amdhsa_dx10_clamp 1
		.amdhsa_ieee_mode 1
		.amdhsa_fp16_overflow 0
		.amdhsa_workgroup_processor_mode 1
		.amdhsa_memory_ordered 1
		.amdhsa_forward_progress 0
		.amdhsa_shared_vgpr_count 0
		.amdhsa_exception_fp_ieee_invalid_op 0
		.amdhsa_exception_fp_denorm_src 0
		.amdhsa_exception_fp_ieee_div_zero 0
		.amdhsa_exception_fp_ieee_overflow 0
		.amdhsa_exception_fp_ieee_underflow 0
		.amdhsa_exception_fp_ieee_inexact 0
		.amdhsa_exception_int_div_zero 0
	.end_amdhsa_kernel
	.section	.text._ZN7rocprim17ROCPRIM_400000_NS6detail17trampoline_kernelINS0_14default_configENS1_25partition_config_selectorILNS1_17partition_subalgoE9EjjbEEZZNS1_14partition_implILS5_9ELb0ES3_jN6thrust23THRUST_200600_302600_NS6detail15normal_iteratorINS9_10device_ptrIjEEEESE_PNS0_10empty_typeENS0_5tupleIJSE_SF_EEENSH_IJSE_SG_EEENS0_18inequality_wrapperINS9_8equal_toIjEEEEPmJSF_EEE10hipError_tPvRmT3_T4_T5_T6_T7_T9_mT8_P12ihipStream_tbDpT10_ENKUlT_T0_E_clISt17integral_constantIbLb1EES17_IbLb0EEEEDaS13_S14_EUlS13_E_NS1_11comp_targetILNS1_3genE8ELNS1_11target_archE1030ELNS1_3gpuE2ELNS1_3repE0EEENS1_30default_config_static_selectorELNS0_4arch9wavefront6targetE0EEEvT1_,"axG",@progbits,_ZN7rocprim17ROCPRIM_400000_NS6detail17trampoline_kernelINS0_14default_configENS1_25partition_config_selectorILNS1_17partition_subalgoE9EjjbEEZZNS1_14partition_implILS5_9ELb0ES3_jN6thrust23THRUST_200600_302600_NS6detail15normal_iteratorINS9_10device_ptrIjEEEESE_PNS0_10empty_typeENS0_5tupleIJSE_SF_EEENSH_IJSE_SG_EEENS0_18inequality_wrapperINS9_8equal_toIjEEEEPmJSF_EEE10hipError_tPvRmT3_T4_T5_T6_T7_T9_mT8_P12ihipStream_tbDpT10_ENKUlT_T0_E_clISt17integral_constantIbLb1EES17_IbLb0EEEEDaS13_S14_EUlS13_E_NS1_11comp_targetILNS1_3genE8ELNS1_11target_archE1030ELNS1_3gpuE2ELNS1_3repE0EEENS1_30default_config_static_selectorELNS0_4arch9wavefront6targetE0EEEvT1_,comdat
.Lfunc_end233:
	.size	_ZN7rocprim17ROCPRIM_400000_NS6detail17trampoline_kernelINS0_14default_configENS1_25partition_config_selectorILNS1_17partition_subalgoE9EjjbEEZZNS1_14partition_implILS5_9ELb0ES3_jN6thrust23THRUST_200600_302600_NS6detail15normal_iteratorINS9_10device_ptrIjEEEESE_PNS0_10empty_typeENS0_5tupleIJSE_SF_EEENSH_IJSE_SG_EEENS0_18inequality_wrapperINS9_8equal_toIjEEEEPmJSF_EEE10hipError_tPvRmT3_T4_T5_T6_T7_T9_mT8_P12ihipStream_tbDpT10_ENKUlT_T0_E_clISt17integral_constantIbLb1EES17_IbLb0EEEEDaS13_S14_EUlS13_E_NS1_11comp_targetILNS1_3genE8ELNS1_11target_archE1030ELNS1_3gpuE2ELNS1_3repE0EEENS1_30default_config_static_selectorELNS0_4arch9wavefront6targetE0EEEvT1_, .Lfunc_end233-_ZN7rocprim17ROCPRIM_400000_NS6detail17trampoline_kernelINS0_14default_configENS1_25partition_config_selectorILNS1_17partition_subalgoE9EjjbEEZZNS1_14partition_implILS5_9ELb0ES3_jN6thrust23THRUST_200600_302600_NS6detail15normal_iteratorINS9_10device_ptrIjEEEESE_PNS0_10empty_typeENS0_5tupleIJSE_SF_EEENSH_IJSE_SG_EEENS0_18inequality_wrapperINS9_8equal_toIjEEEEPmJSF_EEE10hipError_tPvRmT3_T4_T5_T6_T7_T9_mT8_P12ihipStream_tbDpT10_ENKUlT_T0_E_clISt17integral_constantIbLb1EES17_IbLb0EEEEDaS13_S14_EUlS13_E_NS1_11comp_targetILNS1_3genE8ELNS1_11target_archE1030ELNS1_3gpuE2ELNS1_3repE0EEENS1_30default_config_static_selectorELNS0_4arch9wavefront6targetE0EEEvT1_
                                        ; -- End function
	.section	.AMDGPU.csdata,"",@progbits
; Kernel info:
; codeLenInByte = 0
; NumSgprs: 0
; NumVgprs: 0
; ScratchSize: 0
; MemoryBound: 0
; FloatMode: 240
; IeeeMode: 1
; LDSByteSize: 0 bytes/workgroup (compile time only)
; SGPRBlocks: 0
; VGPRBlocks: 0
; NumSGPRsForWavesPerEU: 1
; NumVGPRsForWavesPerEU: 1
; Occupancy: 16
; WaveLimiterHint : 0
; COMPUTE_PGM_RSRC2:SCRATCH_EN: 0
; COMPUTE_PGM_RSRC2:USER_SGPR: 15
; COMPUTE_PGM_RSRC2:TRAP_HANDLER: 0
; COMPUTE_PGM_RSRC2:TGID_X_EN: 1
; COMPUTE_PGM_RSRC2:TGID_Y_EN: 0
; COMPUTE_PGM_RSRC2:TGID_Z_EN: 0
; COMPUTE_PGM_RSRC2:TIDIG_COMP_CNT: 0
	.section	.text._ZN7rocprim17ROCPRIM_400000_NS6detail17trampoline_kernelINS0_14default_configENS1_25partition_config_selectorILNS1_17partition_subalgoE9EjjbEEZZNS1_14partition_implILS5_9ELb0ES3_jN6thrust23THRUST_200600_302600_NS6detail15normal_iteratorINS9_10device_ptrIjEEEESE_PNS0_10empty_typeENS0_5tupleIJSE_SF_EEENSH_IJSE_SG_EEENS0_18inequality_wrapperINS9_8equal_toIjEEEEPmJSF_EEE10hipError_tPvRmT3_T4_T5_T6_T7_T9_mT8_P12ihipStream_tbDpT10_ENKUlT_T0_E_clISt17integral_constantIbLb0EES17_IbLb1EEEEDaS13_S14_EUlS13_E_NS1_11comp_targetILNS1_3genE0ELNS1_11target_archE4294967295ELNS1_3gpuE0ELNS1_3repE0EEENS1_30default_config_static_selectorELNS0_4arch9wavefront6targetE0EEEvT1_,"axG",@progbits,_ZN7rocprim17ROCPRIM_400000_NS6detail17trampoline_kernelINS0_14default_configENS1_25partition_config_selectorILNS1_17partition_subalgoE9EjjbEEZZNS1_14partition_implILS5_9ELb0ES3_jN6thrust23THRUST_200600_302600_NS6detail15normal_iteratorINS9_10device_ptrIjEEEESE_PNS0_10empty_typeENS0_5tupleIJSE_SF_EEENSH_IJSE_SG_EEENS0_18inequality_wrapperINS9_8equal_toIjEEEEPmJSF_EEE10hipError_tPvRmT3_T4_T5_T6_T7_T9_mT8_P12ihipStream_tbDpT10_ENKUlT_T0_E_clISt17integral_constantIbLb0EES17_IbLb1EEEEDaS13_S14_EUlS13_E_NS1_11comp_targetILNS1_3genE0ELNS1_11target_archE4294967295ELNS1_3gpuE0ELNS1_3repE0EEENS1_30default_config_static_selectorELNS0_4arch9wavefront6targetE0EEEvT1_,comdat
	.protected	_ZN7rocprim17ROCPRIM_400000_NS6detail17trampoline_kernelINS0_14default_configENS1_25partition_config_selectorILNS1_17partition_subalgoE9EjjbEEZZNS1_14partition_implILS5_9ELb0ES3_jN6thrust23THRUST_200600_302600_NS6detail15normal_iteratorINS9_10device_ptrIjEEEESE_PNS0_10empty_typeENS0_5tupleIJSE_SF_EEENSH_IJSE_SG_EEENS0_18inequality_wrapperINS9_8equal_toIjEEEEPmJSF_EEE10hipError_tPvRmT3_T4_T5_T6_T7_T9_mT8_P12ihipStream_tbDpT10_ENKUlT_T0_E_clISt17integral_constantIbLb0EES17_IbLb1EEEEDaS13_S14_EUlS13_E_NS1_11comp_targetILNS1_3genE0ELNS1_11target_archE4294967295ELNS1_3gpuE0ELNS1_3repE0EEENS1_30default_config_static_selectorELNS0_4arch9wavefront6targetE0EEEvT1_ ; -- Begin function _ZN7rocprim17ROCPRIM_400000_NS6detail17trampoline_kernelINS0_14default_configENS1_25partition_config_selectorILNS1_17partition_subalgoE9EjjbEEZZNS1_14partition_implILS5_9ELb0ES3_jN6thrust23THRUST_200600_302600_NS6detail15normal_iteratorINS9_10device_ptrIjEEEESE_PNS0_10empty_typeENS0_5tupleIJSE_SF_EEENSH_IJSE_SG_EEENS0_18inequality_wrapperINS9_8equal_toIjEEEEPmJSF_EEE10hipError_tPvRmT3_T4_T5_T6_T7_T9_mT8_P12ihipStream_tbDpT10_ENKUlT_T0_E_clISt17integral_constantIbLb0EES17_IbLb1EEEEDaS13_S14_EUlS13_E_NS1_11comp_targetILNS1_3genE0ELNS1_11target_archE4294967295ELNS1_3gpuE0ELNS1_3repE0EEENS1_30default_config_static_selectorELNS0_4arch9wavefront6targetE0EEEvT1_
	.globl	_ZN7rocprim17ROCPRIM_400000_NS6detail17trampoline_kernelINS0_14default_configENS1_25partition_config_selectorILNS1_17partition_subalgoE9EjjbEEZZNS1_14partition_implILS5_9ELb0ES3_jN6thrust23THRUST_200600_302600_NS6detail15normal_iteratorINS9_10device_ptrIjEEEESE_PNS0_10empty_typeENS0_5tupleIJSE_SF_EEENSH_IJSE_SG_EEENS0_18inequality_wrapperINS9_8equal_toIjEEEEPmJSF_EEE10hipError_tPvRmT3_T4_T5_T6_T7_T9_mT8_P12ihipStream_tbDpT10_ENKUlT_T0_E_clISt17integral_constantIbLb0EES17_IbLb1EEEEDaS13_S14_EUlS13_E_NS1_11comp_targetILNS1_3genE0ELNS1_11target_archE4294967295ELNS1_3gpuE0ELNS1_3repE0EEENS1_30default_config_static_selectorELNS0_4arch9wavefront6targetE0EEEvT1_
	.p2align	8
	.type	_ZN7rocprim17ROCPRIM_400000_NS6detail17trampoline_kernelINS0_14default_configENS1_25partition_config_selectorILNS1_17partition_subalgoE9EjjbEEZZNS1_14partition_implILS5_9ELb0ES3_jN6thrust23THRUST_200600_302600_NS6detail15normal_iteratorINS9_10device_ptrIjEEEESE_PNS0_10empty_typeENS0_5tupleIJSE_SF_EEENSH_IJSE_SG_EEENS0_18inequality_wrapperINS9_8equal_toIjEEEEPmJSF_EEE10hipError_tPvRmT3_T4_T5_T6_T7_T9_mT8_P12ihipStream_tbDpT10_ENKUlT_T0_E_clISt17integral_constantIbLb0EES17_IbLb1EEEEDaS13_S14_EUlS13_E_NS1_11comp_targetILNS1_3genE0ELNS1_11target_archE4294967295ELNS1_3gpuE0ELNS1_3repE0EEENS1_30default_config_static_selectorELNS0_4arch9wavefront6targetE0EEEvT1_,@function
_ZN7rocprim17ROCPRIM_400000_NS6detail17trampoline_kernelINS0_14default_configENS1_25partition_config_selectorILNS1_17partition_subalgoE9EjjbEEZZNS1_14partition_implILS5_9ELb0ES3_jN6thrust23THRUST_200600_302600_NS6detail15normal_iteratorINS9_10device_ptrIjEEEESE_PNS0_10empty_typeENS0_5tupleIJSE_SF_EEENSH_IJSE_SG_EEENS0_18inequality_wrapperINS9_8equal_toIjEEEEPmJSF_EEE10hipError_tPvRmT3_T4_T5_T6_T7_T9_mT8_P12ihipStream_tbDpT10_ENKUlT_T0_E_clISt17integral_constantIbLb0EES17_IbLb1EEEEDaS13_S14_EUlS13_E_NS1_11comp_targetILNS1_3genE0ELNS1_11target_archE4294967295ELNS1_3gpuE0ELNS1_3repE0EEENS1_30default_config_static_selectorELNS0_4arch9wavefront6targetE0EEEvT1_: ; @_ZN7rocprim17ROCPRIM_400000_NS6detail17trampoline_kernelINS0_14default_configENS1_25partition_config_selectorILNS1_17partition_subalgoE9EjjbEEZZNS1_14partition_implILS5_9ELb0ES3_jN6thrust23THRUST_200600_302600_NS6detail15normal_iteratorINS9_10device_ptrIjEEEESE_PNS0_10empty_typeENS0_5tupleIJSE_SF_EEENSH_IJSE_SG_EEENS0_18inequality_wrapperINS9_8equal_toIjEEEEPmJSF_EEE10hipError_tPvRmT3_T4_T5_T6_T7_T9_mT8_P12ihipStream_tbDpT10_ENKUlT_T0_E_clISt17integral_constantIbLb0EES17_IbLb1EEEEDaS13_S14_EUlS13_E_NS1_11comp_targetILNS1_3genE0ELNS1_11target_archE4294967295ELNS1_3gpuE0ELNS1_3repE0EEENS1_30default_config_static_selectorELNS0_4arch9wavefront6targetE0EEEvT1_
; %bb.0:
	.section	.rodata,"a",@progbits
	.p2align	6, 0x0
	.amdhsa_kernel _ZN7rocprim17ROCPRIM_400000_NS6detail17trampoline_kernelINS0_14default_configENS1_25partition_config_selectorILNS1_17partition_subalgoE9EjjbEEZZNS1_14partition_implILS5_9ELb0ES3_jN6thrust23THRUST_200600_302600_NS6detail15normal_iteratorINS9_10device_ptrIjEEEESE_PNS0_10empty_typeENS0_5tupleIJSE_SF_EEENSH_IJSE_SG_EEENS0_18inequality_wrapperINS9_8equal_toIjEEEEPmJSF_EEE10hipError_tPvRmT3_T4_T5_T6_T7_T9_mT8_P12ihipStream_tbDpT10_ENKUlT_T0_E_clISt17integral_constantIbLb0EES17_IbLb1EEEEDaS13_S14_EUlS13_E_NS1_11comp_targetILNS1_3genE0ELNS1_11target_archE4294967295ELNS1_3gpuE0ELNS1_3repE0EEENS1_30default_config_static_selectorELNS0_4arch9wavefront6targetE0EEEvT1_
		.amdhsa_group_segment_fixed_size 0
		.amdhsa_private_segment_fixed_size 0
		.amdhsa_kernarg_size 128
		.amdhsa_user_sgpr_count 15
		.amdhsa_user_sgpr_dispatch_ptr 0
		.amdhsa_user_sgpr_queue_ptr 0
		.amdhsa_user_sgpr_kernarg_segment_ptr 1
		.amdhsa_user_sgpr_dispatch_id 0
		.amdhsa_user_sgpr_private_segment_size 0
		.amdhsa_wavefront_size32 1
		.amdhsa_uses_dynamic_stack 0
		.amdhsa_enable_private_segment 0
		.amdhsa_system_sgpr_workgroup_id_x 1
		.amdhsa_system_sgpr_workgroup_id_y 0
		.amdhsa_system_sgpr_workgroup_id_z 0
		.amdhsa_system_sgpr_workgroup_info 0
		.amdhsa_system_vgpr_workitem_id 0
		.amdhsa_next_free_vgpr 1
		.amdhsa_next_free_sgpr 1
		.amdhsa_reserve_vcc 0
		.amdhsa_float_round_mode_32 0
		.amdhsa_float_round_mode_16_64 0
		.amdhsa_float_denorm_mode_32 3
		.amdhsa_float_denorm_mode_16_64 3
		.amdhsa_dx10_clamp 1
		.amdhsa_ieee_mode 1
		.amdhsa_fp16_overflow 0
		.amdhsa_workgroup_processor_mode 1
		.amdhsa_memory_ordered 1
		.amdhsa_forward_progress 0
		.amdhsa_shared_vgpr_count 0
		.amdhsa_exception_fp_ieee_invalid_op 0
		.amdhsa_exception_fp_denorm_src 0
		.amdhsa_exception_fp_ieee_div_zero 0
		.amdhsa_exception_fp_ieee_overflow 0
		.amdhsa_exception_fp_ieee_underflow 0
		.amdhsa_exception_fp_ieee_inexact 0
		.amdhsa_exception_int_div_zero 0
	.end_amdhsa_kernel
	.section	.text._ZN7rocprim17ROCPRIM_400000_NS6detail17trampoline_kernelINS0_14default_configENS1_25partition_config_selectorILNS1_17partition_subalgoE9EjjbEEZZNS1_14partition_implILS5_9ELb0ES3_jN6thrust23THRUST_200600_302600_NS6detail15normal_iteratorINS9_10device_ptrIjEEEESE_PNS0_10empty_typeENS0_5tupleIJSE_SF_EEENSH_IJSE_SG_EEENS0_18inequality_wrapperINS9_8equal_toIjEEEEPmJSF_EEE10hipError_tPvRmT3_T4_T5_T6_T7_T9_mT8_P12ihipStream_tbDpT10_ENKUlT_T0_E_clISt17integral_constantIbLb0EES17_IbLb1EEEEDaS13_S14_EUlS13_E_NS1_11comp_targetILNS1_3genE0ELNS1_11target_archE4294967295ELNS1_3gpuE0ELNS1_3repE0EEENS1_30default_config_static_selectorELNS0_4arch9wavefront6targetE0EEEvT1_,"axG",@progbits,_ZN7rocprim17ROCPRIM_400000_NS6detail17trampoline_kernelINS0_14default_configENS1_25partition_config_selectorILNS1_17partition_subalgoE9EjjbEEZZNS1_14partition_implILS5_9ELb0ES3_jN6thrust23THRUST_200600_302600_NS6detail15normal_iteratorINS9_10device_ptrIjEEEESE_PNS0_10empty_typeENS0_5tupleIJSE_SF_EEENSH_IJSE_SG_EEENS0_18inequality_wrapperINS9_8equal_toIjEEEEPmJSF_EEE10hipError_tPvRmT3_T4_T5_T6_T7_T9_mT8_P12ihipStream_tbDpT10_ENKUlT_T0_E_clISt17integral_constantIbLb0EES17_IbLb1EEEEDaS13_S14_EUlS13_E_NS1_11comp_targetILNS1_3genE0ELNS1_11target_archE4294967295ELNS1_3gpuE0ELNS1_3repE0EEENS1_30default_config_static_selectorELNS0_4arch9wavefront6targetE0EEEvT1_,comdat
.Lfunc_end234:
	.size	_ZN7rocprim17ROCPRIM_400000_NS6detail17trampoline_kernelINS0_14default_configENS1_25partition_config_selectorILNS1_17partition_subalgoE9EjjbEEZZNS1_14partition_implILS5_9ELb0ES3_jN6thrust23THRUST_200600_302600_NS6detail15normal_iteratorINS9_10device_ptrIjEEEESE_PNS0_10empty_typeENS0_5tupleIJSE_SF_EEENSH_IJSE_SG_EEENS0_18inequality_wrapperINS9_8equal_toIjEEEEPmJSF_EEE10hipError_tPvRmT3_T4_T5_T6_T7_T9_mT8_P12ihipStream_tbDpT10_ENKUlT_T0_E_clISt17integral_constantIbLb0EES17_IbLb1EEEEDaS13_S14_EUlS13_E_NS1_11comp_targetILNS1_3genE0ELNS1_11target_archE4294967295ELNS1_3gpuE0ELNS1_3repE0EEENS1_30default_config_static_selectorELNS0_4arch9wavefront6targetE0EEEvT1_, .Lfunc_end234-_ZN7rocprim17ROCPRIM_400000_NS6detail17trampoline_kernelINS0_14default_configENS1_25partition_config_selectorILNS1_17partition_subalgoE9EjjbEEZZNS1_14partition_implILS5_9ELb0ES3_jN6thrust23THRUST_200600_302600_NS6detail15normal_iteratorINS9_10device_ptrIjEEEESE_PNS0_10empty_typeENS0_5tupleIJSE_SF_EEENSH_IJSE_SG_EEENS0_18inequality_wrapperINS9_8equal_toIjEEEEPmJSF_EEE10hipError_tPvRmT3_T4_T5_T6_T7_T9_mT8_P12ihipStream_tbDpT10_ENKUlT_T0_E_clISt17integral_constantIbLb0EES17_IbLb1EEEEDaS13_S14_EUlS13_E_NS1_11comp_targetILNS1_3genE0ELNS1_11target_archE4294967295ELNS1_3gpuE0ELNS1_3repE0EEENS1_30default_config_static_selectorELNS0_4arch9wavefront6targetE0EEEvT1_
                                        ; -- End function
	.section	.AMDGPU.csdata,"",@progbits
; Kernel info:
; codeLenInByte = 0
; NumSgprs: 0
; NumVgprs: 0
; ScratchSize: 0
; MemoryBound: 0
; FloatMode: 240
; IeeeMode: 1
; LDSByteSize: 0 bytes/workgroup (compile time only)
; SGPRBlocks: 0
; VGPRBlocks: 0
; NumSGPRsForWavesPerEU: 1
; NumVGPRsForWavesPerEU: 1
; Occupancy: 16
; WaveLimiterHint : 0
; COMPUTE_PGM_RSRC2:SCRATCH_EN: 0
; COMPUTE_PGM_RSRC2:USER_SGPR: 15
; COMPUTE_PGM_RSRC2:TRAP_HANDLER: 0
; COMPUTE_PGM_RSRC2:TGID_X_EN: 1
; COMPUTE_PGM_RSRC2:TGID_Y_EN: 0
; COMPUTE_PGM_RSRC2:TGID_Z_EN: 0
; COMPUTE_PGM_RSRC2:TIDIG_COMP_CNT: 0
	.section	.text._ZN7rocprim17ROCPRIM_400000_NS6detail17trampoline_kernelINS0_14default_configENS1_25partition_config_selectorILNS1_17partition_subalgoE9EjjbEEZZNS1_14partition_implILS5_9ELb0ES3_jN6thrust23THRUST_200600_302600_NS6detail15normal_iteratorINS9_10device_ptrIjEEEESE_PNS0_10empty_typeENS0_5tupleIJSE_SF_EEENSH_IJSE_SG_EEENS0_18inequality_wrapperINS9_8equal_toIjEEEEPmJSF_EEE10hipError_tPvRmT3_T4_T5_T6_T7_T9_mT8_P12ihipStream_tbDpT10_ENKUlT_T0_E_clISt17integral_constantIbLb0EES17_IbLb1EEEEDaS13_S14_EUlS13_E_NS1_11comp_targetILNS1_3genE5ELNS1_11target_archE942ELNS1_3gpuE9ELNS1_3repE0EEENS1_30default_config_static_selectorELNS0_4arch9wavefront6targetE0EEEvT1_,"axG",@progbits,_ZN7rocprim17ROCPRIM_400000_NS6detail17trampoline_kernelINS0_14default_configENS1_25partition_config_selectorILNS1_17partition_subalgoE9EjjbEEZZNS1_14partition_implILS5_9ELb0ES3_jN6thrust23THRUST_200600_302600_NS6detail15normal_iteratorINS9_10device_ptrIjEEEESE_PNS0_10empty_typeENS0_5tupleIJSE_SF_EEENSH_IJSE_SG_EEENS0_18inequality_wrapperINS9_8equal_toIjEEEEPmJSF_EEE10hipError_tPvRmT3_T4_T5_T6_T7_T9_mT8_P12ihipStream_tbDpT10_ENKUlT_T0_E_clISt17integral_constantIbLb0EES17_IbLb1EEEEDaS13_S14_EUlS13_E_NS1_11comp_targetILNS1_3genE5ELNS1_11target_archE942ELNS1_3gpuE9ELNS1_3repE0EEENS1_30default_config_static_selectorELNS0_4arch9wavefront6targetE0EEEvT1_,comdat
	.protected	_ZN7rocprim17ROCPRIM_400000_NS6detail17trampoline_kernelINS0_14default_configENS1_25partition_config_selectorILNS1_17partition_subalgoE9EjjbEEZZNS1_14partition_implILS5_9ELb0ES3_jN6thrust23THRUST_200600_302600_NS6detail15normal_iteratorINS9_10device_ptrIjEEEESE_PNS0_10empty_typeENS0_5tupleIJSE_SF_EEENSH_IJSE_SG_EEENS0_18inequality_wrapperINS9_8equal_toIjEEEEPmJSF_EEE10hipError_tPvRmT3_T4_T5_T6_T7_T9_mT8_P12ihipStream_tbDpT10_ENKUlT_T0_E_clISt17integral_constantIbLb0EES17_IbLb1EEEEDaS13_S14_EUlS13_E_NS1_11comp_targetILNS1_3genE5ELNS1_11target_archE942ELNS1_3gpuE9ELNS1_3repE0EEENS1_30default_config_static_selectorELNS0_4arch9wavefront6targetE0EEEvT1_ ; -- Begin function _ZN7rocprim17ROCPRIM_400000_NS6detail17trampoline_kernelINS0_14default_configENS1_25partition_config_selectorILNS1_17partition_subalgoE9EjjbEEZZNS1_14partition_implILS5_9ELb0ES3_jN6thrust23THRUST_200600_302600_NS6detail15normal_iteratorINS9_10device_ptrIjEEEESE_PNS0_10empty_typeENS0_5tupleIJSE_SF_EEENSH_IJSE_SG_EEENS0_18inequality_wrapperINS9_8equal_toIjEEEEPmJSF_EEE10hipError_tPvRmT3_T4_T5_T6_T7_T9_mT8_P12ihipStream_tbDpT10_ENKUlT_T0_E_clISt17integral_constantIbLb0EES17_IbLb1EEEEDaS13_S14_EUlS13_E_NS1_11comp_targetILNS1_3genE5ELNS1_11target_archE942ELNS1_3gpuE9ELNS1_3repE0EEENS1_30default_config_static_selectorELNS0_4arch9wavefront6targetE0EEEvT1_
	.globl	_ZN7rocprim17ROCPRIM_400000_NS6detail17trampoline_kernelINS0_14default_configENS1_25partition_config_selectorILNS1_17partition_subalgoE9EjjbEEZZNS1_14partition_implILS5_9ELb0ES3_jN6thrust23THRUST_200600_302600_NS6detail15normal_iteratorINS9_10device_ptrIjEEEESE_PNS0_10empty_typeENS0_5tupleIJSE_SF_EEENSH_IJSE_SG_EEENS0_18inequality_wrapperINS9_8equal_toIjEEEEPmJSF_EEE10hipError_tPvRmT3_T4_T5_T6_T7_T9_mT8_P12ihipStream_tbDpT10_ENKUlT_T0_E_clISt17integral_constantIbLb0EES17_IbLb1EEEEDaS13_S14_EUlS13_E_NS1_11comp_targetILNS1_3genE5ELNS1_11target_archE942ELNS1_3gpuE9ELNS1_3repE0EEENS1_30default_config_static_selectorELNS0_4arch9wavefront6targetE0EEEvT1_
	.p2align	8
	.type	_ZN7rocprim17ROCPRIM_400000_NS6detail17trampoline_kernelINS0_14default_configENS1_25partition_config_selectorILNS1_17partition_subalgoE9EjjbEEZZNS1_14partition_implILS5_9ELb0ES3_jN6thrust23THRUST_200600_302600_NS6detail15normal_iteratorINS9_10device_ptrIjEEEESE_PNS0_10empty_typeENS0_5tupleIJSE_SF_EEENSH_IJSE_SG_EEENS0_18inequality_wrapperINS9_8equal_toIjEEEEPmJSF_EEE10hipError_tPvRmT3_T4_T5_T6_T7_T9_mT8_P12ihipStream_tbDpT10_ENKUlT_T0_E_clISt17integral_constantIbLb0EES17_IbLb1EEEEDaS13_S14_EUlS13_E_NS1_11comp_targetILNS1_3genE5ELNS1_11target_archE942ELNS1_3gpuE9ELNS1_3repE0EEENS1_30default_config_static_selectorELNS0_4arch9wavefront6targetE0EEEvT1_,@function
_ZN7rocprim17ROCPRIM_400000_NS6detail17trampoline_kernelINS0_14default_configENS1_25partition_config_selectorILNS1_17partition_subalgoE9EjjbEEZZNS1_14partition_implILS5_9ELb0ES3_jN6thrust23THRUST_200600_302600_NS6detail15normal_iteratorINS9_10device_ptrIjEEEESE_PNS0_10empty_typeENS0_5tupleIJSE_SF_EEENSH_IJSE_SG_EEENS0_18inequality_wrapperINS9_8equal_toIjEEEEPmJSF_EEE10hipError_tPvRmT3_T4_T5_T6_T7_T9_mT8_P12ihipStream_tbDpT10_ENKUlT_T0_E_clISt17integral_constantIbLb0EES17_IbLb1EEEEDaS13_S14_EUlS13_E_NS1_11comp_targetILNS1_3genE5ELNS1_11target_archE942ELNS1_3gpuE9ELNS1_3repE0EEENS1_30default_config_static_selectorELNS0_4arch9wavefront6targetE0EEEvT1_: ; @_ZN7rocprim17ROCPRIM_400000_NS6detail17trampoline_kernelINS0_14default_configENS1_25partition_config_selectorILNS1_17partition_subalgoE9EjjbEEZZNS1_14partition_implILS5_9ELb0ES3_jN6thrust23THRUST_200600_302600_NS6detail15normal_iteratorINS9_10device_ptrIjEEEESE_PNS0_10empty_typeENS0_5tupleIJSE_SF_EEENSH_IJSE_SG_EEENS0_18inequality_wrapperINS9_8equal_toIjEEEEPmJSF_EEE10hipError_tPvRmT3_T4_T5_T6_T7_T9_mT8_P12ihipStream_tbDpT10_ENKUlT_T0_E_clISt17integral_constantIbLb0EES17_IbLb1EEEEDaS13_S14_EUlS13_E_NS1_11comp_targetILNS1_3genE5ELNS1_11target_archE942ELNS1_3gpuE9ELNS1_3repE0EEENS1_30default_config_static_selectorELNS0_4arch9wavefront6targetE0EEEvT1_
; %bb.0:
	.section	.rodata,"a",@progbits
	.p2align	6, 0x0
	.amdhsa_kernel _ZN7rocprim17ROCPRIM_400000_NS6detail17trampoline_kernelINS0_14default_configENS1_25partition_config_selectorILNS1_17partition_subalgoE9EjjbEEZZNS1_14partition_implILS5_9ELb0ES3_jN6thrust23THRUST_200600_302600_NS6detail15normal_iteratorINS9_10device_ptrIjEEEESE_PNS0_10empty_typeENS0_5tupleIJSE_SF_EEENSH_IJSE_SG_EEENS0_18inequality_wrapperINS9_8equal_toIjEEEEPmJSF_EEE10hipError_tPvRmT3_T4_T5_T6_T7_T9_mT8_P12ihipStream_tbDpT10_ENKUlT_T0_E_clISt17integral_constantIbLb0EES17_IbLb1EEEEDaS13_S14_EUlS13_E_NS1_11comp_targetILNS1_3genE5ELNS1_11target_archE942ELNS1_3gpuE9ELNS1_3repE0EEENS1_30default_config_static_selectorELNS0_4arch9wavefront6targetE0EEEvT1_
		.amdhsa_group_segment_fixed_size 0
		.amdhsa_private_segment_fixed_size 0
		.amdhsa_kernarg_size 128
		.amdhsa_user_sgpr_count 15
		.amdhsa_user_sgpr_dispatch_ptr 0
		.amdhsa_user_sgpr_queue_ptr 0
		.amdhsa_user_sgpr_kernarg_segment_ptr 1
		.amdhsa_user_sgpr_dispatch_id 0
		.amdhsa_user_sgpr_private_segment_size 0
		.amdhsa_wavefront_size32 1
		.amdhsa_uses_dynamic_stack 0
		.amdhsa_enable_private_segment 0
		.amdhsa_system_sgpr_workgroup_id_x 1
		.amdhsa_system_sgpr_workgroup_id_y 0
		.amdhsa_system_sgpr_workgroup_id_z 0
		.amdhsa_system_sgpr_workgroup_info 0
		.amdhsa_system_vgpr_workitem_id 0
		.amdhsa_next_free_vgpr 1
		.amdhsa_next_free_sgpr 1
		.amdhsa_reserve_vcc 0
		.amdhsa_float_round_mode_32 0
		.amdhsa_float_round_mode_16_64 0
		.amdhsa_float_denorm_mode_32 3
		.amdhsa_float_denorm_mode_16_64 3
		.amdhsa_dx10_clamp 1
		.amdhsa_ieee_mode 1
		.amdhsa_fp16_overflow 0
		.amdhsa_workgroup_processor_mode 1
		.amdhsa_memory_ordered 1
		.amdhsa_forward_progress 0
		.amdhsa_shared_vgpr_count 0
		.amdhsa_exception_fp_ieee_invalid_op 0
		.amdhsa_exception_fp_denorm_src 0
		.amdhsa_exception_fp_ieee_div_zero 0
		.amdhsa_exception_fp_ieee_overflow 0
		.amdhsa_exception_fp_ieee_underflow 0
		.amdhsa_exception_fp_ieee_inexact 0
		.amdhsa_exception_int_div_zero 0
	.end_amdhsa_kernel
	.section	.text._ZN7rocprim17ROCPRIM_400000_NS6detail17trampoline_kernelINS0_14default_configENS1_25partition_config_selectorILNS1_17partition_subalgoE9EjjbEEZZNS1_14partition_implILS5_9ELb0ES3_jN6thrust23THRUST_200600_302600_NS6detail15normal_iteratorINS9_10device_ptrIjEEEESE_PNS0_10empty_typeENS0_5tupleIJSE_SF_EEENSH_IJSE_SG_EEENS0_18inequality_wrapperINS9_8equal_toIjEEEEPmJSF_EEE10hipError_tPvRmT3_T4_T5_T6_T7_T9_mT8_P12ihipStream_tbDpT10_ENKUlT_T0_E_clISt17integral_constantIbLb0EES17_IbLb1EEEEDaS13_S14_EUlS13_E_NS1_11comp_targetILNS1_3genE5ELNS1_11target_archE942ELNS1_3gpuE9ELNS1_3repE0EEENS1_30default_config_static_selectorELNS0_4arch9wavefront6targetE0EEEvT1_,"axG",@progbits,_ZN7rocprim17ROCPRIM_400000_NS6detail17trampoline_kernelINS0_14default_configENS1_25partition_config_selectorILNS1_17partition_subalgoE9EjjbEEZZNS1_14partition_implILS5_9ELb0ES3_jN6thrust23THRUST_200600_302600_NS6detail15normal_iteratorINS9_10device_ptrIjEEEESE_PNS0_10empty_typeENS0_5tupleIJSE_SF_EEENSH_IJSE_SG_EEENS0_18inequality_wrapperINS9_8equal_toIjEEEEPmJSF_EEE10hipError_tPvRmT3_T4_T5_T6_T7_T9_mT8_P12ihipStream_tbDpT10_ENKUlT_T0_E_clISt17integral_constantIbLb0EES17_IbLb1EEEEDaS13_S14_EUlS13_E_NS1_11comp_targetILNS1_3genE5ELNS1_11target_archE942ELNS1_3gpuE9ELNS1_3repE0EEENS1_30default_config_static_selectorELNS0_4arch9wavefront6targetE0EEEvT1_,comdat
.Lfunc_end235:
	.size	_ZN7rocprim17ROCPRIM_400000_NS6detail17trampoline_kernelINS0_14default_configENS1_25partition_config_selectorILNS1_17partition_subalgoE9EjjbEEZZNS1_14partition_implILS5_9ELb0ES3_jN6thrust23THRUST_200600_302600_NS6detail15normal_iteratorINS9_10device_ptrIjEEEESE_PNS0_10empty_typeENS0_5tupleIJSE_SF_EEENSH_IJSE_SG_EEENS0_18inequality_wrapperINS9_8equal_toIjEEEEPmJSF_EEE10hipError_tPvRmT3_T4_T5_T6_T7_T9_mT8_P12ihipStream_tbDpT10_ENKUlT_T0_E_clISt17integral_constantIbLb0EES17_IbLb1EEEEDaS13_S14_EUlS13_E_NS1_11comp_targetILNS1_3genE5ELNS1_11target_archE942ELNS1_3gpuE9ELNS1_3repE0EEENS1_30default_config_static_selectorELNS0_4arch9wavefront6targetE0EEEvT1_, .Lfunc_end235-_ZN7rocprim17ROCPRIM_400000_NS6detail17trampoline_kernelINS0_14default_configENS1_25partition_config_selectorILNS1_17partition_subalgoE9EjjbEEZZNS1_14partition_implILS5_9ELb0ES3_jN6thrust23THRUST_200600_302600_NS6detail15normal_iteratorINS9_10device_ptrIjEEEESE_PNS0_10empty_typeENS0_5tupleIJSE_SF_EEENSH_IJSE_SG_EEENS0_18inequality_wrapperINS9_8equal_toIjEEEEPmJSF_EEE10hipError_tPvRmT3_T4_T5_T6_T7_T9_mT8_P12ihipStream_tbDpT10_ENKUlT_T0_E_clISt17integral_constantIbLb0EES17_IbLb1EEEEDaS13_S14_EUlS13_E_NS1_11comp_targetILNS1_3genE5ELNS1_11target_archE942ELNS1_3gpuE9ELNS1_3repE0EEENS1_30default_config_static_selectorELNS0_4arch9wavefront6targetE0EEEvT1_
                                        ; -- End function
	.section	.AMDGPU.csdata,"",@progbits
; Kernel info:
; codeLenInByte = 0
; NumSgprs: 0
; NumVgprs: 0
; ScratchSize: 0
; MemoryBound: 0
; FloatMode: 240
; IeeeMode: 1
; LDSByteSize: 0 bytes/workgroup (compile time only)
; SGPRBlocks: 0
; VGPRBlocks: 0
; NumSGPRsForWavesPerEU: 1
; NumVGPRsForWavesPerEU: 1
; Occupancy: 16
; WaveLimiterHint : 0
; COMPUTE_PGM_RSRC2:SCRATCH_EN: 0
; COMPUTE_PGM_RSRC2:USER_SGPR: 15
; COMPUTE_PGM_RSRC2:TRAP_HANDLER: 0
; COMPUTE_PGM_RSRC2:TGID_X_EN: 1
; COMPUTE_PGM_RSRC2:TGID_Y_EN: 0
; COMPUTE_PGM_RSRC2:TGID_Z_EN: 0
; COMPUTE_PGM_RSRC2:TIDIG_COMP_CNT: 0
	.section	.text._ZN7rocprim17ROCPRIM_400000_NS6detail17trampoline_kernelINS0_14default_configENS1_25partition_config_selectorILNS1_17partition_subalgoE9EjjbEEZZNS1_14partition_implILS5_9ELb0ES3_jN6thrust23THRUST_200600_302600_NS6detail15normal_iteratorINS9_10device_ptrIjEEEESE_PNS0_10empty_typeENS0_5tupleIJSE_SF_EEENSH_IJSE_SG_EEENS0_18inequality_wrapperINS9_8equal_toIjEEEEPmJSF_EEE10hipError_tPvRmT3_T4_T5_T6_T7_T9_mT8_P12ihipStream_tbDpT10_ENKUlT_T0_E_clISt17integral_constantIbLb0EES17_IbLb1EEEEDaS13_S14_EUlS13_E_NS1_11comp_targetILNS1_3genE4ELNS1_11target_archE910ELNS1_3gpuE8ELNS1_3repE0EEENS1_30default_config_static_selectorELNS0_4arch9wavefront6targetE0EEEvT1_,"axG",@progbits,_ZN7rocprim17ROCPRIM_400000_NS6detail17trampoline_kernelINS0_14default_configENS1_25partition_config_selectorILNS1_17partition_subalgoE9EjjbEEZZNS1_14partition_implILS5_9ELb0ES3_jN6thrust23THRUST_200600_302600_NS6detail15normal_iteratorINS9_10device_ptrIjEEEESE_PNS0_10empty_typeENS0_5tupleIJSE_SF_EEENSH_IJSE_SG_EEENS0_18inequality_wrapperINS9_8equal_toIjEEEEPmJSF_EEE10hipError_tPvRmT3_T4_T5_T6_T7_T9_mT8_P12ihipStream_tbDpT10_ENKUlT_T0_E_clISt17integral_constantIbLb0EES17_IbLb1EEEEDaS13_S14_EUlS13_E_NS1_11comp_targetILNS1_3genE4ELNS1_11target_archE910ELNS1_3gpuE8ELNS1_3repE0EEENS1_30default_config_static_selectorELNS0_4arch9wavefront6targetE0EEEvT1_,comdat
	.protected	_ZN7rocprim17ROCPRIM_400000_NS6detail17trampoline_kernelINS0_14default_configENS1_25partition_config_selectorILNS1_17partition_subalgoE9EjjbEEZZNS1_14partition_implILS5_9ELb0ES3_jN6thrust23THRUST_200600_302600_NS6detail15normal_iteratorINS9_10device_ptrIjEEEESE_PNS0_10empty_typeENS0_5tupleIJSE_SF_EEENSH_IJSE_SG_EEENS0_18inequality_wrapperINS9_8equal_toIjEEEEPmJSF_EEE10hipError_tPvRmT3_T4_T5_T6_T7_T9_mT8_P12ihipStream_tbDpT10_ENKUlT_T0_E_clISt17integral_constantIbLb0EES17_IbLb1EEEEDaS13_S14_EUlS13_E_NS1_11comp_targetILNS1_3genE4ELNS1_11target_archE910ELNS1_3gpuE8ELNS1_3repE0EEENS1_30default_config_static_selectorELNS0_4arch9wavefront6targetE0EEEvT1_ ; -- Begin function _ZN7rocprim17ROCPRIM_400000_NS6detail17trampoline_kernelINS0_14default_configENS1_25partition_config_selectorILNS1_17partition_subalgoE9EjjbEEZZNS1_14partition_implILS5_9ELb0ES3_jN6thrust23THRUST_200600_302600_NS6detail15normal_iteratorINS9_10device_ptrIjEEEESE_PNS0_10empty_typeENS0_5tupleIJSE_SF_EEENSH_IJSE_SG_EEENS0_18inequality_wrapperINS9_8equal_toIjEEEEPmJSF_EEE10hipError_tPvRmT3_T4_T5_T6_T7_T9_mT8_P12ihipStream_tbDpT10_ENKUlT_T0_E_clISt17integral_constantIbLb0EES17_IbLb1EEEEDaS13_S14_EUlS13_E_NS1_11comp_targetILNS1_3genE4ELNS1_11target_archE910ELNS1_3gpuE8ELNS1_3repE0EEENS1_30default_config_static_selectorELNS0_4arch9wavefront6targetE0EEEvT1_
	.globl	_ZN7rocprim17ROCPRIM_400000_NS6detail17trampoline_kernelINS0_14default_configENS1_25partition_config_selectorILNS1_17partition_subalgoE9EjjbEEZZNS1_14partition_implILS5_9ELb0ES3_jN6thrust23THRUST_200600_302600_NS6detail15normal_iteratorINS9_10device_ptrIjEEEESE_PNS0_10empty_typeENS0_5tupleIJSE_SF_EEENSH_IJSE_SG_EEENS0_18inequality_wrapperINS9_8equal_toIjEEEEPmJSF_EEE10hipError_tPvRmT3_T4_T5_T6_T7_T9_mT8_P12ihipStream_tbDpT10_ENKUlT_T0_E_clISt17integral_constantIbLb0EES17_IbLb1EEEEDaS13_S14_EUlS13_E_NS1_11comp_targetILNS1_3genE4ELNS1_11target_archE910ELNS1_3gpuE8ELNS1_3repE0EEENS1_30default_config_static_selectorELNS0_4arch9wavefront6targetE0EEEvT1_
	.p2align	8
	.type	_ZN7rocprim17ROCPRIM_400000_NS6detail17trampoline_kernelINS0_14default_configENS1_25partition_config_selectorILNS1_17partition_subalgoE9EjjbEEZZNS1_14partition_implILS5_9ELb0ES3_jN6thrust23THRUST_200600_302600_NS6detail15normal_iteratorINS9_10device_ptrIjEEEESE_PNS0_10empty_typeENS0_5tupleIJSE_SF_EEENSH_IJSE_SG_EEENS0_18inequality_wrapperINS9_8equal_toIjEEEEPmJSF_EEE10hipError_tPvRmT3_T4_T5_T6_T7_T9_mT8_P12ihipStream_tbDpT10_ENKUlT_T0_E_clISt17integral_constantIbLb0EES17_IbLb1EEEEDaS13_S14_EUlS13_E_NS1_11comp_targetILNS1_3genE4ELNS1_11target_archE910ELNS1_3gpuE8ELNS1_3repE0EEENS1_30default_config_static_selectorELNS0_4arch9wavefront6targetE0EEEvT1_,@function
_ZN7rocprim17ROCPRIM_400000_NS6detail17trampoline_kernelINS0_14default_configENS1_25partition_config_selectorILNS1_17partition_subalgoE9EjjbEEZZNS1_14partition_implILS5_9ELb0ES3_jN6thrust23THRUST_200600_302600_NS6detail15normal_iteratorINS9_10device_ptrIjEEEESE_PNS0_10empty_typeENS0_5tupleIJSE_SF_EEENSH_IJSE_SG_EEENS0_18inequality_wrapperINS9_8equal_toIjEEEEPmJSF_EEE10hipError_tPvRmT3_T4_T5_T6_T7_T9_mT8_P12ihipStream_tbDpT10_ENKUlT_T0_E_clISt17integral_constantIbLb0EES17_IbLb1EEEEDaS13_S14_EUlS13_E_NS1_11comp_targetILNS1_3genE4ELNS1_11target_archE910ELNS1_3gpuE8ELNS1_3repE0EEENS1_30default_config_static_selectorELNS0_4arch9wavefront6targetE0EEEvT1_: ; @_ZN7rocprim17ROCPRIM_400000_NS6detail17trampoline_kernelINS0_14default_configENS1_25partition_config_selectorILNS1_17partition_subalgoE9EjjbEEZZNS1_14partition_implILS5_9ELb0ES3_jN6thrust23THRUST_200600_302600_NS6detail15normal_iteratorINS9_10device_ptrIjEEEESE_PNS0_10empty_typeENS0_5tupleIJSE_SF_EEENSH_IJSE_SG_EEENS0_18inequality_wrapperINS9_8equal_toIjEEEEPmJSF_EEE10hipError_tPvRmT3_T4_T5_T6_T7_T9_mT8_P12ihipStream_tbDpT10_ENKUlT_T0_E_clISt17integral_constantIbLb0EES17_IbLb1EEEEDaS13_S14_EUlS13_E_NS1_11comp_targetILNS1_3genE4ELNS1_11target_archE910ELNS1_3gpuE8ELNS1_3repE0EEENS1_30default_config_static_selectorELNS0_4arch9wavefront6targetE0EEEvT1_
; %bb.0:
	.section	.rodata,"a",@progbits
	.p2align	6, 0x0
	.amdhsa_kernel _ZN7rocprim17ROCPRIM_400000_NS6detail17trampoline_kernelINS0_14default_configENS1_25partition_config_selectorILNS1_17partition_subalgoE9EjjbEEZZNS1_14partition_implILS5_9ELb0ES3_jN6thrust23THRUST_200600_302600_NS6detail15normal_iteratorINS9_10device_ptrIjEEEESE_PNS0_10empty_typeENS0_5tupleIJSE_SF_EEENSH_IJSE_SG_EEENS0_18inequality_wrapperINS9_8equal_toIjEEEEPmJSF_EEE10hipError_tPvRmT3_T4_T5_T6_T7_T9_mT8_P12ihipStream_tbDpT10_ENKUlT_T0_E_clISt17integral_constantIbLb0EES17_IbLb1EEEEDaS13_S14_EUlS13_E_NS1_11comp_targetILNS1_3genE4ELNS1_11target_archE910ELNS1_3gpuE8ELNS1_3repE0EEENS1_30default_config_static_selectorELNS0_4arch9wavefront6targetE0EEEvT1_
		.amdhsa_group_segment_fixed_size 0
		.amdhsa_private_segment_fixed_size 0
		.amdhsa_kernarg_size 128
		.amdhsa_user_sgpr_count 15
		.amdhsa_user_sgpr_dispatch_ptr 0
		.amdhsa_user_sgpr_queue_ptr 0
		.amdhsa_user_sgpr_kernarg_segment_ptr 1
		.amdhsa_user_sgpr_dispatch_id 0
		.amdhsa_user_sgpr_private_segment_size 0
		.amdhsa_wavefront_size32 1
		.amdhsa_uses_dynamic_stack 0
		.amdhsa_enable_private_segment 0
		.amdhsa_system_sgpr_workgroup_id_x 1
		.amdhsa_system_sgpr_workgroup_id_y 0
		.amdhsa_system_sgpr_workgroup_id_z 0
		.amdhsa_system_sgpr_workgroup_info 0
		.amdhsa_system_vgpr_workitem_id 0
		.amdhsa_next_free_vgpr 1
		.amdhsa_next_free_sgpr 1
		.amdhsa_reserve_vcc 0
		.amdhsa_float_round_mode_32 0
		.amdhsa_float_round_mode_16_64 0
		.amdhsa_float_denorm_mode_32 3
		.amdhsa_float_denorm_mode_16_64 3
		.amdhsa_dx10_clamp 1
		.amdhsa_ieee_mode 1
		.amdhsa_fp16_overflow 0
		.amdhsa_workgroup_processor_mode 1
		.amdhsa_memory_ordered 1
		.amdhsa_forward_progress 0
		.amdhsa_shared_vgpr_count 0
		.amdhsa_exception_fp_ieee_invalid_op 0
		.amdhsa_exception_fp_denorm_src 0
		.amdhsa_exception_fp_ieee_div_zero 0
		.amdhsa_exception_fp_ieee_overflow 0
		.amdhsa_exception_fp_ieee_underflow 0
		.amdhsa_exception_fp_ieee_inexact 0
		.amdhsa_exception_int_div_zero 0
	.end_amdhsa_kernel
	.section	.text._ZN7rocprim17ROCPRIM_400000_NS6detail17trampoline_kernelINS0_14default_configENS1_25partition_config_selectorILNS1_17partition_subalgoE9EjjbEEZZNS1_14partition_implILS5_9ELb0ES3_jN6thrust23THRUST_200600_302600_NS6detail15normal_iteratorINS9_10device_ptrIjEEEESE_PNS0_10empty_typeENS0_5tupleIJSE_SF_EEENSH_IJSE_SG_EEENS0_18inequality_wrapperINS9_8equal_toIjEEEEPmJSF_EEE10hipError_tPvRmT3_T4_T5_T6_T7_T9_mT8_P12ihipStream_tbDpT10_ENKUlT_T0_E_clISt17integral_constantIbLb0EES17_IbLb1EEEEDaS13_S14_EUlS13_E_NS1_11comp_targetILNS1_3genE4ELNS1_11target_archE910ELNS1_3gpuE8ELNS1_3repE0EEENS1_30default_config_static_selectorELNS0_4arch9wavefront6targetE0EEEvT1_,"axG",@progbits,_ZN7rocprim17ROCPRIM_400000_NS6detail17trampoline_kernelINS0_14default_configENS1_25partition_config_selectorILNS1_17partition_subalgoE9EjjbEEZZNS1_14partition_implILS5_9ELb0ES3_jN6thrust23THRUST_200600_302600_NS6detail15normal_iteratorINS9_10device_ptrIjEEEESE_PNS0_10empty_typeENS0_5tupleIJSE_SF_EEENSH_IJSE_SG_EEENS0_18inequality_wrapperINS9_8equal_toIjEEEEPmJSF_EEE10hipError_tPvRmT3_T4_T5_T6_T7_T9_mT8_P12ihipStream_tbDpT10_ENKUlT_T0_E_clISt17integral_constantIbLb0EES17_IbLb1EEEEDaS13_S14_EUlS13_E_NS1_11comp_targetILNS1_3genE4ELNS1_11target_archE910ELNS1_3gpuE8ELNS1_3repE0EEENS1_30default_config_static_selectorELNS0_4arch9wavefront6targetE0EEEvT1_,comdat
.Lfunc_end236:
	.size	_ZN7rocprim17ROCPRIM_400000_NS6detail17trampoline_kernelINS0_14default_configENS1_25partition_config_selectorILNS1_17partition_subalgoE9EjjbEEZZNS1_14partition_implILS5_9ELb0ES3_jN6thrust23THRUST_200600_302600_NS6detail15normal_iteratorINS9_10device_ptrIjEEEESE_PNS0_10empty_typeENS0_5tupleIJSE_SF_EEENSH_IJSE_SG_EEENS0_18inequality_wrapperINS9_8equal_toIjEEEEPmJSF_EEE10hipError_tPvRmT3_T4_T5_T6_T7_T9_mT8_P12ihipStream_tbDpT10_ENKUlT_T0_E_clISt17integral_constantIbLb0EES17_IbLb1EEEEDaS13_S14_EUlS13_E_NS1_11comp_targetILNS1_3genE4ELNS1_11target_archE910ELNS1_3gpuE8ELNS1_3repE0EEENS1_30default_config_static_selectorELNS0_4arch9wavefront6targetE0EEEvT1_, .Lfunc_end236-_ZN7rocprim17ROCPRIM_400000_NS6detail17trampoline_kernelINS0_14default_configENS1_25partition_config_selectorILNS1_17partition_subalgoE9EjjbEEZZNS1_14partition_implILS5_9ELb0ES3_jN6thrust23THRUST_200600_302600_NS6detail15normal_iteratorINS9_10device_ptrIjEEEESE_PNS0_10empty_typeENS0_5tupleIJSE_SF_EEENSH_IJSE_SG_EEENS0_18inequality_wrapperINS9_8equal_toIjEEEEPmJSF_EEE10hipError_tPvRmT3_T4_T5_T6_T7_T9_mT8_P12ihipStream_tbDpT10_ENKUlT_T0_E_clISt17integral_constantIbLb0EES17_IbLb1EEEEDaS13_S14_EUlS13_E_NS1_11comp_targetILNS1_3genE4ELNS1_11target_archE910ELNS1_3gpuE8ELNS1_3repE0EEENS1_30default_config_static_selectorELNS0_4arch9wavefront6targetE0EEEvT1_
                                        ; -- End function
	.section	.AMDGPU.csdata,"",@progbits
; Kernel info:
; codeLenInByte = 0
; NumSgprs: 0
; NumVgprs: 0
; ScratchSize: 0
; MemoryBound: 0
; FloatMode: 240
; IeeeMode: 1
; LDSByteSize: 0 bytes/workgroup (compile time only)
; SGPRBlocks: 0
; VGPRBlocks: 0
; NumSGPRsForWavesPerEU: 1
; NumVGPRsForWavesPerEU: 1
; Occupancy: 15
; WaveLimiterHint : 0
; COMPUTE_PGM_RSRC2:SCRATCH_EN: 0
; COMPUTE_PGM_RSRC2:USER_SGPR: 15
; COMPUTE_PGM_RSRC2:TRAP_HANDLER: 0
; COMPUTE_PGM_RSRC2:TGID_X_EN: 1
; COMPUTE_PGM_RSRC2:TGID_Y_EN: 0
; COMPUTE_PGM_RSRC2:TGID_Z_EN: 0
; COMPUTE_PGM_RSRC2:TIDIG_COMP_CNT: 0
	.section	.text._ZN7rocprim17ROCPRIM_400000_NS6detail17trampoline_kernelINS0_14default_configENS1_25partition_config_selectorILNS1_17partition_subalgoE9EjjbEEZZNS1_14partition_implILS5_9ELb0ES3_jN6thrust23THRUST_200600_302600_NS6detail15normal_iteratorINS9_10device_ptrIjEEEESE_PNS0_10empty_typeENS0_5tupleIJSE_SF_EEENSH_IJSE_SG_EEENS0_18inequality_wrapperINS9_8equal_toIjEEEEPmJSF_EEE10hipError_tPvRmT3_T4_T5_T6_T7_T9_mT8_P12ihipStream_tbDpT10_ENKUlT_T0_E_clISt17integral_constantIbLb0EES17_IbLb1EEEEDaS13_S14_EUlS13_E_NS1_11comp_targetILNS1_3genE3ELNS1_11target_archE908ELNS1_3gpuE7ELNS1_3repE0EEENS1_30default_config_static_selectorELNS0_4arch9wavefront6targetE0EEEvT1_,"axG",@progbits,_ZN7rocprim17ROCPRIM_400000_NS6detail17trampoline_kernelINS0_14default_configENS1_25partition_config_selectorILNS1_17partition_subalgoE9EjjbEEZZNS1_14partition_implILS5_9ELb0ES3_jN6thrust23THRUST_200600_302600_NS6detail15normal_iteratorINS9_10device_ptrIjEEEESE_PNS0_10empty_typeENS0_5tupleIJSE_SF_EEENSH_IJSE_SG_EEENS0_18inequality_wrapperINS9_8equal_toIjEEEEPmJSF_EEE10hipError_tPvRmT3_T4_T5_T6_T7_T9_mT8_P12ihipStream_tbDpT10_ENKUlT_T0_E_clISt17integral_constantIbLb0EES17_IbLb1EEEEDaS13_S14_EUlS13_E_NS1_11comp_targetILNS1_3genE3ELNS1_11target_archE908ELNS1_3gpuE7ELNS1_3repE0EEENS1_30default_config_static_selectorELNS0_4arch9wavefront6targetE0EEEvT1_,comdat
	.protected	_ZN7rocprim17ROCPRIM_400000_NS6detail17trampoline_kernelINS0_14default_configENS1_25partition_config_selectorILNS1_17partition_subalgoE9EjjbEEZZNS1_14partition_implILS5_9ELb0ES3_jN6thrust23THRUST_200600_302600_NS6detail15normal_iteratorINS9_10device_ptrIjEEEESE_PNS0_10empty_typeENS0_5tupleIJSE_SF_EEENSH_IJSE_SG_EEENS0_18inequality_wrapperINS9_8equal_toIjEEEEPmJSF_EEE10hipError_tPvRmT3_T4_T5_T6_T7_T9_mT8_P12ihipStream_tbDpT10_ENKUlT_T0_E_clISt17integral_constantIbLb0EES17_IbLb1EEEEDaS13_S14_EUlS13_E_NS1_11comp_targetILNS1_3genE3ELNS1_11target_archE908ELNS1_3gpuE7ELNS1_3repE0EEENS1_30default_config_static_selectorELNS0_4arch9wavefront6targetE0EEEvT1_ ; -- Begin function _ZN7rocprim17ROCPRIM_400000_NS6detail17trampoline_kernelINS0_14default_configENS1_25partition_config_selectorILNS1_17partition_subalgoE9EjjbEEZZNS1_14partition_implILS5_9ELb0ES3_jN6thrust23THRUST_200600_302600_NS6detail15normal_iteratorINS9_10device_ptrIjEEEESE_PNS0_10empty_typeENS0_5tupleIJSE_SF_EEENSH_IJSE_SG_EEENS0_18inequality_wrapperINS9_8equal_toIjEEEEPmJSF_EEE10hipError_tPvRmT3_T4_T5_T6_T7_T9_mT8_P12ihipStream_tbDpT10_ENKUlT_T0_E_clISt17integral_constantIbLb0EES17_IbLb1EEEEDaS13_S14_EUlS13_E_NS1_11comp_targetILNS1_3genE3ELNS1_11target_archE908ELNS1_3gpuE7ELNS1_3repE0EEENS1_30default_config_static_selectorELNS0_4arch9wavefront6targetE0EEEvT1_
	.globl	_ZN7rocprim17ROCPRIM_400000_NS6detail17trampoline_kernelINS0_14default_configENS1_25partition_config_selectorILNS1_17partition_subalgoE9EjjbEEZZNS1_14partition_implILS5_9ELb0ES3_jN6thrust23THRUST_200600_302600_NS6detail15normal_iteratorINS9_10device_ptrIjEEEESE_PNS0_10empty_typeENS0_5tupleIJSE_SF_EEENSH_IJSE_SG_EEENS0_18inequality_wrapperINS9_8equal_toIjEEEEPmJSF_EEE10hipError_tPvRmT3_T4_T5_T6_T7_T9_mT8_P12ihipStream_tbDpT10_ENKUlT_T0_E_clISt17integral_constantIbLb0EES17_IbLb1EEEEDaS13_S14_EUlS13_E_NS1_11comp_targetILNS1_3genE3ELNS1_11target_archE908ELNS1_3gpuE7ELNS1_3repE0EEENS1_30default_config_static_selectorELNS0_4arch9wavefront6targetE0EEEvT1_
	.p2align	8
	.type	_ZN7rocprim17ROCPRIM_400000_NS6detail17trampoline_kernelINS0_14default_configENS1_25partition_config_selectorILNS1_17partition_subalgoE9EjjbEEZZNS1_14partition_implILS5_9ELb0ES3_jN6thrust23THRUST_200600_302600_NS6detail15normal_iteratorINS9_10device_ptrIjEEEESE_PNS0_10empty_typeENS0_5tupleIJSE_SF_EEENSH_IJSE_SG_EEENS0_18inequality_wrapperINS9_8equal_toIjEEEEPmJSF_EEE10hipError_tPvRmT3_T4_T5_T6_T7_T9_mT8_P12ihipStream_tbDpT10_ENKUlT_T0_E_clISt17integral_constantIbLb0EES17_IbLb1EEEEDaS13_S14_EUlS13_E_NS1_11comp_targetILNS1_3genE3ELNS1_11target_archE908ELNS1_3gpuE7ELNS1_3repE0EEENS1_30default_config_static_selectorELNS0_4arch9wavefront6targetE0EEEvT1_,@function
_ZN7rocprim17ROCPRIM_400000_NS6detail17trampoline_kernelINS0_14default_configENS1_25partition_config_selectorILNS1_17partition_subalgoE9EjjbEEZZNS1_14partition_implILS5_9ELb0ES3_jN6thrust23THRUST_200600_302600_NS6detail15normal_iteratorINS9_10device_ptrIjEEEESE_PNS0_10empty_typeENS0_5tupleIJSE_SF_EEENSH_IJSE_SG_EEENS0_18inequality_wrapperINS9_8equal_toIjEEEEPmJSF_EEE10hipError_tPvRmT3_T4_T5_T6_T7_T9_mT8_P12ihipStream_tbDpT10_ENKUlT_T0_E_clISt17integral_constantIbLb0EES17_IbLb1EEEEDaS13_S14_EUlS13_E_NS1_11comp_targetILNS1_3genE3ELNS1_11target_archE908ELNS1_3gpuE7ELNS1_3repE0EEENS1_30default_config_static_selectorELNS0_4arch9wavefront6targetE0EEEvT1_: ; @_ZN7rocprim17ROCPRIM_400000_NS6detail17trampoline_kernelINS0_14default_configENS1_25partition_config_selectorILNS1_17partition_subalgoE9EjjbEEZZNS1_14partition_implILS5_9ELb0ES3_jN6thrust23THRUST_200600_302600_NS6detail15normal_iteratorINS9_10device_ptrIjEEEESE_PNS0_10empty_typeENS0_5tupleIJSE_SF_EEENSH_IJSE_SG_EEENS0_18inequality_wrapperINS9_8equal_toIjEEEEPmJSF_EEE10hipError_tPvRmT3_T4_T5_T6_T7_T9_mT8_P12ihipStream_tbDpT10_ENKUlT_T0_E_clISt17integral_constantIbLb0EES17_IbLb1EEEEDaS13_S14_EUlS13_E_NS1_11comp_targetILNS1_3genE3ELNS1_11target_archE908ELNS1_3gpuE7ELNS1_3repE0EEENS1_30default_config_static_selectorELNS0_4arch9wavefront6targetE0EEEvT1_
; %bb.0:
	.section	.rodata,"a",@progbits
	.p2align	6, 0x0
	.amdhsa_kernel _ZN7rocprim17ROCPRIM_400000_NS6detail17trampoline_kernelINS0_14default_configENS1_25partition_config_selectorILNS1_17partition_subalgoE9EjjbEEZZNS1_14partition_implILS5_9ELb0ES3_jN6thrust23THRUST_200600_302600_NS6detail15normal_iteratorINS9_10device_ptrIjEEEESE_PNS0_10empty_typeENS0_5tupleIJSE_SF_EEENSH_IJSE_SG_EEENS0_18inequality_wrapperINS9_8equal_toIjEEEEPmJSF_EEE10hipError_tPvRmT3_T4_T5_T6_T7_T9_mT8_P12ihipStream_tbDpT10_ENKUlT_T0_E_clISt17integral_constantIbLb0EES17_IbLb1EEEEDaS13_S14_EUlS13_E_NS1_11comp_targetILNS1_3genE3ELNS1_11target_archE908ELNS1_3gpuE7ELNS1_3repE0EEENS1_30default_config_static_selectorELNS0_4arch9wavefront6targetE0EEEvT1_
		.amdhsa_group_segment_fixed_size 0
		.amdhsa_private_segment_fixed_size 0
		.amdhsa_kernarg_size 128
		.amdhsa_user_sgpr_count 15
		.amdhsa_user_sgpr_dispatch_ptr 0
		.amdhsa_user_sgpr_queue_ptr 0
		.amdhsa_user_sgpr_kernarg_segment_ptr 1
		.amdhsa_user_sgpr_dispatch_id 0
		.amdhsa_user_sgpr_private_segment_size 0
		.amdhsa_wavefront_size32 1
		.amdhsa_uses_dynamic_stack 0
		.amdhsa_enable_private_segment 0
		.amdhsa_system_sgpr_workgroup_id_x 1
		.amdhsa_system_sgpr_workgroup_id_y 0
		.amdhsa_system_sgpr_workgroup_id_z 0
		.amdhsa_system_sgpr_workgroup_info 0
		.amdhsa_system_vgpr_workitem_id 0
		.amdhsa_next_free_vgpr 1
		.amdhsa_next_free_sgpr 1
		.amdhsa_reserve_vcc 0
		.amdhsa_float_round_mode_32 0
		.amdhsa_float_round_mode_16_64 0
		.amdhsa_float_denorm_mode_32 3
		.amdhsa_float_denorm_mode_16_64 3
		.amdhsa_dx10_clamp 1
		.amdhsa_ieee_mode 1
		.amdhsa_fp16_overflow 0
		.amdhsa_workgroup_processor_mode 1
		.amdhsa_memory_ordered 1
		.amdhsa_forward_progress 0
		.amdhsa_shared_vgpr_count 0
		.amdhsa_exception_fp_ieee_invalid_op 0
		.amdhsa_exception_fp_denorm_src 0
		.amdhsa_exception_fp_ieee_div_zero 0
		.amdhsa_exception_fp_ieee_overflow 0
		.amdhsa_exception_fp_ieee_underflow 0
		.amdhsa_exception_fp_ieee_inexact 0
		.amdhsa_exception_int_div_zero 0
	.end_amdhsa_kernel
	.section	.text._ZN7rocprim17ROCPRIM_400000_NS6detail17trampoline_kernelINS0_14default_configENS1_25partition_config_selectorILNS1_17partition_subalgoE9EjjbEEZZNS1_14partition_implILS5_9ELb0ES3_jN6thrust23THRUST_200600_302600_NS6detail15normal_iteratorINS9_10device_ptrIjEEEESE_PNS0_10empty_typeENS0_5tupleIJSE_SF_EEENSH_IJSE_SG_EEENS0_18inequality_wrapperINS9_8equal_toIjEEEEPmJSF_EEE10hipError_tPvRmT3_T4_T5_T6_T7_T9_mT8_P12ihipStream_tbDpT10_ENKUlT_T0_E_clISt17integral_constantIbLb0EES17_IbLb1EEEEDaS13_S14_EUlS13_E_NS1_11comp_targetILNS1_3genE3ELNS1_11target_archE908ELNS1_3gpuE7ELNS1_3repE0EEENS1_30default_config_static_selectorELNS0_4arch9wavefront6targetE0EEEvT1_,"axG",@progbits,_ZN7rocprim17ROCPRIM_400000_NS6detail17trampoline_kernelINS0_14default_configENS1_25partition_config_selectorILNS1_17partition_subalgoE9EjjbEEZZNS1_14partition_implILS5_9ELb0ES3_jN6thrust23THRUST_200600_302600_NS6detail15normal_iteratorINS9_10device_ptrIjEEEESE_PNS0_10empty_typeENS0_5tupleIJSE_SF_EEENSH_IJSE_SG_EEENS0_18inequality_wrapperINS9_8equal_toIjEEEEPmJSF_EEE10hipError_tPvRmT3_T4_T5_T6_T7_T9_mT8_P12ihipStream_tbDpT10_ENKUlT_T0_E_clISt17integral_constantIbLb0EES17_IbLb1EEEEDaS13_S14_EUlS13_E_NS1_11comp_targetILNS1_3genE3ELNS1_11target_archE908ELNS1_3gpuE7ELNS1_3repE0EEENS1_30default_config_static_selectorELNS0_4arch9wavefront6targetE0EEEvT1_,comdat
.Lfunc_end237:
	.size	_ZN7rocprim17ROCPRIM_400000_NS6detail17trampoline_kernelINS0_14default_configENS1_25partition_config_selectorILNS1_17partition_subalgoE9EjjbEEZZNS1_14partition_implILS5_9ELb0ES3_jN6thrust23THRUST_200600_302600_NS6detail15normal_iteratorINS9_10device_ptrIjEEEESE_PNS0_10empty_typeENS0_5tupleIJSE_SF_EEENSH_IJSE_SG_EEENS0_18inequality_wrapperINS9_8equal_toIjEEEEPmJSF_EEE10hipError_tPvRmT3_T4_T5_T6_T7_T9_mT8_P12ihipStream_tbDpT10_ENKUlT_T0_E_clISt17integral_constantIbLb0EES17_IbLb1EEEEDaS13_S14_EUlS13_E_NS1_11comp_targetILNS1_3genE3ELNS1_11target_archE908ELNS1_3gpuE7ELNS1_3repE0EEENS1_30default_config_static_selectorELNS0_4arch9wavefront6targetE0EEEvT1_, .Lfunc_end237-_ZN7rocprim17ROCPRIM_400000_NS6detail17trampoline_kernelINS0_14default_configENS1_25partition_config_selectorILNS1_17partition_subalgoE9EjjbEEZZNS1_14partition_implILS5_9ELb0ES3_jN6thrust23THRUST_200600_302600_NS6detail15normal_iteratorINS9_10device_ptrIjEEEESE_PNS0_10empty_typeENS0_5tupleIJSE_SF_EEENSH_IJSE_SG_EEENS0_18inequality_wrapperINS9_8equal_toIjEEEEPmJSF_EEE10hipError_tPvRmT3_T4_T5_T6_T7_T9_mT8_P12ihipStream_tbDpT10_ENKUlT_T0_E_clISt17integral_constantIbLb0EES17_IbLb1EEEEDaS13_S14_EUlS13_E_NS1_11comp_targetILNS1_3genE3ELNS1_11target_archE908ELNS1_3gpuE7ELNS1_3repE0EEENS1_30default_config_static_selectorELNS0_4arch9wavefront6targetE0EEEvT1_
                                        ; -- End function
	.section	.AMDGPU.csdata,"",@progbits
; Kernel info:
; codeLenInByte = 0
; NumSgprs: 0
; NumVgprs: 0
; ScratchSize: 0
; MemoryBound: 0
; FloatMode: 240
; IeeeMode: 1
; LDSByteSize: 0 bytes/workgroup (compile time only)
; SGPRBlocks: 0
; VGPRBlocks: 0
; NumSGPRsForWavesPerEU: 1
; NumVGPRsForWavesPerEU: 1
; Occupancy: 16
; WaveLimiterHint : 0
; COMPUTE_PGM_RSRC2:SCRATCH_EN: 0
; COMPUTE_PGM_RSRC2:USER_SGPR: 15
; COMPUTE_PGM_RSRC2:TRAP_HANDLER: 0
; COMPUTE_PGM_RSRC2:TGID_X_EN: 1
; COMPUTE_PGM_RSRC2:TGID_Y_EN: 0
; COMPUTE_PGM_RSRC2:TGID_Z_EN: 0
; COMPUTE_PGM_RSRC2:TIDIG_COMP_CNT: 0
	.section	.text._ZN7rocprim17ROCPRIM_400000_NS6detail17trampoline_kernelINS0_14default_configENS1_25partition_config_selectorILNS1_17partition_subalgoE9EjjbEEZZNS1_14partition_implILS5_9ELb0ES3_jN6thrust23THRUST_200600_302600_NS6detail15normal_iteratorINS9_10device_ptrIjEEEESE_PNS0_10empty_typeENS0_5tupleIJSE_SF_EEENSH_IJSE_SG_EEENS0_18inequality_wrapperINS9_8equal_toIjEEEEPmJSF_EEE10hipError_tPvRmT3_T4_T5_T6_T7_T9_mT8_P12ihipStream_tbDpT10_ENKUlT_T0_E_clISt17integral_constantIbLb0EES17_IbLb1EEEEDaS13_S14_EUlS13_E_NS1_11comp_targetILNS1_3genE2ELNS1_11target_archE906ELNS1_3gpuE6ELNS1_3repE0EEENS1_30default_config_static_selectorELNS0_4arch9wavefront6targetE0EEEvT1_,"axG",@progbits,_ZN7rocprim17ROCPRIM_400000_NS6detail17trampoline_kernelINS0_14default_configENS1_25partition_config_selectorILNS1_17partition_subalgoE9EjjbEEZZNS1_14partition_implILS5_9ELb0ES3_jN6thrust23THRUST_200600_302600_NS6detail15normal_iteratorINS9_10device_ptrIjEEEESE_PNS0_10empty_typeENS0_5tupleIJSE_SF_EEENSH_IJSE_SG_EEENS0_18inequality_wrapperINS9_8equal_toIjEEEEPmJSF_EEE10hipError_tPvRmT3_T4_T5_T6_T7_T9_mT8_P12ihipStream_tbDpT10_ENKUlT_T0_E_clISt17integral_constantIbLb0EES17_IbLb1EEEEDaS13_S14_EUlS13_E_NS1_11comp_targetILNS1_3genE2ELNS1_11target_archE906ELNS1_3gpuE6ELNS1_3repE0EEENS1_30default_config_static_selectorELNS0_4arch9wavefront6targetE0EEEvT1_,comdat
	.protected	_ZN7rocprim17ROCPRIM_400000_NS6detail17trampoline_kernelINS0_14default_configENS1_25partition_config_selectorILNS1_17partition_subalgoE9EjjbEEZZNS1_14partition_implILS5_9ELb0ES3_jN6thrust23THRUST_200600_302600_NS6detail15normal_iteratorINS9_10device_ptrIjEEEESE_PNS0_10empty_typeENS0_5tupleIJSE_SF_EEENSH_IJSE_SG_EEENS0_18inequality_wrapperINS9_8equal_toIjEEEEPmJSF_EEE10hipError_tPvRmT3_T4_T5_T6_T7_T9_mT8_P12ihipStream_tbDpT10_ENKUlT_T0_E_clISt17integral_constantIbLb0EES17_IbLb1EEEEDaS13_S14_EUlS13_E_NS1_11comp_targetILNS1_3genE2ELNS1_11target_archE906ELNS1_3gpuE6ELNS1_3repE0EEENS1_30default_config_static_selectorELNS0_4arch9wavefront6targetE0EEEvT1_ ; -- Begin function _ZN7rocprim17ROCPRIM_400000_NS6detail17trampoline_kernelINS0_14default_configENS1_25partition_config_selectorILNS1_17partition_subalgoE9EjjbEEZZNS1_14partition_implILS5_9ELb0ES3_jN6thrust23THRUST_200600_302600_NS6detail15normal_iteratorINS9_10device_ptrIjEEEESE_PNS0_10empty_typeENS0_5tupleIJSE_SF_EEENSH_IJSE_SG_EEENS0_18inequality_wrapperINS9_8equal_toIjEEEEPmJSF_EEE10hipError_tPvRmT3_T4_T5_T6_T7_T9_mT8_P12ihipStream_tbDpT10_ENKUlT_T0_E_clISt17integral_constantIbLb0EES17_IbLb1EEEEDaS13_S14_EUlS13_E_NS1_11comp_targetILNS1_3genE2ELNS1_11target_archE906ELNS1_3gpuE6ELNS1_3repE0EEENS1_30default_config_static_selectorELNS0_4arch9wavefront6targetE0EEEvT1_
	.globl	_ZN7rocprim17ROCPRIM_400000_NS6detail17trampoline_kernelINS0_14default_configENS1_25partition_config_selectorILNS1_17partition_subalgoE9EjjbEEZZNS1_14partition_implILS5_9ELb0ES3_jN6thrust23THRUST_200600_302600_NS6detail15normal_iteratorINS9_10device_ptrIjEEEESE_PNS0_10empty_typeENS0_5tupleIJSE_SF_EEENSH_IJSE_SG_EEENS0_18inequality_wrapperINS9_8equal_toIjEEEEPmJSF_EEE10hipError_tPvRmT3_T4_T5_T6_T7_T9_mT8_P12ihipStream_tbDpT10_ENKUlT_T0_E_clISt17integral_constantIbLb0EES17_IbLb1EEEEDaS13_S14_EUlS13_E_NS1_11comp_targetILNS1_3genE2ELNS1_11target_archE906ELNS1_3gpuE6ELNS1_3repE0EEENS1_30default_config_static_selectorELNS0_4arch9wavefront6targetE0EEEvT1_
	.p2align	8
	.type	_ZN7rocprim17ROCPRIM_400000_NS6detail17trampoline_kernelINS0_14default_configENS1_25partition_config_selectorILNS1_17partition_subalgoE9EjjbEEZZNS1_14partition_implILS5_9ELb0ES3_jN6thrust23THRUST_200600_302600_NS6detail15normal_iteratorINS9_10device_ptrIjEEEESE_PNS0_10empty_typeENS0_5tupleIJSE_SF_EEENSH_IJSE_SG_EEENS0_18inequality_wrapperINS9_8equal_toIjEEEEPmJSF_EEE10hipError_tPvRmT3_T4_T5_T6_T7_T9_mT8_P12ihipStream_tbDpT10_ENKUlT_T0_E_clISt17integral_constantIbLb0EES17_IbLb1EEEEDaS13_S14_EUlS13_E_NS1_11comp_targetILNS1_3genE2ELNS1_11target_archE906ELNS1_3gpuE6ELNS1_3repE0EEENS1_30default_config_static_selectorELNS0_4arch9wavefront6targetE0EEEvT1_,@function
_ZN7rocprim17ROCPRIM_400000_NS6detail17trampoline_kernelINS0_14default_configENS1_25partition_config_selectorILNS1_17partition_subalgoE9EjjbEEZZNS1_14partition_implILS5_9ELb0ES3_jN6thrust23THRUST_200600_302600_NS6detail15normal_iteratorINS9_10device_ptrIjEEEESE_PNS0_10empty_typeENS0_5tupleIJSE_SF_EEENSH_IJSE_SG_EEENS0_18inequality_wrapperINS9_8equal_toIjEEEEPmJSF_EEE10hipError_tPvRmT3_T4_T5_T6_T7_T9_mT8_P12ihipStream_tbDpT10_ENKUlT_T0_E_clISt17integral_constantIbLb0EES17_IbLb1EEEEDaS13_S14_EUlS13_E_NS1_11comp_targetILNS1_3genE2ELNS1_11target_archE906ELNS1_3gpuE6ELNS1_3repE0EEENS1_30default_config_static_selectorELNS0_4arch9wavefront6targetE0EEEvT1_: ; @_ZN7rocprim17ROCPRIM_400000_NS6detail17trampoline_kernelINS0_14default_configENS1_25partition_config_selectorILNS1_17partition_subalgoE9EjjbEEZZNS1_14partition_implILS5_9ELb0ES3_jN6thrust23THRUST_200600_302600_NS6detail15normal_iteratorINS9_10device_ptrIjEEEESE_PNS0_10empty_typeENS0_5tupleIJSE_SF_EEENSH_IJSE_SG_EEENS0_18inequality_wrapperINS9_8equal_toIjEEEEPmJSF_EEE10hipError_tPvRmT3_T4_T5_T6_T7_T9_mT8_P12ihipStream_tbDpT10_ENKUlT_T0_E_clISt17integral_constantIbLb0EES17_IbLb1EEEEDaS13_S14_EUlS13_E_NS1_11comp_targetILNS1_3genE2ELNS1_11target_archE906ELNS1_3gpuE6ELNS1_3repE0EEENS1_30default_config_static_selectorELNS0_4arch9wavefront6targetE0EEEvT1_
; %bb.0:
	.section	.rodata,"a",@progbits
	.p2align	6, 0x0
	.amdhsa_kernel _ZN7rocprim17ROCPRIM_400000_NS6detail17trampoline_kernelINS0_14default_configENS1_25partition_config_selectorILNS1_17partition_subalgoE9EjjbEEZZNS1_14partition_implILS5_9ELb0ES3_jN6thrust23THRUST_200600_302600_NS6detail15normal_iteratorINS9_10device_ptrIjEEEESE_PNS0_10empty_typeENS0_5tupleIJSE_SF_EEENSH_IJSE_SG_EEENS0_18inequality_wrapperINS9_8equal_toIjEEEEPmJSF_EEE10hipError_tPvRmT3_T4_T5_T6_T7_T9_mT8_P12ihipStream_tbDpT10_ENKUlT_T0_E_clISt17integral_constantIbLb0EES17_IbLb1EEEEDaS13_S14_EUlS13_E_NS1_11comp_targetILNS1_3genE2ELNS1_11target_archE906ELNS1_3gpuE6ELNS1_3repE0EEENS1_30default_config_static_selectorELNS0_4arch9wavefront6targetE0EEEvT1_
		.amdhsa_group_segment_fixed_size 0
		.amdhsa_private_segment_fixed_size 0
		.amdhsa_kernarg_size 128
		.amdhsa_user_sgpr_count 15
		.amdhsa_user_sgpr_dispatch_ptr 0
		.amdhsa_user_sgpr_queue_ptr 0
		.amdhsa_user_sgpr_kernarg_segment_ptr 1
		.amdhsa_user_sgpr_dispatch_id 0
		.amdhsa_user_sgpr_private_segment_size 0
		.amdhsa_wavefront_size32 1
		.amdhsa_uses_dynamic_stack 0
		.amdhsa_enable_private_segment 0
		.amdhsa_system_sgpr_workgroup_id_x 1
		.amdhsa_system_sgpr_workgroup_id_y 0
		.amdhsa_system_sgpr_workgroup_id_z 0
		.amdhsa_system_sgpr_workgroup_info 0
		.amdhsa_system_vgpr_workitem_id 0
		.amdhsa_next_free_vgpr 1
		.amdhsa_next_free_sgpr 1
		.amdhsa_reserve_vcc 0
		.amdhsa_float_round_mode_32 0
		.amdhsa_float_round_mode_16_64 0
		.amdhsa_float_denorm_mode_32 3
		.amdhsa_float_denorm_mode_16_64 3
		.amdhsa_dx10_clamp 1
		.amdhsa_ieee_mode 1
		.amdhsa_fp16_overflow 0
		.amdhsa_workgroup_processor_mode 1
		.amdhsa_memory_ordered 1
		.amdhsa_forward_progress 0
		.amdhsa_shared_vgpr_count 0
		.amdhsa_exception_fp_ieee_invalid_op 0
		.amdhsa_exception_fp_denorm_src 0
		.amdhsa_exception_fp_ieee_div_zero 0
		.amdhsa_exception_fp_ieee_overflow 0
		.amdhsa_exception_fp_ieee_underflow 0
		.amdhsa_exception_fp_ieee_inexact 0
		.amdhsa_exception_int_div_zero 0
	.end_amdhsa_kernel
	.section	.text._ZN7rocprim17ROCPRIM_400000_NS6detail17trampoline_kernelINS0_14default_configENS1_25partition_config_selectorILNS1_17partition_subalgoE9EjjbEEZZNS1_14partition_implILS5_9ELb0ES3_jN6thrust23THRUST_200600_302600_NS6detail15normal_iteratorINS9_10device_ptrIjEEEESE_PNS0_10empty_typeENS0_5tupleIJSE_SF_EEENSH_IJSE_SG_EEENS0_18inequality_wrapperINS9_8equal_toIjEEEEPmJSF_EEE10hipError_tPvRmT3_T4_T5_T6_T7_T9_mT8_P12ihipStream_tbDpT10_ENKUlT_T0_E_clISt17integral_constantIbLb0EES17_IbLb1EEEEDaS13_S14_EUlS13_E_NS1_11comp_targetILNS1_3genE2ELNS1_11target_archE906ELNS1_3gpuE6ELNS1_3repE0EEENS1_30default_config_static_selectorELNS0_4arch9wavefront6targetE0EEEvT1_,"axG",@progbits,_ZN7rocprim17ROCPRIM_400000_NS6detail17trampoline_kernelINS0_14default_configENS1_25partition_config_selectorILNS1_17partition_subalgoE9EjjbEEZZNS1_14partition_implILS5_9ELb0ES3_jN6thrust23THRUST_200600_302600_NS6detail15normal_iteratorINS9_10device_ptrIjEEEESE_PNS0_10empty_typeENS0_5tupleIJSE_SF_EEENSH_IJSE_SG_EEENS0_18inequality_wrapperINS9_8equal_toIjEEEEPmJSF_EEE10hipError_tPvRmT3_T4_T5_T6_T7_T9_mT8_P12ihipStream_tbDpT10_ENKUlT_T0_E_clISt17integral_constantIbLb0EES17_IbLb1EEEEDaS13_S14_EUlS13_E_NS1_11comp_targetILNS1_3genE2ELNS1_11target_archE906ELNS1_3gpuE6ELNS1_3repE0EEENS1_30default_config_static_selectorELNS0_4arch9wavefront6targetE0EEEvT1_,comdat
.Lfunc_end238:
	.size	_ZN7rocprim17ROCPRIM_400000_NS6detail17trampoline_kernelINS0_14default_configENS1_25partition_config_selectorILNS1_17partition_subalgoE9EjjbEEZZNS1_14partition_implILS5_9ELb0ES3_jN6thrust23THRUST_200600_302600_NS6detail15normal_iteratorINS9_10device_ptrIjEEEESE_PNS0_10empty_typeENS0_5tupleIJSE_SF_EEENSH_IJSE_SG_EEENS0_18inequality_wrapperINS9_8equal_toIjEEEEPmJSF_EEE10hipError_tPvRmT3_T4_T5_T6_T7_T9_mT8_P12ihipStream_tbDpT10_ENKUlT_T0_E_clISt17integral_constantIbLb0EES17_IbLb1EEEEDaS13_S14_EUlS13_E_NS1_11comp_targetILNS1_3genE2ELNS1_11target_archE906ELNS1_3gpuE6ELNS1_3repE0EEENS1_30default_config_static_selectorELNS0_4arch9wavefront6targetE0EEEvT1_, .Lfunc_end238-_ZN7rocprim17ROCPRIM_400000_NS6detail17trampoline_kernelINS0_14default_configENS1_25partition_config_selectorILNS1_17partition_subalgoE9EjjbEEZZNS1_14partition_implILS5_9ELb0ES3_jN6thrust23THRUST_200600_302600_NS6detail15normal_iteratorINS9_10device_ptrIjEEEESE_PNS0_10empty_typeENS0_5tupleIJSE_SF_EEENSH_IJSE_SG_EEENS0_18inequality_wrapperINS9_8equal_toIjEEEEPmJSF_EEE10hipError_tPvRmT3_T4_T5_T6_T7_T9_mT8_P12ihipStream_tbDpT10_ENKUlT_T0_E_clISt17integral_constantIbLb0EES17_IbLb1EEEEDaS13_S14_EUlS13_E_NS1_11comp_targetILNS1_3genE2ELNS1_11target_archE906ELNS1_3gpuE6ELNS1_3repE0EEENS1_30default_config_static_selectorELNS0_4arch9wavefront6targetE0EEEvT1_
                                        ; -- End function
	.section	.AMDGPU.csdata,"",@progbits
; Kernel info:
; codeLenInByte = 0
; NumSgprs: 0
; NumVgprs: 0
; ScratchSize: 0
; MemoryBound: 0
; FloatMode: 240
; IeeeMode: 1
; LDSByteSize: 0 bytes/workgroup (compile time only)
; SGPRBlocks: 0
; VGPRBlocks: 0
; NumSGPRsForWavesPerEU: 1
; NumVGPRsForWavesPerEU: 1
; Occupancy: 16
; WaveLimiterHint : 0
; COMPUTE_PGM_RSRC2:SCRATCH_EN: 0
; COMPUTE_PGM_RSRC2:USER_SGPR: 15
; COMPUTE_PGM_RSRC2:TRAP_HANDLER: 0
; COMPUTE_PGM_RSRC2:TGID_X_EN: 1
; COMPUTE_PGM_RSRC2:TGID_Y_EN: 0
; COMPUTE_PGM_RSRC2:TGID_Z_EN: 0
; COMPUTE_PGM_RSRC2:TIDIG_COMP_CNT: 0
	.section	.text._ZN7rocprim17ROCPRIM_400000_NS6detail17trampoline_kernelINS0_14default_configENS1_25partition_config_selectorILNS1_17partition_subalgoE9EjjbEEZZNS1_14partition_implILS5_9ELb0ES3_jN6thrust23THRUST_200600_302600_NS6detail15normal_iteratorINS9_10device_ptrIjEEEESE_PNS0_10empty_typeENS0_5tupleIJSE_SF_EEENSH_IJSE_SG_EEENS0_18inequality_wrapperINS9_8equal_toIjEEEEPmJSF_EEE10hipError_tPvRmT3_T4_T5_T6_T7_T9_mT8_P12ihipStream_tbDpT10_ENKUlT_T0_E_clISt17integral_constantIbLb0EES17_IbLb1EEEEDaS13_S14_EUlS13_E_NS1_11comp_targetILNS1_3genE10ELNS1_11target_archE1200ELNS1_3gpuE4ELNS1_3repE0EEENS1_30default_config_static_selectorELNS0_4arch9wavefront6targetE0EEEvT1_,"axG",@progbits,_ZN7rocprim17ROCPRIM_400000_NS6detail17trampoline_kernelINS0_14default_configENS1_25partition_config_selectorILNS1_17partition_subalgoE9EjjbEEZZNS1_14partition_implILS5_9ELb0ES3_jN6thrust23THRUST_200600_302600_NS6detail15normal_iteratorINS9_10device_ptrIjEEEESE_PNS0_10empty_typeENS0_5tupleIJSE_SF_EEENSH_IJSE_SG_EEENS0_18inequality_wrapperINS9_8equal_toIjEEEEPmJSF_EEE10hipError_tPvRmT3_T4_T5_T6_T7_T9_mT8_P12ihipStream_tbDpT10_ENKUlT_T0_E_clISt17integral_constantIbLb0EES17_IbLb1EEEEDaS13_S14_EUlS13_E_NS1_11comp_targetILNS1_3genE10ELNS1_11target_archE1200ELNS1_3gpuE4ELNS1_3repE0EEENS1_30default_config_static_selectorELNS0_4arch9wavefront6targetE0EEEvT1_,comdat
	.protected	_ZN7rocprim17ROCPRIM_400000_NS6detail17trampoline_kernelINS0_14default_configENS1_25partition_config_selectorILNS1_17partition_subalgoE9EjjbEEZZNS1_14partition_implILS5_9ELb0ES3_jN6thrust23THRUST_200600_302600_NS6detail15normal_iteratorINS9_10device_ptrIjEEEESE_PNS0_10empty_typeENS0_5tupleIJSE_SF_EEENSH_IJSE_SG_EEENS0_18inequality_wrapperINS9_8equal_toIjEEEEPmJSF_EEE10hipError_tPvRmT3_T4_T5_T6_T7_T9_mT8_P12ihipStream_tbDpT10_ENKUlT_T0_E_clISt17integral_constantIbLb0EES17_IbLb1EEEEDaS13_S14_EUlS13_E_NS1_11comp_targetILNS1_3genE10ELNS1_11target_archE1200ELNS1_3gpuE4ELNS1_3repE0EEENS1_30default_config_static_selectorELNS0_4arch9wavefront6targetE0EEEvT1_ ; -- Begin function _ZN7rocprim17ROCPRIM_400000_NS6detail17trampoline_kernelINS0_14default_configENS1_25partition_config_selectorILNS1_17partition_subalgoE9EjjbEEZZNS1_14partition_implILS5_9ELb0ES3_jN6thrust23THRUST_200600_302600_NS6detail15normal_iteratorINS9_10device_ptrIjEEEESE_PNS0_10empty_typeENS0_5tupleIJSE_SF_EEENSH_IJSE_SG_EEENS0_18inequality_wrapperINS9_8equal_toIjEEEEPmJSF_EEE10hipError_tPvRmT3_T4_T5_T6_T7_T9_mT8_P12ihipStream_tbDpT10_ENKUlT_T0_E_clISt17integral_constantIbLb0EES17_IbLb1EEEEDaS13_S14_EUlS13_E_NS1_11comp_targetILNS1_3genE10ELNS1_11target_archE1200ELNS1_3gpuE4ELNS1_3repE0EEENS1_30default_config_static_selectorELNS0_4arch9wavefront6targetE0EEEvT1_
	.globl	_ZN7rocprim17ROCPRIM_400000_NS6detail17trampoline_kernelINS0_14default_configENS1_25partition_config_selectorILNS1_17partition_subalgoE9EjjbEEZZNS1_14partition_implILS5_9ELb0ES3_jN6thrust23THRUST_200600_302600_NS6detail15normal_iteratorINS9_10device_ptrIjEEEESE_PNS0_10empty_typeENS0_5tupleIJSE_SF_EEENSH_IJSE_SG_EEENS0_18inequality_wrapperINS9_8equal_toIjEEEEPmJSF_EEE10hipError_tPvRmT3_T4_T5_T6_T7_T9_mT8_P12ihipStream_tbDpT10_ENKUlT_T0_E_clISt17integral_constantIbLb0EES17_IbLb1EEEEDaS13_S14_EUlS13_E_NS1_11comp_targetILNS1_3genE10ELNS1_11target_archE1200ELNS1_3gpuE4ELNS1_3repE0EEENS1_30default_config_static_selectorELNS0_4arch9wavefront6targetE0EEEvT1_
	.p2align	8
	.type	_ZN7rocprim17ROCPRIM_400000_NS6detail17trampoline_kernelINS0_14default_configENS1_25partition_config_selectorILNS1_17partition_subalgoE9EjjbEEZZNS1_14partition_implILS5_9ELb0ES3_jN6thrust23THRUST_200600_302600_NS6detail15normal_iteratorINS9_10device_ptrIjEEEESE_PNS0_10empty_typeENS0_5tupleIJSE_SF_EEENSH_IJSE_SG_EEENS0_18inequality_wrapperINS9_8equal_toIjEEEEPmJSF_EEE10hipError_tPvRmT3_T4_T5_T6_T7_T9_mT8_P12ihipStream_tbDpT10_ENKUlT_T0_E_clISt17integral_constantIbLb0EES17_IbLb1EEEEDaS13_S14_EUlS13_E_NS1_11comp_targetILNS1_3genE10ELNS1_11target_archE1200ELNS1_3gpuE4ELNS1_3repE0EEENS1_30default_config_static_selectorELNS0_4arch9wavefront6targetE0EEEvT1_,@function
_ZN7rocprim17ROCPRIM_400000_NS6detail17trampoline_kernelINS0_14default_configENS1_25partition_config_selectorILNS1_17partition_subalgoE9EjjbEEZZNS1_14partition_implILS5_9ELb0ES3_jN6thrust23THRUST_200600_302600_NS6detail15normal_iteratorINS9_10device_ptrIjEEEESE_PNS0_10empty_typeENS0_5tupleIJSE_SF_EEENSH_IJSE_SG_EEENS0_18inequality_wrapperINS9_8equal_toIjEEEEPmJSF_EEE10hipError_tPvRmT3_T4_T5_T6_T7_T9_mT8_P12ihipStream_tbDpT10_ENKUlT_T0_E_clISt17integral_constantIbLb0EES17_IbLb1EEEEDaS13_S14_EUlS13_E_NS1_11comp_targetILNS1_3genE10ELNS1_11target_archE1200ELNS1_3gpuE4ELNS1_3repE0EEENS1_30default_config_static_selectorELNS0_4arch9wavefront6targetE0EEEvT1_: ; @_ZN7rocprim17ROCPRIM_400000_NS6detail17trampoline_kernelINS0_14default_configENS1_25partition_config_selectorILNS1_17partition_subalgoE9EjjbEEZZNS1_14partition_implILS5_9ELb0ES3_jN6thrust23THRUST_200600_302600_NS6detail15normal_iteratorINS9_10device_ptrIjEEEESE_PNS0_10empty_typeENS0_5tupleIJSE_SF_EEENSH_IJSE_SG_EEENS0_18inequality_wrapperINS9_8equal_toIjEEEEPmJSF_EEE10hipError_tPvRmT3_T4_T5_T6_T7_T9_mT8_P12ihipStream_tbDpT10_ENKUlT_T0_E_clISt17integral_constantIbLb0EES17_IbLb1EEEEDaS13_S14_EUlS13_E_NS1_11comp_targetILNS1_3genE10ELNS1_11target_archE1200ELNS1_3gpuE4ELNS1_3repE0EEENS1_30default_config_static_selectorELNS0_4arch9wavefront6targetE0EEEvT1_
; %bb.0:
	.section	.rodata,"a",@progbits
	.p2align	6, 0x0
	.amdhsa_kernel _ZN7rocprim17ROCPRIM_400000_NS6detail17trampoline_kernelINS0_14default_configENS1_25partition_config_selectorILNS1_17partition_subalgoE9EjjbEEZZNS1_14partition_implILS5_9ELb0ES3_jN6thrust23THRUST_200600_302600_NS6detail15normal_iteratorINS9_10device_ptrIjEEEESE_PNS0_10empty_typeENS0_5tupleIJSE_SF_EEENSH_IJSE_SG_EEENS0_18inequality_wrapperINS9_8equal_toIjEEEEPmJSF_EEE10hipError_tPvRmT3_T4_T5_T6_T7_T9_mT8_P12ihipStream_tbDpT10_ENKUlT_T0_E_clISt17integral_constantIbLb0EES17_IbLb1EEEEDaS13_S14_EUlS13_E_NS1_11comp_targetILNS1_3genE10ELNS1_11target_archE1200ELNS1_3gpuE4ELNS1_3repE0EEENS1_30default_config_static_selectorELNS0_4arch9wavefront6targetE0EEEvT1_
		.amdhsa_group_segment_fixed_size 0
		.amdhsa_private_segment_fixed_size 0
		.amdhsa_kernarg_size 128
		.amdhsa_user_sgpr_count 15
		.amdhsa_user_sgpr_dispatch_ptr 0
		.amdhsa_user_sgpr_queue_ptr 0
		.amdhsa_user_sgpr_kernarg_segment_ptr 1
		.amdhsa_user_sgpr_dispatch_id 0
		.amdhsa_user_sgpr_private_segment_size 0
		.amdhsa_wavefront_size32 1
		.amdhsa_uses_dynamic_stack 0
		.amdhsa_enable_private_segment 0
		.amdhsa_system_sgpr_workgroup_id_x 1
		.amdhsa_system_sgpr_workgroup_id_y 0
		.amdhsa_system_sgpr_workgroup_id_z 0
		.amdhsa_system_sgpr_workgroup_info 0
		.amdhsa_system_vgpr_workitem_id 0
		.amdhsa_next_free_vgpr 1
		.amdhsa_next_free_sgpr 1
		.amdhsa_reserve_vcc 0
		.amdhsa_float_round_mode_32 0
		.amdhsa_float_round_mode_16_64 0
		.amdhsa_float_denorm_mode_32 3
		.amdhsa_float_denorm_mode_16_64 3
		.amdhsa_dx10_clamp 1
		.amdhsa_ieee_mode 1
		.amdhsa_fp16_overflow 0
		.amdhsa_workgroup_processor_mode 1
		.amdhsa_memory_ordered 1
		.amdhsa_forward_progress 0
		.amdhsa_shared_vgpr_count 0
		.amdhsa_exception_fp_ieee_invalid_op 0
		.amdhsa_exception_fp_denorm_src 0
		.amdhsa_exception_fp_ieee_div_zero 0
		.amdhsa_exception_fp_ieee_overflow 0
		.amdhsa_exception_fp_ieee_underflow 0
		.amdhsa_exception_fp_ieee_inexact 0
		.amdhsa_exception_int_div_zero 0
	.end_amdhsa_kernel
	.section	.text._ZN7rocprim17ROCPRIM_400000_NS6detail17trampoline_kernelINS0_14default_configENS1_25partition_config_selectorILNS1_17partition_subalgoE9EjjbEEZZNS1_14partition_implILS5_9ELb0ES3_jN6thrust23THRUST_200600_302600_NS6detail15normal_iteratorINS9_10device_ptrIjEEEESE_PNS0_10empty_typeENS0_5tupleIJSE_SF_EEENSH_IJSE_SG_EEENS0_18inequality_wrapperINS9_8equal_toIjEEEEPmJSF_EEE10hipError_tPvRmT3_T4_T5_T6_T7_T9_mT8_P12ihipStream_tbDpT10_ENKUlT_T0_E_clISt17integral_constantIbLb0EES17_IbLb1EEEEDaS13_S14_EUlS13_E_NS1_11comp_targetILNS1_3genE10ELNS1_11target_archE1200ELNS1_3gpuE4ELNS1_3repE0EEENS1_30default_config_static_selectorELNS0_4arch9wavefront6targetE0EEEvT1_,"axG",@progbits,_ZN7rocprim17ROCPRIM_400000_NS6detail17trampoline_kernelINS0_14default_configENS1_25partition_config_selectorILNS1_17partition_subalgoE9EjjbEEZZNS1_14partition_implILS5_9ELb0ES3_jN6thrust23THRUST_200600_302600_NS6detail15normal_iteratorINS9_10device_ptrIjEEEESE_PNS0_10empty_typeENS0_5tupleIJSE_SF_EEENSH_IJSE_SG_EEENS0_18inequality_wrapperINS9_8equal_toIjEEEEPmJSF_EEE10hipError_tPvRmT3_T4_T5_T6_T7_T9_mT8_P12ihipStream_tbDpT10_ENKUlT_T0_E_clISt17integral_constantIbLb0EES17_IbLb1EEEEDaS13_S14_EUlS13_E_NS1_11comp_targetILNS1_3genE10ELNS1_11target_archE1200ELNS1_3gpuE4ELNS1_3repE0EEENS1_30default_config_static_selectorELNS0_4arch9wavefront6targetE0EEEvT1_,comdat
.Lfunc_end239:
	.size	_ZN7rocprim17ROCPRIM_400000_NS6detail17trampoline_kernelINS0_14default_configENS1_25partition_config_selectorILNS1_17partition_subalgoE9EjjbEEZZNS1_14partition_implILS5_9ELb0ES3_jN6thrust23THRUST_200600_302600_NS6detail15normal_iteratorINS9_10device_ptrIjEEEESE_PNS0_10empty_typeENS0_5tupleIJSE_SF_EEENSH_IJSE_SG_EEENS0_18inequality_wrapperINS9_8equal_toIjEEEEPmJSF_EEE10hipError_tPvRmT3_T4_T5_T6_T7_T9_mT8_P12ihipStream_tbDpT10_ENKUlT_T0_E_clISt17integral_constantIbLb0EES17_IbLb1EEEEDaS13_S14_EUlS13_E_NS1_11comp_targetILNS1_3genE10ELNS1_11target_archE1200ELNS1_3gpuE4ELNS1_3repE0EEENS1_30default_config_static_selectorELNS0_4arch9wavefront6targetE0EEEvT1_, .Lfunc_end239-_ZN7rocprim17ROCPRIM_400000_NS6detail17trampoline_kernelINS0_14default_configENS1_25partition_config_selectorILNS1_17partition_subalgoE9EjjbEEZZNS1_14partition_implILS5_9ELb0ES3_jN6thrust23THRUST_200600_302600_NS6detail15normal_iteratorINS9_10device_ptrIjEEEESE_PNS0_10empty_typeENS0_5tupleIJSE_SF_EEENSH_IJSE_SG_EEENS0_18inequality_wrapperINS9_8equal_toIjEEEEPmJSF_EEE10hipError_tPvRmT3_T4_T5_T6_T7_T9_mT8_P12ihipStream_tbDpT10_ENKUlT_T0_E_clISt17integral_constantIbLb0EES17_IbLb1EEEEDaS13_S14_EUlS13_E_NS1_11comp_targetILNS1_3genE10ELNS1_11target_archE1200ELNS1_3gpuE4ELNS1_3repE0EEENS1_30default_config_static_selectorELNS0_4arch9wavefront6targetE0EEEvT1_
                                        ; -- End function
	.section	.AMDGPU.csdata,"",@progbits
; Kernel info:
; codeLenInByte = 0
; NumSgprs: 0
; NumVgprs: 0
; ScratchSize: 0
; MemoryBound: 0
; FloatMode: 240
; IeeeMode: 1
; LDSByteSize: 0 bytes/workgroup (compile time only)
; SGPRBlocks: 0
; VGPRBlocks: 0
; NumSGPRsForWavesPerEU: 1
; NumVGPRsForWavesPerEU: 1
; Occupancy: 15
; WaveLimiterHint : 0
; COMPUTE_PGM_RSRC2:SCRATCH_EN: 0
; COMPUTE_PGM_RSRC2:USER_SGPR: 15
; COMPUTE_PGM_RSRC2:TRAP_HANDLER: 0
; COMPUTE_PGM_RSRC2:TGID_X_EN: 1
; COMPUTE_PGM_RSRC2:TGID_Y_EN: 0
; COMPUTE_PGM_RSRC2:TGID_Z_EN: 0
; COMPUTE_PGM_RSRC2:TIDIG_COMP_CNT: 0
	.section	.text._ZN7rocprim17ROCPRIM_400000_NS6detail17trampoline_kernelINS0_14default_configENS1_25partition_config_selectorILNS1_17partition_subalgoE9EjjbEEZZNS1_14partition_implILS5_9ELb0ES3_jN6thrust23THRUST_200600_302600_NS6detail15normal_iteratorINS9_10device_ptrIjEEEESE_PNS0_10empty_typeENS0_5tupleIJSE_SF_EEENSH_IJSE_SG_EEENS0_18inequality_wrapperINS9_8equal_toIjEEEEPmJSF_EEE10hipError_tPvRmT3_T4_T5_T6_T7_T9_mT8_P12ihipStream_tbDpT10_ENKUlT_T0_E_clISt17integral_constantIbLb0EES17_IbLb1EEEEDaS13_S14_EUlS13_E_NS1_11comp_targetILNS1_3genE9ELNS1_11target_archE1100ELNS1_3gpuE3ELNS1_3repE0EEENS1_30default_config_static_selectorELNS0_4arch9wavefront6targetE0EEEvT1_,"axG",@progbits,_ZN7rocprim17ROCPRIM_400000_NS6detail17trampoline_kernelINS0_14default_configENS1_25partition_config_selectorILNS1_17partition_subalgoE9EjjbEEZZNS1_14partition_implILS5_9ELb0ES3_jN6thrust23THRUST_200600_302600_NS6detail15normal_iteratorINS9_10device_ptrIjEEEESE_PNS0_10empty_typeENS0_5tupleIJSE_SF_EEENSH_IJSE_SG_EEENS0_18inequality_wrapperINS9_8equal_toIjEEEEPmJSF_EEE10hipError_tPvRmT3_T4_T5_T6_T7_T9_mT8_P12ihipStream_tbDpT10_ENKUlT_T0_E_clISt17integral_constantIbLb0EES17_IbLb1EEEEDaS13_S14_EUlS13_E_NS1_11comp_targetILNS1_3genE9ELNS1_11target_archE1100ELNS1_3gpuE3ELNS1_3repE0EEENS1_30default_config_static_selectorELNS0_4arch9wavefront6targetE0EEEvT1_,comdat
	.protected	_ZN7rocprim17ROCPRIM_400000_NS6detail17trampoline_kernelINS0_14default_configENS1_25partition_config_selectorILNS1_17partition_subalgoE9EjjbEEZZNS1_14partition_implILS5_9ELb0ES3_jN6thrust23THRUST_200600_302600_NS6detail15normal_iteratorINS9_10device_ptrIjEEEESE_PNS0_10empty_typeENS0_5tupleIJSE_SF_EEENSH_IJSE_SG_EEENS0_18inequality_wrapperINS9_8equal_toIjEEEEPmJSF_EEE10hipError_tPvRmT3_T4_T5_T6_T7_T9_mT8_P12ihipStream_tbDpT10_ENKUlT_T0_E_clISt17integral_constantIbLb0EES17_IbLb1EEEEDaS13_S14_EUlS13_E_NS1_11comp_targetILNS1_3genE9ELNS1_11target_archE1100ELNS1_3gpuE3ELNS1_3repE0EEENS1_30default_config_static_selectorELNS0_4arch9wavefront6targetE0EEEvT1_ ; -- Begin function _ZN7rocprim17ROCPRIM_400000_NS6detail17trampoline_kernelINS0_14default_configENS1_25partition_config_selectorILNS1_17partition_subalgoE9EjjbEEZZNS1_14partition_implILS5_9ELb0ES3_jN6thrust23THRUST_200600_302600_NS6detail15normal_iteratorINS9_10device_ptrIjEEEESE_PNS0_10empty_typeENS0_5tupleIJSE_SF_EEENSH_IJSE_SG_EEENS0_18inequality_wrapperINS9_8equal_toIjEEEEPmJSF_EEE10hipError_tPvRmT3_T4_T5_T6_T7_T9_mT8_P12ihipStream_tbDpT10_ENKUlT_T0_E_clISt17integral_constantIbLb0EES17_IbLb1EEEEDaS13_S14_EUlS13_E_NS1_11comp_targetILNS1_3genE9ELNS1_11target_archE1100ELNS1_3gpuE3ELNS1_3repE0EEENS1_30default_config_static_selectorELNS0_4arch9wavefront6targetE0EEEvT1_
	.globl	_ZN7rocprim17ROCPRIM_400000_NS6detail17trampoline_kernelINS0_14default_configENS1_25partition_config_selectorILNS1_17partition_subalgoE9EjjbEEZZNS1_14partition_implILS5_9ELb0ES3_jN6thrust23THRUST_200600_302600_NS6detail15normal_iteratorINS9_10device_ptrIjEEEESE_PNS0_10empty_typeENS0_5tupleIJSE_SF_EEENSH_IJSE_SG_EEENS0_18inequality_wrapperINS9_8equal_toIjEEEEPmJSF_EEE10hipError_tPvRmT3_T4_T5_T6_T7_T9_mT8_P12ihipStream_tbDpT10_ENKUlT_T0_E_clISt17integral_constantIbLb0EES17_IbLb1EEEEDaS13_S14_EUlS13_E_NS1_11comp_targetILNS1_3genE9ELNS1_11target_archE1100ELNS1_3gpuE3ELNS1_3repE0EEENS1_30default_config_static_selectorELNS0_4arch9wavefront6targetE0EEEvT1_
	.p2align	8
	.type	_ZN7rocprim17ROCPRIM_400000_NS6detail17trampoline_kernelINS0_14default_configENS1_25partition_config_selectorILNS1_17partition_subalgoE9EjjbEEZZNS1_14partition_implILS5_9ELb0ES3_jN6thrust23THRUST_200600_302600_NS6detail15normal_iteratorINS9_10device_ptrIjEEEESE_PNS0_10empty_typeENS0_5tupleIJSE_SF_EEENSH_IJSE_SG_EEENS0_18inequality_wrapperINS9_8equal_toIjEEEEPmJSF_EEE10hipError_tPvRmT3_T4_T5_T6_T7_T9_mT8_P12ihipStream_tbDpT10_ENKUlT_T0_E_clISt17integral_constantIbLb0EES17_IbLb1EEEEDaS13_S14_EUlS13_E_NS1_11comp_targetILNS1_3genE9ELNS1_11target_archE1100ELNS1_3gpuE3ELNS1_3repE0EEENS1_30default_config_static_selectorELNS0_4arch9wavefront6targetE0EEEvT1_,@function
_ZN7rocprim17ROCPRIM_400000_NS6detail17trampoline_kernelINS0_14default_configENS1_25partition_config_selectorILNS1_17partition_subalgoE9EjjbEEZZNS1_14partition_implILS5_9ELb0ES3_jN6thrust23THRUST_200600_302600_NS6detail15normal_iteratorINS9_10device_ptrIjEEEESE_PNS0_10empty_typeENS0_5tupleIJSE_SF_EEENSH_IJSE_SG_EEENS0_18inequality_wrapperINS9_8equal_toIjEEEEPmJSF_EEE10hipError_tPvRmT3_T4_T5_T6_T7_T9_mT8_P12ihipStream_tbDpT10_ENKUlT_T0_E_clISt17integral_constantIbLb0EES17_IbLb1EEEEDaS13_S14_EUlS13_E_NS1_11comp_targetILNS1_3genE9ELNS1_11target_archE1100ELNS1_3gpuE3ELNS1_3repE0EEENS1_30default_config_static_selectorELNS0_4arch9wavefront6targetE0EEEvT1_: ; @_ZN7rocprim17ROCPRIM_400000_NS6detail17trampoline_kernelINS0_14default_configENS1_25partition_config_selectorILNS1_17partition_subalgoE9EjjbEEZZNS1_14partition_implILS5_9ELb0ES3_jN6thrust23THRUST_200600_302600_NS6detail15normal_iteratorINS9_10device_ptrIjEEEESE_PNS0_10empty_typeENS0_5tupleIJSE_SF_EEENSH_IJSE_SG_EEENS0_18inequality_wrapperINS9_8equal_toIjEEEEPmJSF_EEE10hipError_tPvRmT3_T4_T5_T6_T7_T9_mT8_P12ihipStream_tbDpT10_ENKUlT_T0_E_clISt17integral_constantIbLb0EES17_IbLb1EEEEDaS13_S14_EUlS13_E_NS1_11comp_targetILNS1_3genE9ELNS1_11target_archE1100ELNS1_3gpuE3ELNS1_3repE0EEENS1_30default_config_static_selectorELNS0_4arch9wavefront6targetE0EEEvT1_
; %bb.0:
	s_clause 0x4
	s_load_b128 s[4:7], s[0:1], 0x8
	s_load_b64 s[8:9], s[0:1], 0x18
	s_load_b128 s[12:15], s[0:1], 0x40
	s_load_b64 s[10:11], s[0:1], 0x50
	s_load_b64 s[20:21], s[0:1], 0x60
	v_cmp_ne_u32_e64 s3, 0, v0
	v_cmp_eq_u32_e64 s2, 0, v0
	s_delay_alu instid0(VALU_DEP_1)
	s_and_saveexec_b32 s16, s2
	s_cbranch_execz .LBB240_4
; %bb.1:
	s_mov_b32 s18, exec_lo
	s_mov_b32 s17, exec_lo
	v_mbcnt_lo_u32_b32 v1, s18, 0
                                        ; implicit-def: $vgpr2
	s_delay_alu instid0(VALU_DEP_1)
	v_cmpx_eq_u32_e32 0, v1
	s_cbranch_execz .LBB240_3
; %bb.2:
	s_load_b64 s[22:23], s[0:1], 0x70
	s_bcnt1_i32_b32 s18, s18
	s_delay_alu instid0(SALU_CYCLE_1)
	v_dual_mov_b32 v2, 0 :: v_dual_mov_b32 v3, s18
	s_waitcnt lgkmcnt(0)
	global_atomic_add_u32 v2, v2, v3, s[22:23] glc
.LBB240_3:
	s_or_b32 exec_lo, exec_lo, s17
	s_waitcnt vmcnt(0)
	v_readfirstlane_b32 s17, v2
	s_delay_alu instid0(VALU_DEP_1)
	v_dual_mov_b32 v2, 0 :: v_dual_add_nc_u32 v1, s17, v1
	ds_store_b32 v2, v1
.LBB240_4:
	s_or_b32 exec_lo, exec_lo, s16
	v_dual_mov_b32 v1, 0 :: v_dual_add_nc_u32 v22, 0x300, v0
	s_clause 0x1
	s_load_b128 s[16:19], s[0:1], 0x28
	s_load_b32 s0, s[0:1], 0x68
	s_waitcnt lgkmcnt(0)
	s_barrier
	buffer_gl0_inv
	ds_load_b32 v3, v1
	s_waitcnt lgkmcnt(0)
	s_barrier
	buffer_gl0_inv
	global_load_b64 v[1:2], v1, s[14:15]
	s_lshl_b64 s[14:15], s[6:7], 2
	s_mov_b32 s1, 0
	s_add_u32 s27, s4, s14
	s_addc_u32 s28, s5, s15
	v_lshrrev_b32_e32 v20, 3, v0
	v_add_nc_u32_e32 v25, 0x180, v0
	v_add_nc_u32_e32 v21, 0x480, v0
	v_or_b32_e32 v23, 0x600, v0
	v_add_nc_u32_e32 v18, 0x780, v0
	v_add_nc_u32_e32 v17, 0x900, v0
	;; [unrolled: 1-line block ×3, first 2 shown]
	s_mul_i32 s22, s0, 0xc00
	s_add_i32 s0, s0, -1
	s_add_i32 s4, s22, s6
	s_delay_alu instid0(SALU_CYCLE_1) | instskip(SKIP_4) | instid1(SALU_CYCLE_1)
	s_sub_i32 s25, s10, s4
	v_readfirstlane_b32 s24, v3
	s_addk_i32 s25, 0xc00
	s_add_u32 s4, s6, s22
	s_addc_u32 s5, s7, 0
	v_cmp_ge_u64_e64 s4, s[4:5], s[10:11]
	s_cmp_eq_u32 s24, s0
	s_mul_i32 s0, s24, 0xc00
	s_cselect_b32 s22, -1, 0
	s_delay_alu instid0(VALU_DEP_1) | instid1(SALU_CYCLE_1)
	s_and_b32 s26, s4, s22
	s_lshl_b64 s[4:5], s[0:1], 2
	s_xor_b32 s23, s26, -1
	s_add_u32 s27, s27, s4
	s_addc_u32 s1, s28, s5
	s_and_b32 vcc_lo, exec_lo, s23
	s_mov_b32 s28, -1
	s_waitcnt vmcnt(0)
	v_readfirstlane_b32 s10, v1
	v_readfirstlane_b32 s11, v2
	s_cbranch_vccz .LBB240_6
; %bb.5:
	v_lshlrev_b32_e32 v7, 2, v0
	v_lshrrev_b32_e32 v11, 3, v25
	v_lshrrev_b32_e32 v12, 3, v22
	;; [unrolled: 1-line block ×4, first 2 shown]
	v_add_co_u32 v1, s0, s27, v7
	s_delay_alu instid0(VALU_DEP_1) | instskip(SKIP_1) | instid1(VALU_DEP_3)
	v_add_co_ci_u32_e64 v2, null, s1, 0, s0
	v_lshrrev_b32_e32 v15, 3, v18
	v_add_co_u32 v3, vcc_lo, 0x1000, v1
	s_delay_alu instid0(VALU_DEP_3)
	v_add_co_ci_u32_e32 v4, vcc_lo, 0, v2, vcc_lo
	v_add_co_u32 v5, vcc_lo, 0x2000, v1
	v_add_co_ci_u32_e32 v6, vcc_lo, 0, v2, vcc_lo
	s_clause 0x7
	flat_load_b32 v8, v[1:2]
	flat_load_b32 v9, v[1:2] offset:1536
	flat_load_b32 v1, v[1:2] offset:3072
	;; [unrolled: 1-line block ×7, first 2 shown]
	v_and_b32_e32 v6, 60, v20
	v_lshrrev_b32_e32 v16, 3, v17
	v_lshrrev_b32_e32 v19, 3, v24
	v_and_b32_e32 v11, 0x7c, v11
	v_and_b32_e32 v12, 0xfc, v12
	;; [unrolled: 1-line block ×4, first 2 shown]
	v_add_nc_u32_e32 v6, v6, v7
	v_and_b32_e32 v15, 0x1fc, v15
	v_and_b32_e32 v16, 0x17c, v16
	;; [unrolled: 1-line block ×3, first 2 shown]
	v_add_nc_u32_e32 v11, v11, v7
	v_add_nc_u32_e32 v12, v12, v7
	;; [unrolled: 1-line block ×4, first 2 shown]
	s_mov_b32 s28, 0
	v_add_nc_u32_e32 v15, v15, v7
	v_add_nc_u32_e32 v16, v16, v7
	;; [unrolled: 1-line block ×3, first 2 shown]
	s_waitcnt vmcnt(7) lgkmcnt(7)
	ds_store_b32 v6, v8
	s_waitcnt vmcnt(6) lgkmcnt(7)
	ds_store_b32 v11, v9 offset:1536
	s_waitcnt vmcnt(5) lgkmcnt(7)
	ds_store_b32 v12, v1 offset:3072
	;; [unrolled: 2-line block ×7, first 2 shown]
	s_waitcnt lgkmcnt(0)
	s_barrier
.LBB240_6:
	v_cmp_gt_u32_e64 s0, s25, v0
	s_and_not1_b32 vcc_lo, exec_lo, s28
	s_cbranch_vccnz .LBB240_24
; %bb.7:
                                        ; implicit-def: $vgpr1_vgpr2_vgpr3_vgpr4_vgpr5_vgpr6_vgpr7_vgpr8
	s_delay_alu instid0(VALU_DEP_1)
	s_and_saveexec_b32 s28, s0
	s_cbranch_execz .LBB240_15
; %bb.8:
	v_lshlrev_b32_e32 v1, 2, v0
	s_delay_alu instid0(VALU_DEP_1) | instskip(NEXT) | instid1(VALU_DEP_1)
	v_add_co_u32 v1, s0, s27, v1
	v_add_co_ci_u32_e64 v2, null, s1, 0, s0
	flat_load_b32 v1, v[1:2]
	s_or_b32 exec_lo, exec_lo, s28
	s_delay_alu instid0(SALU_CYCLE_1)
	s_mov_b32 s0, exec_lo
	v_cmpx_gt_u32_e64 s25, v25
	s_cbranch_execnz .LBB240_16
.LBB240_9:
	s_or_b32 exec_lo, exec_lo, s0
	s_delay_alu instid0(SALU_CYCLE_1)
	s_mov_b32 s0, exec_lo
	v_cmpx_gt_u32_e64 s25, v22
	s_cbranch_execz .LBB240_17
.LBB240_10:
	v_lshlrev_b32_e32 v3, 2, v0
	s_delay_alu instid0(VALU_DEP_1) | instskip(NEXT) | instid1(VALU_DEP_1)
	v_add_co_u32 v9, s28, s27, v3
	v_add_co_ci_u32_e64 v10, null, s1, 0, s28
	flat_load_b32 v3, v[9:10] offset:3072
	s_or_b32 exec_lo, exec_lo, s0
	s_delay_alu instid0(SALU_CYCLE_1)
	s_mov_b32 s0, exec_lo
	v_cmpx_gt_u32_e64 s25, v21
	s_cbranch_execnz .LBB240_18
.LBB240_11:
	s_or_b32 exec_lo, exec_lo, s0
	s_delay_alu instid0(SALU_CYCLE_1)
	s_mov_b32 s0, exec_lo
	v_cmpx_gt_u32_e64 s25, v23
	s_cbranch_execz .LBB240_19
.LBB240_12:
	v_lshlrev_b32_e32 v5, 2, v23
	s_delay_alu instid0(VALU_DEP_1) | instskip(NEXT) | instid1(VALU_DEP_1)
	v_add_co_u32 v9, s28, s27, v5
	v_add_co_ci_u32_e64 v10, null, s1, 0, s28
	flat_load_b32 v5, v[9:10]
	s_or_b32 exec_lo, exec_lo, s0
	s_delay_alu instid0(SALU_CYCLE_1)
	s_mov_b32 s0, exec_lo
	v_cmpx_gt_u32_e64 s25, v18
	s_cbranch_execnz .LBB240_20
.LBB240_13:
	s_or_b32 exec_lo, exec_lo, s0
	s_delay_alu instid0(SALU_CYCLE_1)
	s_mov_b32 s0, exec_lo
	v_cmpx_gt_u32_e64 s25, v17
	s_cbranch_execz .LBB240_21
.LBB240_14:
	v_lshlrev_b32_e32 v7, 2, v17
	s_delay_alu instid0(VALU_DEP_1) | instskip(NEXT) | instid1(VALU_DEP_1)
	v_add_co_u32 v9, s28, s27, v7
	v_add_co_ci_u32_e64 v10, null, s1, 0, s28
	flat_load_b32 v7, v[9:10]
	s_or_b32 exec_lo, exec_lo, s0
	s_delay_alu instid0(SALU_CYCLE_1)
	s_mov_b32 s0, exec_lo
	v_cmpx_gt_u32_e64 s25, v24
	s_cbranch_execnz .LBB240_22
	s_branch .LBB240_23
.LBB240_15:
	s_or_b32 exec_lo, exec_lo, s28
	s_delay_alu instid0(SALU_CYCLE_1)
	s_mov_b32 s0, exec_lo
	v_cmpx_gt_u32_e64 s25, v25
	s_cbranch_execz .LBB240_9
.LBB240_16:
	v_lshlrev_b32_e32 v2, 2, v0
	s_delay_alu instid0(VALU_DEP_1) | instskip(NEXT) | instid1(VALU_DEP_1)
	v_add_co_u32 v9, s28, s27, v2
	v_add_co_ci_u32_e64 v10, null, s1, 0, s28
	flat_load_b32 v2, v[9:10] offset:1536
	s_or_b32 exec_lo, exec_lo, s0
	s_delay_alu instid0(SALU_CYCLE_1)
	s_mov_b32 s0, exec_lo
	v_cmpx_gt_u32_e64 s25, v22
	s_cbranch_execnz .LBB240_10
.LBB240_17:
	s_or_b32 exec_lo, exec_lo, s0
	s_delay_alu instid0(SALU_CYCLE_1)
	s_mov_b32 s0, exec_lo
	v_cmpx_gt_u32_e64 s25, v21
	s_cbranch_execz .LBB240_11
.LBB240_18:
	v_lshlrev_b32_e32 v4, 2, v21
	s_delay_alu instid0(VALU_DEP_1) | instskip(NEXT) | instid1(VALU_DEP_1)
	v_add_co_u32 v9, s28, s27, v4
	v_add_co_ci_u32_e64 v10, null, s1, 0, s28
	flat_load_b32 v4, v[9:10]
	s_or_b32 exec_lo, exec_lo, s0
	s_delay_alu instid0(SALU_CYCLE_1)
	s_mov_b32 s0, exec_lo
	v_cmpx_gt_u32_e64 s25, v23
	s_cbranch_execnz .LBB240_12
.LBB240_19:
	s_or_b32 exec_lo, exec_lo, s0
	s_delay_alu instid0(SALU_CYCLE_1)
	s_mov_b32 s0, exec_lo
	v_cmpx_gt_u32_e64 s25, v18
	s_cbranch_execz .LBB240_13
.LBB240_20:
	v_lshlrev_b32_e32 v6, 2, v18
	s_delay_alu instid0(VALU_DEP_1) | instskip(NEXT) | instid1(VALU_DEP_1)
	v_add_co_u32 v9, s28, s27, v6
	v_add_co_ci_u32_e64 v10, null, s1, 0, s28
	flat_load_b32 v6, v[9:10]
	s_or_b32 exec_lo, exec_lo, s0
	s_delay_alu instid0(SALU_CYCLE_1)
	s_mov_b32 s0, exec_lo
	v_cmpx_gt_u32_e64 s25, v17
	s_cbranch_execnz .LBB240_14
.LBB240_21:
	s_or_b32 exec_lo, exec_lo, s0
	s_delay_alu instid0(SALU_CYCLE_1)
	s_mov_b32 s0, exec_lo
	v_cmpx_gt_u32_e64 s25, v24
	s_cbranch_execz .LBB240_23
.LBB240_22:
	v_lshlrev_b32_e32 v8, 2, v24
	s_delay_alu instid0(VALU_DEP_1) | instskip(NEXT) | instid1(VALU_DEP_1)
	v_add_co_u32 v8, s28, s27, v8
	v_add_co_ci_u32_e64 v9, null, s1, 0, s28
	flat_load_b32 v8, v[8:9]
.LBB240_23:
	s_or_b32 exec_lo, exec_lo, s0
	v_lshrrev_b32_e32 v9, 3, v25
	v_lshrrev_b32_e32 v10, 3, v22
	;; [unrolled: 1-line block ×4, first 2 shown]
	v_and_b32_e32 v11, 60, v20
	v_lshlrev_b32_e32 v12, 2, v0
	v_lshrrev_b32_e32 v15, 3, v18
	v_lshrrev_b32_e32 v16, 3, v17
	;; [unrolled: 1-line block ×3, first 2 shown]
	v_and_b32_e32 v9, 0x7c, v9
	v_and_b32_e32 v10, 0xfc, v10
	;; [unrolled: 1-line block ×4, first 2 shown]
	v_add_nc_u32_e32 v11, v11, v12
	v_and_b32_e32 v15, 0x1fc, v15
	v_and_b32_e32 v16, 0x1fc, v16
	;; [unrolled: 1-line block ×3, first 2 shown]
	v_add_nc_u32_e32 v9, v9, v12
	v_add_nc_u32_e32 v10, v10, v12
	;; [unrolled: 1-line block ×7, first 2 shown]
	s_waitcnt vmcnt(0) lgkmcnt(0)
	ds_store_b32 v11, v1
	ds_store_b32 v9, v2 offset:1536
	ds_store_b32 v10, v3 offset:3072
	;; [unrolled: 1-line block ×7, first 2 shown]
	s_waitcnt lgkmcnt(0)
	s_barrier
.LBB240_24:
	v_lshlrev_b32_e32 v19, 3, v0
	v_lshrrev_b32_e32 v1, 2, v0
	buffer_gl0_inv
	s_add_u32 s0, s8, s14
	s_addc_u32 s8, s9, s15
	s_add_u32 s0, s0, s4
	v_add_lshl_u32 v1, v1, v19, 2
	s_addc_u32 s4, s8, s5
	s_and_b32 vcc_lo, exec_lo, s23
	s_mov_b32 s5, -1
	ds_load_2addr_b32 v[15:16], v1 offset1:1
	ds_load_2addr_b32 v[13:14], v1 offset0:2 offset1:3
	ds_load_2addr_b32 v[11:12], v1 offset0:4 offset1:5
	;; [unrolled: 1-line block ×3, first 2 shown]
	s_waitcnt lgkmcnt(0)
	s_barrier
	buffer_gl0_inv
	s_cbranch_vccz .LBB240_26
; %bb.25:
	v_lshlrev_b32_e32 v8, 2, v0
	v_lshrrev_b32_e32 v29, 3, v25
	v_lshrrev_b32_e32 v30, 3, v22
	;; [unrolled: 1-line block ×4, first 2 shown]
	v_add_co_u32 v2, s5, s0, v8
	s_delay_alu instid0(VALU_DEP_1) | instskip(SKIP_1) | instid1(VALU_DEP_3)
	v_add_co_ci_u32_e64 v3, null, s4, 0, s5
	v_lshrrev_b32_e32 v33, 3, v18
	v_add_co_u32 v4, vcc_lo, 0x1000, v2
	s_delay_alu instid0(VALU_DEP_3)
	v_add_co_ci_u32_e32 v5, vcc_lo, 0, v3, vcc_lo
	v_add_co_u32 v6, vcc_lo, 0x2000, v2
	v_add_co_ci_u32_e32 v7, vcc_lo, 0, v3, vcc_lo
	s_clause 0x7
	flat_load_b32 v26, v[2:3]
	flat_load_b32 v27, v[2:3] offset:1536
	flat_load_b32 v2, v[2:3] offset:3072
	flat_load_b32 v3, v[4:5] offset:512
	flat_load_b32 v28, v[4:5] offset:2048
	flat_load_b32 v4, v[4:5] offset:3584
	flat_load_b32 v5, v[6:7] offset:1024
	flat_load_b32 v6, v[6:7] offset:2560
	v_and_b32_e32 v7, 60, v20
	v_lshrrev_b32_e32 v34, 3, v17
	v_lshrrev_b32_e32 v35, 3, v24
	v_and_b32_e32 v29, 0x7c, v29
	v_and_b32_e32 v30, 0xfc, v30
	;; [unrolled: 1-line block ×4, first 2 shown]
	v_add_nc_u32_e32 v7, v7, v8
	v_and_b32_e32 v33, 0x1fc, v33
	v_and_b32_e32 v34, 0x17c, v34
	v_and_b32_e32 v35, 0x1fc, v35
	v_add_nc_u32_e32 v29, v29, v8
	v_add_nc_u32_e32 v30, v30, v8
	;; [unrolled: 1-line block ×4, first 2 shown]
	s_mov_b32 s5, 0
	v_add_nc_u32_e32 v33, v33, v8
	v_add_nc_u32_e32 v34, v34, v8
	;; [unrolled: 1-line block ×3, first 2 shown]
	s_waitcnt vmcnt(7) lgkmcnt(7)
	ds_store_b32 v7, v26
	s_waitcnt vmcnt(6) lgkmcnt(7)
	ds_store_b32 v29, v27 offset:1536
	s_waitcnt vmcnt(5) lgkmcnt(7)
	ds_store_b32 v30, v2 offset:3072
	;; [unrolled: 2-line block ×7, first 2 shown]
	s_waitcnt lgkmcnt(0)
	s_barrier
.LBB240_26:
	s_and_not1_b32 vcc_lo, exec_lo, s5
	s_cbranch_vccnz .LBB240_44
; %bb.27:
	s_mov_b32 s5, exec_lo
                                        ; implicit-def: $vgpr2
	v_cmpx_gt_u32_e64 s25, v0
	s_cbranch_execz .LBB240_29
; %bb.28:
	v_lshlrev_b32_e32 v2, 2, v0
	s_delay_alu instid0(VALU_DEP_1) | instskip(NEXT) | instid1(VALU_DEP_1)
	v_add_co_u32 v2, s8, s0, v2
	v_add_co_ci_u32_e64 v3, null, s4, 0, s8
	flat_load_b32 v2, v[2:3]
.LBB240_29:
	s_or_b32 exec_lo, exec_lo, s5
	s_delay_alu instid0(SALU_CYCLE_1)
	s_mov_b32 s5, exec_lo
                                        ; implicit-def: $vgpr3
	v_cmpx_gt_u32_e64 s25, v25
	s_cbranch_execz .LBB240_31
; %bb.30:
	v_lshlrev_b32_e32 v3, 2, v0
	s_delay_alu instid0(VALU_DEP_1) | instskip(NEXT) | instid1(VALU_DEP_1)
	v_add_co_u32 v3, s8, s0, v3
	v_add_co_ci_u32_e64 v4, null, s4, 0, s8
	flat_load_b32 v3, v[3:4] offset:1536
.LBB240_31:
	s_or_b32 exec_lo, exec_lo, s5
	s_delay_alu instid0(SALU_CYCLE_1)
	s_mov_b32 s5, exec_lo
                                        ; implicit-def: $vgpr4
	v_cmpx_gt_u32_e64 s25, v22
	s_cbranch_execz .LBB240_33
; %bb.32:
	v_lshlrev_b32_e32 v4, 2, v0
	s_delay_alu instid0(VALU_DEP_1) | instskip(NEXT) | instid1(VALU_DEP_1)
	v_add_co_u32 v4, s8, s0, v4
	v_add_co_ci_u32_e64 v5, null, s4, 0, s8
	flat_load_b32 v4, v[4:5] offset:3072
.LBB240_33:
	s_or_b32 exec_lo, exec_lo, s5
	s_delay_alu instid0(SALU_CYCLE_1)
	s_mov_b32 s5, exec_lo
                                        ; implicit-def: $vgpr5
	v_cmpx_gt_u32_e64 s25, v21
	s_cbranch_execz .LBB240_35
; %bb.34:
	v_lshlrev_b32_e32 v5, 2, v21
	s_delay_alu instid0(VALU_DEP_1) | instskip(NEXT) | instid1(VALU_DEP_1)
	v_add_co_u32 v5, s8, s0, v5
	v_add_co_ci_u32_e64 v6, null, s4, 0, s8
	flat_load_b32 v5, v[5:6]
.LBB240_35:
	s_or_b32 exec_lo, exec_lo, s5
	s_delay_alu instid0(SALU_CYCLE_1)
	s_mov_b32 s5, exec_lo
                                        ; implicit-def: $vgpr6
	v_cmpx_gt_u32_e64 s25, v23
	s_cbranch_execz .LBB240_37
; %bb.36:
	v_lshlrev_b32_e32 v6, 2, v23
	s_delay_alu instid0(VALU_DEP_1) | instskip(NEXT) | instid1(VALU_DEP_1)
	v_add_co_u32 v6, s8, s0, v6
	v_add_co_ci_u32_e64 v7, null, s4, 0, s8
	flat_load_b32 v6, v[6:7]
.LBB240_37:
	s_or_b32 exec_lo, exec_lo, s5
	s_delay_alu instid0(SALU_CYCLE_1)
	s_mov_b32 s5, exec_lo
                                        ; implicit-def: $vgpr7
	v_cmpx_gt_u32_e64 s25, v18
	s_cbranch_execz .LBB240_39
; %bb.38:
	v_lshlrev_b32_e32 v7, 2, v18
	s_delay_alu instid0(VALU_DEP_1) | instskip(NEXT) | instid1(VALU_DEP_1)
	v_add_co_u32 v7, s8, s0, v7
	v_add_co_ci_u32_e64 v8, null, s4, 0, s8
	flat_load_b32 v7, v[7:8]
.LBB240_39:
	s_or_b32 exec_lo, exec_lo, s5
	s_delay_alu instid0(SALU_CYCLE_1)
	s_mov_b32 s5, exec_lo
                                        ; implicit-def: $vgpr8
	v_cmpx_gt_u32_e64 s25, v17
	s_cbranch_execz .LBB240_41
; %bb.40:
	v_lshlrev_b32_e32 v8, 2, v17
	s_delay_alu instid0(VALU_DEP_1) | instskip(NEXT) | instid1(VALU_DEP_1)
	v_add_co_u32 v26, s8, s0, v8
	v_add_co_ci_u32_e64 v27, null, s4, 0, s8
	flat_load_b32 v8, v[26:27]
.LBB240_41:
	s_or_b32 exec_lo, exec_lo, s5
	s_delay_alu instid0(SALU_CYCLE_1)
	s_mov_b32 s5, exec_lo
                                        ; implicit-def: $vgpr26
	v_cmpx_gt_u32_e64 s25, v24
	s_cbranch_execz .LBB240_43
; %bb.42:
	v_lshlrev_b32_e32 v26, 2, v24
	s_delay_alu instid0(VALU_DEP_1) | instskip(NEXT) | instid1(VALU_DEP_1)
	v_add_co_u32 v26, s0, s0, v26
	v_add_co_ci_u32_e64 v27, null, s4, 0, s0
	flat_load_b32 v26, v[26:27]
.LBB240_43:
	s_or_b32 exec_lo, exec_lo, s5
	v_lshrrev_b32_e32 v25, 3, v25
	v_lshrrev_b32_e32 v22, 3, v22
	;; [unrolled: 1-line block ×4, first 2 shown]
	v_and_b32_e32 v20, 60, v20
	v_lshlrev_b32_e32 v27, 2, v0
	v_lshrrev_b32_e32 v18, 3, v18
	v_lshrrev_b32_e32 v17, 3, v17
	;; [unrolled: 1-line block ×3, first 2 shown]
	v_and_b32_e32 v25, 0x7c, v25
	v_and_b32_e32 v22, 0xfc, v22
	v_and_b32_e32 v21, 0xfc, v21
	v_and_b32_e32 v23, 0xfc, v23
	v_add_nc_u32_e32 v20, v20, v27
	v_and_b32_e32 v18, 0x1fc, v18
	v_and_b32_e32 v17, 0x1fc, v17
	;; [unrolled: 1-line block ×3, first 2 shown]
	v_add_nc_u32_e32 v25, v25, v27
	v_add_nc_u32_e32 v22, v22, v27
	;; [unrolled: 1-line block ×7, first 2 shown]
	s_waitcnt vmcnt(0) lgkmcnt(0)
	ds_store_b32 v20, v2
	ds_store_b32 v25, v3 offset:1536
	ds_store_b32 v22, v4 offset:3072
	;; [unrolled: 1-line block ×7, first 2 shown]
	s_waitcnt lgkmcnt(0)
	s_barrier
.LBB240_44:
	buffer_gl0_inv
	ds_load_2addr_b32 v[7:8], v1 offset1:1
	ds_load_2addr_b32 v[5:6], v1 offset0:2 offset1:3
	ds_load_2addr_b32 v[3:4], v1 offset0:4 offset1:5
	;; [unrolled: 1-line block ×3, first 2 shown]
	s_cmp_lg_u32 s24, 0
	s_mov_b32 s14, 0
	s_cselect_b32 s9, -1, 0
	s_cmp_lg_u64 s[6:7], 0
	s_waitcnt lgkmcnt(0)
	s_cselect_b32 s0, -1, 0
	s_barrier
	s_or_b32 s0, s0, s9
	buffer_gl0_inv
	s_and_b32 vcc_lo, exec_lo, s0
	s_cbranch_vccz .LBB240_49
; %bb.45:
	v_add_co_u32 v17, s0, -4, s27
	s_delay_alu instid0(VALU_DEP_1)
	v_add_co_ci_u32_e64 v18, null, -1, s1, s0
	v_lshlrev_b32_e32 v21, 2, v0
	s_mov_b32 s1, -1
	s_and_b32 vcc_lo, exec_lo, s23
	flat_load_b32 v20, v[17:18]
	ds_store_b32 v21, v10
	s_cbranch_vccz .LBB240_50
; %bb.46:
	s_waitcnt vmcnt(0) lgkmcnt(1)
	v_mov_b32_e32 v17, v20
	s_waitcnt lgkmcnt(0)
	s_barrier
	buffer_gl0_inv
	s_and_saveexec_b32 s0, s3
	s_cbranch_execz .LBB240_48
; %bb.47:
	v_add_nc_u32_e32 v17, -4, v21
	ds_load_b32 v17, v17
.LBB240_48:
	s_or_b32 exec_lo, exec_lo, s0
	v_cmp_ne_u32_e32 vcc_lo, v9, v10
	s_waitcnt lgkmcnt(0)
	v_cmp_ne_u32_e64 s0, v17, v15
	v_cndmask_b32_e64 v18, 0, 1, vcc_lo
	v_cmp_ne_u32_e32 vcc_lo, v12, v9
	s_delay_alu instid0(VALU_DEP_2) | instskip(SKIP_2) | instid1(VALU_DEP_2)
	v_lshlrev_b16 v18, 8, v18
	v_cndmask_b32_e64 v22, 0, 1, vcc_lo
	v_cmp_ne_u32_e32 vcc_lo, v11, v12
	v_or_b32_e32 v18, v22, v18
	v_cndmask_b32_e64 v23, 0, 1, vcc_lo
	v_cmp_ne_u32_e32 vcc_lo, v13, v14
	s_delay_alu instid0(VALU_DEP_3) | instskip(NEXT) | instid1(VALU_DEP_3)
	v_lshlrev_b32_e32 v18, 16, v18
	v_lshlrev_b16 v23, 8, v23
	v_cndmask_b32_e64 v24, 0, 1, vcc_lo
	v_cmp_ne_u32_e32 vcc_lo, v14, v11
	s_delay_alu instid0(VALU_DEP_2) | instskip(SKIP_2) | instid1(VALU_DEP_2)
	v_lshlrev_b16 v24, 8, v24
	v_cndmask_b32_e64 v25, 0, 1, vcc_lo
	v_cmp_ne_u32_e32 vcc_lo, v16, v13
	v_or_b32_e32 v23, v25, v23
	v_cndmask_b32_e64 v26, 0, 1, vcc_lo
	v_cmp_ne_u32_e32 vcc_lo, v15, v16
	s_delay_alu instid0(VALU_DEP_3) | instskip(NEXT) | instid1(VALU_DEP_3)
	v_and_b32_e32 v23, 0xffff, v23
	v_or_b32_e32 v24, v26, v24
	v_cndmask_b32_e64 v27, 0, 1, vcc_lo
	s_delay_alu instid0(VALU_DEP_3) | instskip(NEXT) | instid1(VALU_DEP_3)
	v_or_b32_e32 v18, v23, v18
	v_lshlrev_b32_e32 v22, 16, v24
	s_delay_alu instid0(VALU_DEP_3) | instskip(NEXT) | instid1(VALU_DEP_1)
	v_lshlrev_b16 v26, 8, v27
	v_and_b32_e32 v24, 0xffff, v26
	s_delay_alu instid0(VALU_DEP_1)
	v_or_b32_e32 v17, v24, v22
	s_branch .LBB240_54
.LBB240_49:
                                        ; implicit-def: $sgpr0
                                        ; implicit-def: $vgpr18
	s_branch .LBB240_55
.LBB240_50:
                                        ; implicit-def: $sgpr0
                                        ; implicit-def: $vgpr18
	s_and_b32 vcc_lo, exec_lo, s1
	s_cbranch_vccz .LBB240_54
; %bb.51:
	s_waitcnt vmcnt(0) lgkmcnt(0)
	s_barrier
	buffer_gl0_inv
	s_and_saveexec_b32 s0, s3
	s_cbranch_execz .LBB240_53
; %bb.52:
	v_add_nc_u32_e32 v17, -4, v21
	ds_load_b32 v20, v17
.LBB240_53:
	s_or_b32 exec_lo, exec_lo, s0
	v_or_b32_e32 v17, 7, v19
	v_or_b32_e32 v18, 6, v19
	;; [unrolled: 1-line block ×3, first 2 shown]
	v_cmp_ne_u32_e32 vcc_lo, v9, v10
	v_cmp_ne_u32_e64 s1, v12, v9
	v_cmp_gt_u32_e64 s0, s25, v17
	v_cmp_gt_u32_e64 s5, s25, v18
	v_cmp_ne_u32_e64 s4, v11, v12
	v_cmp_gt_u32_e64 s6, s25, v21
	v_or_b32_e32 v18, 3, v19
	s_and_b32 s0, s0, vcc_lo
	v_or_b32_e32 v22, 4, v19
	v_cndmask_b32_e64 v17, 0, 1, s0
	s_and_b32 s0, s5, s1
	v_cmp_gt_u32_e32 vcc_lo, s25, v18
	v_cndmask_b32_e64 v21, 0, 1, s0
	s_and_b32 s0, s6, s4
	v_or_b32_e32 v18, 2, v19
	v_cndmask_b32_e64 v23, 0, 1, s0
	v_cmp_ne_u32_e64 s0, v13, v14
	v_cmp_gt_u32_e64 s1, s25, v22
	v_or_b32_e32 v22, 1, v19
	v_cmp_ne_u32_e64 s4, v14, v11
	v_cmp_ne_u32_e64 s6, v15, v16
	s_and_b32 s0, vcc_lo, s0
	v_cmp_gt_u32_e32 vcc_lo, s25, v18
	v_cndmask_b32_e64 v24, 0, 1, s0
	v_cmp_ne_u32_e64 s0, v16, v13
	v_cmp_gt_u32_e64 s5, s25, v22
	s_and_b32 s1, s1, s4
	v_lshlrev_b16 v23, 8, v23
	v_cndmask_b32_e64 v18, 0, 1, s1
	s_and_b32 s0, vcc_lo, s0
	v_lshlrev_b16 v24, 8, v24
	v_cndmask_b32_e64 v22, 0, 1, s0
	s_and_b32 s0, s5, s6
	v_lshlrev_b16 v17, 8, v17
	v_cndmask_b32_e64 v25, 0, 1, s0
	v_or_b32_e32 v18, v18, v23
	v_or_b32_e32 v22, v22, v24
	v_cmp_gt_u32_e32 vcc_lo, s25, v19
	v_or_b32_e32 v17, v21, v17
	v_lshlrev_b16 v24, 8, v25
	v_and_b32_e32 v18, 0xffff, v18
	v_lshlrev_b32_e32 v21, 16, v22
	s_waitcnt lgkmcnt(0)
	v_cmp_ne_u32_e64 s0, v20, v15
	v_lshlrev_b32_e32 v23, 16, v17
	v_and_b32_e32 v22, 0xffff, v24
	s_delay_alu instid0(VALU_DEP_3) | instskip(NEXT) | instid1(VALU_DEP_2)
	s_and_b32 s0, vcc_lo, s0
	v_or_b32_e32 v18, v18, v23
	s_delay_alu instid0(VALU_DEP_2)
	v_or_b32_e32 v17, v22, v21
.LBB240_54:
	s_mov_b32 s14, -1
	s_cbranch_execnz .LBB240_63
.LBB240_55:
	s_waitcnt vmcnt(0) lgkmcnt(1)
	v_lshlrev_b32_e32 v20, 2, v0
	v_cmp_ne_u32_e64 s1, v9, v10
	v_cmp_ne_u32_e64 s4, v12, v9
	;; [unrolled: 1-line block ×7, first 2 shown]
	s_and_b32 vcc_lo, exec_lo, s23
	ds_store_b32 v20, v10
	s_cbranch_vccz .LBB240_59
; %bb.56:
	v_cndmask_b32_e64 v17, 0, 1, s1
	v_cndmask_b32_e64 v21, 0, 1, s5
	v_cndmask_b32_e64 v23, 0, 1, s7
	v_cndmask_b32_e64 v24, 0, 1, s8
	v_cndmask_b32_e64 v18, 0, 1, s4
	v_cndmask_b32_e64 v22, 0, 1, s6
	v_cndmask_b32_e64 v25, 0, 1, s0
	v_lshlrev_b16 v21, 8, v21
	v_lshlrev_b16 v17, 8, v17
	;; [unrolled: 1-line block ×4, first 2 shown]
	s_waitcnt lgkmcnt(0)
	v_or_b32_e32 v21, v22, v21
	v_or_b32_e32 v17, v18, v17
	;; [unrolled: 1-line block ×4, first 2 shown]
	s_barrier
	v_and_b32_e32 v21, 0xffff, v21
	v_lshlrev_b32_e32 v17, 16, v17
	v_lshlrev_b32_e32 v23, 16, v18
	v_and_b32_e32 v22, 0xffff, v22
	buffer_gl0_inv
                                        ; implicit-def: $sgpr0
	v_or_b32_e32 v18, v21, v17
	v_or_b32_e32 v17, v22, v23
	s_and_saveexec_b32 s1, s3
	s_delay_alu instid0(SALU_CYCLE_1)
	s_xor_b32 s1, exec_lo, s1
	s_cbranch_execz .LBB240_58
; %bb.57:
	v_add_nc_u32_e32 v21, -4, v20
	s_or_b32 s14, s14, exec_lo
	ds_load_b32 v21, v21
	s_waitcnt lgkmcnt(0)
	v_cmp_ne_u32_e32 vcc_lo, v21, v15
	s_and_b32 s0, vcc_lo, exec_lo
.LBB240_58:
	s_or_b32 exec_lo, exec_lo, s1
	s_branch .LBB240_63
.LBB240_59:
                                        ; implicit-def: $sgpr0
                                        ; implicit-def: $vgpr18
	s_cbranch_execz .LBB240_63
; %bb.60:
	v_or_b32_e32 v17, 7, v19
	v_or_b32_e32 v18, 6, v19
	v_cmp_ne_u32_e32 vcc_lo, v9, v10
	v_cmp_ne_u32_e64 s1, v12, v9
	v_or_b32_e32 v21, 5, v19
	v_cmp_gt_u32_e64 s0, s25, v17
	v_cmp_gt_u32_e64 s4, s25, v18
	v_or_b32_e32 v17, 4, v19
	v_or_b32_e32 v22, 3, v19
	v_cmp_gt_u32_e64 s5, s25, v21
	s_and_b32 s0, s0, vcc_lo
	v_cmp_ne_u32_e32 vcc_lo, v11, v12
	v_cndmask_b32_e64 v18, 0, 1, s0
	s_and_b32 s0, s4, s1
	v_cmp_ne_u32_e64 s1, v14, v11
	v_cndmask_b32_e64 v21, 0, 1, s0
	v_cmp_gt_u32_e64 s0, s25, v17
	v_or_b32_e32 v23, 1, v19
	s_and_b32 s4, s5, vcc_lo
	v_cmp_gt_u32_e32 vcc_lo, s25, v22
	v_cndmask_b32_e64 v17, 0, 1, s4
	s_and_b32 s0, s0, s1
	v_or_b32_e32 v25, 2, v19
	v_cndmask_b32_e64 v24, 0, 1, s0
	v_cmp_ne_u32_e64 s0, v13, v14
	v_cmp_gt_u32_e64 s1, s25, v23
	v_cmp_ne_u32_e64 s4, v15, v16
	v_cmp_gt_u32_e64 s5, s25, v25
	v_cmp_ne_u32_e64 s6, v16, v13
	s_and_b32 s0, vcc_lo, s0
	v_lshlrev_b16 v17, 8, v17
	v_cndmask_b32_e64 v22, 0, 1, s0
	s_and_b32 s0, s1, s4
	v_lshlrev_b16 v18, 8, v18
	v_cndmask_b32_e64 v23, 0, 1, s0
	s_and_b32 s0, s5, s6
	v_lshlrev_b16 v22, 8, v22
	v_cndmask_b32_e64 v25, 0, 1, s0
	v_or_b32_e32 v17, v24, v17
	v_lshlrev_b16 v23, 8, v23
	v_or_b32_e32 v18, v21, v18
	s_waitcnt lgkmcnt(0)
	v_or_b32_e32 v21, v25, v22
	v_and_b32_e32 v17, 0xffff, v17
	v_or_b32_e32 v22, 1, v23
	v_lshlrev_b32_e32 v18, 16, v18
	s_barrier
	v_lshlrev_b32_e32 v21, 16, v21
	buffer_gl0_inv
	v_and_b32_e32 v22, 0xffff, v22
	v_or_b32_e32 v18, v17, v18
                                        ; implicit-def: $sgpr0
	s_delay_alu instid0(VALU_DEP_2)
	v_or_b32_e32 v17, v22, v21
	s_and_saveexec_b32 s1, s3
	s_cbranch_execz .LBB240_62
; %bb.61:
	v_add_nc_u32_e32 v20, -4, v20
	v_cmp_gt_u32_e32 vcc_lo, s25, v19
	s_or_b32 s14, s14, exec_lo
	ds_load_b32 v20, v20
	s_waitcnt lgkmcnt(0)
	v_cmp_ne_u32_e64 s0, v20, v15
	s_delay_alu instid0(VALU_DEP_1) | instskip(NEXT) | instid1(SALU_CYCLE_1)
	s_and_b32 s0, vcc_lo, s0
	s_and_b32 s0, s0, exec_lo
.LBB240_62:
	s_or_b32 exec_lo, exec_lo, s1
.LBB240_63:
	s_and_saveexec_b32 s1, s14
	s_cbranch_execz .LBB240_65
; %bb.64:
	s_waitcnt vmcnt(0) lgkmcnt(1)
	v_and_b32_e32 v20, 0xffffff00, v17
	v_cndmask_b32_e64 v21, 0, 1, s0
	s_delay_alu instid0(VALU_DEP_1) | instskip(NEXT) | instid1(VALU_DEP_1)
	v_or_b32_e32 v20, v21, v20
	v_and_b32_e32 v20, 0xffff, v20
	s_delay_alu instid0(VALU_DEP_1)
	v_and_or_b32 v17, 0xffff0000, v17, v20
.LBB240_65:
	s_or_b32 exec_lo, exec_lo, s1
	s_delay_alu instid0(SALU_CYCLE_1)
	s_and_not1_b32 vcc_lo, exec_lo, s26
	s_cbranch_vccnz .LBB240_67
; %bb.66:
	v_cmp_gt_u32_e32 vcc_lo, s25, v19
	v_or_b32_e32 v21, 1, v19
	v_and_b32_e32 v22, 0xffffff00, v18
	v_or_b32_e32 v23, 2, v19
	s_waitcnt vmcnt(0) lgkmcnt(1)
	v_cndmask_b32_e32 v20, 0, v17, vcc_lo
	v_cmp_gt_u32_e32 vcc_lo, s25, v21
	v_or_b32_e32 v21, 4, v19
	v_cmp_gt_u32_e64 s0, s25, v23
	v_or_b32_e32 v23, 3, v19
	v_and_b32_e32 v20, 0xff, v20
	s_delay_alu instid0(VALU_DEP_2) | instskip(NEXT) | instid1(VALU_DEP_2)
	v_cmp_gt_u32_e64 s1, s25, v23
	v_cndmask_b32_e32 v20, v20, v17, vcc_lo
	v_cmp_gt_u32_e32 vcc_lo, s25, v21
	s_delay_alu instid0(VALU_DEP_2) | instskip(SKIP_1) | instid1(VALU_DEP_2)
	v_dual_cndmask_b32 v21, v22, v18 :: v_dual_and_b32 v20, 0xffff, v20
	v_or_b32_e32 v22, 5, v19
	v_cndmask_b32_e64 v20, v20, v17, s0
	s_delay_alu instid0(VALU_DEP_3) | instskip(NEXT) | instid1(VALU_DEP_3)
	v_and_b32_e32 v21, 0xffff00ff, v21
	v_cmp_gt_u32_e64 s0, s25, v22
	v_or_b32_e32 v22, 6, v19
	v_or_b32_e32 v19, 7, v19
	v_and_b32_e32 v20, 0xffffff, v20
	s_delay_alu instid0(VALU_DEP_4) | instskip(NEXT) | instid1(VALU_DEP_2)
	v_cndmask_b32_e64 v21, v21, v18, s0
	v_cndmask_b32_e64 v20, v20, v17, s1
	s_delay_alu instid0(VALU_DEP_2) | instskip(NEXT) | instid1(VALU_DEP_2)
	v_and_b32_e32 v21, 0xff00ffff, v21
	v_cndmask_b32_e32 v20, v20, v17, vcc_lo
	v_cmp_gt_u32_e32 vcc_lo, s25, v22
	s_delay_alu instid0(VALU_DEP_2) | instskip(NEXT) | instid1(VALU_DEP_1)
	v_cndmask_b32_e64 v20, v20, v17, s0
	v_dual_cndmask_b32 v21, v21, v18 :: v_dual_cndmask_b32 v20, v20, v17
	s_delay_alu instid0(VALU_DEP_1) | instskip(SKIP_1) | instid1(VALU_DEP_2)
	v_and_b32_e32 v21, 0xffffff, v21
	v_cmp_gt_u32_e32 vcc_lo, s25, v19
	v_dual_cndmask_b32 v18, v21, v18 :: v_dual_cndmask_b32 v17, v20, v17
.LBB240_67:
	s_delay_alu instid0(VALU_DEP_1) | instskip(NEXT) | instid1(VALU_DEP_2)
	v_and_b32_e32 v28, 0xff, v17
	v_alignbit_b32 v19, v18, v17, 24
	v_bfe_u32 v30, v17, 8, 8
	v_bfe_u32 v32, v17, 16, 8
	v_and_b32_e32 v36, 0xff, v18
	v_bfe_u32 v38, v18, 8, 8
	v_and_b32_e32 v34, 0xff, v19
	v_add_nc_u32_e32 v19, v30, v28
	s_waitcnt vmcnt(0) lgkmcnt(1)
	v_and_b32_e32 v20, 0x1e0, v0
	v_mbcnt_lo_u32_b32 v41, -1, 0
	v_bfe_u32 v40, v18, 16, 8
	v_lshrrev_b32_e32 v39, 24, v18
	v_add3_u32 v19, v19, v32, v34
	v_min_u32_e32 v20, 0x160, v20
	v_and_b32_e32 v21, 15, v41
	v_lshrrev_b32_e32 v42, 5, v0
	s_and_b32 vcc_lo, exec_lo, s9
	v_add3_u32 v19, v19, v36, v38
	v_or_b32_e32 v20, 31, v20
	v_cmp_eq_u32_e64 s3, 0, v21
	v_cmp_lt_u32_e64 s4, 1, v21
	v_cmp_lt_u32_e64 s1, 3, v21
	v_add3_u32 v43, v19, v40, v39
	v_and_b32_e32 v19, 16, v41
	v_cmp_lt_u32_e64 s0, 7, v21
	v_cmp_eq_u32_e64 s5, v20, v0
	s_mov_b32 s7, -1
	s_waitcnt lgkmcnt(0)
	v_cmp_eq_u32_e64 s6, 0, v19
	s_barrier
	buffer_gl0_inv
	s_cbranch_vccz .LBB240_93
; %bb.68:
	v_mov_b32_dpp v19, v43 row_shr:1 row_mask:0xf bank_mask:0xf
	s_delay_alu instid0(VALU_DEP_1) | instskip(NEXT) | instid1(VALU_DEP_1)
	v_cndmask_b32_e64 v19, v19, 0, s3
	v_add_nc_u32_e32 v19, v19, v43
	s_delay_alu instid0(VALU_DEP_1) | instskip(NEXT) | instid1(VALU_DEP_1)
	v_mov_b32_dpp v20, v19 row_shr:2 row_mask:0xf bank_mask:0xf
	v_cndmask_b32_e64 v20, 0, v20, s4
	s_delay_alu instid0(VALU_DEP_1) | instskip(NEXT) | instid1(VALU_DEP_1)
	v_add_nc_u32_e32 v19, v19, v20
	v_mov_b32_dpp v20, v19 row_shr:4 row_mask:0xf bank_mask:0xf
	s_delay_alu instid0(VALU_DEP_1) | instskip(NEXT) | instid1(VALU_DEP_1)
	v_cndmask_b32_e64 v20, 0, v20, s1
	v_add_nc_u32_e32 v19, v19, v20
	s_delay_alu instid0(VALU_DEP_1) | instskip(NEXT) | instid1(VALU_DEP_1)
	v_mov_b32_dpp v20, v19 row_shr:8 row_mask:0xf bank_mask:0xf
	v_cndmask_b32_e64 v20, 0, v20, s0
	s_delay_alu instid0(VALU_DEP_1) | instskip(SKIP_3) | instid1(VALU_DEP_1)
	v_add_nc_u32_e32 v19, v19, v20
	ds_swizzle_b32 v20, v19 offset:swizzle(BROADCAST,32,15)
	s_waitcnt lgkmcnt(0)
	v_cndmask_b32_e64 v20, v20, 0, s6
	v_add_nc_u32_e32 v19, v19, v20
	s_and_saveexec_b32 s7, s5
	s_cbranch_execz .LBB240_70
; %bb.69:
	v_lshlrev_b32_e32 v20, 2, v42
	ds_store_b32 v20, v19
.LBB240_70:
	s_or_b32 exec_lo, exec_lo, s7
	s_delay_alu instid0(SALU_CYCLE_1)
	s_mov_b32 s7, exec_lo
	s_waitcnt lgkmcnt(0)
	s_barrier
	buffer_gl0_inv
	v_cmpx_gt_u32_e32 12, v0
	s_cbranch_execz .LBB240_72
; %bb.71:
	v_lshlrev_b32_e32 v20, 2, v0
	ds_load_b32 v21, v20
	s_waitcnt lgkmcnt(0)
	v_mov_b32_dpp v22, v21 row_shr:1 row_mask:0xf bank_mask:0xf
	s_delay_alu instid0(VALU_DEP_1) | instskip(NEXT) | instid1(VALU_DEP_1)
	v_cndmask_b32_e64 v22, v22, 0, s3
	v_add_nc_u32_e32 v21, v22, v21
	s_delay_alu instid0(VALU_DEP_1) | instskip(NEXT) | instid1(VALU_DEP_1)
	v_mov_b32_dpp v22, v21 row_shr:2 row_mask:0xf bank_mask:0xf
	v_cndmask_b32_e64 v22, 0, v22, s4
	s_delay_alu instid0(VALU_DEP_1) | instskip(NEXT) | instid1(VALU_DEP_1)
	v_add_nc_u32_e32 v21, v21, v22
	v_mov_b32_dpp v22, v21 row_shr:4 row_mask:0xf bank_mask:0xf
	s_delay_alu instid0(VALU_DEP_1) | instskip(NEXT) | instid1(VALU_DEP_1)
	v_cndmask_b32_e64 v22, 0, v22, s1
	v_add_nc_u32_e32 v21, v21, v22
	s_delay_alu instid0(VALU_DEP_1) | instskip(NEXT) | instid1(VALU_DEP_1)
	v_mov_b32_dpp v22, v21 row_shr:8 row_mask:0xf bank_mask:0xf
	v_cndmask_b32_e64 v22, 0, v22, s0
	s_delay_alu instid0(VALU_DEP_1)
	v_add_nc_u32_e32 v21, v21, v22
	ds_store_b32 v20, v21
.LBB240_72:
	s_or_b32 exec_lo, exec_lo, s7
	v_cmp_gt_u32_e32 vcc_lo, 32, v0
	s_mov_b32 s8, exec_lo
	s_waitcnt lgkmcnt(0)
	s_barrier
	buffer_gl0_inv
                                        ; implicit-def: $vgpr27
	v_cmpx_lt_u32_e32 31, v0
	s_cbranch_execz .LBB240_74
; %bb.73:
	v_lshl_add_u32 v20, v42, 2, -4
	ds_load_b32 v27, v20
	s_waitcnt lgkmcnt(0)
	v_add_nc_u32_e32 v19, v27, v19
.LBB240_74:
	s_or_b32 exec_lo, exec_lo, s8
	v_add_nc_u32_e32 v20, -1, v41
	s_delay_alu instid0(VALU_DEP_1) | instskip(NEXT) | instid1(VALU_DEP_1)
	v_cmp_gt_i32_e64 s7, 0, v20
	v_cndmask_b32_e64 v20, v20, v41, s7
	v_cmp_eq_u32_e64 s7, 0, v41
	s_delay_alu instid0(VALU_DEP_2)
	v_lshlrev_b32_e32 v20, 2, v20
	ds_bpermute_b32 v29, v20, v19
	s_and_saveexec_b32 s8, vcc_lo
	s_cbranch_execz .LBB240_92
; %bb.75:
	v_mov_b32_e32 v23, 0
	ds_load_b32 v19, v23 offset:44
	s_and_saveexec_b32 s9, s7
	s_cbranch_execz .LBB240_77
; %bb.76:
	s_add_i32 s14, s24, 32
	s_mov_b32 s15, 0
	v_mov_b32_e32 v20, 1
	s_lshl_b64 s[14:15], s[14:15], 3
	s_delay_alu instid0(SALU_CYCLE_1)
	s_add_u32 s14, s20, s14
	s_addc_u32 s15, s21, s15
	s_waitcnt lgkmcnt(0)
	global_store_b64 v23, v[19:20], s[14:15]
.LBB240_77:
	s_or_b32 exec_lo, exec_lo, s9
	v_xad_u32 v21, v41, -1, s24
	s_mov_b32 s14, 0
	s_mov_b32 s9, exec_lo
	s_delay_alu instid0(VALU_DEP_1) | instskip(NEXT) | instid1(VALU_DEP_1)
	v_add_nc_u32_e32 v22, 32, v21
	v_lshlrev_b64 v[22:23], 3, v[22:23]
	s_delay_alu instid0(VALU_DEP_1) | instskip(NEXT) | instid1(VALU_DEP_2)
	v_add_co_u32 v25, vcc_lo, s20, v22
	v_add_co_ci_u32_e32 v26, vcc_lo, s21, v23, vcc_lo
	global_load_b64 v[23:24], v[25:26], off glc
	s_waitcnt vmcnt(0)
	v_and_b32_e32 v20, 0xff, v24
	s_delay_alu instid0(VALU_DEP_1)
	v_cmpx_eq_u16_e32 0, v20
	s_cbranch_execz .LBB240_80
.LBB240_78:                             ; =>This Inner Loop Header: Depth=1
	global_load_b64 v[23:24], v[25:26], off glc
	s_waitcnt vmcnt(0)
	v_and_b32_e32 v20, 0xff, v24
	s_delay_alu instid0(VALU_DEP_1) | instskip(SKIP_1) | instid1(SALU_CYCLE_1)
	v_cmp_ne_u16_e32 vcc_lo, 0, v20
	s_or_b32 s14, vcc_lo, s14
	s_and_not1_b32 exec_lo, exec_lo, s14
	s_cbranch_execnz .LBB240_78
; %bb.79:
	s_or_b32 exec_lo, exec_lo, s14
.LBB240_80:
	s_delay_alu instid0(SALU_CYCLE_1)
	s_or_b32 exec_lo, exec_lo, s9
	v_cmp_ne_u32_e32 vcc_lo, 31, v41
	v_lshlrev_b32_e64 v33, v41, -1
	v_add_nc_u32_e32 v37, 2, v41
	v_add_nc_u32_e32 v45, 4, v41
	;; [unrolled: 1-line block ×3, first 2 shown]
	v_add_co_ci_u32_e32 v20, vcc_lo, 0, v41, vcc_lo
	v_add_nc_u32_e32 v49, 16, v41
	s_delay_alu instid0(VALU_DEP_2)
	v_lshlrev_b32_e32 v31, 2, v20
	v_and_b32_e32 v20, 0xff, v24
	ds_bpermute_b32 v22, v31, v23
	v_cmp_eq_u16_e32 vcc_lo, 2, v20
	v_and_or_b32 v20, vcc_lo, v33, 0x80000000
	v_cmp_gt_u32_e32 vcc_lo, 30, v41
	s_delay_alu instid0(VALU_DEP_2) | instskip(SKIP_1) | instid1(VALU_DEP_2)
	v_ctz_i32_b32_e32 v20, v20
	v_cndmask_b32_e64 v25, 0, 1, vcc_lo
	v_cmp_lt_u32_e32 vcc_lo, v41, v20
	s_waitcnt lgkmcnt(0)
	s_delay_alu instid0(VALU_DEP_2) | instskip(NEXT) | instid1(VALU_DEP_1)
	v_dual_cndmask_b32 v22, 0, v22 :: v_dual_lshlrev_b32 v25, 1, v25
	v_add_lshl_u32 v35, v25, v41, 2
	v_cmp_gt_u32_e32 vcc_lo, 28, v41
	s_delay_alu instid0(VALU_DEP_3) | instskip(SKIP_4) | instid1(VALU_DEP_1)
	v_add_nc_u32_e32 v22, v22, v23
	v_cndmask_b32_e64 v25, 0, 1, vcc_lo
	v_cmp_le_u32_e32 vcc_lo, v37, v20
	ds_bpermute_b32 v23, v35, v22
	v_lshlrev_b32_e32 v25, 2, v25
	v_add_lshl_u32 v44, v25, v41, 2
	s_waitcnt lgkmcnt(0)
	v_cndmask_b32_e32 v23, 0, v23, vcc_lo
	v_cmp_gt_u32_e32 vcc_lo, 24, v41
	s_delay_alu instid0(VALU_DEP_2) | instskip(SKIP_4) | instid1(VALU_DEP_1)
	v_add_nc_u32_e32 v22, v22, v23
	v_cndmask_b32_e64 v25, 0, 1, vcc_lo
	v_cmp_le_u32_e32 vcc_lo, v45, v20
	ds_bpermute_b32 v23, v44, v22
	v_lshlrev_b32_e32 v25, 3, v25
	v_add_lshl_u32 v46, v25, v41, 2
	s_waitcnt lgkmcnt(0)
	v_cndmask_b32_e32 v23, 0, v23, vcc_lo
	v_cmp_gt_u32_e32 vcc_lo, 16, v41
	s_delay_alu instid0(VALU_DEP_2) | instskip(SKIP_4) | instid1(VALU_DEP_1)
	v_add_nc_u32_e32 v22, v22, v23
	v_cndmask_b32_e64 v25, 0, 1, vcc_lo
	v_cmp_le_u32_e32 vcc_lo, v47, v20
	ds_bpermute_b32 v23, v46, v22
	v_lshlrev_b32_e32 v25, 4, v25
	v_add_lshl_u32 v48, v25, v41, 2
	s_waitcnt lgkmcnt(0)
	v_cndmask_b32_e32 v23, 0, v23, vcc_lo
	v_cmp_le_u32_e32 vcc_lo, v49, v20
	s_delay_alu instid0(VALU_DEP_2) | instskip(SKIP_3) | instid1(VALU_DEP_1)
	v_add_nc_u32_e32 v22, v22, v23
	ds_bpermute_b32 v23, v48, v22
	s_waitcnt lgkmcnt(0)
	v_cndmask_b32_e32 v20, 0, v23, vcc_lo
	v_dual_mov_b32 v22, 0 :: v_dual_add_nc_u32 v23, v22, v20
	s_branch .LBB240_82
.LBB240_81:                             ;   in Loop: Header=BB240_82 Depth=1
	s_or_b32 exec_lo, exec_lo, s9
	ds_bpermute_b32 v26, v31, v23
	v_and_b32_e32 v25, 0xff, v24
	v_subrev_nc_u32_e32 v21, 32, v21
	s_delay_alu instid0(VALU_DEP_2) | instskip(SKIP_1) | instid1(VALU_DEP_1)
	v_cmp_eq_u16_e32 vcc_lo, 2, v25
	v_and_or_b32 v25, vcc_lo, v33, 0x80000000
	v_ctz_i32_b32_e32 v25, v25
	s_delay_alu instid0(VALU_DEP_1) | instskip(SKIP_3) | instid1(VALU_DEP_2)
	v_cmp_lt_u32_e32 vcc_lo, v41, v25
	s_waitcnt lgkmcnt(0)
	v_cndmask_b32_e32 v26, 0, v26, vcc_lo
	v_cmp_le_u32_e32 vcc_lo, v37, v25
	v_add_nc_u32_e32 v23, v26, v23
	ds_bpermute_b32 v26, v35, v23
	s_waitcnt lgkmcnt(0)
	v_cndmask_b32_e32 v26, 0, v26, vcc_lo
	v_cmp_le_u32_e32 vcc_lo, v45, v25
	s_delay_alu instid0(VALU_DEP_2) | instskip(SKIP_4) | instid1(VALU_DEP_2)
	v_add_nc_u32_e32 v23, v23, v26
	ds_bpermute_b32 v26, v44, v23
	s_waitcnt lgkmcnt(0)
	v_cndmask_b32_e32 v26, 0, v26, vcc_lo
	v_cmp_le_u32_e32 vcc_lo, v47, v25
	v_add_nc_u32_e32 v23, v23, v26
	ds_bpermute_b32 v26, v46, v23
	s_waitcnt lgkmcnt(0)
	v_cndmask_b32_e32 v26, 0, v26, vcc_lo
	v_cmp_le_u32_e32 vcc_lo, v49, v25
	s_delay_alu instid0(VALU_DEP_2) | instskip(SKIP_3) | instid1(VALU_DEP_1)
	v_add_nc_u32_e32 v23, v23, v26
	ds_bpermute_b32 v26, v48, v23
	s_waitcnt lgkmcnt(0)
	v_cndmask_b32_e32 v25, 0, v26, vcc_lo
	v_add3_u32 v23, v25, v20, v23
.LBB240_82:                             ; =>This Loop Header: Depth=1
                                        ;     Child Loop BB240_85 Depth 2
	v_and_b32_e32 v20, 0xff, v24
	s_delay_alu instid0(VALU_DEP_1) | instskip(SKIP_2) | instid1(VALU_DEP_1)
	v_cmp_ne_u16_e32 vcc_lo, 2, v20
	v_cndmask_b32_e64 v20, 0, 1, vcc_lo
	;;#ASMSTART
	;;#ASMEND
	v_cmp_ne_u32_e32 vcc_lo, 0, v20
	v_mov_b32_e32 v20, v23
	s_cmp_lg_u32 vcc_lo, exec_lo
	s_cbranch_scc1 .LBB240_87
; %bb.83:                               ;   in Loop: Header=BB240_82 Depth=1
	v_lshlrev_b64 v[23:24], 3, v[21:22]
	s_mov_b32 s9, exec_lo
	s_delay_alu instid0(VALU_DEP_1) | instskip(NEXT) | instid1(VALU_DEP_2)
	v_add_co_u32 v25, vcc_lo, s20, v23
	v_add_co_ci_u32_e32 v26, vcc_lo, s21, v24, vcc_lo
	global_load_b64 v[23:24], v[25:26], off glc
	s_waitcnt vmcnt(0)
	v_and_b32_e32 v50, 0xff, v24
	s_delay_alu instid0(VALU_DEP_1)
	v_cmpx_eq_u16_e32 0, v50
	s_cbranch_execz .LBB240_81
; %bb.84:                               ;   in Loop: Header=BB240_82 Depth=1
	s_mov_b32 s14, 0
.LBB240_85:                             ;   Parent Loop BB240_82 Depth=1
                                        ; =>  This Inner Loop Header: Depth=2
	global_load_b64 v[23:24], v[25:26], off glc
	s_waitcnt vmcnt(0)
	v_and_b32_e32 v50, 0xff, v24
	s_delay_alu instid0(VALU_DEP_1) | instskip(SKIP_1) | instid1(SALU_CYCLE_1)
	v_cmp_ne_u16_e32 vcc_lo, 0, v50
	s_or_b32 s14, vcc_lo, s14
	s_and_not1_b32 exec_lo, exec_lo, s14
	s_cbranch_execnz .LBB240_85
; %bb.86:                               ;   in Loop: Header=BB240_82 Depth=1
	s_or_b32 exec_lo, exec_lo, s14
	s_branch .LBB240_81
.LBB240_87:                             ;   in Loop: Header=BB240_82 Depth=1
                                        ; implicit-def: $vgpr23
                                        ; implicit-def: $vgpr24
	s_cbranch_execz .LBB240_82
; %bb.88:
	s_and_saveexec_b32 s9, s7
	s_cbranch_execz .LBB240_90
; %bb.89:
	s_add_i32 s14, s24, 32
	s_mov_b32 s15, 0
	v_dual_mov_b32 v22, 2 :: v_dual_add_nc_u32 v21, v20, v19
	s_lshl_b64 s[14:15], s[14:15], 3
	v_mov_b32_e32 v23, 0
	s_add_u32 s14, s20, s14
	s_addc_u32 s15, s21, s15
	global_store_b64 v23, v[21:22], s[14:15]
	ds_store_b64 v23, v[19:20] offset:12672
.LBB240_90:
	s_or_b32 exec_lo, exec_lo, s9
	s_delay_alu instid0(SALU_CYCLE_1)
	s_and_b32 exec_lo, exec_lo, s2
	s_cbranch_execz .LBB240_92
; %bb.91:
	v_mov_b32_e32 v19, 0
	ds_store_b32 v19, v20 offset:44
.LBB240_92:
	s_or_b32 exec_lo, exec_lo, s8
	v_mov_b32_e32 v19, 0
	s_waitcnt lgkmcnt(0)
	s_waitcnt_vscnt null, 0x0
	s_barrier
	buffer_gl0_inv
	v_cndmask_b32_e64 v21, v29, v27, s7
	ds_load_b32 v20, v19 offset:44
	s_waitcnt lgkmcnt(0)
	s_barrier
	buffer_gl0_inv
	v_cndmask_b32_e64 v21, v21, 0, s2
	s_delay_alu instid0(VALU_DEP_1) | instskip(SKIP_2) | instid1(VALU_DEP_1)
	v_add_nc_u32_e32 v37, v20, v21
	ds_load_b64 v[19:20], v19 offset:12672
	v_add_nc_u32_e32 v35, v37, v28
	v_add_nc_u32_e32 v33, v35, v30
	s_delay_alu instid0(VALU_DEP_1) | instskip(NEXT) | instid1(VALU_DEP_1)
	v_add_nc_u32_e32 v31, v33, v32
	v_add_nc_u32_e32 v29, v31, v34
	s_delay_alu instid0(VALU_DEP_1) | instskip(NEXT) | instid1(VALU_DEP_1)
	v_add_nc_u32_e32 v27, v29, v36
	v_add_nc_u32_e32 v25, v27, v38
	s_delay_alu instid0(VALU_DEP_1)
	v_add_nc_u32_e32 v23, v25, v40
	v_lshrrev_b64 v[21:22], 24, v[17:18]
	s_branch .LBB240_103
.LBB240_93:
                                        ; implicit-def: $vgpr23
                                        ; implicit-def: $vgpr25
                                        ; implicit-def: $vgpr27
                                        ; implicit-def: $vgpr29
                                        ; implicit-def: $vgpr31
                                        ; implicit-def: $vgpr33
                                        ; implicit-def: $vgpr35
                                        ; implicit-def: $vgpr37
                                        ; implicit-def: $vgpr20
	v_lshrrev_b64 v[21:22], 24, v[17:18]
	s_and_b32 vcc_lo, exec_lo, s7
	s_cbranch_vccz .LBB240_103
; %bb.94:
	s_waitcnt lgkmcnt(0)
	v_mov_b32_dpp v19, v43 row_shr:1 row_mask:0xf bank_mask:0xf
	s_delay_alu instid0(VALU_DEP_1) | instskip(NEXT) | instid1(VALU_DEP_1)
	v_cndmask_b32_e64 v19, v19, 0, s3
	v_add_nc_u32_e32 v19, v19, v43
	s_delay_alu instid0(VALU_DEP_1) | instskip(NEXT) | instid1(VALU_DEP_1)
	v_mov_b32_dpp v20, v19 row_shr:2 row_mask:0xf bank_mask:0xf
	v_cndmask_b32_e64 v20, 0, v20, s4
	s_delay_alu instid0(VALU_DEP_1) | instskip(NEXT) | instid1(VALU_DEP_1)
	v_add_nc_u32_e32 v19, v19, v20
	v_mov_b32_dpp v20, v19 row_shr:4 row_mask:0xf bank_mask:0xf
	s_delay_alu instid0(VALU_DEP_1) | instskip(NEXT) | instid1(VALU_DEP_1)
	v_cndmask_b32_e64 v20, 0, v20, s1
	v_add_nc_u32_e32 v19, v19, v20
	s_delay_alu instid0(VALU_DEP_1) | instskip(NEXT) | instid1(VALU_DEP_1)
	v_mov_b32_dpp v20, v19 row_shr:8 row_mask:0xf bank_mask:0xf
	v_cndmask_b32_e64 v20, 0, v20, s0
	s_delay_alu instid0(VALU_DEP_1) | instskip(SKIP_3) | instid1(VALU_DEP_1)
	v_add_nc_u32_e32 v19, v19, v20
	ds_swizzle_b32 v20, v19 offset:swizzle(BROADCAST,32,15)
	s_waitcnt lgkmcnt(0)
	v_cndmask_b32_e64 v20, v20, 0, s6
	v_add_nc_u32_e32 v19, v19, v20
	s_and_saveexec_b32 s6, s5
	s_cbranch_execz .LBB240_96
; %bb.95:
	v_lshlrev_b32_e32 v20, 2, v42
	ds_store_b32 v20, v19
.LBB240_96:
	s_or_b32 exec_lo, exec_lo, s6
	s_delay_alu instid0(SALU_CYCLE_1)
	s_mov_b32 s5, exec_lo
	s_waitcnt lgkmcnt(0)
	s_barrier
	buffer_gl0_inv
	v_cmpx_gt_u32_e32 12, v0
	s_cbranch_execz .LBB240_98
; %bb.97:
	v_lshlrev_b32_e32 v20, 2, v0
	ds_load_b32 v22, v20
	s_waitcnt lgkmcnt(0)
	v_mov_b32_dpp v23, v22 row_shr:1 row_mask:0xf bank_mask:0xf
	s_delay_alu instid0(VALU_DEP_1) | instskip(NEXT) | instid1(VALU_DEP_1)
	v_cndmask_b32_e64 v23, v23, 0, s3
	v_add_nc_u32_e32 v22, v23, v22
	s_delay_alu instid0(VALU_DEP_1) | instskip(NEXT) | instid1(VALU_DEP_1)
	v_mov_b32_dpp v23, v22 row_shr:2 row_mask:0xf bank_mask:0xf
	v_cndmask_b32_e64 v23, 0, v23, s4
	s_delay_alu instid0(VALU_DEP_1) | instskip(NEXT) | instid1(VALU_DEP_1)
	v_add_nc_u32_e32 v22, v22, v23
	v_mov_b32_dpp v23, v22 row_shr:4 row_mask:0xf bank_mask:0xf
	s_delay_alu instid0(VALU_DEP_1) | instskip(NEXT) | instid1(VALU_DEP_1)
	v_cndmask_b32_e64 v23, 0, v23, s1
	v_add_nc_u32_e32 v22, v22, v23
	s_delay_alu instid0(VALU_DEP_1) | instskip(NEXT) | instid1(VALU_DEP_1)
	v_mov_b32_dpp v23, v22 row_shr:8 row_mask:0xf bank_mask:0xf
	v_cndmask_b32_e64 v23, 0, v23, s0
	s_delay_alu instid0(VALU_DEP_1)
	v_add_nc_u32_e32 v22, v22, v23
	ds_store_b32 v20, v22
.LBB240_98:
	s_or_b32 exec_lo, exec_lo, s5
	v_mov_b32_e32 v20, 0
	v_mov_b32_e32 v22, 0
	s_mov_b32 s0, exec_lo
	s_waitcnt lgkmcnt(0)
	s_barrier
	buffer_gl0_inv
	v_cmpx_lt_u32_e32 31, v0
	s_cbranch_execz .LBB240_100
; %bb.99:
	v_lshl_add_u32 v22, v42, 2, -4
	ds_load_b32 v22, v22
.LBB240_100:
	s_or_b32 exec_lo, exec_lo, s0
	v_add_nc_u32_e32 v23, -1, v41
	s_waitcnt lgkmcnt(0)
	v_add_nc_u32_e32 v19, v22, v19
	s_delay_alu instid0(VALU_DEP_2) | instskip(SKIP_1) | instid1(VALU_DEP_1)
	v_cmp_gt_i32_e32 vcc_lo, 0, v23
	v_cndmask_b32_e32 v23, v23, v41, vcc_lo
	v_lshlrev_b32_e32 v23, 2, v23
	ds_bpermute_b32 v23, v23, v19
	ds_load_b32 v19, v20 offset:44
	s_and_saveexec_b32 s0, s2
	s_cbranch_execz .LBB240_102
; %bb.101:
	v_mov_b32_e32 v24, 0
	v_mov_b32_e32 v20, 2
	s_waitcnt lgkmcnt(0)
	global_store_b64 v24, v[19:20], s[20:21] offset:256
.LBB240_102:
	s_or_b32 exec_lo, exec_lo, s0
	v_cmp_eq_u32_e32 vcc_lo, 0, v41
	s_waitcnt lgkmcnt(0)
	s_waitcnt_vscnt null, 0x0
	s_barrier
	buffer_gl0_inv
	v_cndmask_b32_e32 v20, v23, v22, vcc_lo
	s_delay_alu instid0(VALU_DEP_1) | instskip(NEXT) | instid1(VALU_DEP_1)
	v_cndmask_b32_e64 v37, v20, 0, s2
	v_dual_mov_b32 v20, 0 :: v_dual_add_nc_u32 v35, v37, v28
	s_delay_alu instid0(VALU_DEP_1) | instskip(NEXT) | instid1(VALU_DEP_1)
	v_add_nc_u32_e32 v33, v35, v30
	v_add_nc_u32_e32 v31, v33, v32
	s_delay_alu instid0(VALU_DEP_1) | instskip(NEXT) | instid1(VALU_DEP_1)
	v_add_nc_u32_e32 v29, v31, v34
	v_add_nc_u32_e32 v27, v29, v36
	;; [unrolled: 3-line block ×3, first 2 shown]
.LBB240_103:
	s_waitcnt lgkmcnt(0)
	v_add_nc_u32_e32 v43, v20, v19
	v_cmp_gt_u32_e64 s0, 0x181, v19
	v_lshrrev_b32_e32 v42, 8, v17
	v_lshrrev_b32_e32 v41, 16, v17
	v_lshrrev_b32_e32 v40, 8, v18
	v_lshrrev_b32_e32 v22, 16, v18
	v_cmp_lt_u32_e64 s1, v37, v43
	s_and_b32 vcc_lo, exec_lo, s0
	s_mov_b32 s3, -1
	s_cbranch_vccz .LBB240_129
; %bb.104:
	s_lshl_b64 s[4:5], s[10:11], 2
	s_delay_alu instid0(SALU_CYCLE_1) | instskip(SKIP_2) | instid1(SALU_CYCLE_1)
	s_add_u32 s3, s16, s4
	s_addc_u32 s4, s17, s5
	s_or_b32 s5, s23, s1
	s_and_saveexec_b32 s1, s5
	s_cbranch_execz .LBB240_107
; %bb.105:
	v_and_b32_e32 v24, 1, v17
	s_delay_alu instid0(VALU_DEP_1)
	v_cmp_eq_u32_e32 vcc_lo, 1, v24
	s_and_b32 exec_lo, exec_lo, vcc_lo
	s_cbranch_execz .LBB240_107
; %bb.106:
	v_mov_b32_e32 v38, 0
	s_delay_alu instid0(VALU_DEP_1) | instskip(NEXT) | instid1(VALU_DEP_1)
	v_lshlrev_b64 v[44:45], 2, v[37:38]
	v_add_co_u32 v44, vcc_lo, s3, v44
	s_delay_alu instid0(VALU_DEP_2)
	v_add_co_ci_u32_e32 v45, vcc_lo, s4, v45, vcc_lo
	global_store_b32 v[44:45], v15, off
.LBB240_107:
	s_or_b32 exec_lo, exec_lo, s1
	v_cmp_lt_u32_e32 vcc_lo, v35, v43
	s_or_b32 s5, s23, vcc_lo
	s_delay_alu instid0(SALU_CYCLE_1)
	s_and_saveexec_b32 s1, s5
	s_cbranch_execz .LBB240_110
; %bb.108:
	v_and_b32_e32 v24, 1, v42
	s_delay_alu instid0(VALU_DEP_1)
	v_cmp_eq_u32_e32 vcc_lo, 1, v24
	s_and_b32 exec_lo, exec_lo, vcc_lo
	s_cbranch_execz .LBB240_110
; %bb.109:
	v_mov_b32_e32 v36, 0
	s_delay_alu instid0(VALU_DEP_1) | instskip(NEXT) | instid1(VALU_DEP_1)
	v_lshlrev_b64 v[44:45], 2, v[35:36]
	v_add_co_u32 v44, vcc_lo, s3, v44
	s_delay_alu instid0(VALU_DEP_2)
	v_add_co_ci_u32_e32 v45, vcc_lo, s4, v45, vcc_lo
	global_store_b32 v[44:45], v16, off
.LBB240_110:
	s_or_b32 exec_lo, exec_lo, s1
	v_cmp_lt_u32_e32 vcc_lo, v33, v43
	s_or_b32 s5, s23, vcc_lo
	s_delay_alu instid0(SALU_CYCLE_1)
	;; [unrolled: 21-line block ×7, first 2 shown]
	s_and_saveexec_b32 s1, s5
	s_cbranch_execz .LBB240_128
; %bb.126:
	v_and_b32_e32 v24, 1, v39
	s_delay_alu instid0(VALU_DEP_1)
	v_cmp_eq_u32_e32 vcc_lo, 1, v24
	s_and_b32 exec_lo, exec_lo, vcc_lo
	s_cbranch_execz .LBB240_128
; %bb.127:
	v_mov_b32_e32 v24, 0
	s_delay_alu instid0(VALU_DEP_1) | instskip(NEXT) | instid1(VALU_DEP_1)
	v_lshlrev_b64 v[44:45], 2, v[23:24]
	v_add_co_u32 v44, vcc_lo, s3, v44
	s_delay_alu instid0(VALU_DEP_2)
	v_add_co_ci_u32_e32 v45, vcc_lo, s4, v45, vcc_lo
	global_store_b32 v[44:45], v10, off
.LBB240_128:
	s_or_b32 exec_lo, exec_lo, s1
	s_mov_b32 s3, 0
.LBB240_129:
	v_and_b32_e32 v17, 1, v17
	s_and_b32 vcc_lo, exec_lo, s3
	s_delay_alu instid0(VALU_DEP_1)
	v_cmp_eq_u32_e64 s1, 1, v17
	s_cbranch_vccz .LBB240_150
; %bb.130:
	s_delay_alu instid0(VALU_DEP_1)
	s_and_saveexec_b32 s3, s1
	s_cbranch_execz .LBB240_132
; %bb.131:
	v_sub_nc_u32_e32 v24, v37, v20
	s_delay_alu instid0(VALU_DEP_1)
	v_lshlrev_b32_e32 v24, 2, v24
	ds_store_b32 v24, v15
.LBB240_132:
	s_or_b32 exec_lo, exec_lo, s3
	v_and_b32_e32 v15, 1, v42
	s_mov_b32 s1, exec_lo
	s_delay_alu instid0(VALU_DEP_1)
	v_cmpx_eq_u32_e32 1, v15
	s_cbranch_execz .LBB240_134
; %bb.133:
	v_sub_nc_u32_e32 v15, v35, v20
	s_delay_alu instid0(VALU_DEP_1)
	v_lshlrev_b32_e32 v15, 2, v15
	ds_store_b32 v15, v16
.LBB240_134:
	s_or_b32 exec_lo, exec_lo, s1
	v_and_b32_e32 v15, 1, v41
	s_mov_b32 s1, exec_lo
	s_delay_alu instid0(VALU_DEP_1)
	v_cmpx_eq_u32_e32 1, v15
	;; [unrolled: 12-line block ×7, first 2 shown]
	s_cbranch_execz .LBB240_146
; %bb.145:
	v_sub_nc_u32_e32 v9, v23, v20
	s_delay_alu instid0(VALU_DEP_1)
	v_lshlrev_b32_e32 v9, 2, v9
	ds_store_b32 v9, v10
.LBB240_146:
	s_or_b32 exec_lo, exec_lo, s1
	s_delay_alu instid0(SALU_CYCLE_1)
	s_mov_b32 s3, exec_lo
	s_waitcnt lgkmcnt(0)
	s_waitcnt_vscnt null, 0x0
	s_barrier
	buffer_gl0_inv
	v_cmpx_lt_u32_e64 v0, v19
	s_cbranch_execz .LBB240_149
; %bb.147:
	v_dual_mov_b32 v10, 0 :: v_dual_mov_b32 v9, v20
	s_lshl_b64 s[4:5], s[10:11], 2
	v_lshlrev_b32_e32 v11, 2, v0
	s_add_u32 s1, s16, s4
	s_addc_u32 s4, s17, s5
	v_lshlrev_b64 v[12:13], 2, v[9:10]
	v_mov_b32_e32 v9, v0
	s_delay_alu instid0(VALU_DEP_2) | instskip(NEXT) | instid1(VALU_DEP_3)
	v_add_co_u32 v12, vcc_lo, s1, v12
	v_add_co_ci_u32_e32 v13, vcc_lo, s4, v13, vcc_lo
	s_mov_b32 s4, 0
	.p2align	6
.LBB240_148:                            ; =>This Inner Loop Header: Depth=1
	ds_load_b32 v16, v11
	v_lshlrev_b64 v[14:15], 2, v[9:10]
	v_add_nc_u32_e32 v9, 0x180, v9
	v_add_nc_u32_e32 v11, 0x600, v11
	s_delay_alu instid0(VALU_DEP_2) | instskip(NEXT) | instid1(VALU_DEP_4)
	v_cmp_ge_u32_e32 vcc_lo, v9, v19
	v_add_co_u32 v14, s1, v12, v14
	s_delay_alu instid0(VALU_DEP_1)
	v_add_co_ci_u32_e64 v15, s1, v13, v15, s1
	s_or_b32 s4, vcc_lo, s4
	s_waitcnt lgkmcnt(0)
	global_store_b32 v[14:15], v16, off
	s_and_not1_b32 exec_lo, exec_lo, s4
	s_cbranch_execnz .LBB240_148
.LBB240_149:
	s_or_b32 exec_lo, exec_lo, s3
.LBB240_150:
	s_delay_alu instid0(SALU_CYCLE_1)
	s_and_b32 vcc_lo, exec_lo, s0
	s_mov_b32 s0, -1
	s_waitcnt_vscnt null, 0x0
	s_barrier
	buffer_gl0_inv
	s_cbranch_vccz .LBB240_178
; %bb.151:
	v_cmp_lt_u32_e32 vcc_lo, v37, v43
	s_lshl_b64 s[0:1], s[10:11], 2
	s_delay_alu instid0(SALU_CYCLE_1) | instskip(SKIP_2) | instid1(SALU_CYCLE_1)
	s_add_u32 s0, s18, s0
	s_addc_u32 s1, s19, s1
	s_or_b32 s4, s23, vcc_lo
	s_and_saveexec_b32 s3, s4
	s_cbranch_execz .LBB240_154
; %bb.152:
	v_cmp_eq_u32_e32 vcc_lo, 1, v17
	s_and_b32 exec_lo, exec_lo, vcc_lo
	s_cbranch_execz .LBB240_154
; %bb.153:
	v_mov_b32_e32 v38, 0
	s_delay_alu instid0(VALU_DEP_1) | instskip(NEXT) | instid1(VALU_DEP_1)
	v_lshlrev_b64 v[9:10], 2, v[37:38]
	v_add_co_u32 v9, vcc_lo, s0, v9
	s_delay_alu instid0(VALU_DEP_2)
	v_add_co_ci_u32_e32 v10, vcc_lo, s1, v10, vcc_lo
	global_store_b32 v[9:10], v7, off
.LBB240_154:
	s_or_b32 exec_lo, exec_lo, s3
	v_cmp_lt_u32_e32 vcc_lo, v35, v43
	s_or_b32 s4, s23, vcc_lo
	s_delay_alu instid0(SALU_CYCLE_1)
	s_and_saveexec_b32 s3, s4
	s_cbranch_execz .LBB240_157
; %bb.155:
	v_and_b32_e32 v9, 1, v42
	s_delay_alu instid0(VALU_DEP_1)
	v_cmp_eq_u32_e32 vcc_lo, 1, v9
	s_and_b32 exec_lo, exec_lo, vcc_lo
	s_cbranch_execz .LBB240_157
; %bb.156:
	v_mov_b32_e32 v36, 0
	s_delay_alu instid0(VALU_DEP_1) | instskip(NEXT) | instid1(VALU_DEP_1)
	v_lshlrev_b64 v[9:10], 2, v[35:36]
	v_add_co_u32 v9, vcc_lo, s0, v9
	s_delay_alu instid0(VALU_DEP_2)
	v_add_co_ci_u32_e32 v10, vcc_lo, s1, v10, vcc_lo
	global_store_b32 v[9:10], v8, off
.LBB240_157:
	s_or_b32 exec_lo, exec_lo, s3
	v_cmp_lt_u32_e32 vcc_lo, v33, v43
	s_or_b32 s4, s23, vcc_lo
	s_delay_alu instid0(SALU_CYCLE_1)
	s_and_saveexec_b32 s3, s4
	s_cbranch_execz .LBB240_160
; %bb.158:
	v_and_b32_e32 v9, 1, v41
	s_delay_alu instid0(VALU_DEP_1)
	v_cmp_eq_u32_e32 vcc_lo, 1, v9
	s_and_b32 exec_lo, exec_lo, vcc_lo
	s_cbranch_execz .LBB240_160
; %bb.159:
	v_mov_b32_e32 v34, 0
	s_delay_alu instid0(VALU_DEP_1) | instskip(NEXT) | instid1(VALU_DEP_1)
	v_lshlrev_b64 v[9:10], 2, v[33:34]
	v_add_co_u32 v9, vcc_lo, s0, v9
	s_delay_alu instid0(VALU_DEP_2)
	v_add_co_ci_u32_e32 v10, vcc_lo, s1, v10, vcc_lo
	global_store_b32 v[9:10], v5, off
.LBB240_160:
	;; [unrolled: 21-line block ×7, first 2 shown]
	s_or_b32 exec_lo, exec_lo, s3
.LBB240_176:
	s_and_b32 s0, s2, s22
	s_delay_alu instid0(SALU_CYCLE_1)
	s_and_saveexec_b32 s1, s0
	s_cbranch_execz .LBB240_199
.LBB240_177:
	v_add_co_u32 v0, s0, s10, v19
	s_delay_alu instid0(VALU_DEP_1) | instskip(SKIP_1) | instid1(VALU_DEP_3)
	v_add_co_ci_u32_e64 v1, null, s11, 0, s0
	v_mov_b32_e32 v2, 0
	v_add_co_u32 v0, vcc_lo, v0, v20
	s_delay_alu instid0(VALU_DEP_3)
	v_add_co_ci_u32_e32 v1, vcc_lo, 0, v1, vcc_lo
	global_store_b64 v2, v[0:1], s[12:13]
	s_nop 0
	s_sendmsg sendmsg(MSG_DEALLOC_VGPRS)
	s_endpgm
.LBB240_178:
	s_and_b32 vcc_lo, exec_lo, s0
	s_cbranch_vccz .LBB240_176
; %bb.179:
	s_mov_b32 s0, exec_lo
	v_cmpx_eq_u32_e32 1, v17
	s_cbranch_execz .LBB240_181
; %bb.180:
	v_sub_nc_u32_e32 v9, v37, v20
	s_delay_alu instid0(VALU_DEP_1)
	v_lshlrev_b32_e32 v9, 2, v9
	ds_store_b32 v9, v7
.LBB240_181:
	s_or_b32 exec_lo, exec_lo, s0
	v_and_b32_e32 v7, 1, v42
	s_mov_b32 s0, exec_lo
	s_delay_alu instid0(VALU_DEP_1)
	v_cmpx_eq_u32_e32 1, v7
	s_cbranch_execz .LBB240_183
; %bb.182:
	v_sub_nc_u32_e32 v7, v35, v20
	s_delay_alu instid0(VALU_DEP_1)
	v_lshlrev_b32_e32 v7, 2, v7
	ds_store_b32 v7, v8
.LBB240_183:
	s_or_b32 exec_lo, exec_lo, s0
	v_and_b32_e32 v7, 1, v41
	s_mov_b32 s0, exec_lo
	s_delay_alu instid0(VALU_DEP_1)
	;; [unrolled: 12-line block ×7, first 2 shown]
	v_cmpx_eq_u32_e32 1, v1
	s_cbranch_execz .LBB240_195
; %bb.194:
	v_sub_nc_u32_e32 v1, v23, v20
	s_delay_alu instid0(VALU_DEP_1)
	v_lshlrev_b32_e32 v1, 2, v1
	ds_store_b32 v1, v2
.LBB240_195:
	s_or_b32 exec_lo, exec_lo, s0
	s_delay_alu instid0(SALU_CYCLE_1)
	s_mov_b32 s1, exec_lo
	s_waitcnt lgkmcnt(0)
	s_waitcnt_vscnt null, 0x0
	s_barrier
	buffer_gl0_inv
	v_cmpx_lt_u32_e64 v0, v19
	s_cbranch_execz .LBB240_198
; %bb.196:
	v_dual_mov_b32 v1, 0 :: v_dual_mov_b32 v2, v20
	s_lshl_b64 s[4:5], s[10:11], 2
	v_lshlrev_b32_e32 v4, 2, v0
	s_add_u32 s0, s18, s4
	s_delay_alu instid0(VALU_DEP_2) | instskip(SKIP_1) | instid1(VALU_DEP_1)
	v_mov_b32_e32 v3, v1
	s_addc_u32 s3, s19, s5
	v_lshlrev_b64 v[2:3], 2, v[2:3]
	s_delay_alu instid0(VALU_DEP_1) | instskip(NEXT) | instid1(VALU_DEP_2)
	v_add_co_u32 v2, vcc_lo, s0, v2
	v_add_co_ci_u32_e32 v3, vcc_lo, s3, v3, vcc_lo
	s_mov_b32 s3, 0
	.p2align	6
.LBB240_197:                            ; =>This Inner Loop Header: Depth=1
	ds_load_b32 v7, v4
	v_lshlrev_b64 v[5:6], 2, v[0:1]
	v_add_nc_u32_e32 v0, 0x180, v0
	v_add_nc_u32_e32 v4, 0x600, v4
	s_delay_alu instid0(VALU_DEP_2) | instskip(NEXT) | instid1(VALU_DEP_4)
	v_cmp_ge_u32_e32 vcc_lo, v0, v19
	v_add_co_u32 v5, s0, v2, v5
	s_delay_alu instid0(VALU_DEP_1)
	v_add_co_ci_u32_e64 v6, s0, v3, v6, s0
	s_or_b32 s3, vcc_lo, s3
	s_waitcnt lgkmcnt(0)
	global_store_b32 v[5:6], v7, off
	s_and_not1_b32 exec_lo, exec_lo, s3
	s_cbranch_execnz .LBB240_197
.LBB240_198:
	s_or_b32 exec_lo, exec_lo, s1
	s_and_b32 s0, s2, s22
	s_delay_alu instid0(SALU_CYCLE_1)
	s_and_saveexec_b32 s1, s0
	s_cbranch_execnz .LBB240_177
.LBB240_199:
	s_nop 0
	s_sendmsg sendmsg(MSG_DEALLOC_VGPRS)
	s_endpgm
	.section	.rodata,"a",@progbits
	.p2align	6, 0x0
	.amdhsa_kernel _ZN7rocprim17ROCPRIM_400000_NS6detail17trampoline_kernelINS0_14default_configENS1_25partition_config_selectorILNS1_17partition_subalgoE9EjjbEEZZNS1_14partition_implILS5_9ELb0ES3_jN6thrust23THRUST_200600_302600_NS6detail15normal_iteratorINS9_10device_ptrIjEEEESE_PNS0_10empty_typeENS0_5tupleIJSE_SF_EEENSH_IJSE_SG_EEENS0_18inequality_wrapperINS9_8equal_toIjEEEEPmJSF_EEE10hipError_tPvRmT3_T4_T5_T6_T7_T9_mT8_P12ihipStream_tbDpT10_ENKUlT_T0_E_clISt17integral_constantIbLb0EES17_IbLb1EEEEDaS13_S14_EUlS13_E_NS1_11comp_targetILNS1_3genE9ELNS1_11target_archE1100ELNS1_3gpuE3ELNS1_3repE0EEENS1_30default_config_static_selectorELNS0_4arch9wavefront6targetE0EEEvT1_
		.amdhsa_group_segment_fixed_size 12680
		.amdhsa_private_segment_fixed_size 0
		.amdhsa_kernarg_size 128
		.amdhsa_user_sgpr_count 15
		.amdhsa_user_sgpr_dispatch_ptr 0
		.amdhsa_user_sgpr_queue_ptr 0
		.amdhsa_user_sgpr_kernarg_segment_ptr 1
		.amdhsa_user_sgpr_dispatch_id 0
		.amdhsa_user_sgpr_private_segment_size 0
		.amdhsa_wavefront_size32 1
		.amdhsa_uses_dynamic_stack 0
		.amdhsa_enable_private_segment 0
		.amdhsa_system_sgpr_workgroup_id_x 1
		.amdhsa_system_sgpr_workgroup_id_y 0
		.amdhsa_system_sgpr_workgroup_id_z 0
		.amdhsa_system_sgpr_workgroup_info 0
		.amdhsa_system_vgpr_workitem_id 0
		.amdhsa_next_free_vgpr 51
		.amdhsa_next_free_sgpr 29
		.amdhsa_reserve_vcc 1
		.amdhsa_float_round_mode_32 0
		.amdhsa_float_round_mode_16_64 0
		.amdhsa_float_denorm_mode_32 3
		.amdhsa_float_denorm_mode_16_64 3
		.amdhsa_dx10_clamp 1
		.amdhsa_ieee_mode 1
		.amdhsa_fp16_overflow 0
		.amdhsa_workgroup_processor_mode 1
		.amdhsa_memory_ordered 1
		.amdhsa_forward_progress 0
		.amdhsa_shared_vgpr_count 0
		.amdhsa_exception_fp_ieee_invalid_op 0
		.amdhsa_exception_fp_denorm_src 0
		.amdhsa_exception_fp_ieee_div_zero 0
		.amdhsa_exception_fp_ieee_overflow 0
		.amdhsa_exception_fp_ieee_underflow 0
		.amdhsa_exception_fp_ieee_inexact 0
		.amdhsa_exception_int_div_zero 0
	.end_amdhsa_kernel
	.section	.text._ZN7rocprim17ROCPRIM_400000_NS6detail17trampoline_kernelINS0_14default_configENS1_25partition_config_selectorILNS1_17partition_subalgoE9EjjbEEZZNS1_14partition_implILS5_9ELb0ES3_jN6thrust23THRUST_200600_302600_NS6detail15normal_iteratorINS9_10device_ptrIjEEEESE_PNS0_10empty_typeENS0_5tupleIJSE_SF_EEENSH_IJSE_SG_EEENS0_18inequality_wrapperINS9_8equal_toIjEEEEPmJSF_EEE10hipError_tPvRmT3_T4_T5_T6_T7_T9_mT8_P12ihipStream_tbDpT10_ENKUlT_T0_E_clISt17integral_constantIbLb0EES17_IbLb1EEEEDaS13_S14_EUlS13_E_NS1_11comp_targetILNS1_3genE9ELNS1_11target_archE1100ELNS1_3gpuE3ELNS1_3repE0EEENS1_30default_config_static_selectorELNS0_4arch9wavefront6targetE0EEEvT1_,"axG",@progbits,_ZN7rocprim17ROCPRIM_400000_NS6detail17trampoline_kernelINS0_14default_configENS1_25partition_config_selectorILNS1_17partition_subalgoE9EjjbEEZZNS1_14partition_implILS5_9ELb0ES3_jN6thrust23THRUST_200600_302600_NS6detail15normal_iteratorINS9_10device_ptrIjEEEESE_PNS0_10empty_typeENS0_5tupleIJSE_SF_EEENSH_IJSE_SG_EEENS0_18inequality_wrapperINS9_8equal_toIjEEEEPmJSF_EEE10hipError_tPvRmT3_T4_T5_T6_T7_T9_mT8_P12ihipStream_tbDpT10_ENKUlT_T0_E_clISt17integral_constantIbLb0EES17_IbLb1EEEEDaS13_S14_EUlS13_E_NS1_11comp_targetILNS1_3genE9ELNS1_11target_archE1100ELNS1_3gpuE3ELNS1_3repE0EEENS1_30default_config_static_selectorELNS0_4arch9wavefront6targetE0EEEvT1_,comdat
.Lfunc_end240:
	.size	_ZN7rocprim17ROCPRIM_400000_NS6detail17trampoline_kernelINS0_14default_configENS1_25partition_config_selectorILNS1_17partition_subalgoE9EjjbEEZZNS1_14partition_implILS5_9ELb0ES3_jN6thrust23THRUST_200600_302600_NS6detail15normal_iteratorINS9_10device_ptrIjEEEESE_PNS0_10empty_typeENS0_5tupleIJSE_SF_EEENSH_IJSE_SG_EEENS0_18inequality_wrapperINS9_8equal_toIjEEEEPmJSF_EEE10hipError_tPvRmT3_T4_T5_T6_T7_T9_mT8_P12ihipStream_tbDpT10_ENKUlT_T0_E_clISt17integral_constantIbLb0EES17_IbLb1EEEEDaS13_S14_EUlS13_E_NS1_11comp_targetILNS1_3genE9ELNS1_11target_archE1100ELNS1_3gpuE3ELNS1_3repE0EEENS1_30default_config_static_selectorELNS0_4arch9wavefront6targetE0EEEvT1_, .Lfunc_end240-_ZN7rocprim17ROCPRIM_400000_NS6detail17trampoline_kernelINS0_14default_configENS1_25partition_config_selectorILNS1_17partition_subalgoE9EjjbEEZZNS1_14partition_implILS5_9ELb0ES3_jN6thrust23THRUST_200600_302600_NS6detail15normal_iteratorINS9_10device_ptrIjEEEESE_PNS0_10empty_typeENS0_5tupleIJSE_SF_EEENSH_IJSE_SG_EEENS0_18inequality_wrapperINS9_8equal_toIjEEEEPmJSF_EEE10hipError_tPvRmT3_T4_T5_T6_T7_T9_mT8_P12ihipStream_tbDpT10_ENKUlT_T0_E_clISt17integral_constantIbLb0EES17_IbLb1EEEEDaS13_S14_EUlS13_E_NS1_11comp_targetILNS1_3genE9ELNS1_11target_archE1100ELNS1_3gpuE3ELNS1_3repE0EEENS1_30default_config_static_selectorELNS0_4arch9wavefront6targetE0EEEvT1_
                                        ; -- End function
	.section	.AMDGPU.csdata,"",@progbits
; Kernel info:
; codeLenInByte = 9360
; NumSgprs: 31
; NumVgprs: 51
; ScratchSize: 0
; MemoryBound: 0
; FloatMode: 240
; IeeeMode: 1
; LDSByteSize: 12680 bytes/workgroup (compile time only)
; SGPRBlocks: 3
; VGPRBlocks: 6
; NumSGPRsForWavesPerEU: 31
; NumVGPRsForWavesPerEU: 51
; Occupancy: 15
; WaveLimiterHint : 1
; COMPUTE_PGM_RSRC2:SCRATCH_EN: 0
; COMPUTE_PGM_RSRC2:USER_SGPR: 15
; COMPUTE_PGM_RSRC2:TRAP_HANDLER: 0
; COMPUTE_PGM_RSRC2:TGID_X_EN: 1
; COMPUTE_PGM_RSRC2:TGID_Y_EN: 0
; COMPUTE_PGM_RSRC2:TGID_Z_EN: 0
; COMPUTE_PGM_RSRC2:TIDIG_COMP_CNT: 0
	.section	.text._ZN7rocprim17ROCPRIM_400000_NS6detail17trampoline_kernelINS0_14default_configENS1_25partition_config_selectorILNS1_17partition_subalgoE9EjjbEEZZNS1_14partition_implILS5_9ELb0ES3_jN6thrust23THRUST_200600_302600_NS6detail15normal_iteratorINS9_10device_ptrIjEEEESE_PNS0_10empty_typeENS0_5tupleIJSE_SF_EEENSH_IJSE_SG_EEENS0_18inequality_wrapperINS9_8equal_toIjEEEEPmJSF_EEE10hipError_tPvRmT3_T4_T5_T6_T7_T9_mT8_P12ihipStream_tbDpT10_ENKUlT_T0_E_clISt17integral_constantIbLb0EES17_IbLb1EEEEDaS13_S14_EUlS13_E_NS1_11comp_targetILNS1_3genE8ELNS1_11target_archE1030ELNS1_3gpuE2ELNS1_3repE0EEENS1_30default_config_static_selectorELNS0_4arch9wavefront6targetE0EEEvT1_,"axG",@progbits,_ZN7rocprim17ROCPRIM_400000_NS6detail17trampoline_kernelINS0_14default_configENS1_25partition_config_selectorILNS1_17partition_subalgoE9EjjbEEZZNS1_14partition_implILS5_9ELb0ES3_jN6thrust23THRUST_200600_302600_NS6detail15normal_iteratorINS9_10device_ptrIjEEEESE_PNS0_10empty_typeENS0_5tupleIJSE_SF_EEENSH_IJSE_SG_EEENS0_18inequality_wrapperINS9_8equal_toIjEEEEPmJSF_EEE10hipError_tPvRmT3_T4_T5_T6_T7_T9_mT8_P12ihipStream_tbDpT10_ENKUlT_T0_E_clISt17integral_constantIbLb0EES17_IbLb1EEEEDaS13_S14_EUlS13_E_NS1_11comp_targetILNS1_3genE8ELNS1_11target_archE1030ELNS1_3gpuE2ELNS1_3repE0EEENS1_30default_config_static_selectorELNS0_4arch9wavefront6targetE0EEEvT1_,comdat
	.protected	_ZN7rocprim17ROCPRIM_400000_NS6detail17trampoline_kernelINS0_14default_configENS1_25partition_config_selectorILNS1_17partition_subalgoE9EjjbEEZZNS1_14partition_implILS5_9ELb0ES3_jN6thrust23THRUST_200600_302600_NS6detail15normal_iteratorINS9_10device_ptrIjEEEESE_PNS0_10empty_typeENS0_5tupleIJSE_SF_EEENSH_IJSE_SG_EEENS0_18inequality_wrapperINS9_8equal_toIjEEEEPmJSF_EEE10hipError_tPvRmT3_T4_T5_T6_T7_T9_mT8_P12ihipStream_tbDpT10_ENKUlT_T0_E_clISt17integral_constantIbLb0EES17_IbLb1EEEEDaS13_S14_EUlS13_E_NS1_11comp_targetILNS1_3genE8ELNS1_11target_archE1030ELNS1_3gpuE2ELNS1_3repE0EEENS1_30default_config_static_selectorELNS0_4arch9wavefront6targetE0EEEvT1_ ; -- Begin function _ZN7rocprim17ROCPRIM_400000_NS6detail17trampoline_kernelINS0_14default_configENS1_25partition_config_selectorILNS1_17partition_subalgoE9EjjbEEZZNS1_14partition_implILS5_9ELb0ES3_jN6thrust23THRUST_200600_302600_NS6detail15normal_iteratorINS9_10device_ptrIjEEEESE_PNS0_10empty_typeENS0_5tupleIJSE_SF_EEENSH_IJSE_SG_EEENS0_18inequality_wrapperINS9_8equal_toIjEEEEPmJSF_EEE10hipError_tPvRmT3_T4_T5_T6_T7_T9_mT8_P12ihipStream_tbDpT10_ENKUlT_T0_E_clISt17integral_constantIbLb0EES17_IbLb1EEEEDaS13_S14_EUlS13_E_NS1_11comp_targetILNS1_3genE8ELNS1_11target_archE1030ELNS1_3gpuE2ELNS1_3repE0EEENS1_30default_config_static_selectorELNS0_4arch9wavefront6targetE0EEEvT1_
	.globl	_ZN7rocprim17ROCPRIM_400000_NS6detail17trampoline_kernelINS0_14default_configENS1_25partition_config_selectorILNS1_17partition_subalgoE9EjjbEEZZNS1_14partition_implILS5_9ELb0ES3_jN6thrust23THRUST_200600_302600_NS6detail15normal_iteratorINS9_10device_ptrIjEEEESE_PNS0_10empty_typeENS0_5tupleIJSE_SF_EEENSH_IJSE_SG_EEENS0_18inequality_wrapperINS9_8equal_toIjEEEEPmJSF_EEE10hipError_tPvRmT3_T4_T5_T6_T7_T9_mT8_P12ihipStream_tbDpT10_ENKUlT_T0_E_clISt17integral_constantIbLb0EES17_IbLb1EEEEDaS13_S14_EUlS13_E_NS1_11comp_targetILNS1_3genE8ELNS1_11target_archE1030ELNS1_3gpuE2ELNS1_3repE0EEENS1_30default_config_static_selectorELNS0_4arch9wavefront6targetE0EEEvT1_
	.p2align	8
	.type	_ZN7rocprim17ROCPRIM_400000_NS6detail17trampoline_kernelINS0_14default_configENS1_25partition_config_selectorILNS1_17partition_subalgoE9EjjbEEZZNS1_14partition_implILS5_9ELb0ES3_jN6thrust23THRUST_200600_302600_NS6detail15normal_iteratorINS9_10device_ptrIjEEEESE_PNS0_10empty_typeENS0_5tupleIJSE_SF_EEENSH_IJSE_SG_EEENS0_18inequality_wrapperINS9_8equal_toIjEEEEPmJSF_EEE10hipError_tPvRmT3_T4_T5_T6_T7_T9_mT8_P12ihipStream_tbDpT10_ENKUlT_T0_E_clISt17integral_constantIbLb0EES17_IbLb1EEEEDaS13_S14_EUlS13_E_NS1_11comp_targetILNS1_3genE8ELNS1_11target_archE1030ELNS1_3gpuE2ELNS1_3repE0EEENS1_30default_config_static_selectorELNS0_4arch9wavefront6targetE0EEEvT1_,@function
_ZN7rocprim17ROCPRIM_400000_NS6detail17trampoline_kernelINS0_14default_configENS1_25partition_config_selectorILNS1_17partition_subalgoE9EjjbEEZZNS1_14partition_implILS5_9ELb0ES3_jN6thrust23THRUST_200600_302600_NS6detail15normal_iteratorINS9_10device_ptrIjEEEESE_PNS0_10empty_typeENS0_5tupleIJSE_SF_EEENSH_IJSE_SG_EEENS0_18inequality_wrapperINS9_8equal_toIjEEEEPmJSF_EEE10hipError_tPvRmT3_T4_T5_T6_T7_T9_mT8_P12ihipStream_tbDpT10_ENKUlT_T0_E_clISt17integral_constantIbLb0EES17_IbLb1EEEEDaS13_S14_EUlS13_E_NS1_11comp_targetILNS1_3genE8ELNS1_11target_archE1030ELNS1_3gpuE2ELNS1_3repE0EEENS1_30default_config_static_selectorELNS0_4arch9wavefront6targetE0EEEvT1_: ; @_ZN7rocprim17ROCPRIM_400000_NS6detail17trampoline_kernelINS0_14default_configENS1_25partition_config_selectorILNS1_17partition_subalgoE9EjjbEEZZNS1_14partition_implILS5_9ELb0ES3_jN6thrust23THRUST_200600_302600_NS6detail15normal_iteratorINS9_10device_ptrIjEEEESE_PNS0_10empty_typeENS0_5tupleIJSE_SF_EEENSH_IJSE_SG_EEENS0_18inequality_wrapperINS9_8equal_toIjEEEEPmJSF_EEE10hipError_tPvRmT3_T4_T5_T6_T7_T9_mT8_P12ihipStream_tbDpT10_ENKUlT_T0_E_clISt17integral_constantIbLb0EES17_IbLb1EEEEDaS13_S14_EUlS13_E_NS1_11comp_targetILNS1_3genE8ELNS1_11target_archE1030ELNS1_3gpuE2ELNS1_3repE0EEENS1_30default_config_static_selectorELNS0_4arch9wavefront6targetE0EEEvT1_
; %bb.0:
	.section	.rodata,"a",@progbits
	.p2align	6, 0x0
	.amdhsa_kernel _ZN7rocprim17ROCPRIM_400000_NS6detail17trampoline_kernelINS0_14default_configENS1_25partition_config_selectorILNS1_17partition_subalgoE9EjjbEEZZNS1_14partition_implILS5_9ELb0ES3_jN6thrust23THRUST_200600_302600_NS6detail15normal_iteratorINS9_10device_ptrIjEEEESE_PNS0_10empty_typeENS0_5tupleIJSE_SF_EEENSH_IJSE_SG_EEENS0_18inequality_wrapperINS9_8equal_toIjEEEEPmJSF_EEE10hipError_tPvRmT3_T4_T5_T6_T7_T9_mT8_P12ihipStream_tbDpT10_ENKUlT_T0_E_clISt17integral_constantIbLb0EES17_IbLb1EEEEDaS13_S14_EUlS13_E_NS1_11comp_targetILNS1_3genE8ELNS1_11target_archE1030ELNS1_3gpuE2ELNS1_3repE0EEENS1_30default_config_static_selectorELNS0_4arch9wavefront6targetE0EEEvT1_
		.amdhsa_group_segment_fixed_size 0
		.amdhsa_private_segment_fixed_size 0
		.amdhsa_kernarg_size 128
		.amdhsa_user_sgpr_count 15
		.amdhsa_user_sgpr_dispatch_ptr 0
		.amdhsa_user_sgpr_queue_ptr 0
		.amdhsa_user_sgpr_kernarg_segment_ptr 1
		.amdhsa_user_sgpr_dispatch_id 0
		.amdhsa_user_sgpr_private_segment_size 0
		.amdhsa_wavefront_size32 1
		.amdhsa_uses_dynamic_stack 0
		.amdhsa_enable_private_segment 0
		.amdhsa_system_sgpr_workgroup_id_x 1
		.amdhsa_system_sgpr_workgroup_id_y 0
		.amdhsa_system_sgpr_workgroup_id_z 0
		.amdhsa_system_sgpr_workgroup_info 0
		.amdhsa_system_vgpr_workitem_id 0
		.amdhsa_next_free_vgpr 1
		.amdhsa_next_free_sgpr 1
		.amdhsa_reserve_vcc 0
		.amdhsa_float_round_mode_32 0
		.amdhsa_float_round_mode_16_64 0
		.amdhsa_float_denorm_mode_32 3
		.amdhsa_float_denorm_mode_16_64 3
		.amdhsa_dx10_clamp 1
		.amdhsa_ieee_mode 1
		.amdhsa_fp16_overflow 0
		.amdhsa_workgroup_processor_mode 1
		.amdhsa_memory_ordered 1
		.amdhsa_forward_progress 0
		.amdhsa_shared_vgpr_count 0
		.amdhsa_exception_fp_ieee_invalid_op 0
		.amdhsa_exception_fp_denorm_src 0
		.amdhsa_exception_fp_ieee_div_zero 0
		.amdhsa_exception_fp_ieee_overflow 0
		.amdhsa_exception_fp_ieee_underflow 0
		.amdhsa_exception_fp_ieee_inexact 0
		.amdhsa_exception_int_div_zero 0
	.end_amdhsa_kernel
	.section	.text._ZN7rocprim17ROCPRIM_400000_NS6detail17trampoline_kernelINS0_14default_configENS1_25partition_config_selectorILNS1_17partition_subalgoE9EjjbEEZZNS1_14partition_implILS5_9ELb0ES3_jN6thrust23THRUST_200600_302600_NS6detail15normal_iteratorINS9_10device_ptrIjEEEESE_PNS0_10empty_typeENS0_5tupleIJSE_SF_EEENSH_IJSE_SG_EEENS0_18inequality_wrapperINS9_8equal_toIjEEEEPmJSF_EEE10hipError_tPvRmT3_T4_T5_T6_T7_T9_mT8_P12ihipStream_tbDpT10_ENKUlT_T0_E_clISt17integral_constantIbLb0EES17_IbLb1EEEEDaS13_S14_EUlS13_E_NS1_11comp_targetILNS1_3genE8ELNS1_11target_archE1030ELNS1_3gpuE2ELNS1_3repE0EEENS1_30default_config_static_selectorELNS0_4arch9wavefront6targetE0EEEvT1_,"axG",@progbits,_ZN7rocprim17ROCPRIM_400000_NS6detail17trampoline_kernelINS0_14default_configENS1_25partition_config_selectorILNS1_17partition_subalgoE9EjjbEEZZNS1_14partition_implILS5_9ELb0ES3_jN6thrust23THRUST_200600_302600_NS6detail15normal_iteratorINS9_10device_ptrIjEEEESE_PNS0_10empty_typeENS0_5tupleIJSE_SF_EEENSH_IJSE_SG_EEENS0_18inequality_wrapperINS9_8equal_toIjEEEEPmJSF_EEE10hipError_tPvRmT3_T4_T5_T6_T7_T9_mT8_P12ihipStream_tbDpT10_ENKUlT_T0_E_clISt17integral_constantIbLb0EES17_IbLb1EEEEDaS13_S14_EUlS13_E_NS1_11comp_targetILNS1_3genE8ELNS1_11target_archE1030ELNS1_3gpuE2ELNS1_3repE0EEENS1_30default_config_static_selectorELNS0_4arch9wavefront6targetE0EEEvT1_,comdat
.Lfunc_end241:
	.size	_ZN7rocprim17ROCPRIM_400000_NS6detail17trampoline_kernelINS0_14default_configENS1_25partition_config_selectorILNS1_17partition_subalgoE9EjjbEEZZNS1_14partition_implILS5_9ELb0ES3_jN6thrust23THRUST_200600_302600_NS6detail15normal_iteratorINS9_10device_ptrIjEEEESE_PNS0_10empty_typeENS0_5tupleIJSE_SF_EEENSH_IJSE_SG_EEENS0_18inequality_wrapperINS9_8equal_toIjEEEEPmJSF_EEE10hipError_tPvRmT3_T4_T5_T6_T7_T9_mT8_P12ihipStream_tbDpT10_ENKUlT_T0_E_clISt17integral_constantIbLb0EES17_IbLb1EEEEDaS13_S14_EUlS13_E_NS1_11comp_targetILNS1_3genE8ELNS1_11target_archE1030ELNS1_3gpuE2ELNS1_3repE0EEENS1_30default_config_static_selectorELNS0_4arch9wavefront6targetE0EEEvT1_, .Lfunc_end241-_ZN7rocprim17ROCPRIM_400000_NS6detail17trampoline_kernelINS0_14default_configENS1_25partition_config_selectorILNS1_17partition_subalgoE9EjjbEEZZNS1_14partition_implILS5_9ELb0ES3_jN6thrust23THRUST_200600_302600_NS6detail15normal_iteratorINS9_10device_ptrIjEEEESE_PNS0_10empty_typeENS0_5tupleIJSE_SF_EEENSH_IJSE_SG_EEENS0_18inequality_wrapperINS9_8equal_toIjEEEEPmJSF_EEE10hipError_tPvRmT3_T4_T5_T6_T7_T9_mT8_P12ihipStream_tbDpT10_ENKUlT_T0_E_clISt17integral_constantIbLb0EES17_IbLb1EEEEDaS13_S14_EUlS13_E_NS1_11comp_targetILNS1_3genE8ELNS1_11target_archE1030ELNS1_3gpuE2ELNS1_3repE0EEENS1_30default_config_static_selectorELNS0_4arch9wavefront6targetE0EEEvT1_
                                        ; -- End function
	.section	.AMDGPU.csdata,"",@progbits
; Kernel info:
; codeLenInByte = 0
; NumSgprs: 0
; NumVgprs: 0
; ScratchSize: 0
; MemoryBound: 0
; FloatMode: 240
; IeeeMode: 1
; LDSByteSize: 0 bytes/workgroup (compile time only)
; SGPRBlocks: 0
; VGPRBlocks: 0
; NumSGPRsForWavesPerEU: 1
; NumVGPRsForWavesPerEU: 1
; Occupancy: 16
; WaveLimiterHint : 0
; COMPUTE_PGM_RSRC2:SCRATCH_EN: 0
; COMPUTE_PGM_RSRC2:USER_SGPR: 15
; COMPUTE_PGM_RSRC2:TRAP_HANDLER: 0
; COMPUTE_PGM_RSRC2:TGID_X_EN: 1
; COMPUTE_PGM_RSRC2:TGID_Y_EN: 0
; COMPUTE_PGM_RSRC2:TGID_Z_EN: 0
; COMPUTE_PGM_RSRC2:TIDIG_COMP_CNT: 0
	.section	.text._ZN7rocprim17ROCPRIM_400000_NS6detail17trampoline_kernelINS0_14default_configENS1_25partition_config_selectorILNS1_17partition_subalgoE9EjjbEEZZNS1_14partition_implILS5_9ELb0ES3_jN6thrust23THRUST_200600_302600_NS6detail15normal_iteratorINS9_10device_ptrIjEEEESE_PNS0_10empty_typeENS0_5tupleIJSE_SF_EEENSH_IJSE_SG_EEENS0_18inequality_wrapperI22is_equal_div_10_uniqueIjEEEPmJSF_EEE10hipError_tPvRmT3_T4_T5_T6_T7_T9_mT8_P12ihipStream_tbDpT10_ENKUlT_T0_E_clISt17integral_constantIbLb0EES18_EEDaS13_S14_EUlS13_E_NS1_11comp_targetILNS1_3genE0ELNS1_11target_archE4294967295ELNS1_3gpuE0ELNS1_3repE0EEENS1_30default_config_static_selectorELNS0_4arch9wavefront6targetE0EEEvT1_,"axG",@progbits,_ZN7rocprim17ROCPRIM_400000_NS6detail17trampoline_kernelINS0_14default_configENS1_25partition_config_selectorILNS1_17partition_subalgoE9EjjbEEZZNS1_14partition_implILS5_9ELb0ES3_jN6thrust23THRUST_200600_302600_NS6detail15normal_iteratorINS9_10device_ptrIjEEEESE_PNS0_10empty_typeENS0_5tupleIJSE_SF_EEENSH_IJSE_SG_EEENS0_18inequality_wrapperI22is_equal_div_10_uniqueIjEEEPmJSF_EEE10hipError_tPvRmT3_T4_T5_T6_T7_T9_mT8_P12ihipStream_tbDpT10_ENKUlT_T0_E_clISt17integral_constantIbLb0EES18_EEDaS13_S14_EUlS13_E_NS1_11comp_targetILNS1_3genE0ELNS1_11target_archE4294967295ELNS1_3gpuE0ELNS1_3repE0EEENS1_30default_config_static_selectorELNS0_4arch9wavefront6targetE0EEEvT1_,comdat
	.protected	_ZN7rocprim17ROCPRIM_400000_NS6detail17trampoline_kernelINS0_14default_configENS1_25partition_config_selectorILNS1_17partition_subalgoE9EjjbEEZZNS1_14partition_implILS5_9ELb0ES3_jN6thrust23THRUST_200600_302600_NS6detail15normal_iteratorINS9_10device_ptrIjEEEESE_PNS0_10empty_typeENS0_5tupleIJSE_SF_EEENSH_IJSE_SG_EEENS0_18inequality_wrapperI22is_equal_div_10_uniqueIjEEEPmJSF_EEE10hipError_tPvRmT3_T4_T5_T6_T7_T9_mT8_P12ihipStream_tbDpT10_ENKUlT_T0_E_clISt17integral_constantIbLb0EES18_EEDaS13_S14_EUlS13_E_NS1_11comp_targetILNS1_3genE0ELNS1_11target_archE4294967295ELNS1_3gpuE0ELNS1_3repE0EEENS1_30default_config_static_selectorELNS0_4arch9wavefront6targetE0EEEvT1_ ; -- Begin function _ZN7rocprim17ROCPRIM_400000_NS6detail17trampoline_kernelINS0_14default_configENS1_25partition_config_selectorILNS1_17partition_subalgoE9EjjbEEZZNS1_14partition_implILS5_9ELb0ES3_jN6thrust23THRUST_200600_302600_NS6detail15normal_iteratorINS9_10device_ptrIjEEEESE_PNS0_10empty_typeENS0_5tupleIJSE_SF_EEENSH_IJSE_SG_EEENS0_18inequality_wrapperI22is_equal_div_10_uniqueIjEEEPmJSF_EEE10hipError_tPvRmT3_T4_T5_T6_T7_T9_mT8_P12ihipStream_tbDpT10_ENKUlT_T0_E_clISt17integral_constantIbLb0EES18_EEDaS13_S14_EUlS13_E_NS1_11comp_targetILNS1_3genE0ELNS1_11target_archE4294967295ELNS1_3gpuE0ELNS1_3repE0EEENS1_30default_config_static_selectorELNS0_4arch9wavefront6targetE0EEEvT1_
	.globl	_ZN7rocprim17ROCPRIM_400000_NS6detail17trampoline_kernelINS0_14default_configENS1_25partition_config_selectorILNS1_17partition_subalgoE9EjjbEEZZNS1_14partition_implILS5_9ELb0ES3_jN6thrust23THRUST_200600_302600_NS6detail15normal_iteratorINS9_10device_ptrIjEEEESE_PNS0_10empty_typeENS0_5tupleIJSE_SF_EEENSH_IJSE_SG_EEENS0_18inequality_wrapperI22is_equal_div_10_uniqueIjEEEPmJSF_EEE10hipError_tPvRmT3_T4_T5_T6_T7_T9_mT8_P12ihipStream_tbDpT10_ENKUlT_T0_E_clISt17integral_constantIbLb0EES18_EEDaS13_S14_EUlS13_E_NS1_11comp_targetILNS1_3genE0ELNS1_11target_archE4294967295ELNS1_3gpuE0ELNS1_3repE0EEENS1_30default_config_static_selectorELNS0_4arch9wavefront6targetE0EEEvT1_
	.p2align	8
	.type	_ZN7rocprim17ROCPRIM_400000_NS6detail17trampoline_kernelINS0_14default_configENS1_25partition_config_selectorILNS1_17partition_subalgoE9EjjbEEZZNS1_14partition_implILS5_9ELb0ES3_jN6thrust23THRUST_200600_302600_NS6detail15normal_iteratorINS9_10device_ptrIjEEEESE_PNS0_10empty_typeENS0_5tupleIJSE_SF_EEENSH_IJSE_SG_EEENS0_18inequality_wrapperI22is_equal_div_10_uniqueIjEEEPmJSF_EEE10hipError_tPvRmT3_T4_T5_T6_T7_T9_mT8_P12ihipStream_tbDpT10_ENKUlT_T0_E_clISt17integral_constantIbLb0EES18_EEDaS13_S14_EUlS13_E_NS1_11comp_targetILNS1_3genE0ELNS1_11target_archE4294967295ELNS1_3gpuE0ELNS1_3repE0EEENS1_30default_config_static_selectorELNS0_4arch9wavefront6targetE0EEEvT1_,@function
_ZN7rocprim17ROCPRIM_400000_NS6detail17trampoline_kernelINS0_14default_configENS1_25partition_config_selectorILNS1_17partition_subalgoE9EjjbEEZZNS1_14partition_implILS5_9ELb0ES3_jN6thrust23THRUST_200600_302600_NS6detail15normal_iteratorINS9_10device_ptrIjEEEESE_PNS0_10empty_typeENS0_5tupleIJSE_SF_EEENSH_IJSE_SG_EEENS0_18inequality_wrapperI22is_equal_div_10_uniqueIjEEEPmJSF_EEE10hipError_tPvRmT3_T4_T5_T6_T7_T9_mT8_P12ihipStream_tbDpT10_ENKUlT_T0_E_clISt17integral_constantIbLb0EES18_EEDaS13_S14_EUlS13_E_NS1_11comp_targetILNS1_3genE0ELNS1_11target_archE4294967295ELNS1_3gpuE0ELNS1_3repE0EEENS1_30default_config_static_selectorELNS0_4arch9wavefront6targetE0EEEvT1_: ; @_ZN7rocprim17ROCPRIM_400000_NS6detail17trampoline_kernelINS0_14default_configENS1_25partition_config_selectorILNS1_17partition_subalgoE9EjjbEEZZNS1_14partition_implILS5_9ELb0ES3_jN6thrust23THRUST_200600_302600_NS6detail15normal_iteratorINS9_10device_ptrIjEEEESE_PNS0_10empty_typeENS0_5tupleIJSE_SF_EEENSH_IJSE_SG_EEENS0_18inequality_wrapperI22is_equal_div_10_uniqueIjEEEPmJSF_EEE10hipError_tPvRmT3_T4_T5_T6_T7_T9_mT8_P12ihipStream_tbDpT10_ENKUlT_T0_E_clISt17integral_constantIbLb0EES18_EEDaS13_S14_EUlS13_E_NS1_11comp_targetILNS1_3genE0ELNS1_11target_archE4294967295ELNS1_3gpuE0ELNS1_3repE0EEENS1_30default_config_static_selectorELNS0_4arch9wavefront6targetE0EEEvT1_
; %bb.0:
	.section	.rodata,"a",@progbits
	.p2align	6, 0x0
	.amdhsa_kernel _ZN7rocprim17ROCPRIM_400000_NS6detail17trampoline_kernelINS0_14default_configENS1_25partition_config_selectorILNS1_17partition_subalgoE9EjjbEEZZNS1_14partition_implILS5_9ELb0ES3_jN6thrust23THRUST_200600_302600_NS6detail15normal_iteratorINS9_10device_ptrIjEEEESE_PNS0_10empty_typeENS0_5tupleIJSE_SF_EEENSH_IJSE_SG_EEENS0_18inequality_wrapperI22is_equal_div_10_uniqueIjEEEPmJSF_EEE10hipError_tPvRmT3_T4_T5_T6_T7_T9_mT8_P12ihipStream_tbDpT10_ENKUlT_T0_E_clISt17integral_constantIbLb0EES18_EEDaS13_S14_EUlS13_E_NS1_11comp_targetILNS1_3genE0ELNS1_11target_archE4294967295ELNS1_3gpuE0ELNS1_3repE0EEENS1_30default_config_static_selectorELNS0_4arch9wavefront6targetE0EEEvT1_
		.amdhsa_group_segment_fixed_size 0
		.amdhsa_private_segment_fixed_size 0
		.amdhsa_kernarg_size 112
		.amdhsa_user_sgpr_count 15
		.amdhsa_user_sgpr_dispatch_ptr 0
		.amdhsa_user_sgpr_queue_ptr 0
		.amdhsa_user_sgpr_kernarg_segment_ptr 1
		.amdhsa_user_sgpr_dispatch_id 0
		.amdhsa_user_sgpr_private_segment_size 0
		.amdhsa_wavefront_size32 1
		.amdhsa_uses_dynamic_stack 0
		.amdhsa_enable_private_segment 0
		.amdhsa_system_sgpr_workgroup_id_x 1
		.amdhsa_system_sgpr_workgroup_id_y 0
		.amdhsa_system_sgpr_workgroup_id_z 0
		.amdhsa_system_sgpr_workgroup_info 0
		.amdhsa_system_vgpr_workitem_id 0
		.amdhsa_next_free_vgpr 1
		.amdhsa_next_free_sgpr 1
		.amdhsa_reserve_vcc 0
		.amdhsa_float_round_mode_32 0
		.amdhsa_float_round_mode_16_64 0
		.amdhsa_float_denorm_mode_32 3
		.amdhsa_float_denorm_mode_16_64 3
		.amdhsa_dx10_clamp 1
		.amdhsa_ieee_mode 1
		.amdhsa_fp16_overflow 0
		.amdhsa_workgroup_processor_mode 1
		.amdhsa_memory_ordered 1
		.amdhsa_forward_progress 0
		.amdhsa_shared_vgpr_count 0
		.amdhsa_exception_fp_ieee_invalid_op 0
		.amdhsa_exception_fp_denorm_src 0
		.amdhsa_exception_fp_ieee_div_zero 0
		.amdhsa_exception_fp_ieee_overflow 0
		.amdhsa_exception_fp_ieee_underflow 0
		.amdhsa_exception_fp_ieee_inexact 0
		.amdhsa_exception_int_div_zero 0
	.end_amdhsa_kernel
	.section	.text._ZN7rocprim17ROCPRIM_400000_NS6detail17trampoline_kernelINS0_14default_configENS1_25partition_config_selectorILNS1_17partition_subalgoE9EjjbEEZZNS1_14partition_implILS5_9ELb0ES3_jN6thrust23THRUST_200600_302600_NS6detail15normal_iteratorINS9_10device_ptrIjEEEESE_PNS0_10empty_typeENS0_5tupleIJSE_SF_EEENSH_IJSE_SG_EEENS0_18inequality_wrapperI22is_equal_div_10_uniqueIjEEEPmJSF_EEE10hipError_tPvRmT3_T4_T5_T6_T7_T9_mT8_P12ihipStream_tbDpT10_ENKUlT_T0_E_clISt17integral_constantIbLb0EES18_EEDaS13_S14_EUlS13_E_NS1_11comp_targetILNS1_3genE0ELNS1_11target_archE4294967295ELNS1_3gpuE0ELNS1_3repE0EEENS1_30default_config_static_selectorELNS0_4arch9wavefront6targetE0EEEvT1_,"axG",@progbits,_ZN7rocprim17ROCPRIM_400000_NS6detail17trampoline_kernelINS0_14default_configENS1_25partition_config_selectorILNS1_17partition_subalgoE9EjjbEEZZNS1_14partition_implILS5_9ELb0ES3_jN6thrust23THRUST_200600_302600_NS6detail15normal_iteratorINS9_10device_ptrIjEEEESE_PNS0_10empty_typeENS0_5tupleIJSE_SF_EEENSH_IJSE_SG_EEENS0_18inequality_wrapperI22is_equal_div_10_uniqueIjEEEPmJSF_EEE10hipError_tPvRmT3_T4_T5_T6_T7_T9_mT8_P12ihipStream_tbDpT10_ENKUlT_T0_E_clISt17integral_constantIbLb0EES18_EEDaS13_S14_EUlS13_E_NS1_11comp_targetILNS1_3genE0ELNS1_11target_archE4294967295ELNS1_3gpuE0ELNS1_3repE0EEENS1_30default_config_static_selectorELNS0_4arch9wavefront6targetE0EEEvT1_,comdat
.Lfunc_end242:
	.size	_ZN7rocprim17ROCPRIM_400000_NS6detail17trampoline_kernelINS0_14default_configENS1_25partition_config_selectorILNS1_17partition_subalgoE9EjjbEEZZNS1_14partition_implILS5_9ELb0ES3_jN6thrust23THRUST_200600_302600_NS6detail15normal_iteratorINS9_10device_ptrIjEEEESE_PNS0_10empty_typeENS0_5tupleIJSE_SF_EEENSH_IJSE_SG_EEENS0_18inequality_wrapperI22is_equal_div_10_uniqueIjEEEPmJSF_EEE10hipError_tPvRmT3_T4_T5_T6_T7_T9_mT8_P12ihipStream_tbDpT10_ENKUlT_T0_E_clISt17integral_constantIbLb0EES18_EEDaS13_S14_EUlS13_E_NS1_11comp_targetILNS1_3genE0ELNS1_11target_archE4294967295ELNS1_3gpuE0ELNS1_3repE0EEENS1_30default_config_static_selectorELNS0_4arch9wavefront6targetE0EEEvT1_, .Lfunc_end242-_ZN7rocprim17ROCPRIM_400000_NS6detail17trampoline_kernelINS0_14default_configENS1_25partition_config_selectorILNS1_17partition_subalgoE9EjjbEEZZNS1_14partition_implILS5_9ELb0ES3_jN6thrust23THRUST_200600_302600_NS6detail15normal_iteratorINS9_10device_ptrIjEEEESE_PNS0_10empty_typeENS0_5tupleIJSE_SF_EEENSH_IJSE_SG_EEENS0_18inequality_wrapperI22is_equal_div_10_uniqueIjEEEPmJSF_EEE10hipError_tPvRmT3_T4_T5_T6_T7_T9_mT8_P12ihipStream_tbDpT10_ENKUlT_T0_E_clISt17integral_constantIbLb0EES18_EEDaS13_S14_EUlS13_E_NS1_11comp_targetILNS1_3genE0ELNS1_11target_archE4294967295ELNS1_3gpuE0ELNS1_3repE0EEENS1_30default_config_static_selectorELNS0_4arch9wavefront6targetE0EEEvT1_
                                        ; -- End function
	.section	.AMDGPU.csdata,"",@progbits
; Kernel info:
; codeLenInByte = 0
; NumSgprs: 0
; NumVgprs: 0
; ScratchSize: 0
; MemoryBound: 0
; FloatMode: 240
; IeeeMode: 1
; LDSByteSize: 0 bytes/workgroup (compile time only)
; SGPRBlocks: 0
; VGPRBlocks: 0
; NumSGPRsForWavesPerEU: 1
; NumVGPRsForWavesPerEU: 1
; Occupancy: 16
; WaveLimiterHint : 0
; COMPUTE_PGM_RSRC2:SCRATCH_EN: 0
; COMPUTE_PGM_RSRC2:USER_SGPR: 15
; COMPUTE_PGM_RSRC2:TRAP_HANDLER: 0
; COMPUTE_PGM_RSRC2:TGID_X_EN: 1
; COMPUTE_PGM_RSRC2:TGID_Y_EN: 0
; COMPUTE_PGM_RSRC2:TGID_Z_EN: 0
; COMPUTE_PGM_RSRC2:TIDIG_COMP_CNT: 0
	.section	.text._ZN7rocprim17ROCPRIM_400000_NS6detail17trampoline_kernelINS0_14default_configENS1_25partition_config_selectorILNS1_17partition_subalgoE9EjjbEEZZNS1_14partition_implILS5_9ELb0ES3_jN6thrust23THRUST_200600_302600_NS6detail15normal_iteratorINS9_10device_ptrIjEEEESE_PNS0_10empty_typeENS0_5tupleIJSE_SF_EEENSH_IJSE_SG_EEENS0_18inequality_wrapperI22is_equal_div_10_uniqueIjEEEPmJSF_EEE10hipError_tPvRmT3_T4_T5_T6_T7_T9_mT8_P12ihipStream_tbDpT10_ENKUlT_T0_E_clISt17integral_constantIbLb0EES18_EEDaS13_S14_EUlS13_E_NS1_11comp_targetILNS1_3genE5ELNS1_11target_archE942ELNS1_3gpuE9ELNS1_3repE0EEENS1_30default_config_static_selectorELNS0_4arch9wavefront6targetE0EEEvT1_,"axG",@progbits,_ZN7rocprim17ROCPRIM_400000_NS6detail17trampoline_kernelINS0_14default_configENS1_25partition_config_selectorILNS1_17partition_subalgoE9EjjbEEZZNS1_14partition_implILS5_9ELb0ES3_jN6thrust23THRUST_200600_302600_NS6detail15normal_iteratorINS9_10device_ptrIjEEEESE_PNS0_10empty_typeENS0_5tupleIJSE_SF_EEENSH_IJSE_SG_EEENS0_18inequality_wrapperI22is_equal_div_10_uniqueIjEEEPmJSF_EEE10hipError_tPvRmT3_T4_T5_T6_T7_T9_mT8_P12ihipStream_tbDpT10_ENKUlT_T0_E_clISt17integral_constantIbLb0EES18_EEDaS13_S14_EUlS13_E_NS1_11comp_targetILNS1_3genE5ELNS1_11target_archE942ELNS1_3gpuE9ELNS1_3repE0EEENS1_30default_config_static_selectorELNS0_4arch9wavefront6targetE0EEEvT1_,comdat
	.protected	_ZN7rocprim17ROCPRIM_400000_NS6detail17trampoline_kernelINS0_14default_configENS1_25partition_config_selectorILNS1_17partition_subalgoE9EjjbEEZZNS1_14partition_implILS5_9ELb0ES3_jN6thrust23THRUST_200600_302600_NS6detail15normal_iteratorINS9_10device_ptrIjEEEESE_PNS0_10empty_typeENS0_5tupleIJSE_SF_EEENSH_IJSE_SG_EEENS0_18inequality_wrapperI22is_equal_div_10_uniqueIjEEEPmJSF_EEE10hipError_tPvRmT3_T4_T5_T6_T7_T9_mT8_P12ihipStream_tbDpT10_ENKUlT_T0_E_clISt17integral_constantIbLb0EES18_EEDaS13_S14_EUlS13_E_NS1_11comp_targetILNS1_3genE5ELNS1_11target_archE942ELNS1_3gpuE9ELNS1_3repE0EEENS1_30default_config_static_selectorELNS0_4arch9wavefront6targetE0EEEvT1_ ; -- Begin function _ZN7rocprim17ROCPRIM_400000_NS6detail17trampoline_kernelINS0_14default_configENS1_25partition_config_selectorILNS1_17partition_subalgoE9EjjbEEZZNS1_14partition_implILS5_9ELb0ES3_jN6thrust23THRUST_200600_302600_NS6detail15normal_iteratorINS9_10device_ptrIjEEEESE_PNS0_10empty_typeENS0_5tupleIJSE_SF_EEENSH_IJSE_SG_EEENS0_18inequality_wrapperI22is_equal_div_10_uniqueIjEEEPmJSF_EEE10hipError_tPvRmT3_T4_T5_T6_T7_T9_mT8_P12ihipStream_tbDpT10_ENKUlT_T0_E_clISt17integral_constantIbLb0EES18_EEDaS13_S14_EUlS13_E_NS1_11comp_targetILNS1_3genE5ELNS1_11target_archE942ELNS1_3gpuE9ELNS1_3repE0EEENS1_30default_config_static_selectorELNS0_4arch9wavefront6targetE0EEEvT1_
	.globl	_ZN7rocprim17ROCPRIM_400000_NS6detail17trampoline_kernelINS0_14default_configENS1_25partition_config_selectorILNS1_17partition_subalgoE9EjjbEEZZNS1_14partition_implILS5_9ELb0ES3_jN6thrust23THRUST_200600_302600_NS6detail15normal_iteratorINS9_10device_ptrIjEEEESE_PNS0_10empty_typeENS0_5tupleIJSE_SF_EEENSH_IJSE_SG_EEENS0_18inequality_wrapperI22is_equal_div_10_uniqueIjEEEPmJSF_EEE10hipError_tPvRmT3_T4_T5_T6_T7_T9_mT8_P12ihipStream_tbDpT10_ENKUlT_T0_E_clISt17integral_constantIbLb0EES18_EEDaS13_S14_EUlS13_E_NS1_11comp_targetILNS1_3genE5ELNS1_11target_archE942ELNS1_3gpuE9ELNS1_3repE0EEENS1_30default_config_static_selectorELNS0_4arch9wavefront6targetE0EEEvT1_
	.p2align	8
	.type	_ZN7rocprim17ROCPRIM_400000_NS6detail17trampoline_kernelINS0_14default_configENS1_25partition_config_selectorILNS1_17partition_subalgoE9EjjbEEZZNS1_14partition_implILS5_9ELb0ES3_jN6thrust23THRUST_200600_302600_NS6detail15normal_iteratorINS9_10device_ptrIjEEEESE_PNS0_10empty_typeENS0_5tupleIJSE_SF_EEENSH_IJSE_SG_EEENS0_18inequality_wrapperI22is_equal_div_10_uniqueIjEEEPmJSF_EEE10hipError_tPvRmT3_T4_T5_T6_T7_T9_mT8_P12ihipStream_tbDpT10_ENKUlT_T0_E_clISt17integral_constantIbLb0EES18_EEDaS13_S14_EUlS13_E_NS1_11comp_targetILNS1_3genE5ELNS1_11target_archE942ELNS1_3gpuE9ELNS1_3repE0EEENS1_30default_config_static_selectorELNS0_4arch9wavefront6targetE0EEEvT1_,@function
_ZN7rocprim17ROCPRIM_400000_NS6detail17trampoline_kernelINS0_14default_configENS1_25partition_config_selectorILNS1_17partition_subalgoE9EjjbEEZZNS1_14partition_implILS5_9ELb0ES3_jN6thrust23THRUST_200600_302600_NS6detail15normal_iteratorINS9_10device_ptrIjEEEESE_PNS0_10empty_typeENS0_5tupleIJSE_SF_EEENSH_IJSE_SG_EEENS0_18inequality_wrapperI22is_equal_div_10_uniqueIjEEEPmJSF_EEE10hipError_tPvRmT3_T4_T5_T6_T7_T9_mT8_P12ihipStream_tbDpT10_ENKUlT_T0_E_clISt17integral_constantIbLb0EES18_EEDaS13_S14_EUlS13_E_NS1_11comp_targetILNS1_3genE5ELNS1_11target_archE942ELNS1_3gpuE9ELNS1_3repE0EEENS1_30default_config_static_selectorELNS0_4arch9wavefront6targetE0EEEvT1_: ; @_ZN7rocprim17ROCPRIM_400000_NS6detail17trampoline_kernelINS0_14default_configENS1_25partition_config_selectorILNS1_17partition_subalgoE9EjjbEEZZNS1_14partition_implILS5_9ELb0ES3_jN6thrust23THRUST_200600_302600_NS6detail15normal_iteratorINS9_10device_ptrIjEEEESE_PNS0_10empty_typeENS0_5tupleIJSE_SF_EEENSH_IJSE_SG_EEENS0_18inequality_wrapperI22is_equal_div_10_uniqueIjEEEPmJSF_EEE10hipError_tPvRmT3_T4_T5_T6_T7_T9_mT8_P12ihipStream_tbDpT10_ENKUlT_T0_E_clISt17integral_constantIbLb0EES18_EEDaS13_S14_EUlS13_E_NS1_11comp_targetILNS1_3genE5ELNS1_11target_archE942ELNS1_3gpuE9ELNS1_3repE0EEENS1_30default_config_static_selectorELNS0_4arch9wavefront6targetE0EEEvT1_
; %bb.0:
	.section	.rodata,"a",@progbits
	.p2align	6, 0x0
	.amdhsa_kernel _ZN7rocprim17ROCPRIM_400000_NS6detail17trampoline_kernelINS0_14default_configENS1_25partition_config_selectorILNS1_17partition_subalgoE9EjjbEEZZNS1_14partition_implILS5_9ELb0ES3_jN6thrust23THRUST_200600_302600_NS6detail15normal_iteratorINS9_10device_ptrIjEEEESE_PNS0_10empty_typeENS0_5tupleIJSE_SF_EEENSH_IJSE_SG_EEENS0_18inequality_wrapperI22is_equal_div_10_uniqueIjEEEPmJSF_EEE10hipError_tPvRmT3_T4_T5_T6_T7_T9_mT8_P12ihipStream_tbDpT10_ENKUlT_T0_E_clISt17integral_constantIbLb0EES18_EEDaS13_S14_EUlS13_E_NS1_11comp_targetILNS1_3genE5ELNS1_11target_archE942ELNS1_3gpuE9ELNS1_3repE0EEENS1_30default_config_static_selectorELNS0_4arch9wavefront6targetE0EEEvT1_
		.amdhsa_group_segment_fixed_size 0
		.amdhsa_private_segment_fixed_size 0
		.amdhsa_kernarg_size 112
		.amdhsa_user_sgpr_count 15
		.amdhsa_user_sgpr_dispatch_ptr 0
		.amdhsa_user_sgpr_queue_ptr 0
		.amdhsa_user_sgpr_kernarg_segment_ptr 1
		.amdhsa_user_sgpr_dispatch_id 0
		.amdhsa_user_sgpr_private_segment_size 0
		.amdhsa_wavefront_size32 1
		.amdhsa_uses_dynamic_stack 0
		.amdhsa_enable_private_segment 0
		.amdhsa_system_sgpr_workgroup_id_x 1
		.amdhsa_system_sgpr_workgroup_id_y 0
		.amdhsa_system_sgpr_workgroup_id_z 0
		.amdhsa_system_sgpr_workgroup_info 0
		.amdhsa_system_vgpr_workitem_id 0
		.amdhsa_next_free_vgpr 1
		.amdhsa_next_free_sgpr 1
		.amdhsa_reserve_vcc 0
		.amdhsa_float_round_mode_32 0
		.amdhsa_float_round_mode_16_64 0
		.amdhsa_float_denorm_mode_32 3
		.amdhsa_float_denorm_mode_16_64 3
		.amdhsa_dx10_clamp 1
		.amdhsa_ieee_mode 1
		.amdhsa_fp16_overflow 0
		.amdhsa_workgroup_processor_mode 1
		.amdhsa_memory_ordered 1
		.amdhsa_forward_progress 0
		.amdhsa_shared_vgpr_count 0
		.amdhsa_exception_fp_ieee_invalid_op 0
		.amdhsa_exception_fp_denorm_src 0
		.amdhsa_exception_fp_ieee_div_zero 0
		.amdhsa_exception_fp_ieee_overflow 0
		.amdhsa_exception_fp_ieee_underflow 0
		.amdhsa_exception_fp_ieee_inexact 0
		.amdhsa_exception_int_div_zero 0
	.end_amdhsa_kernel
	.section	.text._ZN7rocprim17ROCPRIM_400000_NS6detail17trampoline_kernelINS0_14default_configENS1_25partition_config_selectorILNS1_17partition_subalgoE9EjjbEEZZNS1_14partition_implILS5_9ELb0ES3_jN6thrust23THRUST_200600_302600_NS6detail15normal_iteratorINS9_10device_ptrIjEEEESE_PNS0_10empty_typeENS0_5tupleIJSE_SF_EEENSH_IJSE_SG_EEENS0_18inequality_wrapperI22is_equal_div_10_uniqueIjEEEPmJSF_EEE10hipError_tPvRmT3_T4_T5_T6_T7_T9_mT8_P12ihipStream_tbDpT10_ENKUlT_T0_E_clISt17integral_constantIbLb0EES18_EEDaS13_S14_EUlS13_E_NS1_11comp_targetILNS1_3genE5ELNS1_11target_archE942ELNS1_3gpuE9ELNS1_3repE0EEENS1_30default_config_static_selectorELNS0_4arch9wavefront6targetE0EEEvT1_,"axG",@progbits,_ZN7rocprim17ROCPRIM_400000_NS6detail17trampoline_kernelINS0_14default_configENS1_25partition_config_selectorILNS1_17partition_subalgoE9EjjbEEZZNS1_14partition_implILS5_9ELb0ES3_jN6thrust23THRUST_200600_302600_NS6detail15normal_iteratorINS9_10device_ptrIjEEEESE_PNS0_10empty_typeENS0_5tupleIJSE_SF_EEENSH_IJSE_SG_EEENS0_18inequality_wrapperI22is_equal_div_10_uniqueIjEEEPmJSF_EEE10hipError_tPvRmT3_T4_T5_T6_T7_T9_mT8_P12ihipStream_tbDpT10_ENKUlT_T0_E_clISt17integral_constantIbLb0EES18_EEDaS13_S14_EUlS13_E_NS1_11comp_targetILNS1_3genE5ELNS1_11target_archE942ELNS1_3gpuE9ELNS1_3repE0EEENS1_30default_config_static_selectorELNS0_4arch9wavefront6targetE0EEEvT1_,comdat
.Lfunc_end243:
	.size	_ZN7rocprim17ROCPRIM_400000_NS6detail17trampoline_kernelINS0_14default_configENS1_25partition_config_selectorILNS1_17partition_subalgoE9EjjbEEZZNS1_14partition_implILS5_9ELb0ES3_jN6thrust23THRUST_200600_302600_NS6detail15normal_iteratorINS9_10device_ptrIjEEEESE_PNS0_10empty_typeENS0_5tupleIJSE_SF_EEENSH_IJSE_SG_EEENS0_18inequality_wrapperI22is_equal_div_10_uniqueIjEEEPmJSF_EEE10hipError_tPvRmT3_T4_T5_T6_T7_T9_mT8_P12ihipStream_tbDpT10_ENKUlT_T0_E_clISt17integral_constantIbLb0EES18_EEDaS13_S14_EUlS13_E_NS1_11comp_targetILNS1_3genE5ELNS1_11target_archE942ELNS1_3gpuE9ELNS1_3repE0EEENS1_30default_config_static_selectorELNS0_4arch9wavefront6targetE0EEEvT1_, .Lfunc_end243-_ZN7rocprim17ROCPRIM_400000_NS6detail17trampoline_kernelINS0_14default_configENS1_25partition_config_selectorILNS1_17partition_subalgoE9EjjbEEZZNS1_14partition_implILS5_9ELb0ES3_jN6thrust23THRUST_200600_302600_NS6detail15normal_iteratorINS9_10device_ptrIjEEEESE_PNS0_10empty_typeENS0_5tupleIJSE_SF_EEENSH_IJSE_SG_EEENS0_18inequality_wrapperI22is_equal_div_10_uniqueIjEEEPmJSF_EEE10hipError_tPvRmT3_T4_T5_T6_T7_T9_mT8_P12ihipStream_tbDpT10_ENKUlT_T0_E_clISt17integral_constantIbLb0EES18_EEDaS13_S14_EUlS13_E_NS1_11comp_targetILNS1_3genE5ELNS1_11target_archE942ELNS1_3gpuE9ELNS1_3repE0EEENS1_30default_config_static_selectorELNS0_4arch9wavefront6targetE0EEEvT1_
                                        ; -- End function
	.section	.AMDGPU.csdata,"",@progbits
; Kernel info:
; codeLenInByte = 0
; NumSgprs: 0
; NumVgprs: 0
; ScratchSize: 0
; MemoryBound: 0
; FloatMode: 240
; IeeeMode: 1
; LDSByteSize: 0 bytes/workgroup (compile time only)
; SGPRBlocks: 0
; VGPRBlocks: 0
; NumSGPRsForWavesPerEU: 1
; NumVGPRsForWavesPerEU: 1
; Occupancy: 16
; WaveLimiterHint : 0
; COMPUTE_PGM_RSRC2:SCRATCH_EN: 0
; COMPUTE_PGM_RSRC2:USER_SGPR: 15
; COMPUTE_PGM_RSRC2:TRAP_HANDLER: 0
; COMPUTE_PGM_RSRC2:TGID_X_EN: 1
; COMPUTE_PGM_RSRC2:TGID_Y_EN: 0
; COMPUTE_PGM_RSRC2:TGID_Z_EN: 0
; COMPUTE_PGM_RSRC2:TIDIG_COMP_CNT: 0
	.section	.text._ZN7rocprim17ROCPRIM_400000_NS6detail17trampoline_kernelINS0_14default_configENS1_25partition_config_selectorILNS1_17partition_subalgoE9EjjbEEZZNS1_14partition_implILS5_9ELb0ES3_jN6thrust23THRUST_200600_302600_NS6detail15normal_iteratorINS9_10device_ptrIjEEEESE_PNS0_10empty_typeENS0_5tupleIJSE_SF_EEENSH_IJSE_SG_EEENS0_18inequality_wrapperI22is_equal_div_10_uniqueIjEEEPmJSF_EEE10hipError_tPvRmT3_T4_T5_T6_T7_T9_mT8_P12ihipStream_tbDpT10_ENKUlT_T0_E_clISt17integral_constantIbLb0EES18_EEDaS13_S14_EUlS13_E_NS1_11comp_targetILNS1_3genE4ELNS1_11target_archE910ELNS1_3gpuE8ELNS1_3repE0EEENS1_30default_config_static_selectorELNS0_4arch9wavefront6targetE0EEEvT1_,"axG",@progbits,_ZN7rocprim17ROCPRIM_400000_NS6detail17trampoline_kernelINS0_14default_configENS1_25partition_config_selectorILNS1_17partition_subalgoE9EjjbEEZZNS1_14partition_implILS5_9ELb0ES3_jN6thrust23THRUST_200600_302600_NS6detail15normal_iteratorINS9_10device_ptrIjEEEESE_PNS0_10empty_typeENS0_5tupleIJSE_SF_EEENSH_IJSE_SG_EEENS0_18inequality_wrapperI22is_equal_div_10_uniqueIjEEEPmJSF_EEE10hipError_tPvRmT3_T4_T5_T6_T7_T9_mT8_P12ihipStream_tbDpT10_ENKUlT_T0_E_clISt17integral_constantIbLb0EES18_EEDaS13_S14_EUlS13_E_NS1_11comp_targetILNS1_3genE4ELNS1_11target_archE910ELNS1_3gpuE8ELNS1_3repE0EEENS1_30default_config_static_selectorELNS0_4arch9wavefront6targetE0EEEvT1_,comdat
	.protected	_ZN7rocprim17ROCPRIM_400000_NS6detail17trampoline_kernelINS0_14default_configENS1_25partition_config_selectorILNS1_17partition_subalgoE9EjjbEEZZNS1_14partition_implILS5_9ELb0ES3_jN6thrust23THRUST_200600_302600_NS6detail15normal_iteratorINS9_10device_ptrIjEEEESE_PNS0_10empty_typeENS0_5tupleIJSE_SF_EEENSH_IJSE_SG_EEENS0_18inequality_wrapperI22is_equal_div_10_uniqueIjEEEPmJSF_EEE10hipError_tPvRmT3_T4_T5_T6_T7_T9_mT8_P12ihipStream_tbDpT10_ENKUlT_T0_E_clISt17integral_constantIbLb0EES18_EEDaS13_S14_EUlS13_E_NS1_11comp_targetILNS1_3genE4ELNS1_11target_archE910ELNS1_3gpuE8ELNS1_3repE0EEENS1_30default_config_static_selectorELNS0_4arch9wavefront6targetE0EEEvT1_ ; -- Begin function _ZN7rocprim17ROCPRIM_400000_NS6detail17trampoline_kernelINS0_14default_configENS1_25partition_config_selectorILNS1_17partition_subalgoE9EjjbEEZZNS1_14partition_implILS5_9ELb0ES3_jN6thrust23THRUST_200600_302600_NS6detail15normal_iteratorINS9_10device_ptrIjEEEESE_PNS0_10empty_typeENS0_5tupleIJSE_SF_EEENSH_IJSE_SG_EEENS0_18inequality_wrapperI22is_equal_div_10_uniqueIjEEEPmJSF_EEE10hipError_tPvRmT3_T4_T5_T6_T7_T9_mT8_P12ihipStream_tbDpT10_ENKUlT_T0_E_clISt17integral_constantIbLb0EES18_EEDaS13_S14_EUlS13_E_NS1_11comp_targetILNS1_3genE4ELNS1_11target_archE910ELNS1_3gpuE8ELNS1_3repE0EEENS1_30default_config_static_selectorELNS0_4arch9wavefront6targetE0EEEvT1_
	.globl	_ZN7rocprim17ROCPRIM_400000_NS6detail17trampoline_kernelINS0_14default_configENS1_25partition_config_selectorILNS1_17partition_subalgoE9EjjbEEZZNS1_14partition_implILS5_9ELb0ES3_jN6thrust23THRUST_200600_302600_NS6detail15normal_iteratorINS9_10device_ptrIjEEEESE_PNS0_10empty_typeENS0_5tupleIJSE_SF_EEENSH_IJSE_SG_EEENS0_18inequality_wrapperI22is_equal_div_10_uniqueIjEEEPmJSF_EEE10hipError_tPvRmT3_T4_T5_T6_T7_T9_mT8_P12ihipStream_tbDpT10_ENKUlT_T0_E_clISt17integral_constantIbLb0EES18_EEDaS13_S14_EUlS13_E_NS1_11comp_targetILNS1_3genE4ELNS1_11target_archE910ELNS1_3gpuE8ELNS1_3repE0EEENS1_30default_config_static_selectorELNS0_4arch9wavefront6targetE0EEEvT1_
	.p2align	8
	.type	_ZN7rocprim17ROCPRIM_400000_NS6detail17trampoline_kernelINS0_14default_configENS1_25partition_config_selectorILNS1_17partition_subalgoE9EjjbEEZZNS1_14partition_implILS5_9ELb0ES3_jN6thrust23THRUST_200600_302600_NS6detail15normal_iteratorINS9_10device_ptrIjEEEESE_PNS0_10empty_typeENS0_5tupleIJSE_SF_EEENSH_IJSE_SG_EEENS0_18inequality_wrapperI22is_equal_div_10_uniqueIjEEEPmJSF_EEE10hipError_tPvRmT3_T4_T5_T6_T7_T9_mT8_P12ihipStream_tbDpT10_ENKUlT_T0_E_clISt17integral_constantIbLb0EES18_EEDaS13_S14_EUlS13_E_NS1_11comp_targetILNS1_3genE4ELNS1_11target_archE910ELNS1_3gpuE8ELNS1_3repE0EEENS1_30default_config_static_selectorELNS0_4arch9wavefront6targetE0EEEvT1_,@function
_ZN7rocprim17ROCPRIM_400000_NS6detail17trampoline_kernelINS0_14default_configENS1_25partition_config_selectorILNS1_17partition_subalgoE9EjjbEEZZNS1_14partition_implILS5_9ELb0ES3_jN6thrust23THRUST_200600_302600_NS6detail15normal_iteratorINS9_10device_ptrIjEEEESE_PNS0_10empty_typeENS0_5tupleIJSE_SF_EEENSH_IJSE_SG_EEENS0_18inequality_wrapperI22is_equal_div_10_uniqueIjEEEPmJSF_EEE10hipError_tPvRmT3_T4_T5_T6_T7_T9_mT8_P12ihipStream_tbDpT10_ENKUlT_T0_E_clISt17integral_constantIbLb0EES18_EEDaS13_S14_EUlS13_E_NS1_11comp_targetILNS1_3genE4ELNS1_11target_archE910ELNS1_3gpuE8ELNS1_3repE0EEENS1_30default_config_static_selectorELNS0_4arch9wavefront6targetE0EEEvT1_: ; @_ZN7rocprim17ROCPRIM_400000_NS6detail17trampoline_kernelINS0_14default_configENS1_25partition_config_selectorILNS1_17partition_subalgoE9EjjbEEZZNS1_14partition_implILS5_9ELb0ES3_jN6thrust23THRUST_200600_302600_NS6detail15normal_iteratorINS9_10device_ptrIjEEEESE_PNS0_10empty_typeENS0_5tupleIJSE_SF_EEENSH_IJSE_SG_EEENS0_18inequality_wrapperI22is_equal_div_10_uniqueIjEEEPmJSF_EEE10hipError_tPvRmT3_T4_T5_T6_T7_T9_mT8_P12ihipStream_tbDpT10_ENKUlT_T0_E_clISt17integral_constantIbLb0EES18_EEDaS13_S14_EUlS13_E_NS1_11comp_targetILNS1_3genE4ELNS1_11target_archE910ELNS1_3gpuE8ELNS1_3repE0EEENS1_30default_config_static_selectorELNS0_4arch9wavefront6targetE0EEEvT1_
; %bb.0:
	.section	.rodata,"a",@progbits
	.p2align	6, 0x0
	.amdhsa_kernel _ZN7rocprim17ROCPRIM_400000_NS6detail17trampoline_kernelINS0_14default_configENS1_25partition_config_selectorILNS1_17partition_subalgoE9EjjbEEZZNS1_14partition_implILS5_9ELb0ES3_jN6thrust23THRUST_200600_302600_NS6detail15normal_iteratorINS9_10device_ptrIjEEEESE_PNS0_10empty_typeENS0_5tupleIJSE_SF_EEENSH_IJSE_SG_EEENS0_18inequality_wrapperI22is_equal_div_10_uniqueIjEEEPmJSF_EEE10hipError_tPvRmT3_T4_T5_T6_T7_T9_mT8_P12ihipStream_tbDpT10_ENKUlT_T0_E_clISt17integral_constantIbLb0EES18_EEDaS13_S14_EUlS13_E_NS1_11comp_targetILNS1_3genE4ELNS1_11target_archE910ELNS1_3gpuE8ELNS1_3repE0EEENS1_30default_config_static_selectorELNS0_4arch9wavefront6targetE0EEEvT1_
		.amdhsa_group_segment_fixed_size 0
		.amdhsa_private_segment_fixed_size 0
		.amdhsa_kernarg_size 112
		.amdhsa_user_sgpr_count 15
		.amdhsa_user_sgpr_dispatch_ptr 0
		.amdhsa_user_sgpr_queue_ptr 0
		.amdhsa_user_sgpr_kernarg_segment_ptr 1
		.amdhsa_user_sgpr_dispatch_id 0
		.amdhsa_user_sgpr_private_segment_size 0
		.amdhsa_wavefront_size32 1
		.amdhsa_uses_dynamic_stack 0
		.amdhsa_enable_private_segment 0
		.amdhsa_system_sgpr_workgroup_id_x 1
		.amdhsa_system_sgpr_workgroup_id_y 0
		.amdhsa_system_sgpr_workgroup_id_z 0
		.amdhsa_system_sgpr_workgroup_info 0
		.amdhsa_system_vgpr_workitem_id 0
		.amdhsa_next_free_vgpr 1
		.amdhsa_next_free_sgpr 1
		.amdhsa_reserve_vcc 0
		.amdhsa_float_round_mode_32 0
		.amdhsa_float_round_mode_16_64 0
		.amdhsa_float_denorm_mode_32 3
		.amdhsa_float_denorm_mode_16_64 3
		.amdhsa_dx10_clamp 1
		.amdhsa_ieee_mode 1
		.amdhsa_fp16_overflow 0
		.amdhsa_workgroup_processor_mode 1
		.amdhsa_memory_ordered 1
		.amdhsa_forward_progress 0
		.amdhsa_shared_vgpr_count 0
		.amdhsa_exception_fp_ieee_invalid_op 0
		.amdhsa_exception_fp_denorm_src 0
		.amdhsa_exception_fp_ieee_div_zero 0
		.amdhsa_exception_fp_ieee_overflow 0
		.amdhsa_exception_fp_ieee_underflow 0
		.amdhsa_exception_fp_ieee_inexact 0
		.amdhsa_exception_int_div_zero 0
	.end_amdhsa_kernel
	.section	.text._ZN7rocprim17ROCPRIM_400000_NS6detail17trampoline_kernelINS0_14default_configENS1_25partition_config_selectorILNS1_17partition_subalgoE9EjjbEEZZNS1_14partition_implILS5_9ELb0ES3_jN6thrust23THRUST_200600_302600_NS6detail15normal_iteratorINS9_10device_ptrIjEEEESE_PNS0_10empty_typeENS0_5tupleIJSE_SF_EEENSH_IJSE_SG_EEENS0_18inequality_wrapperI22is_equal_div_10_uniqueIjEEEPmJSF_EEE10hipError_tPvRmT3_T4_T5_T6_T7_T9_mT8_P12ihipStream_tbDpT10_ENKUlT_T0_E_clISt17integral_constantIbLb0EES18_EEDaS13_S14_EUlS13_E_NS1_11comp_targetILNS1_3genE4ELNS1_11target_archE910ELNS1_3gpuE8ELNS1_3repE0EEENS1_30default_config_static_selectorELNS0_4arch9wavefront6targetE0EEEvT1_,"axG",@progbits,_ZN7rocprim17ROCPRIM_400000_NS6detail17trampoline_kernelINS0_14default_configENS1_25partition_config_selectorILNS1_17partition_subalgoE9EjjbEEZZNS1_14partition_implILS5_9ELb0ES3_jN6thrust23THRUST_200600_302600_NS6detail15normal_iteratorINS9_10device_ptrIjEEEESE_PNS0_10empty_typeENS0_5tupleIJSE_SF_EEENSH_IJSE_SG_EEENS0_18inequality_wrapperI22is_equal_div_10_uniqueIjEEEPmJSF_EEE10hipError_tPvRmT3_T4_T5_T6_T7_T9_mT8_P12ihipStream_tbDpT10_ENKUlT_T0_E_clISt17integral_constantIbLb0EES18_EEDaS13_S14_EUlS13_E_NS1_11comp_targetILNS1_3genE4ELNS1_11target_archE910ELNS1_3gpuE8ELNS1_3repE0EEENS1_30default_config_static_selectorELNS0_4arch9wavefront6targetE0EEEvT1_,comdat
.Lfunc_end244:
	.size	_ZN7rocprim17ROCPRIM_400000_NS6detail17trampoline_kernelINS0_14default_configENS1_25partition_config_selectorILNS1_17partition_subalgoE9EjjbEEZZNS1_14partition_implILS5_9ELb0ES3_jN6thrust23THRUST_200600_302600_NS6detail15normal_iteratorINS9_10device_ptrIjEEEESE_PNS0_10empty_typeENS0_5tupleIJSE_SF_EEENSH_IJSE_SG_EEENS0_18inequality_wrapperI22is_equal_div_10_uniqueIjEEEPmJSF_EEE10hipError_tPvRmT3_T4_T5_T6_T7_T9_mT8_P12ihipStream_tbDpT10_ENKUlT_T0_E_clISt17integral_constantIbLb0EES18_EEDaS13_S14_EUlS13_E_NS1_11comp_targetILNS1_3genE4ELNS1_11target_archE910ELNS1_3gpuE8ELNS1_3repE0EEENS1_30default_config_static_selectorELNS0_4arch9wavefront6targetE0EEEvT1_, .Lfunc_end244-_ZN7rocprim17ROCPRIM_400000_NS6detail17trampoline_kernelINS0_14default_configENS1_25partition_config_selectorILNS1_17partition_subalgoE9EjjbEEZZNS1_14partition_implILS5_9ELb0ES3_jN6thrust23THRUST_200600_302600_NS6detail15normal_iteratorINS9_10device_ptrIjEEEESE_PNS0_10empty_typeENS0_5tupleIJSE_SF_EEENSH_IJSE_SG_EEENS0_18inequality_wrapperI22is_equal_div_10_uniqueIjEEEPmJSF_EEE10hipError_tPvRmT3_T4_T5_T6_T7_T9_mT8_P12ihipStream_tbDpT10_ENKUlT_T0_E_clISt17integral_constantIbLb0EES18_EEDaS13_S14_EUlS13_E_NS1_11comp_targetILNS1_3genE4ELNS1_11target_archE910ELNS1_3gpuE8ELNS1_3repE0EEENS1_30default_config_static_selectorELNS0_4arch9wavefront6targetE0EEEvT1_
                                        ; -- End function
	.section	.AMDGPU.csdata,"",@progbits
; Kernel info:
; codeLenInByte = 0
; NumSgprs: 0
; NumVgprs: 0
; ScratchSize: 0
; MemoryBound: 0
; FloatMode: 240
; IeeeMode: 1
; LDSByteSize: 0 bytes/workgroup (compile time only)
; SGPRBlocks: 0
; VGPRBlocks: 0
; NumSGPRsForWavesPerEU: 1
; NumVGPRsForWavesPerEU: 1
; Occupancy: 15
; WaveLimiterHint : 0
; COMPUTE_PGM_RSRC2:SCRATCH_EN: 0
; COMPUTE_PGM_RSRC2:USER_SGPR: 15
; COMPUTE_PGM_RSRC2:TRAP_HANDLER: 0
; COMPUTE_PGM_RSRC2:TGID_X_EN: 1
; COMPUTE_PGM_RSRC2:TGID_Y_EN: 0
; COMPUTE_PGM_RSRC2:TGID_Z_EN: 0
; COMPUTE_PGM_RSRC2:TIDIG_COMP_CNT: 0
	.section	.text._ZN7rocprim17ROCPRIM_400000_NS6detail17trampoline_kernelINS0_14default_configENS1_25partition_config_selectorILNS1_17partition_subalgoE9EjjbEEZZNS1_14partition_implILS5_9ELb0ES3_jN6thrust23THRUST_200600_302600_NS6detail15normal_iteratorINS9_10device_ptrIjEEEESE_PNS0_10empty_typeENS0_5tupleIJSE_SF_EEENSH_IJSE_SG_EEENS0_18inequality_wrapperI22is_equal_div_10_uniqueIjEEEPmJSF_EEE10hipError_tPvRmT3_T4_T5_T6_T7_T9_mT8_P12ihipStream_tbDpT10_ENKUlT_T0_E_clISt17integral_constantIbLb0EES18_EEDaS13_S14_EUlS13_E_NS1_11comp_targetILNS1_3genE3ELNS1_11target_archE908ELNS1_3gpuE7ELNS1_3repE0EEENS1_30default_config_static_selectorELNS0_4arch9wavefront6targetE0EEEvT1_,"axG",@progbits,_ZN7rocprim17ROCPRIM_400000_NS6detail17trampoline_kernelINS0_14default_configENS1_25partition_config_selectorILNS1_17partition_subalgoE9EjjbEEZZNS1_14partition_implILS5_9ELb0ES3_jN6thrust23THRUST_200600_302600_NS6detail15normal_iteratorINS9_10device_ptrIjEEEESE_PNS0_10empty_typeENS0_5tupleIJSE_SF_EEENSH_IJSE_SG_EEENS0_18inequality_wrapperI22is_equal_div_10_uniqueIjEEEPmJSF_EEE10hipError_tPvRmT3_T4_T5_T6_T7_T9_mT8_P12ihipStream_tbDpT10_ENKUlT_T0_E_clISt17integral_constantIbLb0EES18_EEDaS13_S14_EUlS13_E_NS1_11comp_targetILNS1_3genE3ELNS1_11target_archE908ELNS1_3gpuE7ELNS1_3repE0EEENS1_30default_config_static_selectorELNS0_4arch9wavefront6targetE0EEEvT1_,comdat
	.protected	_ZN7rocprim17ROCPRIM_400000_NS6detail17trampoline_kernelINS0_14default_configENS1_25partition_config_selectorILNS1_17partition_subalgoE9EjjbEEZZNS1_14partition_implILS5_9ELb0ES3_jN6thrust23THRUST_200600_302600_NS6detail15normal_iteratorINS9_10device_ptrIjEEEESE_PNS0_10empty_typeENS0_5tupleIJSE_SF_EEENSH_IJSE_SG_EEENS0_18inequality_wrapperI22is_equal_div_10_uniqueIjEEEPmJSF_EEE10hipError_tPvRmT3_T4_T5_T6_T7_T9_mT8_P12ihipStream_tbDpT10_ENKUlT_T0_E_clISt17integral_constantIbLb0EES18_EEDaS13_S14_EUlS13_E_NS1_11comp_targetILNS1_3genE3ELNS1_11target_archE908ELNS1_3gpuE7ELNS1_3repE0EEENS1_30default_config_static_selectorELNS0_4arch9wavefront6targetE0EEEvT1_ ; -- Begin function _ZN7rocprim17ROCPRIM_400000_NS6detail17trampoline_kernelINS0_14default_configENS1_25partition_config_selectorILNS1_17partition_subalgoE9EjjbEEZZNS1_14partition_implILS5_9ELb0ES3_jN6thrust23THRUST_200600_302600_NS6detail15normal_iteratorINS9_10device_ptrIjEEEESE_PNS0_10empty_typeENS0_5tupleIJSE_SF_EEENSH_IJSE_SG_EEENS0_18inequality_wrapperI22is_equal_div_10_uniqueIjEEEPmJSF_EEE10hipError_tPvRmT3_T4_T5_T6_T7_T9_mT8_P12ihipStream_tbDpT10_ENKUlT_T0_E_clISt17integral_constantIbLb0EES18_EEDaS13_S14_EUlS13_E_NS1_11comp_targetILNS1_3genE3ELNS1_11target_archE908ELNS1_3gpuE7ELNS1_3repE0EEENS1_30default_config_static_selectorELNS0_4arch9wavefront6targetE0EEEvT1_
	.globl	_ZN7rocprim17ROCPRIM_400000_NS6detail17trampoline_kernelINS0_14default_configENS1_25partition_config_selectorILNS1_17partition_subalgoE9EjjbEEZZNS1_14partition_implILS5_9ELb0ES3_jN6thrust23THRUST_200600_302600_NS6detail15normal_iteratorINS9_10device_ptrIjEEEESE_PNS0_10empty_typeENS0_5tupleIJSE_SF_EEENSH_IJSE_SG_EEENS0_18inequality_wrapperI22is_equal_div_10_uniqueIjEEEPmJSF_EEE10hipError_tPvRmT3_T4_T5_T6_T7_T9_mT8_P12ihipStream_tbDpT10_ENKUlT_T0_E_clISt17integral_constantIbLb0EES18_EEDaS13_S14_EUlS13_E_NS1_11comp_targetILNS1_3genE3ELNS1_11target_archE908ELNS1_3gpuE7ELNS1_3repE0EEENS1_30default_config_static_selectorELNS0_4arch9wavefront6targetE0EEEvT1_
	.p2align	8
	.type	_ZN7rocprim17ROCPRIM_400000_NS6detail17trampoline_kernelINS0_14default_configENS1_25partition_config_selectorILNS1_17partition_subalgoE9EjjbEEZZNS1_14partition_implILS5_9ELb0ES3_jN6thrust23THRUST_200600_302600_NS6detail15normal_iteratorINS9_10device_ptrIjEEEESE_PNS0_10empty_typeENS0_5tupleIJSE_SF_EEENSH_IJSE_SG_EEENS0_18inequality_wrapperI22is_equal_div_10_uniqueIjEEEPmJSF_EEE10hipError_tPvRmT3_T4_T5_T6_T7_T9_mT8_P12ihipStream_tbDpT10_ENKUlT_T0_E_clISt17integral_constantIbLb0EES18_EEDaS13_S14_EUlS13_E_NS1_11comp_targetILNS1_3genE3ELNS1_11target_archE908ELNS1_3gpuE7ELNS1_3repE0EEENS1_30default_config_static_selectorELNS0_4arch9wavefront6targetE0EEEvT1_,@function
_ZN7rocprim17ROCPRIM_400000_NS6detail17trampoline_kernelINS0_14default_configENS1_25partition_config_selectorILNS1_17partition_subalgoE9EjjbEEZZNS1_14partition_implILS5_9ELb0ES3_jN6thrust23THRUST_200600_302600_NS6detail15normal_iteratorINS9_10device_ptrIjEEEESE_PNS0_10empty_typeENS0_5tupleIJSE_SF_EEENSH_IJSE_SG_EEENS0_18inequality_wrapperI22is_equal_div_10_uniqueIjEEEPmJSF_EEE10hipError_tPvRmT3_T4_T5_T6_T7_T9_mT8_P12ihipStream_tbDpT10_ENKUlT_T0_E_clISt17integral_constantIbLb0EES18_EEDaS13_S14_EUlS13_E_NS1_11comp_targetILNS1_3genE3ELNS1_11target_archE908ELNS1_3gpuE7ELNS1_3repE0EEENS1_30default_config_static_selectorELNS0_4arch9wavefront6targetE0EEEvT1_: ; @_ZN7rocprim17ROCPRIM_400000_NS6detail17trampoline_kernelINS0_14default_configENS1_25partition_config_selectorILNS1_17partition_subalgoE9EjjbEEZZNS1_14partition_implILS5_9ELb0ES3_jN6thrust23THRUST_200600_302600_NS6detail15normal_iteratorINS9_10device_ptrIjEEEESE_PNS0_10empty_typeENS0_5tupleIJSE_SF_EEENSH_IJSE_SG_EEENS0_18inequality_wrapperI22is_equal_div_10_uniqueIjEEEPmJSF_EEE10hipError_tPvRmT3_T4_T5_T6_T7_T9_mT8_P12ihipStream_tbDpT10_ENKUlT_T0_E_clISt17integral_constantIbLb0EES18_EEDaS13_S14_EUlS13_E_NS1_11comp_targetILNS1_3genE3ELNS1_11target_archE908ELNS1_3gpuE7ELNS1_3repE0EEENS1_30default_config_static_selectorELNS0_4arch9wavefront6targetE0EEEvT1_
; %bb.0:
	.section	.rodata,"a",@progbits
	.p2align	6, 0x0
	.amdhsa_kernel _ZN7rocprim17ROCPRIM_400000_NS6detail17trampoline_kernelINS0_14default_configENS1_25partition_config_selectorILNS1_17partition_subalgoE9EjjbEEZZNS1_14partition_implILS5_9ELb0ES3_jN6thrust23THRUST_200600_302600_NS6detail15normal_iteratorINS9_10device_ptrIjEEEESE_PNS0_10empty_typeENS0_5tupleIJSE_SF_EEENSH_IJSE_SG_EEENS0_18inequality_wrapperI22is_equal_div_10_uniqueIjEEEPmJSF_EEE10hipError_tPvRmT3_T4_T5_T6_T7_T9_mT8_P12ihipStream_tbDpT10_ENKUlT_T0_E_clISt17integral_constantIbLb0EES18_EEDaS13_S14_EUlS13_E_NS1_11comp_targetILNS1_3genE3ELNS1_11target_archE908ELNS1_3gpuE7ELNS1_3repE0EEENS1_30default_config_static_selectorELNS0_4arch9wavefront6targetE0EEEvT1_
		.amdhsa_group_segment_fixed_size 0
		.amdhsa_private_segment_fixed_size 0
		.amdhsa_kernarg_size 112
		.amdhsa_user_sgpr_count 15
		.amdhsa_user_sgpr_dispatch_ptr 0
		.amdhsa_user_sgpr_queue_ptr 0
		.amdhsa_user_sgpr_kernarg_segment_ptr 1
		.amdhsa_user_sgpr_dispatch_id 0
		.amdhsa_user_sgpr_private_segment_size 0
		.amdhsa_wavefront_size32 1
		.amdhsa_uses_dynamic_stack 0
		.amdhsa_enable_private_segment 0
		.amdhsa_system_sgpr_workgroup_id_x 1
		.amdhsa_system_sgpr_workgroup_id_y 0
		.amdhsa_system_sgpr_workgroup_id_z 0
		.amdhsa_system_sgpr_workgroup_info 0
		.amdhsa_system_vgpr_workitem_id 0
		.amdhsa_next_free_vgpr 1
		.amdhsa_next_free_sgpr 1
		.amdhsa_reserve_vcc 0
		.amdhsa_float_round_mode_32 0
		.amdhsa_float_round_mode_16_64 0
		.amdhsa_float_denorm_mode_32 3
		.amdhsa_float_denorm_mode_16_64 3
		.amdhsa_dx10_clamp 1
		.amdhsa_ieee_mode 1
		.amdhsa_fp16_overflow 0
		.amdhsa_workgroup_processor_mode 1
		.amdhsa_memory_ordered 1
		.amdhsa_forward_progress 0
		.amdhsa_shared_vgpr_count 0
		.amdhsa_exception_fp_ieee_invalid_op 0
		.amdhsa_exception_fp_denorm_src 0
		.amdhsa_exception_fp_ieee_div_zero 0
		.amdhsa_exception_fp_ieee_overflow 0
		.amdhsa_exception_fp_ieee_underflow 0
		.amdhsa_exception_fp_ieee_inexact 0
		.amdhsa_exception_int_div_zero 0
	.end_amdhsa_kernel
	.section	.text._ZN7rocprim17ROCPRIM_400000_NS6detail17trampoline_kernelINS0_14default_configENS1_25partition_config_selectorILNS1_17partition_subalgoE9EjjbEEZZNS1_14partition_implILS5_9ELb0ES3_jN6thrust23THRUST_200600_302600_NS6detail15normal_iteratorINS9_10device_ptrIjEEEESE_PNS0_10empty_typeENS0_5tupleIJSE_SF_EEENSH_IJSE_SG_EEENS0_18inequality_wrapperI22is_equal_div_10_uniqueIjEEEPmJSF_EEE10hipError_tPvRmT3_T4_T5_T6_T7_T9_mT8_P12ihipStream_tbDpT10_ENKUlT_T0_E_clISt17integral_constantIbLb0EES18_EEDaS13_S14_EUlS13_E_NS1_11comp_targetILNS1_3genE3ELNS1_11target_archE908ELNS1_3gpuE7ELNS1_3repE0EEENS1_30default_config_static_selectorELNS0_4arch9wavefront6targetE0EEEvT1_,"axG",@progbits,_ZN7rocprim17ROCPRIM_400000_NS6detail17trampoline_kernelINS0_14default_configENS1_25partition_config_selectorILNS1_17partition_subalgoE9EjjbEEZZNS1_14partition_implILS5_9ELb0ES3_jN6thrust23THRUST_200600_302600_NS6detail15normal_iteratorINS9_10device_ptrIjEEEESE_PNS0_10empty_typeENS0_5tupleIJSE_SF_EEENSH_IJSE_SG_EEENS0_18inequality_wrapperI22is_equal_div_10_uniqueIjEEEPmJSF_EEE10hipError_tPvRmT3_T4_T5_T6_T7_T9_mT8_P12ihipStream_tbDpT10_ENKUlT_T0_E_clISt17integral_constantIbLb0EES18_EEDaS13_S14_EUlS13_E_NS1_11comp_targetILNS1_3genE3ELNS1_11target_archE908ELNS1_3gpuE7ELNS1_3repE0EEENS1_30default_config_static_selectorELNS0_4arch9wavefront6targetE0EEEvT1_,comdat
.Lfunc_end245:
	.size	_ZN7rocprim17ROCPRIM_400000_NS6detail17trampoline_kernelINS0_14default_configENS1_25partition_config_selectorILNS1_17partition_subalgoE9EjjbEEZZNS1_14partition_implILS5_9ELb0ES3_jN6thrust23THRUST_200600_302600_NS6detail15normal_iteratorINS9_10device_ptrIjEEEESE_PNS0_10empty_typeENS0_5tupleIJSE_SF_EEENSH_IJSE_SG_EEENS0_18inequality_wrapperI22is_equal_div_10_uniqueIjEEEPmJSF_EEE10hipError_tPvRmT3_T4_T5_T6_T7_T9_mT8_P12ihipStream_tbDpT10_ENKUlT_T0_E_clISt17integral_constantIbLb0EES18_EEDaS13_S14_EUlS13_E_NS1_11comp_targetILNS1_3genE3ELNS1_11target_archE908ELNS1_3gpuE7ELNS1_3repE0EEENS1_30default_config_static_selectorELNS0_4arch9wavefront6targetE0EEEvT1_, .Lfunc_end245-_ZN7rocprim17ROCPRIM_400000_NS6detail17trampoline_kernelINS0_14default_configENS1_25partition_config_selectorILNS1_17partition_subalgoE9EjjbEEZZNS1_14partition_implILS5_9ELb0ES3_jN6thrust23THRUST_200600_302600_NS6detail15normal_iteratorINS9_10device_ptrIjEEEESE_PNS0_10empty_typeENS0_5tupleIJSE_SF_EEENSH_IJSE_SG_EEENS0_18inequality_wrapperI22is_equal_div_10_uniqueIjEEEPmJSF_EEE10hipError_tPvRmT3_T4_T5_T6_T7_T9_mT8_P12ihipStream_tbDpT10_ENKUlT_T0_E_clISt17integral_constantIbLb0EES18_EEDaS13_S14_EUlS13_E_NS1_11comp_targetILNS1_3genE3ELNS1_11target_archE908ELNS1_3gpuE7ELNS1_3repE0EEENS1_30default_config_static_selectorELNS0_4arch9wavefront6targetE0EEEvT1_
                                        ; -- End function
	.section	.AMDGPU.csdata,"",@progbits
; Kernel info:
; codeLenInByte = 0
; NumSgprs: 0
; NumVgprs: 0
; ScratchSize: 0
; MemoryBound: 0
; FloatMode: 240
; IeeeMode: 1
; LDSByteSize: 0 bytes/workgroup (compile time only)
; SGPRBlocks: 0
; VGPRBlocks: 0
; NumSGPRsForWavesPerEU: 1
; NumVGPRsForWavesPerEU: 1
; Occupancy: 16
; WaveLimiterHint : 0
; COMPUTE_PGM_RSRC2:SCRATCH_EN: 0
; COMPUTE_PGM_RSRC2:USER_SGPR: 15
; COMPUTE_PGM_RSRC2:TRAP_HANDLER: 0
; COMPUTE_PGM_RSRC2:TGID_X_EN: 1
; COMPUTE_PGM_RSRC2:TGID_Y_EN: 0
; COMPUTE_PGM_RSRC2:TGID_Z_EN: 0
; COMPUTE_PGM_RSRC2:TIDIG_COMP_CNT: 0
	.section	.text._ZN7rocprim17ROCPRIM_400000_NS6detail17trampoline_kernelINS0_14default_configENS1_25partition_config_selectorILNS1_17partition_subalgoE9EjjbEEZZNS1_14partition_implILS5_9ELb0ES3_jN6thrust23THRUST_200600_302600_NS6detail15normal_iteratorINS9_10device_ptrIjEEEESE_PNS0_10empty_typeENS0_5tupleIJSE_SF_EEENSH_IJSE_SG_EEENS0_18inequality_wrapperI22is_equal_div_10_uniqueIjEEEPmJSF_EEE10hipError_tPvRmT3_T4_T5_T6_T7_T9_mT8_P12ihipStream_tbDpT10_ENKUlT_T0_E_clISt17integral_constantIbLb0EES18_EEDaS13_S14_EUlS13_E_NS1_11comp_targetILNS1_3genE2ELNS1_11target_archE906ELNS1_3gpuE6ELNS1_3repE0EEENS1_30default_config_static_selectorELNS0_4arch9wavefront6targetE0EEEvT1_,"axG",@progbits,_ZN7rocprim17ROCPRIM_400000_NS6detail17trampoline_kernelINS0_14default_configENS1_25partition_config_selectorILNS1_17partition_subalgoE9EjjbEEZZNS1_14partition_implILS5_9ELb0ES3_jN6thrust23THRUST_200600_302600_NS6detail15normal_iteratorINS9_10device_ptrIjEEEESE_PNS0_10empty_typeENS0_5tupleIJSE_SF_EEENSH_IJSE_SG_EEENS0_18inequality_wrapperI22is_equal_div_10_uniqueIjEEEPmJSF_EEE10hipError_tPvRmT3_T4_T5_T6_T7_T9_mT8_P12ihipStream_tbDpT10_ENKUlT_T0_E_clISt17integral_constantIbLb0EES18_EEDaS13_S14_EUlS13_E_NS1_11comp_targetILNS1_3genE2ELNS1_11target_archE906ELNS1_3gpuE6ELNS1_3repE0EEENS1_30default_config_static_selectorELNS0_4arch9wavefront6targetE0EEEvT1_,comdat
	.protected	_ZN7rocprim17ROCPRIM_400000_NS6detail17trampoline_kernelINS0_14default_configENS1_25partition_config_selectorILNS1_17partition_subalgoE9EjjbEEZZNS1_14partition_implILS5_9ELb0ES3_jN6thrust23THRUST_200600_302600_NS6detail15normal_iteratorINS9_10device_ptrIjEEEESE_PNS0_10empty_typeENS0_5tupleIJSE_SF_EEENSH_IJSE_SG_EEENS0_18inequality_wrapperI22is_equal_div_10_uniqueIjEEEPmJSF_EEE10hipError_tPvRmT3_T4_T5_T6_T7_T9_mT8_P12ihipStream_tbDpT10_ENKUlT_T0_E_clISt17integral_constantIbLb0EES18_EEDaS13_S14_EUlS13_E_NS1_11comp_targetILNS1_3genE2ELNS1_11target_archE906ELNS1_3gpuE6ELNS1_3repE0EEENS1_30default_config_static_selectorELNS0_4arch9wavefront6targetE0EEEvT1_ ; -- Begin function _ZN7rocprim17ROCPRIM_400000_NS6detail17trampoline_kernelINS0_14default_configENS1_25partition_config_selectorILNS1_17partition_subalgoE9EjjbEEZZNS1_14partition_implILS5_9ELb0ES3_jN6thrust23THRUST_200600_302600_NS6detail15normal_iteratorINS9_10device_ptrIjEEEESE_PNS0_10empty_typeENS0_5tupleIJSE_SF_EEENSH_IJSE_SG_EEENS0_18inequality_wrapperI22is_equal_div_10_uniqueIjEEEPmJSF_EEE10hipError_tPvRmT3_T4_T5_T6_T7_T9_mT8_P12ihipStream_tbDpT10_ENKUlT_T0_E_clISt17integral_constantIbLb0EES18_EEDaS13_S14_EUlS13_E_NS1_11comp_targetILNS1_3genE2ELNS1_11target_archE906ELNS1_3gpuE6ELNS1_3repE0EEENS1_30default_config_static_selectorELNS0_4arch9wavefront6targetE0EEEvT1_
	.globl	_ZN7rocprim17ROCPRIM_400000_NS6detail17trampoline_kernelINS0_14default_configENS1_25partition_config_selectorILNS1_17partition_subalgoE9EjjbEEZZNS1_14partition_implILS5_9ELb0ES3_jN6thrust23THRUST_200600_302600_NS6detail15normal_iteratorINS9_10device_ptrIjEEEESE_PNS0_10empty_typeENS0_5tupleIJSE_SF_EEENSH_IJSE_SG_EEENS0_18inequality_wrapperI22is_equal_div_10_uniqueIjEEEPmJSF_EEE10hipError_tPvRmT3_T4_T5_T6_T7_T9_mT8_P12ihipStream_tbDpT10_ENKUlT_T0_E_clISt17integral_constantIbLb0EES18_EEDaS13_S14_EUlS13_E_NS1_11comp_targetILNS1_3genE2ELNS1_11target_archE906ELNS1_3gpuE6ELNS1_3repE0EEENS1_30default_config_static_selectorELNS0_4arch9wavefront6targetE0EEEvT1_
	.p2align	8
	.type	_ZN7rocprim17ROCPRIM_400000_NS6detail17trampoline_kernelINS0_14default_configENS1_25partition_config_selectorILNS1_17partition_subalgoE9EjjbEEZZNS1_14partition_implILS5_9ELb0ES3_jN6thrust23THRUST_200600_302600_NS6detail15normal_iteratorINS9_10device_ptrIjEEEESE_PNS0_10empty_typeENS0_5tupleIJSE_SF_EEENSH_IJSE_SG_EEENS0_18inequality_wrapperI22is_equal_div_10_uniqueIjEEEPmJSF_EEE10hipError_tPvRmT3_T4_T5_T6_T7_T9_mT8_P12ihipStream_tbDpT10_ENKUlT_T0_E_clISt17integral_constantIbLb0EES18_EEDaS13_S14_EUlS13_E_NS1_11comp_targetILNS1_3genE2ELNS1_11target_archE906ELNS1_3gpuE6ELNS1_3repE0EEENS1_30default_config_static_selectorELNS0_4arch9wavefront6targetE0EEEvT1_,@function
_ZN7rocprim17ROCPRIM_400000_NS6detail17trampoline_kernelINS0_14default_configENS1_25partition_config_selectorILNS1_17partition_subalgoE9EjjbEEZZNS1_14partition_implILS5_9ELb0ES3_jN6thrust23THRUST_200600_302600_NS6detail15normal_iteratorINS9_10device_ptrIjEEEESE_PNS0_10empty_typeENS0_5tupleIJSE_SF_EEENSH_IJSE_SG_EEENS0_18inequality_wrapperI22is_equal_div_10_uniqueIjEEEPmJSF_EEE10hipError_tPvRmT3_T4_T5_T6_T7_T9_mT8_P12ihipStream_tbDpT10_ENKUlT_T0_E_clISt17integral_constantIbLb0EES18_EEDaS13_S14_EUlS13_E_NS1_11comp_targetILNS1_3genE2ELNS1_11target_archE906ELNS1_3gpuE6ELNS1_3repE0EEENS1_30default_config_static_selectorELNS0_4arch9wavefront6targetE0EEEvT1_: ; @_ZN7rocprim17ROCPRIM_400000_NS6detail17trampoline_kernelINS0_14default_configENS1_25partition_config_selectorILNS1_17partition_subalgoE9EjjbEEZZNS1_14partition_implILS5_9ELb0ES3_jN6thrust23THRUST_200600_302600_NS6detail15normal_iteratorINS9_10device_ptrIjEEEESE_PNS0_10empty_typeENS0_5tupleIJSE_SF_EEENSH_IJSE_SG_EEENS0_18inequality_wrapperI22is_equal_div_10_uniqueIjEEEPmJSF_EEE10hipError_tPvRmT3_T4_T5_T6_T7_T9_mT8_P12ihipStream_tbDpT10_ENKUlT_T0_E_clISt17integral_constantIbLb0EES18_EEDaS13_S14_EUlS13_E_NS1_11comp_targetILNS1_3genE2ELNS1_11target_archE906ELNS1_3gpuE6ELNS1_3repE0EEENS1_30default_config_static_selectorELNS0_4arch9wavefront6targetE0EEEvT1_
; %bb.0:
	.section	.rodata,"a",@progbits
	.p2align	6, 0x0
	.amdhsa_kernel _ZN7rocprim17ROCPRIM_400000_NS6detail17trampoline_kernelINS0_14default_configENS1_25partition_config_selectorILNS1_17partition_subalgoE9EjjbEEZZNS1_14partition_implILS5_9ELb0ES3_jN6thrust23THRUST_200600_302600_NS6detail15normal_iteratorINS9_10device_ptrIjEEEESE_PNS0_10empty_typeENS0_5tupleIJSE_SF_EEENSH_IJSE_SG_EEENS0_18inequality_wrapperI22is_equal_div_10_uniqueIjEEEPmJSF_EEE10hipError_tPvRmT3_T4_T5_T6_T7_T9_mT8_P12ihipStream_tbDpT10_ENKUlT_T0_E_clISt17integral_constantIbLb0EES18_EEDaS13_S14_EUlS13_E_NS1_11comp_targetILNS1_3genE2ELNS1_11target_archE906ELNS1_3gpuE6ELNS1_3repE0EEENS1_30default_config_static_selectorELNS0_4arch9wavefront6targetE0EEEvT1_
		.amdhsa_group_segment_fixed_size 0
		.amdhsa_private_segment_fixed_size 0
		.amdhsa_kernarg_size 112
		.amdhsa_user_sgpr_count 15
		.amdhsa_user_sgpr_dispatch_ptr 0
		.amdhsa_user_sgpr_queue_ptr 0
		.amdhsa_user_sgpr_kernarg_segment_ptr 1
		.amdhsa_user_sgpr_dispatch_id 0
		.amdhsa_user_sgpr_private_segment_size 0
		.amdhsa_wavefront_size32 1
		.amdhsa_uses_dynamic_stack 0
		.amdhsa_enable_private_segment 0
		.amdhsa_system_sgpr_workgroup_id_x 1
		.amdhsa_system_sgpr_workgroup_id_y 0
		.amdhsa_system_sgpr_workgroup_id_z 0
		.amdhsa_system_sgpr_workgroup_info 0
		.amdhsa_system_vgpr_workitem_id 0
		.amdhsa_next_free_vgpr 1
		.amdhsa_next_free_sgpr 1
		.amdhsa_reserve_vcc 0
		.amdhsa_float_round_mode_32 0
		.amdhsa_float_round_mode_16_64 0
		.amdhsa_float_denorm_mode_32 3
		.amdhsa_float_denorm_mode_16_64 3
		.amdhsa_dx10_clamp 1
		.amdhsa_ieee_mode 1
		.amdhsa_fp16_overflow 0
		.amdhsa_workgroup_processor_mode 1
		.amdhsa_memory_ordered 1
		.amdhsa_forward_progress 0
		.amdhsa_shared_vgpr_count 0
		.amdhsa_exception_fp_ieee_invalid_op 0
		.amdhsa_exception_fp_denorm_src 0
		.amdhsa_exception_fp_ieee_div_zero 0
		.amdhsa_exception_fp_ieee_overflow 0
		.amdhsa_exception_fp_ieee_underflow 0
		.amdhsa_exception_fp_ieee_inexact 0
		.amdhsa_exception_int_div_zero 0
	.end_amdhsa_kernel
	.section	.text._ZN7rocprim17ROCPRIM_400000_NS6detail17trampoline_kernelINS0_14default_configENS1_25partition_config_selectorILNS1_17partition_subalgoE9EjjbEEZZNS1_14partition_implILS5_9ELb0ES3_jN6thrust23THRUST_200600_302600_NS6detail15normal_iteratorINS9_10device_ptrIjEEEESE_PNS0_10empty_typeENS0_5tupleIJSE_SF_EEENSH_IJSE_SG_EEENS0_18inequality_wrapperI22is_equal_div_10_uniqueIjEEEPmJSF_EEE10hipError_tPvRmT3_T4_T5_T6_T7_T9_mT8_P12ihipStream_tbDpT10_ENKUlT_T0_E_clISt17integral_constantIbLb0EES18_EEDaS13_S14_EUlS13_E_NS1_11comp_targetILNS1_3genE2ELNS1_11target_archE906ELNS1_3gpuE6ELNS1_3repE0EEENS1_30default_config_static_selectorELNS0_4arch9wavefront6targetE0EEEvT1_,"axG",@progbits,_ZN7rocprim17ROCPRIM_400000_NS6detail17trampoline_kernelINS0_14default_configENS1_25partition_config_selectorILNS1_17partition_subalgoE9EjjbEEZZNS1_14partition_implILS5_9ELb0ES3_jN6thrust23THRUST_200600_302600_NS6detail15normal_iteratorINS9_10device_ptrIjEEEESE_PNS0_10empty_typeENS0_5tupleIJSE_SF_EEENSH_IJSE_SG_EEENS0_18inequality_wrapperI22is_equal_div_10_uniqueIjEEEPmJSF_EEE10hipError_tPvRmT3_T4_T5_T6_T7_T9_mT8_P12ihipStream_tbDpT10_ENKUlT_T0_E_clISt17integral_constantIbLb0EES18_EEDaS13_S14_EUlS13_E_NS1_11comp_targetILNS1_3genE2ELNS1_11target_archE906ELNS1_3gpuE6ELNS1_3repE0EEENS1_30default_config_static_selectorELNS0_4arch9wavefront6targetE0EEEvT1_,comdat
.Lfunc_end246:
	.size	_ZN7rocprim17ROCPRIM_400000_NS6detail17trampoline_kernelINS0_14default_configENS1_25partition_config_selectorILNS1_17partition_subalgoE9EjjbEEZZNS1_14partition_implILS5_9ELb0ES3_jN6thrust23THRUST_200600_302600_NS6detail15normal_iteratorINS9_10device_ptrIjEEEESE_PNS0_10empty_typeENS0_5tupleIJSE_SF_EEENSH_IJSE_SG_EEENS0_18inequality_wrapperI22is_equal_div_10_uniqueIjEEEPmJSF_EEE10hipError_tPvRmT3_T4_T5_T6_T7_T9_mT8_P12ihipStream_tbDpT10_ENKUlT_T0_E_clISt17integral_constantIbLb0EES18_EEDaS13_S14_EUlS13_E_NS1_11comp_targetILNS1_3genE2ELNS1_11target_archE906ELNS1_3gpuE6ELNS1_3repE0EEENS1_30default_config_static_selectorELNS0_4arch9wavefront6targetE0EEEvT1_, .Lfunc_end246-_ZN7rocprim17ROCPRIM_400000_NS6detail17trampoline_kernelINS0_14default_configENS1_25partition_config_selectorILNS1_17partition_subalgoE9EjjbEEZZNS1_14partition_implILS5_9ELb0ES3_jN6thrust23THRUST_200600_302600_NS6detail15normal_iteratorINS9_10device_ptrIjEEEESE_PNS0_10empty_typeENS0_5tupleIJSE_SF_EEENSH_IJSE_SG_EEENS0_18inequality_wrapperI22is_equal_div_10_uniqueIjEEEPmJSF_EEE10hipError_tPvRmT3_T4_T5_T6_T7_T9_mT8_P12ihipStream_tbDpT10_ENKUlT_T0_E_clISt17integral_constantIbLb0EES18_EEDaS13_S14_EUlS13_E_NS1_11comp_targetILNS1_3genE2ELNS1_11target_archE906ELNS1_3gpuE6ELNS1_3repE0EEENS1_30default_config_static_selectorELNS0_4arch9wavefront6targetE0EEEvT1_
                                        ; -- End function
	.section	.AMDGPU.csdata,"",@progbits
; Kernel info:
; codeLenInByte = 0
; NumSgprs: 0
; NumVgprs: 0
; ScratchSize: 0
; MemoryBound: 0
; FloatMode: 240
; IeeeMode: 1
; LDSByteSize: 0 bytes/workgroup (compile time only)
; SGPRBlocks: 0
; VGPRBlocks: 0
; NumSGPRsForWavesPerEU: 1
; NumVGPRsForWavesPerEU: 1
; Occupancy: 16
; WaveLimiterHint : 0
; COMPUTE_PGM_RSRC2:SCRATCH_EN: 0
; COMPUTE_PGM_RSRC2:USER_SGPR: 15
; COMPUTE_PGM_RSRC2:TRAP_HANDLER: 0
; COMPUTE_PGM_RSRC2:TGID_X_EN: 1
; COMPUTE_PGM_RSRC2:TGID_Y_EN: 0
; COMPUTE_PGM_RSRC2:TGID_Z_EN: 0
; COMPUTE_PGM_RSRC2:TIDIG_COMP_CNT: 0
	.section	.text._ZN7rocprim17ROCPRIM_400000_NS6detail17trampoline_kernelINS0_14default_configENS1_25partition_config_selectorILNS1_17partition_subalgoE9EjjbEEZZNS1_14partition_implILS5_9ELb0ES3_jN6thrust23THRUST_200600_302600_NS6detail15normal_iteratorINS9_10device_ptrIjEEEESE_PNS0_10empty_typeENS0_5tupleIJSE_SF_EEENSH_IJSE_SG_EEENS0_18inequality_wrapperI22is_equal_div_10_uniqueIjEEEPmJSF_EEE10hipError_tPvRmT3_T4_T5_T6_T7_T9_mT8_P12ihipStream_tbDpT10_ENKUlT_T0_E_clISt17integral_constantIbLb0EES18_EEDaS13_S14_EUlS13_E_NS1_11comp_targetILNS1_3genE10ELNS1_11target_archE1200ELNS1_3gpuE4ELNS1_3repE0EEENS1_30default_config_static_selectorELNS0_4arch9wavefront6targetE0EEEvT1_,"axG",@progbits,_ZN7rocprim17ROCPRIM_400000_NS6detail17trampoline_kernelINS0_14default_configENS1_25partition_config_selectorILNS1_17partition_subalgoE9EjjbEEZZNS1_14partition_implILS5_9ELb0ES3_jN6thrust23THRUST_200600_302600_NS6detail15normal_iteratorINS9_10device_ptrIjEEEESE_PNS0_10empty_typeENS0_5tupleIJSE_SF_EEENSH_IJSE_SG_EEENS0_18inequality_wrapperI22is_equal_div_10_uniqueIjEEEPmJSF_EEE10hipError_tPvRmT3_T4_T5_T6_T7_T9_mT8_P12ihipStream_tbDpT10_ENKUlT_T0_E_clISt17integral_constantIbLb0EES18_EEDaS13_S14_EUlS13_E_NS1_11comp_targetILNS1_3genE10ELNS1_11target_archE1200ELNS1_3gpuE4ELNS1_3repE0EEENS1_30default_config_static_selectorELNS0_4arch9wavefront6targetE0EEEvT1_,comdat
	.protected	_ZN7rocprim17ROCPRIM_400000_NS6detail17trampoline_kernelINS0_14default_configENS1_25partition_config_selectorILNS1_17partition_subalgoE9EjjbEEZZNS1_14partition_implILS5_9ELb0ES3_jN6thrust23THRUST_200600_302600_NS6detail15normal_iteratorINS9_10device_ptrIjEEEESE_PNS0_10empty_typeENS0_5tupleIJSE_SF_EEENSH_IJSE_SG_EEENS0_18inequality_wrapperI22is_equal_div_10_uniqueIjEEEPmJSF_EEE10hipError_tPvRmT3_T4_T5_T6_T7_T9_mT8_P12ihipStream_tbDpT10_ENKUlT_T0_E_clISt17integral_constantIbLb0EES18_EEDaS13_S14_EUlS13_E_NS1_11comp_targetILNS1_3genE10ELNS1_11target_archE1200ELNS1_3gpuE4ELNS1_3repE0EEENS1_30default_config_static_selectorELNS0_4arch9wavefront6targetE0EEEvT1_ ; -- Begin function _ZN7rocprim17ROCPRIM_400000_NS6detail17trampoline_kernelINS0_14default_configENS1_25partition_config_selectorILNS1_17partition_subalgoE9EjjbEEZZNS1_14partition_implILS5_9ELb0ES3_jN6thrust23THRUST_200600_302600_NS6detail15normal_iteratorINS9_10device_ptrIjEEEESE_PNS0_10empty_typeENS0_5tupleIJSE_SF_EEENSH_IJSE_SG_EEENS0_18inequality_wrapperI22is_equal_div_10_uniqueIjEEEPmJSF_EEE10hipError_tPvRmT3_T4_T5_T6_T7_T9_mT8_P12ihipStream_tbDpT10_ENKUlT_T0_E_clISt17integral_constantIbLb0EES18_EEDaS13_S14_EUlS13_E_NS1_11comp_targetILNS1_3genE10ELNS1_11target_archE1200ELNS1_3gpuE4ELNS1_3repE0EEENS1_30default_config_static_selectorELNS0_4arch9wavefront6targetE0EEEvT1_
	.globl	_ZN7rocprim17ROCPRIM_400000_NS6detail17trampoline_kernelINS0_14default_configENS1_25partition_config_selectorILNS1_17partition_subalgoE9EjjbEEZZNS1_14partition_implILS5_9ELb0ES3_jN6thrust23THRUST_200600_302600_NS6detail15normal_iteratorINS9_10device_ptrIjEEEESE_PNS0_10empty_typeENS0_5tupleIJSE_SF_EEENSH_IJSE_SG_EEENS0_18inequality_wrapperI22is_equal_div_10_uniqueIjEEEPmJSF_EEE10hipError_tPvRmT3_T4_T5_T6_T7_T9_mT8_P12ihipStream_tbDpT10_ENKUlT_T0_E_clISt17integral_constantIbLb0EES18_EEDaS13_S14_EUlS13_E_NS1_11comp_targetILNS1_3genE10ELNS1_11target_archE1200ELNS1_3gpuE4ELNS1_3repE0EEENS1_30default_config_static_selectorELNS0_4arch9wavefront6targetE0EEEvT1_
	.p2align	8
	.type	_ZN7rocprim17ROCPRIM_400000_NS6detail17trampoline_kernelINS0_14default_configENS1_25partition_config_selectorILNS1_17partition_subalgoE9EjjbEEZZNS1_14partition_implILS5_9ELb0ES3_jN6thrust23THRUST_200600_302600_NS6detail15normal_iteratorINS9_10device_ptrIjEEEESE_PNS0_10empty_typeENS0_5tupleIJSE_SF_EEENSH_IJSE_SG_EEENS0_18inequality_wrapperI22is_equal_div_10_uniqueIjEEEPmJSF_EEE10hipError_tPvRmT3_T4_T5_T6_T7_T9_mT8_P12ihipStream_tbDpT10_ENKUlT_T0_E_clISt17integral_constantIbLb0EES18_EEDaS13_S14_EUlS13_E_NS1_11comp_targetILNS1_3genE10ELNS1_11target_archE1200ELNS1_3gpuE4ELNS1_3repE0EEENS1_30default_config_static_selectorELNS0_4arch9wavefront6targetE0EEEvT1_,@function
_ZN7rocprim17ROCPRIM_400000_NS6detail17trampoline_kernelINS0_14default_configENS1_25partition_config_selectorILNS1_17partition_subalgoE9EjjbEEZZNS1_14partition_implILS5_9ELb0ES3_jN6thrust23THRUST_200600_302600_NS6detail15normal_iteratorINS9_10device_ptrIjEEEESE_PNS0_10empty_typeENS0_5tupleIJSE_SF_EEENSH_IJSE_SG_EEENS0_18inequality_wrapperI22is_equal_div_10_uniqueIjEEEPmJSF_EEE10hipError_tPvRmT3_T4_T5_T6_T7_T9_mT8_P12ihipStream_tbDpT10_ENKUlT_T0_E_clISt17integral_constantIbLb0EES18_EEDaS13_S14_EUlS13_E_NS1_11comp_targetILNS1_3genE10ELNS1_11target_archE1200ELNS1_3gpuE4ELNS1_3repE0EEENS1_30default_config_static_selectorELNS0_4arch9wavefront6targetE0EEEvT1_: ; @_ZN7rocprim17ROCPRIM_400000_NS6detail17trampoline_kernelINS0_14default_configENS1_25partition_config_selectorILNS1_17partition_subalgoE9EjjbEEZZNS1_14partition_implILS5_9ELb0ES3_jN6thrust23THRUST_200600_302600_NS6detail15normal_iteratorINS9_10device_ptrIjEEEESE_PNS0_10empty_typeENS0_5tupleIJSE_SF_EEENSH_IJSE_SG_EEENS0_18inequality_wrapperI22is_equal_div_10_uniqueIjEEEPmJSF_EEE10hipError_tPvRmT3_T4_T5_T6_T7_T9_mT8_P12ihipStream_tbDpT10_ENKUlT_T0_E_clISt17integral_constantIbLb0EES18_EEDaS13_S14_EUlS13_E_NS1_11comp_targetILNS1_3genE10ELNS1_11target_archE1200ELNS1_3gpuE4ELNS1_3repE0EEENS1_30default_config_static_selectorELNS0_4arch9wavefront6targetE0EEEvT1_
; %bb.0:
	.section	.rodata,"a",@progbits
	.p2align	6, 0x0
	.amdhsa_kernel _ZN7rocprim17ROCPRIM_400000_NS6detail17trampoline_kernelINS0_14default_configENS1_25partition_config_selectorILNS1_17partition_subalgoE9EjjbEEZZNS1_14partition_implILS5_9ELb0ES3_jN6thrust23THRUST_200600_302600_NS6detail15normal_iteratorINS9_10device_ptrIjEEEESE_PNS0_10empty_typeENS0_5tupleIJSE_SF_EEENSH_IJSE_SG_EEENS0_18inequality_wrapperI22is_equal_div_10_uniqueIjEEEPmJSF_EEE10hipError_tPvRmT3_T4_T5_T6_T7_T9_mT8_P12ihipStream_tbDpT10_ENKUlT_T0_E_clISt17integral_constantIbLb0EES18_EEDaS13_S14_EUlS13_E_NS1_11comp_targetILNS1_3genE10ELNS1_11target_archE1200ELNS1_3gpuE4ELNS1_3repE0EEENS1_30default_config_static_selectorELNS0_4arch9wavefront6targetE0EEEvT1_
		.amdhsa_group_segment_fixed_size 0
		.amdhsa_private_segment_fixed_size 0
		.amdhsa_kernarg_size 112
		.amdhsa_user_sgpr_count 15
		.amdhsa_user_sgpr_dispatch_ptr 0
		.amdhsa_user_sgpr_queue_ptr 0
		.amdhsa_user_sgpr_kernarg_segment_ptr 1
		.amdhsa_user_sgpr_dispatch_id 0
		.amdhsa_user_sgpr_private_segment_size 0
		.amdhsa_wavefront_size32 1
		.amdhsa_uses_dynamic_stack 0
		.amdhsa_enable_private_segment 0
		.amdhsa_system_sgpr_workgroup_id_x 1
		.amdhsa_system_sgpr_workgroup_id_y 0
		.amdhsa_system_sgpr_workgroup_id_z 0
		.amdhsa_system_sgpr_workgroup_info 0
		.amdhsa_system_vgpr_workitem_id 0
		.amdhsa_next_free_vgpr 1
		.amdhsa_next_free_sgpr 1
		.amdhsa_reserve_vcc 0
		.amdhsa_float_round_mode_32 0
		.amdhsa_float_round_mode_16_64 0
		.amdhsa_float_denorm_mode_32 3
		.amdhsa_float_denorm_mode_16_64 3
		.amdhsa_dx10_clamp 1
		.amdhsa_ieee_mode 1
		.amdhsa_fp16_overflow 0
		.amdhsa_workgroup_processor_mode 1
		.amdhsa_memory_ordered 1
		.amdhsa_forward_progress 0
		.amdhsa_shared_vgpr_count 0
		.amdhsa_exception_fp_ieee_invalid_op 0
		.amdhsa_exception_fp_denorm_src 0
		.amdhsa_exception_fp_ieee_div_zero 0
		.amdhsa_exception_fp_ieee_overflow 0
		.amdhsa_exception_fp_ieee_underflow 0
		.amdhsa_exception_fp_ieee_inexact 0
		.amdhsa_exception_int_div_zero 0
	.end_amdhsa_kernel
	.section	.text._ZN7rocprim17ROCPRIM_400000_NS6detail17trampoline_kernelINS0_14default_configENS1_25partition_config_selectorILNS1_17partition_subalgoE9EjjbEEZZNS1_14partition_implILS5_9ELb0ES3_jN6thrust23THRUST_200600_302600_NS6detail15normal_iteratorINS9_10device_ptrIjEEEESE_PNS0_10empty_typeENS0_5tupleIJSE_SF_EEENSH_IJSE_SG_EEENS0_18inequality_wrapperI22is_equal_div_10_uniqueIjEEEPmJSF_EEE10hipError_tPvRmT3_T4_T5_T6_T7_T9_mT8_P12ihipStream_tbDpT10_ENKUlT_T0_E_clISt17integral_constantIbLb0EES18_EEDaS13_S14_EUlS13_E_NS1_11comp_targetILNS1_3genE10ELNS1_11target_archE1200ELNS1_3gpuE4ELNS1_3repE0EEENS1_30default_config_static_selectorELNS0_4arch9wavefront6targetE0EEEvT1_,"axG",@progbits,_ZN7rocprim17ROCPRIM_400000_NS6detail17trampoline_kernelINS0_14default_configENS1_25partition_config_selectorILNS1_17partition_subalgoE9EjjbEEZZNS1_14partition_implILS5_9ELb0ES3_jN6thrust23THRUST_200600_302600_NS6detail15normal_iteratorINS9_10device_ptrIjEEEESE_PNS0_10empty_typeENS0_5tupleIJSE_SF_EEENSH_IJSE_SG_EEENS0_18inequality_wrapperI22is_equal_div_10_uniqueIjEEEPmJSF_EEE10hipError_tPvRmT3_T4_T5_T6_T7_T9_mT8_P12ihipStream_tbDpT10_ENKUlT_T0_E_clISt17integral_constantIbLb0EES18_EEDaS13_S14_EUlS13_E_NS1_11comp_targetILNS1_3genE10ELNS1_11target_archE1200ELNS1_3gpuE4ELNS1_3repE0EEENS1_30default_config_static_selectorELNS0_4arch9wavefront6targetE0EEEvT1_,comdat
.Lfunc_end247:
	.size	_ZN7rocprim17ROCPRIM_400000_NS6detail17trampoline_kernelINS0_14default_configENS1_25partition_config_selectorILNS1_17partition_subalgoE9EjjbEEZZNS1_14partition_implILS5_9ELb0ES3_jN6thrust23THRUST_200600_302600_NS6detail15normal_iteratorINS9_10device_ptrIjEEEESE_PNS0_10empty_typeENS0_5tupleIJSE_SF_EEENSH_IJSE_SG_EEENS0_18inequality_wrapperI22is_equal_div_10_uniqueIjEEEPmJSF_EEE10hipError_tPvRmT3_T4_T5_T6_T7_T9_mT8_P12ihipStream_tbDpT10_ENKUlT_T0_E_clISt17integral_constantIbLb0EES18_EEDaS13_S14_EUlS13_E_NS1_11comp_targetILNS1_3genE10ELNS1_11target_archE1200ELNS1_3gpuE4ELNS1_3repE0EEENS1_30default_config_static_selectorELNS0_4arch9wavefront6targetE0EEEvT1_, .Lfunc_end247-_ZN7rocprim17ROCPRIM_400000_NS6detail17trampoline_kernelINS0_14default_configENS1_25partition_config_selectorILNS1_17partition_subalgoE9EjjbEEZZNS1_14partition_implILS5_9ELb0ES3_jN6thrust23THRUST_200600_302600_NS6detail15normal_iteratorINS9_10device_ptrIjEEEESE_PNS0_10empty_typeENS0_5tupleIJSE_SF_EEENSH_IJSE_SG_EEENS0_18inequality_wrapperI22is_equal_div_10_uniqueIjEEEPmJSF_EEE10hipError_tPvRmT3_T4_T5_T6_T7_T9_mT8_P12ihipStream_tbDpT10_ENKUlT_T0_E_clISt17integral_constantIbLb0EES18_EEDaS13_S14_EUlS13_E_NS1_11comp_targetILNS1_3genE10ELNS1_11target_archE1200ELNS1_3gpuE4ELNS1_3repE0EEENS1_30default_config_static_selectorELNS0_4arch9wavefront6targetE0EEEvT1_
                                        ; -- End function
	.section	.AMDGPU.csdata,"",@progbits
; Kernel info:
; codeLenInByte = 0
; NumSgprs: 0
; NumVgprs: 0
; ScratchSize: 0
; MemoryBound: 0
; FloatMode: 240
; IeeeMode: 1
; LDSByteSize: 0 bytes/workgroup (compile time only)
; SGPRBlocks: 0
; VGPRBlocks: 0
; NumSGPRsForWavesPerEU: 1
; NumVGPRsForWavesPerEU: 1
; Occupancy: 15
; WaveLimiterHint : 0
; COMPUTE_PGM_RSRC2:SCRATCH_EN: 0
; COMPUTE_PGM_RSRC2:USER_SGPR: 15
; COMPUTE_PGM_RSRC2:TRAP_HANDLER: 0
; COMPUTE_PGM_RSRC2:TGID_X_EN: 1
; COMPUTE_PGM_RSRC2:TGID_Y_EN: 0
; COMPUTE_PGM_RSRC2:TGID_Z_EN: 0
; COMPUTE_PGM_RSRC2:TIDIG_COMP_CNT: 0
	.section	.text._ZN7rocprim17ROCPRIM_400000_NS6detail17trampoline_kernelINS0_14default_configENS1_25partition_config_selectorILNS1_17partition_subalgoE9EjjbEEZZNS1_14partition_implILS5_9ELb0ES3_jN6thrust23THRUST_200600_302600_NS6detail15normal_iteratorINS9_10device_ptrIjEEEESE_PNS0_10empty_typeENS0_5tupleIJSE_SF_EEENSH_IJSE_SG_EEENS0_18inequality_wrapperI22is_equal_div_10_uniqueIjEEEPmJSF_EEE10hipError_tPvRmT3_T4_T5_T6_T7_T9_mT8_P12ihipStream_tbDpT10_ENKUlT_T0_E_clISt17integral_constantIbLb0EES18_EEDaS13_S14_EUlS13_E_NS1_11comp_targetILNS1_3genE9ELNS1_11target_archE1100ELNS1_3gpuE3ELNS1_3repE0EEENS1_30default_config_static_selectorELNS0_4arch9wavefront6targetE0EEEvT1_,"axG",@progbits,_ZN7rocprim17ROCPRIM_400000_NS6detail17trampoline_kernelINS0_14default_configENS1_25partition_config_selectorILNS1_17partition_subalgoE9EjjbEEZZNS1_14partition_implILS5_9ELb0ES3_jN6thrust23THRUST_200600_302600_NS6detail15normal_iteratorINS9_10device_ptrIjEEEESE_PNS0_10empty_typeENS0_5tupleIJSE_SF_EEENSH_IJSE_SG_EEENS0_18inequality_wrapperI22is_equal_div_10_uniqueIjEEEPmJSF_EEE10hipError_tPvRmT3_T4_T5_T6_T7_T9_mT8_P12ihipStream_tbDpT10_ENKUlT_T0_E_clISt17integral_constantIbLb0EES18_EEDaS13_S14_EUlS13_E_NS1_11comp_targetILNS1_3genE9ELNS1_11target_archE1100ELNS1_3gpuE3ELNS1_3repE0EEENS1_30default_config_static_selectorELNS0_4arch9wavefront6targetE0EEEvT1_,comdat
	.protected	_ZN7rocprim17ROCPRIM_400000_NS6detail17trampoline_kernelINS0_14default_configENS1_25partition_config_selectorILNS1_17partition_subalgoE9EjjbEEZZNS1_14partition_implILS5_9ELb0ES3_jN6thrust23THRUST_200600_302600_NS6detail15normal_iteratorINS9_10device_ptrIjEEEESE_PNS0_10empty_typeENS0_5tupleIJSE_SF_EEENSH_IJSE_SG_EEENS0_18inequality_wrapperI22is_equal_div_10_uniqueIjEEEPmJSF_EEE10hipError_tPvRmT3_T4_T5_T6_T7_T9_mT8_P12ihipStream_tbDpT10_ENKUlT_T0_E_clISt17integral_constantIbLb0EES18_EEDaS13_S14_EUlS13_E_NS1_11comp_targetILNS1_3genE9ELNS1_11target_archE1100ELNS1_3gpuE3ELNS1_3repE0EEENS1_30default_config_static_selectorELNS0_4arch9wavefront6targetE0EEEvT1_ ; -- Begin function _ZN7rocprim17ROCPRIM_400000_NS6detail17trampoline_kernelINS0_14default_configENS1_25partition_config_selectorILNS1_17partition_subalgoE9EjjbEEZZNS1_14partition_implILS5_9ELb0ES3_jN6thrust23THRUST_200600_302600_NS6detail15normal_iteratorINS9_10device_ptrIjEEEESE_PNS0_10empty_typeENS0_5tupleIJSE_SF_EEENSH_IJSE_SG_EEENS0_18inequality_wrapperI22is_equal_div_10_uniqueIjEEEPmJSF_EEE10hipError_tPvRmT3_T4_T5_T6_T7_T9_mT8_P12ihipStream_tbDpT10_ENKUlT_T0_E_clISt17integral_constantIbLb0EES18_EEDaS13_S14_EUlS13_E_NS1_11comp_targetILNS1_3genE9ELNS1_11target_archE1100ELNS1_3gpuE3ELNS1_3repE0EEENS1_30default_config_static_selectorELNS0_4arch9wavefront6targetE0EEEvT1_
	.globl	_ZN7rocprim17ROCPRIM_400000_NS6detail17trampoline_kernelINS0_14default_configENS1_25partition_config_selectorILNS1_17partition_subalgoE9EjjbEEZZNS1_14partition_implILS5_9ELb0ES3_jN6thrust23THRUST_200600_302600_NS6detail15normal_iteratorINS9_10device_ptrIjEEEESE_PNS0_10empty_typeENS0_5tupleIJSE_SF_EEENSH_IJSE_SG_EEENS0_18inequality_wrapperI22is_equal_div_10_uniqueIjEEEPmJSF_EEE10hipError_tPvRmT3_T4_T5_T6_T7_T9_mT8_P12ihipStream_tbDpT10_ENKUlT_T0_E_clISt17integral_constantIbLb0EES18_EEDaS13_S14_EUlS13_E_NS1_11comp_targetILNS1_3genE9ELNS1_11target_archE1100ELNS1_3gpuE3ELNS1_3repE0EEENS1_30default_config_static_selectorELNS0_4arch9wavefront6targetE0EEEvT1_
	.p2align	8
	.type	_ZN7rocprim17ROCPRIM_400000_NS6detail17trampoline_kernelINS0_14default_configENS1_25partition_config_selectorILNS1_17partition_subalgoE9EjjbEEZZNS1_14partition_implILS5_9ELb0ES3_jN6thrust23THRUST_200600_302600_NS6detail15normal_iteratorINS9_10device_ptrIjEEEESE_PNS0_10empty_typeENS0_5tupleIJSE_SF_EEENSH_IJSE_SG_EEENS0_18inequality_wrapperI22is_equal_div_10_uniqueIjEEEPmJSF_EEE10hipError_tPvRmT3_T4_T5_T6_T7_T9_mT8_P12ihipStream_tbDpT10_ENKUlT_T0_E_clISt17integral_constantIbLb0EES18_EEDaS13_S14_EUlS13_E_NS1_11comp_targetILNS1_3genE9ELNS1_11target_archE1100ELNS1_3gpuE3ELNS1_3repE0EEENS1_30default_config_static_selectorELNS0_4arch9wavefront6targetE0EEEvT1_,@function
_ZN7rocprim17ROCPRIM_400000_NS6detail17trampoline_kernelINS0_14default_configENS1_25partition_config_selectorILNS1_17partition_subalgoE9EjjbEEZZNS1_14partition_implILS5_9ELb0ES3_jN6thrust23THRUST_200600_302600_NS6detail15normal_iteratorINS9_10device_ptrIjEEEESE_PNS0_10empty_typeENS0_5tupleIJSE_SF_EEENSH_IJSE_SG_EEENS0_18inequality_wrapperI22is_equal_div_10_uniqueIjEEEPmJSF_EEE10hipError_tPvRmT3_T4_T5_T6_T7_T9_mT8_P12ihipStream_tbDpT10_ENKUlT_T0_E_clISt17integral_constantIbLb0EES18_EEDaS13_S14_EUlS13_E_NS1_11comp_targetILNS1_3genE9ELNS1_11target_archE1100ELNS1_3gpuE3ELNS1_3repE0EEENS1_30default_config_static_selectorELNS0_4arch9wavefront6targetE0EEEvT1_: ; @_ZN7rocprim17ROCPRIM_400000_NS6detail17trampoline_kernelINS0_14default_configENS1_25partition_config_selectorILNS1_17partition_subalgoE9EjjbEEZZNS1_14partition_implILS5_9ELb0ES3_jN6thrust23THRUST_200600_302600_NS6detail15normal_iteratorINS9_10device_ptrIjEEEESE_PNS0_10empty_typeENS0_5tupleIJSE_SF_EEENSH_IJSE_SG_EEENS0_18inequality_wrapperI22is_equal_div_10_uniqueIjEEEPmJSF_EEE10hipError_tPvRmT3_T4_T5_T6_T7_T9_mT8_P12ihipStream_tbDpT10_ENKUlT_T0_E_clISt17integral_constantIbLb0EES18_EEDaS13_S14_EUlS13_E_NS1_11comp_targetILNS1_3genE9ELNS1_11target_archE1100ELNS1_3gpuE3ELNS1_3repE0EEENS1_30default_config_static_selectorELNS0_4arch9wavefront6targetE0EEEvT1_
; %bb.0:
	s_clause 0x4
	s_load_b128 s[4:7], s[0:1], 0x8
	s_load_b32 s14, s[0:1], 0x68
	s_load_b128 s[16:19], s[0:1], 0x40
	s_load_b64 s[2:3], s[0:1], 0x50
	s_load_b64 s[8:9], s[0:1], 0x18
	s_mov_b32 s21, 0
	s_mul_i32 s20, s15, 0xc00
	v_lshrrev_b32_e32 v18, 3, v0
	v_add_nc_u32_e32 v23, 0x180, v0
	v_add_nc_u32_e32 v22, 0x300, v0
	;; [unrolled: 1-line block ×3, first 2 shown]
	v_or_b32_e32 v24, 0x600, v0
	v_add_nc_u32_e32 v20, 0x780, v0
	v_add_nc_u32_e32 v17, 0x900, v0
	;; [unrolled: 1-line block ×3, first 2 shown]
	s_waitcnt lgkmcnt(0)
	s_lshl_b64 s[12:13], s[6:7], 2
	s_mul_i32 s22, s14, 0xc00
	s_add_u32 s23, s4, s12
	s_addc_u32 s24, s5, s13
	s_add_i32 s4, s22, s6
	s_load_b64 s[10:11], s[18:19], 0x0
	s_sub_i32 s19, s2, s4
	s_add_i32 s14, s14, -1
	s_addk_i32 s19, 0xc00
	s_add_u32 s4, s6, s22
	s_addc_u32 s5, s7, 0
	s_cmp_eq_u32 s15, s14
	v_cmp_ge_u64_e64 s2, s[4:5], s[2:3]
	s_cselect_b32 s14, -1, 0
	s_lshl_b64 s[4:5], s[20:21], 2
	s_mov_b32 s22, -1
	s_delay_alu instid0(VALU_DEP_1) | instskip(NEXT) | instid1(SALU_CYCLE_1)
	s_and_b32 s3, s14, s2
	s_xor_b32 s18, s3, -1
	s_add_u32 s21, s23, s4
	s_addc_u32 s20, s24, s5
	s_and_b32 vcc_lo, exec_lo, s18
	s_cbranch_vccz .LBB248_2
; %bb.1:
	v_lshlrev_b32_e32 v7, 2, v0
	v_lshrrev_b32_e32 v11, 3, v23
	v_lshrrev_b32_e32 v12, 3, v22
	;; [unrolled: 1-line block ×4, first 2 shown]
	v_add_co_u32 v1, s2, s21, v7
	s_delay_alu instid0(VALU_DEP_1) | instskip(SKIP_1) | instid1(VALU_DEP_3)
	v_add_co_ci_u32_e64 v2, null, s20, 0, s2
	v_lshrrev_b32_e32 v15, 3, v20
	v_add_co_u32 v3, vcc_lo, 0x1000, v1
	s_delay_alu instid0(VALU_DEP_3)
	v_add_co_ci_u32_e32 v4, vcc_lo, 0, v2, vcc_lo
	v_add_co_u32 v5, vcc_lo, 0x2000, v1
	v_add_co_ci_u32_e32 v6, vcc_lo, 0, v2, vcc_lo
	s_clause 0x7
	flat_load_b32 v8, v[1:2]
	flat_load_b32 v9, v[1:2] offset:1536
	flat_load_b32 v1, v[1:2] offset:3072
	;; [unrolled: 1-line block ×7, first 2 shown]
	v_and_b32_e32 v6, 60, v18
	v_lshrrev_b32_e32 v16, 3, v17
	v_lshrrev_b32_e32 v19, 3, v21
	v_and_b32_e32 v11, 0x7c, v11
	v_and_b32_e32 v12, 0xfc, v12
	v_and_b32_e32 v13, 0xfc, v13
	v_and_b32_e32 v14, 0xfc, v14
	v_add_nc_u32_e32 v6, v6, v7
	v_and_b32_e32 v15, 0x1fc, v15
	v_and_b32_e32 v16, 0x17c, v16
	;; [unrolled: 1-line block ×3, first 2 shown]
	v_add_nc_u32_e32 v11, v11, v7
	v_add_nc_u32_e32 v12, v12, v7
	;; [unrolled: 1-line block ×4, first 2 shown]
	s_mov_b32 s22, 0
	v_add_nc_u32_e32 v15, v15, v7
	v_add_nc_u32_e32 v16, v16, v7
	;; [unrolled: 1-line block ×3, first 2 shown]
	s_waitcnt vmcnt(7) lgkmcnt(0)
	ds_store_b32 v6, v8
	s_waitcnt vmcnt(6)
	ds_store_b32 v11, v9 offset:1536
	s_waitcnt vmcnt(5)
	ds_store_b32 v12, v1 offset:3072
	;; [unrolled: 2-line block ×7, first 2 shown]
	s_waitcnt lgkmcnt(0)
	s_barrier
.LBB248_2:
	v_cmp_gt_u32_e64 s2, s19, v0
	s_and_not1_b32 vcc_lo, exec_lo, s22
	s_cbranch_vccnz .LBB248_20
; %bb.3:
                                        ; implicit-def: $vgpr1_vgpr2_vgpr3_vgpr4_vgpr5_vgpr6_vgpr7_vgpr8
	s_delay_alu instid0(VALU_DEP_1)
	s_and_saveexec_b32 s22, s2
	s_cbranch_execz .LBB248_11
; %bb.4:
	v_lshlrev_b32_e32 v1, 2, v0
	s_delay_alu instid0(VALU_DEP_1) | instskip(NEXT) | instid1(VALU_DEP_1)
	v_add_co_u32 v1, s2, s21, v1
	v_add_co_ci_u32_e64 v2, null, s20, 0, s2
	flat_load_b32 v1, v[1:2]
	s_or_b32 exec_lo, exec_lo, s22
	s_delay_alu instid0(SALU_CYCLE_1)
	s_mov_b32 s2, exec_lo
	v_cmpx_gt_u32_e64 s19, v23
	s_cbranch_execnz .LBB248_12
.LBB248_5:
	s_or_b32 exec_lo, exec_lo, s2
	s_delay_alu instid0(SALU_CYCLE_1)
	s_mov_b32 s2, exec_lo
	v_cmpx_gt_u32_e64 s19, v22
	s_cbranch_execz .LBB248_13
.LBB248_6:
	v_lshlrev_b32_e32 v3, 2, v0
	s_delay_alu instid0(VALU_DEP_1) | instskip(NEXT) | instid1(VALU_DEP_1)
	v_add_co_u32 v9, s22, s21, v3
	v_add_co_ci_u32_e64 v10, null, s20, 0, s22
	flat_load_b32 v3, v[9:10] offset:3072
	s_or_b32 exec_lo, exec_lo, s2
	s_delay_alu instid0(SALU_CYCLE_1)
	s_mov_b32 s2, exec_lo
	v_cmpx_gt_u32_e64 s19, v25
	s_cbranch_execnz .LBB248_14
.LBB248_7:
	s_or_b32 exec_lo, exec_lo, s2
	s_delay_alu instid0(SALU_CYCLE_1)
	s_mov_b32 s2, exec_lo
	v_cmpx_gt_u32_e64 s19, v24
	s_cbranch_execz .LBB248_15
.LBB248_8:
	v_lshlrev_b32_e32 v5, 2, v24
	s_delay_alu instid0(VALU_DEP_1) | instskip(NEXT) | instid1(VALU_DEP_1)
	v_add_co_u32 v9, s22, s21, v5
	v_add_co_ci_u32_e64 v10, null, s20, 0, s22
	flat_load_b32 v5, v[9:10]
	s_or_b32 exec_lo, exec_lo, s2
	s_delay_alu instid0(SALU_CYCLE_1)
	s_mov_b32 s2, exec_lo
	v_cmpx_gt_u32_e64 s19, v20
	s_cbranch_execnz .LBB248_16
.LBB248_9:
	s_or_b32 exec_lo, exec_lo, s2
	s_delay_alu instid0(SALU_CYCLE_1)
	s_mov_b32 s2, exec_lo
	v_cmpx_gt_u32_e64 s19, v17
	s_cbranch_execz .LBB248_17
.LBB248_10:
	v_lshlrev_b32_e32 v7, 2, v17
	s_delay_alu instid0(VALU_DEP_1) | instskip(NEXT) | instid1(VALU_DEP_1)
	v_add_co_u32 v9, s22, s21, v7
	v_add_co_ci_u32_e64 v10, null, s20, 0, s22
	flat_load_b32 v7, v[9:10]
	s_or_b32 exec_lo, exec_lo, s2
	s_delay_alu instid0(SALU_CYCLE_1)
	s_mov_b32 s2, exec_lo
	v_cmpx_gt_u32_e64 s19, v21
	s_cbranch_execnz .LBB248_18
	s_branch .LBB248_19
.LBB248_11:
	s_or_b32 exec_lo, exec_lo, s22
	s_delay_alu instid0(SALU_CYCLE_1)
	s_mov_b32 s2, exec_lo
	v_cmpx_gt_u32_e64 s19, v23
	s_cbranch_execz .LBB248_5
.LBB248_12:
	v_lshlrev_b32_e32 v2, 2, v0
	s_delay_alu instid0(VALU_DEP_1) | instskip(NEXT) | instid1(VALU_DEP_1)
	v_add_co_u32 v9, s22, s21, v2
	v_add_co_ci_u32_e64 v10, null, s20, 0, s22
	flat_load_b32 v2, v[9:10] offset:1536
	s_or_b32 exec_lo, exec_lo, s2
	s_delay_alu instid0(SALU_CYCLE_1)
	s_mov_b32 s2, exec_lo
	v_cmpx_gt_u32_e64 s19, v22
	s_cbranch_execnz .LBB248_6
.LBB248_13:
	s_or_b32 exec_lo, exec_lo, s2
	s_delay_alu instid0(SALU_CYCLE_1)
	s_mov_b32 s2, exec_lo
	v_cmpx_gt_u32_e64 s19, v25
	s_cbranch_execz .LBB248_7
.LBB248_14:
	v_lshlrev_b32_e32 v4, 2, v25
	s_delay_alu instid0(VALU_DEP_1) | instskip(NEXT) | instid1(VALU_DEP_1)
	v_add_co_u32 v9, s22, s21, v4
	v_add_co_ci_u32_e64 v10, null, s20, 0, s22
	flat_load_b32 v4, v[9:10]
	s_or_b32 exec_lo, exec_lo, s2
	s_delay_alu instid0(SALU_CYCLE_1)
	s_mov_b32 s2, exec_lo
	v_cmpx_gt_u32_e64 s19, v24
	s_cbranch_execnz .LBB248_8
.LBB248_15:
	s_or_b32 exec_lo, exec_lo, s2
	s_delay_alu instid0(SALU_CYCLE_1)
	s_mov_b32 s2, exec_lo
	v_cmpx_gt_u32_e64 s19, v20
	s_cbranch_execz .LBB248_9
.LBB248_16:
	v_lshlrev_b32_e32 v6, 2, v20
	s_delay_alu instid0(VALU_DEP_1) | instskip(NEXT) | instid1(VALU_DEP_1)
	v_add_co_u32 v9, s22, s21, v6
	v_add_co_ci_u32_e64 v10, null, s20, 0, s22
	flat_load_b32 v6, v[9:10]
	s_or_b32 exec_lo, exec_lo, s2
	s_delay_alu instid0(SALU_CYCLE_1)
	s_mov_b32 s2, exec_lo
	v_cmpx_gt_u32_e64 s19, v17
	s_cbranch_execnz .LBB248_10
.LBB248_17:
	s_or_b32 exec_lo, exec_lo, s2
	s_delay_alu instid0(SALU_CYCLE_1)
	s_mov_b32 s2, exec_lo
	v_cmpx_gt_u32_e64 s19, v21
	s_cbranch_execz .LBB248_19
.LBB248_18:
	v_lshlrev_b32_e32 v8, 2, v21
	s_delay_alu instid0(VALU_DEP_1) | instskip(NEXT) | instid1(VALU_DEP_1)
	v_add_co_u32 v8, s22, s21, v8
	v_add_co_ci_u32_e64 v9, null, s20, 0, s22
	flat_load_b32 v8, v[8:9]
.LBB248_19:
	s_or_b32 exec_lo, exec_lo, s2
	v_lshrrev_b32_e32 v9, 3, v23
	v_lshrrev_b32_e32 v10, 3, v22
	;; [unrolled: 1-line block ×4, first 2 shown]
	v_and_b32_e32 v11, 60, v18
	v_lshlrev_b32_e32 v12, 2, v0
	v_lshrrev_b32_e32 v15, 3, v20
	v_lshrrev_b32_e32 v16, 3, v17
	;; [unrolled: 1-line block ×3, first 2 shown]
	v_and_b32_e32 v9, 0x7c, v9
	v_and_b32_e32 v10, 0xfc, v10
	;; [unrolled: 1-line block ×4, first 2 shown]
	v_add_nc_u32_e32 v11, v11, v12
	v_and_b32_e32 v15, 0x1fc, v15
	v_and_b32_e32 v16, 0x1fc, v16
	;; [unrolled: 1-line block ×3, first 2 shown]
	v_add_nc_u32_e32 v9, v9, v12
	v_add_nc_u32_e32 v10, v10, v12
	;; [unrolled: 1-line block ×7, first 2 shown]
	s_waitcnt vmcnt(0) lgkmcnt(0)
	ds_store_b32 v11, v1
	ds_store_b32 v9, v2 offset:1536
	ds_store_b32 v10, v3 offset:3072
	ds_store_b32 v13, v4 offset:4608
	ds_store_b32 v14, v5 offset:6144
	ds_store_b32 v15, v6 offset:7680
	ds_store_b32 v16, v7 offset:9216
	ds_store_b32 v12, v8 offset:10752
	s_waitcnt lgkmcnt(0)
	s_barrier
.LBB248_20:
	v_lshlrev_b32_e32 v19, 3, v0
	v_lshrrev_b32_e32 v1, 2, v0
	s_waitcnt lgkmcnt(0)
	buffer_gl0_inv
	s_add_u32 s2, s8, s12
	s_addc_u32 s8, s9, s13
	s_add_u32 s2, s2, s4
	v_add_lshl_u32 v1, v1, v19, 2
	s_addc_u32 s4, s8, s5
	s_and_b32 vcc_lo, exec_lo, s18
	s_mov_b32 s5, -1
	ds_load_2addr_b32 v[15:16], v1 offset1:1
	ds_load_2addr_b32 v[13:14], v1 offset0:2 offset1:3
	ds_load_2addr_b32 v[11:12], v1 offset0:4 offset1:5
	;; [unrolled: 1-line block ×3, first 2 shown]
	s_waitcnt lgkmcnt(0)
	s_barrier
	buffer_gl0_inv
	s_cbranch_vccz .LBB248_22
; %bb.21:
	v_lshlrev_b32_e32 v8, 2, v0
	v_lshrrev_b32_e32 v29, 3, v23
	v_lshrrev_b32_e32 v30, 3, v22
	;; [unrolled: 1-line block ×4, first 2 shown]
	v_add_co_u32 v2, s5, s2, v8
	s_delay_alu instid0(VALU_DEP_1) | instskip(SKIP_1) | instid1(VALU_DEP_3)
	v_add_co_ci_u32_e64 v3, null, s4, 0, s5
	v_lshrrev_b32_e32 v33, 3, v20
	v_add_co_u32 v4, vcc_lo, 0x1000, v2
	s_delay_alu instid0(VALU_DEP_3)
	v_add_co_ci_u32_e32 v5, vcc_lo, 0, v3, vcc_lo
	v_add_co_u32 v6, vcc_lo, 0x2000, v2
	v_add_co_ci_u32_e32 v7, vcc_lo, 0, v3, vcc_lo
	s_clause 0x7
	flat_load_b32 v26, v[2:3]
	flat_load_b32 v27, v[2:3] offset:1536
	flat_load_b32 v2, v[2:3] offset:3072
	;; [unrolled: 1-line block ×7, first 2 shown]
	v_and_b32_e32 v7, 60, v18
	v_lshrrev_b32_e32 v34, 3, v17
	v_lshrrev_b32_e32 v35, 3, v21
	v_and_b32_e32 v29, 0x7c, v29
	v_and_b32_e32 v30, 0xfc, v30
	;; [unrolled: 1-line block ×4, first 2 shown]
	v_add_nc_u32_e32 v7, v7, v8
	v_and_b32_e32 v33, 0x1fc, v33
	v_and_b32_e32 v34, 0x17c, v34
	v_and_b32_e32 v35, 0x1fc, v35
	v_add_nc_u32_e32 v29, v29, v8
	v_add_nc_u32_e32 v30, v30, v8
	;; [unrolled: 1-line block ×4, first 2 shown]
	s_mov_b32 s5, 0
	v_add_nc_u32_e32 v33, v33, v8
	v_add_nc_u32_e32 v34, v34, v8
	;; [unrolled: 1-line block ×3, first 2 shown]
	s_waitcnt vmcnt(7) lgkmcnt(7)
	ds_store_b32 v7, v26
	s_waitcnt vmcnt(6) lgkmcnt(7)
	ds_store_b32 v29, v27 offset:1536
	s_waitcnt vmcnt(5) lgkmcnt(7)
	ds_store_b32 v30, v2 offset:3072
	;; [unrolled: 2-line block ×7, first 2 shown]
	s_waitcnt lgkmcnt(0)
	s_barrier
.LBB248_22:
	s_and_not1_b32 vcc_lo, exec_lo, s5
	s_cbranch_vccnz .LBB248_40
; %bb.23:
	s_mov_b32 s5, exec_lo
                                        ; implicit-def: $vgpr2
	v_cmpx_gt_u32_e64 s19, v0
	s_cbranch_execz .LBB248_25
; %bb.24:
	v_lshlrev_b32_e32 v2, 2, v0
	s_delay_alu instid0(VALU_DEP_1) | instskip(NEXT) | instid1(VALU_DEP_1)
	v_add_co_u32 v2, s8, s2, v2
	v_add_co_ci_u32_e64 v3, null, s4, 0, s8
	flat_load_b32 v2, v[2:3]
.LBB248_25:
	s_or_b32 exec_lo, exec_lo, s5
	s_delay_alu instid0(SALU_CYCLE_1)
	s_mov_b32 s5, exec_lo
                                        ; implicit-def: $vgpr3
	v_cmpx_gt_u32_e64 s19, v23
	s_cbranch_execz .LBB248_27
; %bb.26:
	v_lshlrev_b32_e32 v3, 2, v0
	s_delay_alu instid0(VALU_DEP_1) | instskip(NEXT) | instid1(VALU_DEP_1)
	v_add_co_u32 v3, s8, s2, v3
	v_add_co_ci_u32_e64 v4, null, s4, 0, s8
	flat_load_b32 v3, v[3:4] offset:1536
.LBB248_27:
	s_or_b32 exec_lo, exec_lo, s5
	s_delay_alu instid0(SALU_CYCLE_1)
	s_mov_b32 s5, exec_lo
                                        ; implicit-def: $vgpr4
	v_cmpx_gt_u32_e64 s19, v22
	s_cbranch_execz .LBB248_29
; %bb.28:
	v_lshlrev_b32_e32 v4, 2, v0
	s_delay_alu instid0(VALU_DEP_1) | instskip(NEXT) | instid1(VALU_DEP_1)
	v_add_co_u32 v4, s8, s2, v4
	v_add_co_ci_u32_e64 v5, null, s4, 0, s8
	flat_load_b32 v4, v[4:5] offset:3072
.LBB248_29:
	s_or_b32 exec_lo, exec_lo, s5
	s_delay_alu instid0(SALU_CYCLE_1)
	s_mov_b32 s5, exec_lo
                                        ; implicit-def: $vgpr5
	v_cmpx_gt_u32_e64 s19, v25
	s_cbranch_execz .LBB248_31
; %bb.30:
	v_lshlrev_b32_e32 v5, 2, v25
	s_delay_alu instid0(VALU_DEP_1) | instskip(NEXT) | instid1(VALU_DEP_1)
	v_add_co_u32 v5, s8, s2, v5
	v_add_co_ci_u32_e64 v6, null, s4, 0, s8
	flat_load_b32 v5, v[5:6]
.LBB248_31:
	s_or_b32 exec_lo, exec_lo, s5
	s_delay_alu instid0(SALU_CYCLE_1)
	s_mov_b32 s5, exec_lo
                                        ; implicit-def: $vgpr6
	v_cmpx_gt_u32_e64 s19, v24
	s_cbranch_execz .LBB248_33
; %bb.32:
	v_lshlrev_b32_e32 v6, 2, v24
	s_delay_alu instid0(VALU_DEP_1) | instskip(NEXT) | instid1(VALU_DEP_1)
	v_add_co_u32 v6, s8, s2, v6
	v_add_co_ci_u32_e64 v7, null, s4, 0, s8
	flat_load_b32 v6, v[6:7]
.LBB248_33:
	s_or_b32 exec_lo, exec_lo, s5
	s_delay_alu instid0(SALU_CYCLE_1)
	s_mov_b32 s5, exec_lo
                                        ; implicit-def: $vgpr7
	v_cmpx_gt_u32_e64 s19, v20
	s_cbranch_execz .LBB248_35
; %bb.34:
	v_lshlrev_b32_e32 v7, 2, v20
	s_delay_alu instid0(VALU_DEP_1) | instskip(NEXT) | instid1(VALU_DEP_1)
	v_add_co_u32 v7, s8, s2, v7
	v_add_co_ci_u32_e64 v8, null, s4, 0, s8
	flat_load_b32 v7, v[7:8]
.LBB248_35:
	s_or_b32 exec_lo, exec_lo, s5
	s_delay_alu instid0(SALU_CYCLE_1)
	s_mov_b32 s5, exec_lo
                                        ; implicit-def: $vgpr8
	v_cmpx_gt_u32_e64 s19, v17
	s_cbranch_execz .LBB248_37
; %bb.36:
	v_lshlrev_b32_e32 v8, 2, v17
	s_delay_alu instid0(VALU_DEP_1) | instskip(NEXT) | instid1(VALU_DEP_1)
	v_add_co_u32 v26, s8, s2, v8
	v_add_co_ci_u32_e64 v27, null, s4, 0, s8
	flat_load_b32 v8, v[26:27]
.LBB248_37:
	s_or_b32 exec_lo, exec_lo, s5
	s_delay_alu instid0(SALU_CYCLE_1)
	s_mov_b32 s5, exec_lo
                                        ; implicit-def: $vgpr26
	v_cmpx_gt_u32_e64 s19, v21
	s_cbranch_execz .LBB248_39
; %bb.38:
	v_lshlrev_b32_e32 v26, 2, v21
	s_delay_alu instid0(VALU_DEP_1) | instskip(NEXT) | instid1(VALU_DEP_1)
	v_add_co_u32 v26, s2, s2, v26
	v_add_co_ci_u32_e64 v27, null, s4, 0, s2
	flat_load_b32 v26, v[26:27]
.LBB248_39:
	s_or_b32 exec_lo, exec_lo, s5
	v_lshrrev_b32_e32 v23, 3, v23
	v_lshrrev_b32_e32 v22, 3, v22
	v_lshrrev_b32_e32 v25, 3, v25
	v_lshrrev_b32_e32 v24, 3, v24
	v_and_b32_e32 v18, 60, v18
	v_lshlrev_b32_e32 v27, 2, v0
	v_lshrrev_b32_e32 v20, 3, v20
	v_lshrrev_b32_e32 v17, 3, v17
	;; [unrolled: 1-line block ×3, first 2 shown]
	v_and_b32_e32 v23, 0x7c, v23
	v_and_b32_e32 v22, 0xfc, v22
	;; [unrolled: 1-line block ×4, first 2 shown]
	v_add_nc_u32_e32 v18, v18, v27
	v_and_b32_e32 v20, 0x1fc, v20
	v_and_b32_e32 v17, 0x1fc, v17
	;; [unrolled: 1-line block ×3, first 2 shown]
	v_add_nc_u32_e32 v23, v23, v27
	v_add_nc_u32_e32 v22, v22, v27
	;; [unrolled: 1-line block ×7, first 2 shown]
	s_waitcnt vmcnt(0) lgkmcnt(0)
	ds_store_b32 v18, v2
	ds_store_b32 v23, v3 offset:1536
	ds_store_b32 v22, v4 offset:3072
	;; [unrolled: 1-line block ×7, first 2 shown]
	s_waitcnt lgkmcnt(0)
	s_barrier
.LBB248_40:
	buffer_gl0_inv
	ds_load_2addr_b32 v[7:8], v1 offset1:1
	ds_load_2addr_b32 v[5:6], v1 offset0:2 offset1:3
	ds_load_2addr_b32 v[3:4], v1 offset0:4 offset1:5
	;; [unrolled: 1-line block ×3, first 2 shown]
	s_cmp_lg_u32 s15, 0
	s_waitcnt lgkmcnt(0)
	s_cselect_b32 s8, -1, 0
	s_cmp_lg_u64 s[6:7], 0
	s_barrier
	s_cselect_b32 s2, -1, 0
	buffer_gl0_inv
	s_or_b32 s2, s8, s2
	s_delay_alu instid0(SALU_CYCLE_1)
	s_and_b32 vcc_lo, exec_lo, s2
	s_mov_b32 s2, 0
	s_cbranch_vccz .LBB248_45
; %bb.41:
	v_add_co_u32 v17, s2, -4, s21
	s_delay_alu instid0(VALU_DEP_1)
	v_add_co_ci_u32_e64 v18, null, -1, s20, s2
	v_lshlrev_b32_e32 v21, 2, v0
	s_mov_b32 s2, -1
	s_and_b32 vcc_lo, exec_lo, s18
	flat_load_b32 v20, v[17:18]
	ds_store_b32 v21, v10
	s_cbranch_vccz .LBB248_46
; %bb.42:
	s_waitcnt vmcnt(0) lgkmcnt(1)
	v_mov_b32_e32 v17, v20
	s_mov_b32 s2, 0
	s_mov_b32 s4, exec_lo
	s_waitcnt lgkmcnt(0)
	s_barrier
	buffer_gl0_inv
	v_cmpx_ne_u32_e32 0, v0
	s_cbranch_execz .LBB248_44
; %bb.43:
	v_add_nc_u32_e32 v17, -4, v21
	ds_load_b32 v17, v17
.LBB248_44:
	s_or_b32 exec_lo, exec_lo, s4
	v_mul_hi_i32 v18, 0x66666667, v9
	v_mul_hi_i32 v22, 0x66666667, v10
	;; [unrolled: 1-line block ×5, first 2 shown]
	s_waitcnt lgkmcnt(0)
	v_mul_hi_i32 v17, 0x66666667, v17
	v_lshrrev_b32_e32 v26, 31, v18
	v_ashrrev_i32_e32 v18, 2, v18
	v_lshrrev_b32_e32 v27, 31, v22
	v_ashrrev_i32_e32 v22, 2, v22
	;; [unrolled: 2-line block ×3, first 2 shown]
	v_add_nc_u32_e32 v18, v18, v26
	v_lshrrev_b32_e32 v29, 31, v24
	v_add_nc_u32_e32 v22, v22, v27
	v_ashrrev_i32_e32 v24, 2, v24
	v_add_nc_u32_e32 v23, v23, v28
	v_mul_hi_i32 v27, 0x66666667, v13
	v_lshrrev_b32_e32 v26, 31, v25
	v_cmp_ne_u32_e32 vcc_lo, v18, v22
	v_add_nc_u32_e32 v24, v24, v29
	v_ashrrev_i32_e32 v25, 2, v25
	v_mul_hi_i32 v28, 0x66666667, v16
	v_mul_hi_i32 v29, 0x66666667, v15
	v_cndmask_b32_e64 v22, 0, 1, vcc_lo
	v_cmp_ne_u32_e32 vcc_lo, v23, v18
	v_add_nc_u32_e32 v25, v25, v26
	v_lshrrev_b32_e32 v26, 31, v27
	v_ashrrev_i32_e32 v27, 2, v27
	v_lshlrev_b16 v22, 8, v22
	v_cndmask_b32_e64 v18, 0, 1, vcc_lo
	v_cmp_ne_u32_e32 vcc_lo, v24, v23
	v_lshrrev_b32_e32 v30, 31, v28
	v_ashrrev_i32_e32 v28, 2, v28
	v_add_nc_u32_e32 v26, v27, v26
	v_lshrrev_b32_e32 v31, 31, v29
	v_cndmask_b32_e64 v23, 0, 1, vcc_lo
	v_cmp_ne_u32_e32 vcc_lo, v25, v24
	v_ashrrev_i32_e32 v29, 2, v29
	v_add_nc_u32_e32 v27, v28, v30
	v_or_b32_e32 v18, v18, v22
	v_lshlrev_b16 v23, 8, v23
	v_cndmask_b32_e64 v24, 0, 1, vcc_lo
	v_cmp_ne_u32_e32 vcc_lo, v26, v25
	v_add_nc_u32_e32 v28, v29, v31
	v_lshrrev_b32_e32 v29, 31, v17
	v_ashrrev_i32_e32 v17, 2, v17
	v_or_b32_e32 v23, v24, v23
	v_cndmask_b32_e64 v25, 0, 1, vcc_lo
	v_cmp_ne_u32_e32 vcc_lo, v27, v26
	v_lshlrev_b32_e32 v18, 16, v18
	v_add_nc_u32_e32 v17, v17, v29
	v_and_b32_e32 v23, 0xffff, v23
	v_lshlrev_b16 v25, 8, v25
	v_cndmask_b32_e64 v26, 0, 1, vcc_lo
	v_cmp_ne_u32_e32 vcc_lo, v28, v27
	v_cmp_ne_u32_e64 s4, v17, v28
	v_or_b32_e32 v18, v23, v18
	s_delay_alu instid0(VALU_DEP_4) | instskip(SKIP_1) | instid1(VALU_DEP_2)
	v_or_b32_e32 v25, v26, v25
	v_cndmask_b32_e64 v27, 0, 1, vcc_lo
	v_lshlrev_b32_e32 v22, 16, v25
	s_delay_alu instid0(VALU_DEP_2) | instskip(NEXT) | instid1(VALU_DEP_1)
	v_lshlrev_b16 v26, 8, v27
	v_and_b32_e32 v24, 0xffff, v26
	s_delay_alu instid0(VALU_DEP_1)
	v_or_b32_e32 v17, v24, v22
	s_and_b32 vcc_lo, exec_lo, s2
	s_cbranch_vccnz .LBB248_47
	s_branch .LBB248_66
.LBB248_45:
                                        ; implicit-def: $sgpr4
                                        ; implicit-def: $vgpr18
	s_branch .LBB248_67
.LBB248_46:
                                        ; implicit-def: $sgpr4
                                        ; implicit-def: $vgpr18
	s_and_b32 vcc_lo, exec_lo, s2
	s_cbranch_vccz .LBB248_66
.LBB248_47:
	v_or_b32_e32 v17, 7, v19
	s_mov_b32 s2, 0
	s_mov_b32 s4, 0
	s_mov_b32 s5, exec_lo
	s_delay_alu instid0(VALU_DEP_1)
	v_cmpx_gt_u32_e64 s19, v17
; %bb.48:
	v_mul_hi_i32 v17, 0x66666667, v9
	v_mul_hi_i32 v18, 0x66666667, v10
	s_delay_alu instid0(VALU_DEP_2) | instskip(SKIP_1) | instid1(VALU_DEP_3)
	v_lshrrev_b32_e32 v22, 31, v17
	v_ashrrev_i32_e32 v17, 2, v17
	v_lshrrev_b32_e32 v23, 31, v18
	v_ashrrev_i32_e32 v18, 2, v18
	s_delay_alu instid0(VALU_DEP_3) | instskip(NEXT) | instid1(VALU_DEP_2)
	v_add_nc_u32_e32 v17, v17, v22
	v_add_nc_u32_e32 v18, v18, v23
	s_delay_alu instid0(VALU_DEP_1)
	v_cmp_ne_u32_e32 vcc_lo, v17, v18
	s_and_b32 s4, vcc_lo, exec_lo
; %bb.49:
	s_or_b32 exec_lo, exec_lo, s5
	v_or_b32_e32 v17, 6, v19
	s_mov_b32 s5, exec_lo
	s_delay_alu instid0(VALU_DEP_1)
	v_cmpx_gt_u32_e64 s19, v17
; %bb.50:
	v_mul_hi_i32 v17, 0x66666667, v12
	v_mul_hi_i32 v18, 0x66666667, v9
	s_delay_alu instid0(VALU_DEP_2) | instskip(SKIP_1) | instid1(VALU_DEP_3)
	v_lshrrev_b32_e32 v22, 31, v17
	v_ashrrev_i32_e32 v17, 2, v17
	v_lshrrev_b32_e32 v23, 31, v18
	v_ashrrev_i32_e32 v18, 2, v18
	s_delay_alu instid0(VALU_DEP_3) | instskip(NEXT) | instid1(VALU_DEP_2)
	v_add_nc_u32_e32 v17, v17, v22
	v_add_nc_u32_e32 v18, v18, v23
	s_delay_alu instid0(VALU_DEP_1)
	v_cmp_ne_u32_e32 vcc_lo, v17, v18
	s_and_b32 s2, vcc_lo, exec_lo
; %bb.51:
	s_or_b32 exec_lo, exec_lo, s5
	v_or_b32_e32 v17, 5, v19
	s_mov_b32 s6, 0
	s_mov_b32 s5, 0
	s_mov_b32 s7, exec_lo
	s_delay_alu instid0(VALU_DEP_1)
	v_cmpx_gt_u32_e64 s19, v17
; %bb.52:
	v_mul_hi_i32 v17, 0x66666667, v11
	v_mul_hi_i32 v18, 0x66666667, v12
	s_delay_alu instid0(VALU_DEP_2) | instskip(SKIP_1) | instid1(VALU_DEP_3)
	v_lshrrev_b32_e32 v22, 31, v17
	v_ashrrev_i32_e32 v17, 2, v17
	v_lshrrev_b32_e32 v23, 31, v18
	v_ashrrev_i32_e32 v18, 2, v18
	s_delay_alu instid0(VALU_DEP_3) | instskip(NEXT) | instid1(VALU_DEP_2)
	v_add_nc_u32_e32 v17, v17, v22
	v_add_nc_u32_e32 v18, v18, v23
	s_delay_alu instid0(VALU_DEP_1)
	v_cmp_ne_u32_e32 vcc_lo, v17, v18
	s_and_b32 s5, vcc_lo, exec_lo
; %bb.53:
	s_or_b32 exec_lo, exec_lo, s7
	v_or_b32_e32 v17, 4, v19
	s_mov_b32 s7, exec_lo
	s_delay_alu instid0(VALU_DEP_1)
	v_cmpx_gt_u32_e64 s19, v17
; %bb.54:
	v_mul_hi_i32 v17, 0x66666667, v14
	v_mul_hi_i32 v18, 0x66666667, v11
	s_delay_alu instid0(VALU_DEP_2) | instskip(SKIP_1) | instid1(VALU_DEP_3)
	v_lshrrev_b32_e32 v22, 31, v17
	v_ashrrev_i32_e32 v17, 2, v17
	v_lshrrev_b32_e32 v23, 31, v18
	v_ashrrev_i32_e32 v18, 2, v18
	s_delay_alu instid0(VALU_DEP_3) | instskip(NEXT) | instid1(VALU_DEP_2)
	v_add_nc_u32_e32 v17, v17, v22
	v_add_nc_u32_e32 v18, v18, v23
	s_delay_alu instid0(VALU_DEP_1)
	v_cmp_ne_u32_e32 vcc_lo, v17, v18
	s_and_b32 s6, vcc_lo, exec_lo
; %bb.55:
	s_or_b32 exec_lo, exec_lo, s7
	;; [unrolled: 42-line block ×3, first 2 shown]
	v_or_b32_e32 v17, 1, v19
	s_mov_b32 s12, 0
	s_mov_b32 s13, exec_lo
	s_delay_alu instid0(VALU_DEP_1)
	v_cmpx_gt_u32_e64 s19, v17
; %bb.60:
	v_mul_hi_i32 v17, 0x66666667, v15
	v_mul_hi_i32 v18, 0x66666667, v16
	s_delay_alu instid0(VALU_DEP_2) | instskip(SKIP_1) | instid1(VALU_DEP_3)
	v_lshrrev_b32_e32 v22, 31, v17
	v_ashrrev_i32_e32 v17, 2, v17
	v_lshrrev_b32_e32 v23, 31, v18
	v_ashrrev_i32_e32 v18, 2, v18
	s_delay_alu instid0(VALU_DEP_3) | instskip(NEXT) | instid1(VALU_DEP_2)
	v_add_nc_u32_e32 v17, v17, v22
	v_add_nc_u32_e32 v18, v18, v23
	s_delay_alu instid0(VALU_DEP_1)
	v_cmp_ne_u32_e32 vcc_lo, v17, v18
	s_and_b32 s12, vcc_lo, exec_lo
; %bb.61:
	s_or_b32 exec_lo, exec_lo, s13
	s_delay_alu instid0(SALU_CYCLE_1)
	s_mov_b32 s13, exec_lo
	s_waitcnt vmcnt(0) lgkmcnt(0)
	s_barrier
	buffer_gl0_inv
	v_cmpx_ne_u32_e32 0, v0
	s_cbranch_execz .LBB248_63
; %bb.62:
	v_add_nc_u32_e32 v17, -4, v21
	ds_load_b32 v20, v17
.LBB248_63:
	s_or_b32 exec_lo, exec_lo, s13
	v_cndmask_b32_e64 v18, 0, 1, s7
	v_cndmask_b32_e64 v22, 0, 1, s5
	;; [unrolled: 1-line block ×7, first 2 shown]
	v_lshlrev_b16 v18, 8, v18
	v_lshlrev_b16 v22, 8, v22
	;; [unrolled: 1-line block ×3, first 2 shown]
	s_mov_b32 s4, 0
	v_lshlrev_b16 v25, 8, v25
	v_or_b32_e32 v18, v17, v18
	v_or_b32_e32 v21, v21, v22
	v_or_b32_e32 v22, v24, v23
	s_mov_b32 s2, exec_lo
	v_and_b32_e32 v17, 0xffff, v25
	v_lshlrev_b32_e32 v18, 16, v18
	v_and_b32_e32 v21, 0xffff, v21
	v_lshlrev_b32_e32 v22, 16, v22
	v_cmpx_gt_u32_e64 s19, v19
	s_cbranch_execz .LBB248_65
; %bb.64:
	s_waitcnt lgkmcnt(0)
	v_mul_hi_i32 v20, 0x66666667, v20
	v_mul_hi_i32 v23, 0x66666667, v15
	s_delay_alu instid0(VALU_DEP_2) | instskip(SKIP_1) | instid1(VALU_DEP_3)
	v_lshrrev_b32_e32 v24, 31, v20
	v_ashrrev_i32_e32 v20, 2, v20
	v_lshrrev_b32_e32 v25, 31, v23
	v_ashrrev_i32_e32 v23, 2, v23
	s_delay_alu instid0(VALU_DEP_3) | instskip(NEXT) | instid1(VALU_DEP_2)
	v_add_nc_u32_e32 v20, v20, v24
	v_add_nc_u32_e32 v23, v23, v25
	s_delay_alu instid0(VALU_DEP_1)
	v_cmp_ne_u32_e32 vcc_lo, v20, v23
	s_and_b32 s4, vcc_lo, exec_lo
.LBB248_65:
	s_or_b32 exec_lo, exec_lo, s2
	v_or_b32_e32 v17, v17, v18
	v_or_b32_e32 v18, v21, v22
.LBB248_66:
	s_mov_b32 s2, -1
	s_cbranch_execnz .LBB248_91
.LBB248_67:
	v_mul_hi_i32 v26, 0x66666667, v9
	v_mul_hi_i32 v25, 0x66666667, v12
	v_mul_hi_i32 v24, 0x66666667, v11
	v_mul_hi_i32 v23, 0x66666667, v14
	v_mul_hi_i32 v22, 0x66666667, v13
	v_mul_hi_i32 v21, 0x66666667, v16
	s_waitcnt vmcnt(0) lgkmcnt(0)
	v_lshlrev_b32_e32 v20, 2, v0
	s_and_b32 vcc_lo, exec_lo, s18
	ds_store_b32 v20, v10
	s_cbranch_vccz .LBB248_71
; %bb.68:
	v_mul_hi_i32 v17, 0x66666667, v10
	v_lshrrev_b32_e32 v18, 31, v26
	v_ashrrev_i32_e32 v27, 2, v26
	v_lshrrev_b32_e32 v28, 31, v25
	v_ashrrev_i32_e32 v29, 2, v25
	;; [unrolled: 2-line block ×3, first 2 shown]
	v_add_nc_u32_e32 v18, v27, v18
	v_lshrrev_b32_e32 v31, 31, v17
	v_ashrrev_i32_e32 v17, 2, v17
	v_add_nc_u32_e32 v27, v29, v28
	v_lshrrev_b32_e32 v28, 31, v23
	v_ashrrev_i32_e32 v29, 2, v23
	v_ashrrev_i32_e32 v34, 2, v21
	v_add_nc_u32_e32 v17, v17, v31
	v_cmp_ne_u32_e32 vcc_lo, v27, v18
	v_mul_hi_i32 v31, 0x66666667, v15
	v_add_nc_u32_e32 v28, v29, v28
	v_lshrrev_b32_e32 v29, 31, v22
	s_mov_b32 s5, 0
	v_cndmask_b32_e64 v33, 0, 1, vcc_lo
	v_cmp_ne_u32_e32 vcc_lo, v18, v17
	v_add_nc_u32_e32 v18, v32, v30
	v_ashrrev_i32_e32 v30, 2, v22
	v_lshrrev_b32_e32 v32, 31, v21
	v_lshrrev_b32_e32 v35, 31, v31
	v_cndmask_b32_e64 v17, 0, 1, vcc_lo
	v_cmp_ne_u32_e32 vcc_lo, v18, v27
	v_ashrrev_i32_e32 v31, 2, v31
	v_add_nc_u32_e32 v29, v30, v29
	v_add_nc_u32_e32 v30, v34, v32
	v_lshlrev_b16 v17, 8, v17
	v_cndmask_b32_e64 v36, 0, 1, vcc_lo
	v_cmp_ne_u32_e32 vcc_lo, v28, v18
	v_add_nc_u32_e32 v27, v31, v35
	s_mov_b32 s6, exec_lo
	v_or_b32_e32 v17, v33, v17
	s_waitcnt lgkmcnt(0)
	v_cndmask_b32_e64 v18, 0, 1, vcc_lo
	v_cmp_ne_u32_e32 vcc_lo, v29, v28
	s_barrier
	v_lshlrev_b32_e32 v17, 16, v17
	buffer_gl0_inv
                                        ; implicit-def: $sgpr4
	v_cndmask_b32_e64 v28, 0, 1, vcc_lo
	v_cmp_ne_u32_e32 vcc_lo, v27, v30
	s_delay_alu instid0(VALU_DEP_2) | instskip(SKIP_3) | instid1(VALU_DEP_3)
	v_lshlrev_b16 v28, 8, v28
	v_cndmask_b32_e64 v31, 0, 1, vcc_lo
	v_cmp_ne_u32_e32 vcc_lo, v30, v29
	v_lshlrev_b16 v30, 8, v36
	v_lshlrev_b16 v31, 8, v31
	v_cndmask_b32_e64 v29, 0, 1, vcc_lo
	s_delay_alu instid0(VALU_DEP_3) | instskip(NEXT) | instid1(VALU_DEP_2)
	v_or_b32_e32 v18, v18, v30
	v_or_b32_e32 v28, v29, v28
	s_delay_alu instid0(VALU_DEP_4) | instskip(NEXT) | instid1(VALU_DEP_3)
	v_or_b32_e32 v29, 1, v31
	v_and_b32_e32 v18, 0xffff, v18
	s_delay_alu instid0(VALU_DEP_3) | instskip(NEXT) | instid1(VALU_DEP_3)
	v_lshlrev_b32_e32 v28, 16, v28
	v_and_b32_e32 v29, 0xffff, v29
	s_delay_alu instid0(VALU_DEP_3) | instskip(NEXT) | instid1(VALU_DEP_2)
	v_or_b32_e32 v18, v18, v17
	v_or_b32_e32 v17, v29, v28
	v_cmpx_ne_u32_e32 0, v0
	s_xor_b32 s6, exec_lo, s6
	s_cbranch_execz .LBB248_70
; %bb.69:
	v_add_nc_u32_e32 v28, -4, v20
	s_or_b32 s2, s2, exec_lo
	ds_load_b32 v28, v28
	s_waitcnt lgkmcnt(0)
	v_mul_hi_i32 v28, 0x66666667, v28
	s_delay_alu instid0(VALU_DEP_1) | instskip(SKIP_1) | instid1(VALU_DEP_1)
	v_lshrrev_b32_e32 v29, 31, v28
	v_ashrrev_i32_e32 v28, 2, v28
	v_add_nc_u32_e32 v28, v28, v29
	s_delay_alu instid0(VALU_DEP_1)
	v_cmp_ne_u32_e32 vcc_lo, v28, v27
	s_and_b32 s4, vcc_lo, exec_lo
.LBB248_70:
	s_or_b32 exec_lo, exec_lo, s6
	s_delay_alu instid0(SALU_CYCLE_1)
	s_and_b32 vcc_lo, exec_lo, s5
	s_cbranch_vccnz .LBB248_72
	s_branch .LBB248_91
.LBB248_71:
                                        ; implicit-def: $sgpr4
                                        ; implicit-def: $vgpr18
	s_cbranch_execz .LBB248_91
.LBB248_72:
	v_or_b32_e32 v17, 7, v19
	s_mov_b32 s4, 0
	s_mov_b32 s5, 0
	s_mov_b32 s6, exec_lo
	s_delay_alu instid0(VALU_DEP_1)
	v_cmpx_gt_u32_e64 s19, v17
; %bb.73:
	v_mul_hi_i32 v17, 0x66666667, v10
	v_lshrrev_b32_e32 v18, 31, v26
	v_ashrrev_i32_e32 v27, 2, v26
	s_delay_alu instid0(VALU_DEP_1) | instskip(NEXT) | instid1(VALU_DEP_4)
	v_add_nc_u32_e32 v18, v27, v18
	v_lshrrev_b32_e32 v28, 31, v17
	v_ashrrev_i32_e32 v17, 2, v17
	s_delay_alu instid0(VALU_DEP_1) | instskip(NEXT) | instid1(VALU_DEP_1)
	v_add_nc_u32_e32 v17, v17, v28
	v_cmp_ne_u32_e32 vcc_lo, v18, v17
	s_and_b32 s5, vcc_lo, exec_lo
; %bb.74:
	s_or_b32 exec_lo, exec_lo, s6
	v_or_b32_e32 v17, 6, v19
	s_mov_b32 s6, exec_lo
	s_delay_alu instid0(VALU_DEP_1)
	v_cmpx_gt_u32_e64 s19, v17
; %bb.75:
	v_lshrrev_b32_e32 v17, 31, v25
	v_ashrrev_i32_e32 v18, 2, v25
	v_lshrrev_b32_e32 v27, 31, v26
	v_ashrrev_i32_e32 v26, 2, v26
	s_delay_alu instid0(VALU_DEP_3) | instskip(NEXT) | instid1(VALU_DEP_2)
	v_add_nc_u32_e32 v17, v18, v17
	v_add_nc_u32_e32 v18, v26, v27
	s_delay_alu instid0(VALU_DEP_1)
	v_cmp_ne_u32_e32 vcc_lo, v17, v18
	s_and_b32 s4, vcc_lo, exec_lo
; %bb.76:
	s_or_b32 exec_lo, exec_lo, s6
	v_or_b32_e32 v17, 5, v19
	s_mov_b32 s6, 0
	s_mov_b32 s7, 0
	s_mov_b32 s9, exec_lo
	s_delay_alu instid0(VALU_DEP_1)
	v_cmpx_gt_u32_e64 s19, v17
; %bb.77:
	v_lshrrev_b32_e32 v17, 31, v24
	v_ashrrev_i32_e32 v18, 2, v24
	v_lshrrev_b32_e32 v26, 31, v25
	v_ashrrev_i32_e32 v25, 2, v25
	s_delay_alu instid0(VALU_DEP_3) | instskip(NEXT) | instid1(VALU_DEP_2)
	v_add_nc_u32_e32 v17, v18, v17
	v_add_nc_u32_e32 v18, v25, v26
	s_delay_alu instid0(VALU_DEP_1)
	v_cmp_ne_u32_e32 vcc_lo, v17, v18
	s_and_b32 s7, vcc_lo, exec_lo
; %bb.78:
	s_or_b32 exec_lo, exec_lo, s9
	v_or_b32_e32 v17, 4, v19
	s_mov_b32 s9, exec_lo
	s_delay_alu instid0(VALU_DEP_1)
	v_cmpx_gt_u32_e64 s19, v17
; %bb.79:
	v_lshrrev_b32_e32 v17, 31, v23
	v_ashrrev_i32_e32 v18, 2, v23
	v_lshrrev_b32_e32 v25, 31, v24
	v_ashrrev_i32_e32 v24, 2, v24
	s_delay_alu instid0(VALU_DEP_3) | instskip(NEXT) | instid1(VALU_DEP_2)
	v_add_nc_u32_e32 v17, v18, v17
	v_add_nc_u32_e32 v18, v24, v25
	s_delay_alu instid0(VALU_DEP_1)
	v_cmp_ne_u32_e32 vcc_lo, v17, v18
	s_and_b32 s6, vcc_lo, exec_lo
; %bb.80:
	s_or_b32 exec_lo, exec_lo, s9
	v_or_b32_e32 v17, 3, v19
	s_mov_b32 s12, 0
	s_mov_b32 s9, 0
	s_mov_b32 s13, exec_lo
	s_delay_alu instid0(VALU_DEP_1)
	v_cmpx_gt_u32_e64 s19, v17
; %bb.81:
	v_lshrrev_b32_e32 v17, 31, v22
	v_ashrrev_i32_e32 v18, 2, v22
	v_lshrrev_b32_e32 v24, 31, v23
	v_ashrrev_i32_e32 v23, 2, v23
	s_delay_alu instid0(VALU_DEP_3) | instskip(NEXT) | instid1(VALU_DEP_2)
	v_add_nc_u32_e32 v17, v18, v17
	v_add_nc_u32_e32 v18, v23, v24
	s_delay_alu instid0(VALU_DEP_1)
	v_cmp_ne_u32_e32 vcc_lo, v17, v18
	s_and_b32 s9, vcc_lo, exec_lo
; %bb.82:
	s_or_b32 exec_lo, exec_lo, s13
	v_or_b32_e32 v17, 2, v19
	s_mov_b32 s13, exec_lo
	s_delay_alu instid0(VALU_DEP_1)
	v_cmpx_gt_u32_e64 s19, v17
; %bb.83:
	v_lshrrev_b32_e32 v17, 31, v21
	v_ashrrev_i32_e32 v18, 2, v21
	v_lshrrev_b32_e32 v23, 31, v22
	v_ashrrev_i32_e32 v22, 2, v22
	s_delay_alu instid0(VALU_DEP_3) | instskip(NEXT) | instid1(VALU_DEP_2)
	v_add_nc_u32_e32 v17, v18, v17
	v_add_nc_u32_e32 v18, v22, v23
	s_delay_alu instid0(VALU_DEP_1)
	v_cmp_ne_u32_e32 vcc_lo, v17, v18
	s_and_b32 s12, vcc_lo, exec_lo
; %bb.84:
	s_or_b32 exec_lo, exec_lo, s13
	v_or_b32_e32 v17, 1, v19
	s_mov_b32 s20, 0
	s_mov_b32 s13, exec_lo
	s_delay_alu instid0(VALU_DEP_1)
	v_cmpx_gt_u32_e64 s19, v17
; %bb.85:
	v_mul_hi_i32 v17, 0x66666667, v15
	v_lshrrev_b32_e32 v18, 31, v21
	v_ashrrev_i32_e32 v21, 2, v21
	s_delay_alu instid0(VALU_DEP_1) | instskip(NEXT) | instid1(VALU_DEP_4)
	v_add_nc_u32_e32 v18, v21, v18
	v_lshrrev_b32_e32 v22, 31, v17
	v_ashrrev_i32_e32 v17, 2, v17
	s_delay_alu instid0(VALU_DEP_1) | instskip(NEXT) | instid1(VALU_DEP_1)
	v_add_nc_u32_e32 v17, v17, v22
	v_cmp_ne_u32_e32 vcc_lo, v17, v18
	s_and_b32 s20, vcc_lo, exec_lo
; %bb.86:
	s_or_b32 exec_lo, exec_lo, s13
	v_cndmask_b32_e64 v18, 0, 1, s9
	v_cndmask_b32_e64 v21, 0, 1, s7
	;; [unrolled: 1-line block ×7, first 2 shown]
	v_lshlrev_b16 v21, 8, v21
	v_lshlrev_b16 v22, 8, v22
	;; [unrolled: 1-line block ×4, first 2 shown]
	s_mov_b32 s5, exec_lo
	v_or_b32_e32 v21, v24, v21
	v_or_b32_e32 v22, v25, v22
	;; [unrolled: 1-line block ×4, first 2 shown]
	s_waitcnt lgkmcnt(0)
	v_and_b32_e32 v18, 0xffff, v21
	v_lshlrev_b32_e32 v21, 16, v22
	v_and_b32_e32 v22, 0xffff, v23
	v_lshlrev_b32_e32 v17, 16, v17
	s_barrier
	buffer_gl0_inv
	v_or_b32_e32 v18, v18, v21
                                        ; implicit-def: $sgpr4
	v_or_b32_e32 v17, v22, v17
	v_cmpx_ne_u32_e32 0, v0
	s_cbranch_execz .LBB248_90
; %bb.87:
	s_mov_b32 s6, 0
	s_mov_b32 s4, exec_lo
	v_cmpx_gt_u32_e64 s19, v19
	s_cbranch_execz .LBB248_89
; %bb.88:
	v_add_nc_u32_e32 v20, -4, v20
	v_mul_hi_i32 v21, 0x66666667, v15
	ds_load_b32 v20, v20
	v_lshrrev_b32_e32 v22, 31, v21
	v_ashrrev_i32_e32 v21, 2, v21
	s_delay_alu instid0(VALU_DEP_1) | instskip(SKIP_2) | instid1(VALU_DEP_1)
	v_add_nc_u32_e32 v21, v21, v22
	s_waitcnt lgkmcnt(0)
	v_mul_hi_i32 v20, 0x66666667, v20
	v_lshrrev_b32_e32 v23, 31, v20
	v_ashrrev_i32_e32 v20, 2, v20
	s_delay_alu instid0(VALU_DEP_1) | instskip(NEXT) | instid1(VALU_DEP_1)
	v_add_nc_u32_e32 v20, v20, v23
	v_cmp_ne_u32_e32 vcc_lo, v20, v21
	s_and_b32 s6, vcc_lo, exec_lo
.LBB248_89:
	s_or_b32 exec_lo, exec_lo, s4
	s_delay_alu instid0(SALU_CYCLE_1)
	s_and_b32 s4, s6, exec_lo
	s_or_b32 s2, s2, exec_lo
.LBB248_90:
	s_or_b32 exec_lo, exec_lo, s5
.LBB248_91:
	s_and_saveexec_b32 s5, s2
	s_cbranch_execz .LBB248_93
; %bb.92:
	s_waitcnt vmcnt(0) lgkmcnt(0)
	v_and_b32_e32 v20, 0xffffff00, v17
	v_cndmask_b32_e64 v21, 0, 1, s4
	s_delay_alu instid0(VALU_DEP_1) | instskip(NEXT) | instid1(VALU_DEP_1)
	v_or_b32_e32 v20, v21, v20
	v_and_b32_e32 v20, 0xffff, v20
	s_delay_alu instid0(VALU_DEP_1)
	v_and_or_b32 v17, 0xffff0000, v17, v20
.LBB248_93:
	s_or_b32 exec_lo, exec_lo, s5
	s_load_b64 s[12:13], s[0:1], 0x60
	s_and_not1_b32 vcc_lo, exec_lo, s3
	s_cbranch_vccnz .LBB248_95
; %bb.94:
	v_cmp_gt_u32_e32 vcc_lo, s19, v19
	v_or_b32_e32 v21, 1, v19
	v_and_b32_e32 v22, 0xffffff00, v18
	v_or_b32_e32 v23, 2, v19
	s_waitcnt vmcnt(0) lgkmcnt(0)
	v_cndmask_b32_e32 v20, 0, v17, vcc_lo
	v_cmp_gt_u32_e32 vcc_lo, s19, v21
	v_or_b32_e32 v21, 4, v19
	v_cmp_gt_u32_e64 s2, s19, v23
	v_or_b32_e32 v23, 3, v19
	v_and_b32_e32 v20, 0xff, v20
	s_delay_alu instid0(VALU_DEP_2) | instskip(NEXT) | instid1(VALU_DEP_2)
	v_cmp_gt_u32_e64 s3, s19, v23
	v_cndmask_b32_e32 v20, v20, v17, vcc_lo
	v_cmp_gt_u32_e32 vcc_lo, s19, v21
	s_delay_alu instid0(VALU_DEP_2) | instskip(SKIP_1) | instid1(VALU_DEP_2)
	v_dual_cndmask_b32 v21, v22, v18 :: v_dual_and_b32 v20, 0xffff, v20
	v_or_b32_e32 v22, 5, v19
	v_cndmask_b32_e64 v20, v20, v17, s2
	s_delay_alu instid0(VALU_DEP_3) | instskip(NEXT) | instid1(VALU_DEP_3)
	v_and_b32_e32 v21, 0xffff00ff, v21
	v_cmp_gt_u32_e64 s2, s19, v22
	v_or_b32_e32 v22, 6, v19
	v_or_b32_e32 v19, 7, v19
	v_and_b32_e32 v20, 0xffffff, v20
	s_delay_alu instid0(VALU_DEP_4) | instskip(NEXT) | instid1(VALU_DEP_2)
	v_cndmask_b32_e64 v21, v21, v18, s2
	v_cndmask_b32_e64 v20, v20, v17, s3
	s_delay_alu instid0(VALU_DEP_2) | instskip(NEXT) | instid1(VALU_DEP_2)
	v_and_b32_e32 v21, 0xff00ffff, v21
	v_cndmask_b32_e32 v20, v20, v17, vcc_lo
	v_cmp_gt_u32_e32 vcc_lo, s19, v22
	s_delay_alu instid0(VALU_DEP_2) | instskip(NEXT) | instid1(VALU_DEP_1)
	v_cndmask_b32_e64 v20, v20, v17, s2
	v_dual_cndmask_b32 v21, v21, v18 :: v_dual_cndmask_b32 v20, v20, v17
	s_delay_alu instid0(VALU_DEP_1) | instskip(SKIP_1) | instid1(VALU_DEP_2)
	v_and_b32_e32 v21, 0xffffff, v21
	v_cmp_gt_u32_e32 vcc_lo, s19, v19
	v_dual_cndmask_b32 v18, v21, v18 :: v_dual_cndmask_b32 v17, v20, v17
.LBB248_95:
	s_delay_alu instid0(VALU_DEP_1) | instskip(NEXT) | instid1(VALU_DEP_2)
	v_and_b32_e32 v28, 0xff, v17
	v_alignbit_b32 v19, v18, v17, 24
	v_bfe_u32 v30, v17, 8, 8
	v_bfe_u32 v32, v17, 16, 8
	v_and_b32_e32 v36, 0xff, v18
	v_bfe_u32 v38, v18, 8, 8
	v_and_b32_e32 v34, 0xff, v19
	v_add_nc_u32_e32 v19, v30, v28
	s_waitcnt vmcnt(0) lgkmcnt(0)
	v_and_b32_e32 v20, 0x1e0, v0
	v_mbcnt_lo_u32_b32 v41, -1, 0
	v_bfe_u32 v40, v18, 16, 8
	v_lshrrev_b32_e32 v39, 24, v18
	v_add3_u32 v19, v19, v32, v34
	v_min_u32_e32 v20, 0x160, v20
	v_and_b32_e32 v21, 15, v41
	v_lshrrev_b32_e32 v42, 5, v0
	s_and_b32 vcc_lo, exec_lo, s8
	v_add3_u32 v19, v19, v36, v38
	v_or_b32_e32 v20, 31, v20
	v_cmp_eq_u32_e64 s4, 0, v21
	v_cmp_lt_u32_e64 s5, 1, v21
	v_cmp_lt_u32_e64 s3, 3, v21
	v_add3_u32 v43, v19, v40, v39
	v_and_b32_e32 v19, 16, v41
	v_cmp_lt_u32_e64 s2, 7, v21
	v_cmp_eq_u32_e64 s6, v20, v0
	s_mov_b32 s8, -1
	s_delay_alu instid0(VALU_DEP_3)
	v_cmp_eq_u32_e64 s7, 0, v19
	s_barrier
	buffer_gl0_inv
	s_cbranch_vccz .LBB248_121
; %bb.96:
	v_mov_b32_dpp v19, v43 row_shr:1 row_mask:0xf bank_mask:0xf
	s_delay_alu instid0(VALU_DEP_1) | instskip(NEXT) | instid1(VALU_DEP_1)
	v_cndmask_b32_e64 v19, v19, 0, s4
	v_add_nc_u32_e32 v19, v19, v43
	s_delay_alu instid0(VALU_DEP_1) | instskip(NEXT) | instid1(VALU_DEP_1)
	v_mov_b32_dpp v20, v19 row_shr:2 row_mask:0xf bank_mask:0xf
	v_cndmask_b32_e64 v20, 0, v20, s5
	s_delay_alu instid0(VALU_DEP_1) | instskip(NEXT) | instid1(VALU_DEP_1)
	v_add_nc_u32_e32 v19, v19, v20
	v_mov_b32_dpp v20, v19 row_shr:4 row_mask:0xf bank_mask:0xf
	s_delay_alu instid0(VALU_DEP_1) | instskip(NEXT) | instid1(VALU_DEP_1)
	v_cndmask_b32_e64 v20, 0, v20, s3
	v_add_nc_u32_e32 v19, v19, v20
	s_delay_alu instid0(VALU_DEP_1) | instskip(NEXT) | instid1(VALU_DEP_1)
	v_mov_b32_dpp v20, v19 row_shr:8 row_mask:0xf bank_mask:0xf
	v_cndmask_b32_e64 v20, 0, v20, s2
	s_delay_alu instid0(VALU_DEP_1) | instskip(SKIP_3) | instid1(VALU_DEP_1)
	v_add_nc_u32_e32 v19, v19, v20
	ds_swizzle_b32 v20, v19 offset:swizzle(BROADCAST,32,15)
	s_waitcnt lgkmcnt(0)
	v_cndmask_b32_e64 v20, v20, 0, s7
	v_add_nc_u32_e32 v19, v19, v20
	s_and_saveexec_b32 s8, s6
	s_cbranch_execz .LBB248_98
; %bb.97:
	v_lshlrev_b32_e32 v20, 2, v42
	ds_store_b32 v20, v19
.LBB248_98:
	s_or_b32 exec_lo, exec_lo, s8
	s_delay_alu instid0(SALU_CYCLE_1)
	s_mov_b32 s8, exec_lo
	s_waitcnt lgkmcnt(0)
	s_barrier
	buffer_gl0_inv
	v_cmpx_gt_u32_e32 12, v0
	s_cbranch_execz .LBB248_100
; %bb.99:
	v_lshlrev_b32_e32 v20, 2, v0
	ds_load_b32 v21, v20
	s_waitcnt lgkmcnt(0)
	v_mov_b32_dpp v22, v21 row_shr:1 row_mask:0xf bank_mask:0xf
	s_delay_alu instid0(VALU_DEP_1) | instskip(NEXT) | instid1(VALU_DEP_1)
	v_cndmask_b32_e64 v22, v22, 0, s4
	v_add_nc_u32_e32 v21, v22, v21
	s_delay_alu instid0(VALU_DEP_1) | instskip(NEXT) | instid1(VALU_DEP_1)
	v_mov_b32_dpp v22, v21 row_shr:2 row_mask:0xf bank_mask:0xf
	v_cndmask_b32_e64 v22, 0, v22, s5
	s_delay_alu instid0(VALU_DEP_1) | instskip(NEXT) | instid1(VALU_DEP_1)
	v_add_nc_u32_e32 v21, v21, v22
	v_mov_b32_dpp v22, v21 row_shr:4 row_mask:0xf bank_mask:0xf
	s_delay_alu instid0(VALU_DEP_1) | instskip(NEXT) | instid1(VALU_DEP_1)
	v_cndmask_b32_e64 v22, 0, v22, s3
	v_add_nc_u32_e32 v21, v21, v22
	s_delay_alu instid0(VALU_DEP_1) | instskip(NEXT) | instid1(VALU_DEP_1)
	v_mov_b32_dpp v22, v21 row_shr:8 row_mask:0xf bank_mask:0xf
	v_cndmask_b32_e64 v22, 0, v22, s2
	s_delay_alu instid0(VALU_DEP_1)
	v_add_nc_u32_e32 v21, v21, v22
	ds_store_b32 v20, v21
.LBB248_100:
	s_or_b32 exec_lo, exec_lo, s8
	v_cmp_gt_u32_e32 vcc_lo, 32, v0
	s_mov_b32 s9, exec_lo
	s_waitcnt lgkmcnt(0)
	s_barrier
	buffer_gl0_inv
                                        ; implicit-def: $vgpr27
	v_cmpx_lt_u32_e32 31, v0
	s_cbranch_execz .LBB248_102
; %bb.101:
	v_lshl_add_u32 v20, v42, 2, -4
	ds_load_b32 v27, v20
	s_waitcnt lgkmcnt(0)
	v_add_nc_u32_e32 v19, v27, v19
.LBB248_102:
	s_or_b32 exec_lo, exec_lo, s9
	v_add_nc_u32_e32 v20, -1, v41
	s_delay_alu instid0(VALU_DEP_1) | instskip(NEXT) | instid1(VALU_DEP_1)
	v_cmp_gt_i32_e64 s8, 0, v20
	v_cndmask_b32_e64 v20, v20, v41, s8
	v_cmp_eq_u32_e64 s8, 0, v41
	s_delay_alu instid0(VALU_DEP_2)
	v_lshlrev_b32_e32 v20, 2, v20
	ds_bpermute_b32 v29, v20, v19
	s_and_saveexec_b32 s9, vcc_lo
	s_cbranch_execz .LBB248_120
; %bb.103:
	v_mov_b32_e32 v23, 0
	ds_load_b32 v19, v23 offset:44
	s_and_saveexec_b32 s19, s8
	s_cbranch_execz .LBB248_105
; %bb.104:
	s_add_i32 s20, s15, 32
	s_mov_b32 s21, 0
	v_mov_b32_e32 v20, 1
	s_lshl_b64 s[20:21], s[20:21], 3
	s_delay_alu instid0(SALU_CYCLE_1)
	s_add_u32 s20, s12, s20
	s_addc_u32 s21, s13, s21
	s_waitcnt lgkmcnt(0)
	global_store_b64 v23, v[19:20], s[20:21]
.LBB248_105:
	s_or_b32 exec_lo, exec_lo, s19
	v_xad_u32 v21, v41, -1, s15
	s_mov_b32 s20, 0
	s_mov_b32 s19, exec_lo
	s_delay_alu instid0(VALU_DEP_1) | instskip(NEXT) | instid1(VALU_DEP_1)
	v_add_nc_u32_e32 v22, 32, v21
	v_lshlrev_b64 v[22:23], 3, v[22:23]
	s_delay_alu instid0(VALU_DEP_1) | instskip(NEXT) | instid1(VALU_DEP_2)
	v_add_co_u32 v25, vcc_lo, s12, v22
	v_add_co_ci_u32_e32 v26, vcc_lo, s13, v23, vcc_lo
	global_load_b64 v[23:24], v[25:26], off glc
	s_waitcnt vmcnt(0)
	v_and_b32_e32 v20, 0xff, v24
	s_delay_alu instid0(VALU_DEP_1)
	v_cmpx_eq_u16_e32 0, v20
	s_cbranch_execz .LBB248_108
.LBB248_106:                            ; =>This Inner Loop Header: Depth=1
	global_load_b64 v[23:24], v[25:26], off glc
	s_waitcnt vmcnt(0)
	v_and_b32_e32 v20, 0xff, v24
	s_delay_alu instid0(VALU_DEP_1) | instskip(SKIP_1) | instid1(SALU_CYCLE_1)
	v_cmp_ne_u16_e32 vcc_lo, 0, v20
	s_or_b32 s20, vcc_lo, s20
	s_and_not1_b32 exec_lo, exec_lo, s20
	s_cbranch_execnz .LBB248_106
; %bb.107:
	s_or_b32 exec_lo, exec_lo, s20
.LBB248_108:
	s_delay_alu instid0(SALU_CYCLE_1)
	s_or_b32 exec_lo, exec_lo, s19
	v_cmp_ne_u32_e32 vcc_lo, 31, v41
	v_lshlrev_b32_e64 v33, v41, -1
	v_add_nc_u32_e32 v37, 2, v41
	v_add_nc_u32_e32 v45, 4, v41
	v_add_nc_u32_e32 v47, 8, v41
	v_add_co_ci_u32_e32 v20, vcc_lo, 0, v41, vcc_lo
	v_add_nc_u32_e32 v49, 16, v41
	s_delay_alu instid0(VALU_DEP_2)
	v_lshlrev_b32_e32 v31, 2, v20
	v_and_b32_e32 v20, 0xff, v24
	ds_bpermute_b32 v22, v31, v23
	v_cmp_eq_u16_e32 vcc_lo, 2, v20
	v_and_or_b32 v20, vcc_lo, v33, 0x80000000
	v_cmp_gt_u32_e32 vcc_lo, 30, v41
	s_delay_alu instid0(VALU_DEP_2) | instskip(SKIP_1) | instid1(VALU_DEP_2)
	v_ctz_i32_b32_e32 v20, v20
	v_cndmask_b32_e64 v25, 0, 1, vcc_lo
	v_cmp_lt_u32_e32 vcc_lo, v41, v20
	s_waitcnt lgkmcnt(0)
	s_delay_alu instid0(VALU_DEP_2) | instskip(NEXT) | instid1(VALU_DEP_1)
	v_dual_cndmask_b32 v22, 0, v22 :: v_dual_lshlrev_b32 v25, 1, v25
	v_add_lshl_u32 v35, v25, v41, 2
	v_cmp_gt_u32_e32 vcc_lo, 28, v41
	s_delay_alu instid0(VALU_DEP_3) | instskip(SKIP_4) | instid1(VALU_DEP_1)
	v_add_nc_u32_e32 v22, v22, v23
	v_cndmask_b32_e64 v25, 0, 1, vcc_lo
	v_cmp_le_u32_e32 vcc_lo, v37, v20
	ds_bpermute_b32 v23, v35, v22
	v_lshlrev_b32_e32 v25, 2, v25
	v_add_lshl_u32 v44, v25, v41, 2
	s_waitcnt lgkmcnt(0)
	v_cndmask_b32_e32 v23, 0, v23, vcc_lo
	v_cmp_gt_u32_e32 vcc_lo, 24, v41
	s_delay_alu instid0(VALU_DEP_2) | instskip(SKIP_4) | instid1(VALU_DEP_1)
	v_add_nc_u32_e32 v22, v22, v23
	v_cndmask_b32_e64 v25, 0, 1, vcc_lo
	v_cmp_le_u32_e32 vcc_lo, v45, v20
	ds_bpermute_b32 v23, v44, v22
	v_lshlrev_b32_e32 v25, 3, v25
	v_add_lshl_u32 v46, v25, v41, 2
	s_waitcnt lgkmcnt(0)
	v_cndmask_b32_e32 v23, 0, v23, vcc_lo
	v_cmp_gt_u32_e32 vcc_lo, 16, v41
	s_delay_alu instid0(VALU_DEP_2) | instskip(SKIP_4) | instid1(VALU_DEP_1)
	v_add_nc_u32_e32 v22, v22, v23
	v_cndmask_b32_e64 v25, 0, 1, vcc_lo
	v_cmp_le_u32_e32 vcc_lo, v47, v20
	ds_bpermute_b32 v23, v46, v22
	v_lshlrev_b32_e32 v25, 4, v25
	v_add_lshl_u32 v48, v25, v41, 2
	s_waitcnt lgkmcnt(0)
	v_cndmask_b32_e32 v23, 0, v23, vcc_lo
	v_cmp_le_u32_e32 vcc_lo, v49, v20
	s_delay_alu instid0(VALU_DEP_2) | instskip(SKIP_3) | instid1(VALU_DEP_1)
	v_add_nc_u32_e32 v22, v22, v23
	ds_bpermute_b32 v23, v48, v22
	s_waitcnt lgkmcnt(0)
	v_cndmask_b32_e32 v20, 0, v23, vcc_lo
	v_dual_mov_b32 v22, 0 :: v_dual_add_nc_u32 v23, v22, v20
	s_branch .LBB248_110
.LBB248_109:                            ;   in Loop: Header=BB248_110 Depth=1
	s_or_b32 exec_lo, exec_lo, s19
	ds_bpermute_b32 v26, v31, v23
	v_and_b32_e32 v25, 0xff, v24
	v_subrev_nc_u32_e32 v21, 32, v21
	s_delay_alu instid0(VALU_DEP_2) | instskip(SKIP_1) | instid1(VALU_DEP_1)
	v_cmp_eq_u16_e32 vcc_lo, 2, v25
	v_and_or_b32 v25, vcc_lo, v33, 0x80000000
	v_ctz_i32_b32_e32 v25, v25
	s_delay_alu instid0(VALU_DEP_1) | instskip(SKIP_3) | instid1(VALU_DEP_2)
	v_cmp_lt_u32_e32 vcc_lo, v41, v25
	s_waitcnt lgkmcnt(0)
	v_cndmask_b32_e32 v26, 0, v26, vcc_lo
	v_cmp_le_u32_e32 vcc_lo, v37, v25
	v_add_nc_u32_e32 v23, v26, v23
	ds_bpermute_b32 v26, v35, v23
	s_waitcnt lgkmcnt(0)
	v_cndmask_b32_e32 v26, 0, v26, vcc_lo
	v_cmp_le_u32_e32 vcc_lo, v45, v25
	s_delay_alu instid0(VALU_DEP_2) | instskip(SKIP_4) | instid1(VALU_DEP_2)
	v_add_nc_u32_e32 v23, v23, v26
	ds_bpermute_b32 v26, v44, v23
	s_waitcnt lgkmcnt(0)
	v_cndmask_b32_e32 v26, 0, v26, vcc_lo
	v_cmp_le_u32_e32 vcc_lo, v47, v25
	v_add_nc_u32_e32 v23, v23, v26
	ds_bpermute_b32 v26, v46, v23
	s_waitcnt lgkmcnt(0)
	v_cndmask_b32_e32 v26, 0, v26, vcc_lo
	v_cmp_le_u32_e32 vcc_lo, v49, v25
	s_delay_alu instid0(VALU_DEP_2) | instskip(SKIP_3) | instid1(VALU_DEP_1)
	v_add_nc_u32_e32 v23, v23, v26
	ds_bpermute_b32 v26, v48, v23
	s_waitcnt lgkmcnt(0)
	v_cndmask_b32_e32 v25, 0, v26, vcc_lo
	v_add3_u32 v23, v25, v20, v23
.LBB248_110:                            ; =>This Loop Header: Depth=1
                                        ;     Child Loop BB248_113 Depth 2
	v_and_b32_e32 v20, 0xff, v24
	s_delay_alu instid0(VALU_DEP_1) | instskip(SKIP_2) | instid1(VALU_DEP_1)
	v_cmp_ne_u16_e32 vcc_lo, 2, v20
	v_cndmask_b32_e64 v20, 0, 1, vcc_lo
	;;#ASMSTART
	;;#ASMEND
	v_cmp_ne_u32_e32 vcc_lo, 0, v20
	v_mov_b32_e32 v20, v23
	s_cmp_lg_u32 vcc_lo, exec_lo
	s_cbranch_scc1 .LBB248_115
; %bb.111:                              ;   in Loop: Header=BB248_110 Depth=1
	v_lshlrev_b64 v[23:24], 3, v[21:22]
	s_mov_b32 s19, exec_lo
	s_delay_alu instid0(VALU_DEP_1) | instskip(NEXT) | instid1(VALU_DEP_2)
	v_add_co_u32 v25, vcc_lo, s12, v23
	v_add_co_ci_u32_e32 v26, vcc_lo, s13, v24, vcc_lo
	global_load_b64 v[23:24], v[25:26], off glc
	s_waitcnt vmcnt(0)
	v_and_b32_e32 v50, 0xff, v24
	s_delay_alu instid0(VALU_DEP_1)
	v_cmpx_eq_u16_e32 0, v50
	s_cbranch_execz .LBB248_109
; %bb.112:                              ;   in Loop: Header=BB248_110 Depth=1
	s_mov_b32 s20, 0
.LBB248_113:                            ;   Parent Loop BB248_110 Depth=1
                                        ; =>  This Inner Loop Header: Depth=2
	global_load_b64 v[23:24], v[25:26], off glc
	s_waitcnt vmcnt(0)
	v_and_b32_e32 v50, 0xff, v24
	s_delay_alu instid0(VALU_DEP_1) | instskip(SKIP_1) | instid1(SALU_CYCLE_1)
	v_cmp_ne_u16_e32 vcc_lo, 0, v50
	s_or_b32 s20, vcc_lo, s20
	s_and_not1_b32 exec_lo, exec_lo, s20
	s_cbranch_execnz .LBB248_113
; %bb.114:                              ;   in Loop: Header=BB248_110 Depth=1
	s_or_b32 exec_lo, exec_lo, s20
	s_branch .LBB248_109
.LBB248_115:                            ;   in Loop: Header=BB248_110 Depth=1
                                        ; implicit-def: $vgpr23
                                        ; implicit-def: $vgpr24
	s_cbranch_execz .LBB248_110
; %bb.116:
	s_and_saveexec_b32 s19, s8
	s_cbranch_execz .LBB248_118
; %bb.117:
	s_add_i32 s20, s15, 32
	s_mov_b32 s21, 0
	v_dual_mov_b32 v22, 2 :: v_dual_add_nc_u32 v21, v20, v19
	s_lshl_b64 s[20:21], s[20:21], 3
	v_mov_b32_e32 v23, 0
	s_add_u32 s20, s12, s20
	s_addc_u32 s21, s13, s21
	global_store_b64 v23, v[21:22], s[20:21]
	ds_store_b64 v23, v[19:20] offset:12672
.LBB248_118:
	s_or_b32 exec_lo, exec_lo, s19
	v_cmp_eq_u32_e32 vcc_lo, 0, v0
	s_and_b32 exec_lo, exec_lo, vcc_lo
	s_cbranch_execz .LBB248_120
; %bb.119:
	v_mov_b32_e32 v19, 0
	ds_store_b32 v19, v20 offset:44
.LBB248_120:
	s_or_b32 exec_lo, exec_lo, s9
	v_mov_b32_e32 v19, 0
	s_waitcnt lgkmcnt(0)
	s_waitcnt_vscnt null, 0x0
	s_barrier
	buffer_gl0_inv
	v_cndmask_b32_e64 v21, v29, v27, s8
	ds_load_b32 v20, v19 offset:44
	v_cmp_ne_u32_e32 vcc_lo, 0, v0
	s_waitcnt lgkmcnt(0)
	s_barrier
	buffer_gl0_inv
	v_cndmask_b32_e32 v21, 0, v21, vcc_lo
	s_delay_alu instid0(VALU_DEP_1) | instskip(SKIP_2) | instid1(VALU_DEP_1)
	v_add_nc_u32_e32 v37, v20, v21
	ds_load_b64 v[19:20], v19 offset:12672
	v_add_nc_u32_e32 v35, v37, v28
	v_add_nc_u32_e32 v33, v35, v30
	s_delay_alu instid0(VALU_DEP_1) | instskip(NEXT) | instid1(VALU_DEP_1)
	v_add_nc_u32_e32 v31, v33, v32
	v_add_nc_u32_e32 v29, v31, v34
	s_delay_alu instid0(VALU_DEP_1) | instskip(NEXT) | instid1(VALU_DEP_1)
	v_add_nc_u32_e32 v27, v29, v36
	v_add_nc_u32_e32 v25, v27, v38
	s_delay_alu instid0(VALU_DEP_1)
	v_add_nc_u32_e32 v23, v25, v40
	v_lshrrev_b64 v[21:22], 24, v[17:18]
	s_branch .LBB248_131
.LBB248_121:
                                        ; implicit-def: $vgpr23
                                        ; implicit-def: $vgpr25
                                        ; implicit-def: $vgpr27
                                        ; implicit-def: $vgpr29
                                        ; implicit-def: $vgpr31
                                        ; implicit-def: $vgpr33
                                        ; implicit-def: $vgpr35
                                        ; implicit-def: $vgpr37
                                        ; implicit-def: $vgpr20
	v_lshrrev_b64 v[21:22], 24, v[17:18]
	s_and_b32 vcc_lo, exec_lo, s8
	s_cbranch_vccz .LBB248_131
; %bb.122:
	s_waitcnt lgkmcnt(0)
	v_mov_b32_dpp v19, v43 row_shr:1 row_mask:0xf bank_mask:0xf
	s_delay_alu instid0(VALU_DEP_1) | instskip(NEXT) | instid1(VALU_DEP_1)
	v_cndmask_b32_e64 v19, v19, 0, s4
	v_add_nc_u32_e32 v19, v19, v43
	s_delay_alu instid0(VALU_DEP_1) | instskip(NEXT) | instid1(VALU_DEP_1)
	v_mov_b32_dpp v20, v19 row_shr:2 row_mask:0xf bank_mask:0xf
	v_cndmask_b32_e64 v20, 0, v20, s5
	s_delay_alu instid0(VALU_DEP_1) | instskip(NEXT) | instid1(VALU_DEP_1)
	v_add_nc_u32_e32 v19, v19, v20
	v_mov_b32_dpp v20, v19 row_shr:4 row_mask:0xf bank_mask:0xf
	s_delay_alu instid0(VALU_DEP_1) | instskip(NEXT) | instid1(VALU_DEP_1)
	v_cndmask_b32_e64 v20, 0, v20, s3
	v_add_nc_u32_e32 v19, v19, v20
	s_delay_alu instid0(VALU_DEP_1) | instskip(NEXT) | instid1(VALU_DEP_1)
	v_mov_b32_dpp v20, v19 row_shr:8 row_mask:0xf bank_mask:0xf
	v_cndmask_b32_e64 v20, 0, v20, s2
	s_delay_alu instid0(VALU_DEP_1) | instskip(SKIP_3) | instid1(VALU_DEP_1)
	v_add_nc_u32_e32 v19, v19, v20
	ds_swizzle_b32 v20, v19 offset:swizzle(BROADCAST,32,15)
	s_waitcnt lgkmcnt(0)
	v_cndmask_b32_e64 v20, v20, 0, s7
	v_add_nc_u32_e32 v19, v19, v20
	s_and_saveexec_b32 s7, s6
	s_cbranch_execz .LBB248_124
; %bb.123:
	v_lshlrev_b32_e32 v20, 2, v42
	ds_store_b32 v20, v19
.LBB248_124:
	s_or_b32 exec_lo, exec_lo, s7
	s_delay_alu instid0(SALU_CYCLE_1)
	s_mov_b32 s6, exec_lo
	s_waitcnt lgkmcnt(0)
	s_barrier
	buffer_gl0_inv
	v_cmpx_gt_u32_e32 12, v0
	s_cbranch_execz .LBB248_126
; %bb.125:
	v_lshlrev_b32_e32 v20, 2, v0
	ds_load_b32 v22, v20
	s_waitcnt lgkmcnt(0)
	v_mov_b32_dpp v23, v22 row_shr:1 row_mask:0xf bank_mask:0xf
	s_delay_alu instid0(VALU_DEP_1) | instskip(NEXT) | instid1(VALU_DEP_1)
	v_cndmask_b32_e64 v23, v23, 0, s4
	v_add_nc_u32_e32 v22, v23, v22
	s_delay_alu instid0(VALU_DEP_1) | instskip(NEXT) | instid1(VALU_DEP_1)
	v_mov_b32_dpp v23, v22 row_shr:2 row_mask:0xf bank_mask:0xf
	v_cndmask_b32_e64 v23, 0, v23, s5
	s_delay_alu instid0(VALU_DEP_1) | instskip(NEXT) | instid1(VALU_DEP_1)
	v_add_nc_u32_e32 v22, v22, v23
	v_mov_b32_dpp v23, v22 row_shr:4 row_mask:0xf bank_mask:0xf
	s_delay_alu instid0(VALU_DEP_1) | instskip(NEXT) | instid1(VALU_DEP_1)
	v_cndmask_b32_e64 v23, 0, v23, s3
	v_add_nc_u32_e32 v22, v22, v23
	s_delay_alu instid0(VALU_DEP_1) | instskip(NEXT) | instid1(VALU_DEP_1)
	v_mov_b32_dpp v23, v22 row_shr:8 row_mask:0xf bank_mask:0xf
	v_cndmask_b32_e64 v23, 0, v23, s2
	s_delay_alu instid0(VALU_DEP_1)
	v_add_nc_u32_e32 v22, v22, v23
	ds_store_b32 v20, v22
.LBB248_126:
	s_or_b32 exec_lo, exec_lo, s6
	v_mov_b32_e32 v20, 0
	v_mov_b32_e32 v22, 0
	s_mov_b32 s2, exec_lo
	s_waitcnt lgkmcnt(0)
	s_barrier
	buffer_gl0_inv
	v_cmpx_lt_u32_e32 31, v0
	s_cbranch_execz .LBB248_128
; %bb.127:
	v_lshl_add_u32 v22, v42, 2, -4
	ds_load_b32 v22, v22
.LBB248_128:
	s_or_b32 exec_lo, exec_lo, s2
	v_add_nc_u32_e32 v23, -1, v41
	s_waitcnt lgkmcnt(0)
	v_add_nc_u32_e32 v19, v22, v19
	s_delay_alu instid0(VALU_DEP_2) | instskip(SKIP_2) | instid1(VALU_DEP_2)
	v_cmp_gt_i32_e32 vcc_lo, 0, v23
	v_cndmask_b32_e32 v23, v23, v41, vcc_lo
	v_cmp_eq_u32_e32 vcc_lo, 0, v0
	v_lshlrev_b32_e32 v23, 2, v23
	ds_bpermute_b32 v23, v23, v19
	ds_load_b32 v19, v20 offset:44
	s_and_saveexec_b32 s2, vcc_lo
	s_cbranch_execz .LBB248_130
; %bb.129:
	v_mov_b32_e32 v24, 0
	v_mov_b32_e32 v20, 2
	s_waitcnt lgkmcnt(0)
	global_store_b64 v24, v[19:20], s[12:13] offset:256
.LBB248_130:
	s_or_b32 exec_lo, exec_lo, s2
	v_cmp_eq_u32_e64 s2, 0, v41
	s_waitcnt lgkmcnt(0)
	s_waitcnt_vscnt null, 0x0
	s_barrier
	buffer_gl0_inv
	v_cndmask_b32_e64 v20, v23, v22, s2
	s_delay_alu instid0(VALU_DEP_1) | instskip(NEXT) | instid1(VALU_DEP_1)
	v_cndmask_b32_e64 v37, v20, 0, vcc_lo
	v_dual_mov_b32 v20, 0 :: v_dual_add_nc_u32 v35, v37, v28
	s_delay_alu instid0(VALU_DEP_1) | instskip(NEXT) | instid1(VALU_DEP_1)
	v_add_nc_u32_e32 v33, v35, v30
	v_add_nc_u32_e32 v31, v33, v32
	s_delay_alu instid0(VALU_DEP_1) | instskip(NEXT) | instid1(VALU_DEP_1)
	v_add_nc_u32_e32 v29, v31, v34
	v_add_nc_u32_e32 v27, v29, v36
	;; [unrolled: 3-line block ×3, first 2 shown]
.LBB248_131:
	s_load_b128 s[4:7], s[0:1], 0x28
	s_waitcnt lgkmcnt(0)
	v_add_nc_u32_e32 v43, v20, v19
	v_cmp_gt_u32_e64 s0, 0x181, v19
	v_lshrrev_b32_e32 v42, 8, v17
	v_lshrrev_b32_e32 v41, 16, v17
	;; [unrolled: 1-line block ×4, first 2 shown]
	v_cmp_lt_u32_e64 s1, v37, v43
	s_and_b32 vcc_lo, exec_lo, s0
	s_mov_b32 s2, -1
	s_cbranch_vccz .LBB248_157
; %bb.132:
	s_lshl_b64 s[2:3], s[10:11], 2
	s_delay_alu instid0(SALU_CYCLE_1) | instskip(SKIP_2) | instid1(SALU_CYCLE_1)
	s_add_u32 s2, s4, s2
	s_addc_u32 s3, s5, s3
	s_or_b32 s8, s18, s1
	s_and_saveexec_b32 s1, s8
	s_cbranch_execz .LBB248_135
; %bb.133:
	v_and_b32_e32 v24, 1, v17
	s_delay_alu instid0(VALU_DEP_1)
	v_cmp_eq_u32_e32 vcc_lo, 1, v24
	s_and_b32 exec_lo, exec_lo, vcc_lo
	s_cbranch_execz .LBB248_135
; %bb.134:
	v_mov_b32_e32 v38, 0
	s_delay_alu instid0(VALU_DEP_1) | instskip(NEXT) | instid1(VALU_DEP_1)
	v_lshlrev_b64 v[44:45], 2, v[37:38]
	v_add_co_u32 v44, vcc_lo, s2, v44
	s_delay_alu instid0(VALU_DEP_2)
	v_add_co_ci_u32_e32 v45, vcc_lo, s3, v45, vcc_lo
	global_store_b32 v[44:45], v15, off
.LBB248_135:
	s_or_b32 exec_lo, exec_lo, s1
	v_cmp_lt_u32_e32 vcc_lo, v35, v43
	s_or_b32 s8, s18, vcc_lo
	s_delay_alu instid0(SALU_CYCLE_1)
	s_and_saveexec_b32 s1, s8
	s_cbranch_execz .LBB248_138
; %bb.136:
	v_and_b32_e32 v24, 1, v42
	s_delay_alu instid0(VALU_DEP_1)
	v_cmp_eq_u32_e32 vcc_lo, 1, v24
	s_and_b32 exec_lo, exec_lo, vcc_lo
	s_cbranch_execz .LBB248_138
; %bb.137:
	v_mov_b32_e32 v36, 0
	s_delay_alu instid0(VALU_DEP_1) | instskip(NEXT) | instid1(VALU_DEP_1)
	v_lshlrev_b64 v[44:45], 2, v[35:36]
	v_add_co_u32 v44, vcc_lo, s2, v44
	s_delay_alu instid0(VALU_DEP_2)
	v_add_co_ci_u32_e32 v45, vcc_lo, s3, v45, vcc_lo
	global_store_b32 v[44:45], v16, off
.LBB248_138:
	s_or_b32 exec_lo, exec_lo, s1
	v_cmp_lt_u32_e32 vcc_lo, v33, v43
	s_or_b32 s8, s18, vcc_lo
	s_delay_alu instid0(SALU_CYCLE_1)
	;; [unrolled: 21-line block ×7, first 2 shown]
	s_and_saveexec_b32 s1, s8
	s_cbranch_execz .LBB248_156
; %bb.154:
	v_and_b32_e32 v24, 1, v39
	s_delay_alu instid0(VALU_DEP_1)
	v_cmp_eq_u32_e32 vcc_lo, 1, v24
	s_and_b32 exec_lo, exec_lo, vcc_lo
	s_cbranch_execz .LBB248_156
; %bb.155:
	v_mov_b32_e32 v24, 0
	s_delay_alu instid0(VALU_DEP_1) | instskip(NEXT) | instid1(VALU_DEP_1)
	v_lshlrev_b64 v[44:45], 2, v[23:24]
	v_add_co_u32 v44, vcc_lo, s2, v44
	s_delay_alu instid0(VALU_DEP_2)
	v_add_co_ci_u32_e32 v45, vcc_lo, s3, v45, vcc_lo
	global_store_b32 v[44:45], v10, off
.LBB248_156:
	s_or_b32 exec_lo, exec_lo, s1
	s_mov_b32 s2, 0
.LBB248_157:
	v_and_b32_e32 v17, 1, v17
	s_and_b32 vcc_lo, exec_lo, s2
	s_delay_alu instid0(VALU_DEP_1)
	v_cmp_eq_u32_e64 s1, 1, v17
	s_cbranch_vccz .LBB248_178
; %bb.158:
	s_delay_alu instid0(VALU_DEP_1)
	s_and_saveexec_b32 s2, s1
	s_cbranch_execz .LBB248_160
; %bb.159:
	v_sub_nc_u32_e32 v24, v37, v20
	s_delay_alu instid0(VALU_DEP_1)
	v_lshlrev_b32_e32 v24, 2, v24
	ds_store_b32 v24, v15
.LBB248_160:
	s_or_b32 exec_lo, exec_lo, s2
	v_and_b32_e32 v15, 1, v42
	s_mov_b32 s1, exec_lo
	s_delay_alu instid0(VALU_DEP_1)
	v_cmpx_eq_u32_e32 1, v15
	s_cbranch_execz .LBB248_162
; %bb.161:
	v_sub_nc_u32_e32 v15, v35, v20
	s_delay_alu instid0(VALU_DEP_1)
	v_lshlrev_b32_e32 v15, 2, v15
	ds_store_b32 v15, v16
.LBB248_162:
	s_or_b32 exec_lo, exec_lo, s1
	v_and_b32_e32 v15, 1, v41
	s_mov_b32 s1, exec_lo
	s_delay_alu instid0(VALU_DEP_1)
	v_cmpx_eq_u32_e32 1, v15
	;; [unrolled: 12-line block ×7, first 2 shown]
	s_cbranch_execz .LBB248_174
; %bb.173:
	v_sub_nc_u32_e32 v9, v23, v20
	s_delay_alu instid0(VALU_DEP_1)
	v_lshlrev_b32_e32 v9, 2, v9
	ds_store_b32 v9, v10
.LBB248_174:
	s_or_b32 exec_lo, exec_lo, s1
	s_delay_alu instid0(SALU_CYCLE_1)
	s_mov_b32 s2, exec_lo
	s_waitcnt lgkmcnt(0)
	s_waitcnt_vscnt null, 0x0
	s_barrier
	buffer_gl0_inv
	v_cmpx_lt_u32_e64 v0, v19
	s_cbranch_execz .LBB248_177
; %bb.175:
	v_dual_mov_b32 v10, 0 :: v_dual_mov_b32 v9, v20
	s_lshl_b64 s[8:9], s[10:11], 2
	v_lshlrev_b32_e32 v11, 2, v0
	s_add_u32 s1, s4, s8
	s_addc_u32 s3, s5, s9
	v_lshlrev_b64 v[12:13], 2, v[9:10]
	v_mov_b32_e32 v9, v0
	s_delay_alu instid0(VALU_DEP_2) | instskip(NEXT) | instid1(VALU_DEP_3)
	v_add_co_u32 v12, vcc_lo, s1, v12
	v_add_co_ci_u32_e32 v13, vcc_lo, s3, v13, vcc_lo
	s_mov_b32 s3, 0
	.p2align	6
.LBB248_176:                            ; =>This Inner Loop Header: Depth=1
	ds_load_b32 v16, v11
	v_lshlrev_b64 v[14:15], 2, v[9:10]
	v_add_nc_u32_e32 v9, 0x180, v9
	v_add_nc_u32_e32 v11, 0x600, v11
	s_delay_alu instid0(VALU_DEP_2) | instskip(NEXT) | instid1(VALU_DEP_4)
	v_cmp_ge_u32_e32 vcc_lo, v9, v19
	v_add_co_u32 v14, s1, v12, v14
	s_delay_alu instid0(VALU_DEP_1)
	v_add_co_ci_u32_e64 v15, s1, v13, v15, s1
	s_or_b32 s3, vcc_lo, s3
	s_waitcnt lgkmcnt(0)
	global_store_b32 v[14:15], v16, off
	s_and_not1_b32 exec_lo, exec_lo, s3
	s_cbranch_execnz .LBB248_176
.LBB248_177:
	s_or_b32 exec_lo, exec_lo, s2
.LBB248_178:
	s_delay_alu instid0(SALU_CYCLE_1)
	s_and_b32 vcc_lo, exec_lo, s0
	s_mov_b32 s0, -1
	s_waitcnt_vscnt null, 0x0
	s_barrier
	buffer_gl0_inv
	s_cbranch_vccz .LBB248_206
; %bb.179:
	v_cmp_lt_u32_e32 vcc_lo, v37, v43
	s_lshl_b64 s[0:1], s[10:11], 2
	s_delay_alu instid0(SALU_CYCLE_1) | instskip(SKIP_2) | instid1(SALU_CYCLE_1)
	s_add_u32 s0, s6, s0
	s_addc_u32 s1, s7, s1
	s_or_b32 s3, s18, vcc_lo
	s_and_saveexec_b32 s2, s3
	s_cbranch_execz .LBB248_182
; %bb.180:
	v_cmp_eq_u32_e32 vcc_lo, 1, v17
	s_and_b32 exec_lo, exec_lo, vcc_lo
	s_cbranch_execz .LBB248_182
; %bb.181:
	v_mov_b32_e32 v38, 0
	s_delay_alu instid0(VALU_DEP_1) | instskip(NEXT) | instid1(VALU_DEP_1)
	v_lshlrev_b64 v[9:10], 2, v[37:38]
	v_add_co_u32 v9, vcc_lo, s0, v9
	s_delay_alu instid0(VALU_DEP_2)
	v_add_co_ci_u32_e32 v10, vcc_lo, s1, v10, vcc_lo
	global_store_b32 v[9:10], v7, off
.LBB248_182:
	s_or_b32 exec_lo, exec_lo, s2
	v_cmp_lt_u32_e32 vcc_lo, v35, v43
	s_or_b32 s3, s18, vcc_lo
	s_delay_alu instid0(SALU_CYCLE_1)
	s_and_saveexec_b32 s2, s3
	s_cbranch_execz .LBB248_185
; %bb.183:
	v_and_b32_e32 v9, 1, v42
	s_delay_alu instid0(VALU_DEP_1)
	v_cmp_eq_u32_e32 vcc_lo, 1, v9
	s_and_b32 exec_lo, exec_lo, vcc_lo
	s_cbranch_execz .LBB248_185
; %bb.184:
	v_mov_b32_e32 v36, 0
	s_delay_alu instid0(VALU_DEP_1) | instskip(NEXT) | instid1(VALU_DEP_1)
	v_lshlrev_b64 v[9:10], 2, v[35:36]
	v_add_co_u32 v9, vcc_lo, s0, v9
	s_delay_alu instid0(VALU_DEP_2)
	v_add_co_ci_u32_e32 v10, vcc_lo, s1, v10, vcc_lo
	global_store_b32 v[9:10], v8, off
.LBB248_185:
	s_or_b32 exec_lo, exec_lo, s2
	v_cmp_lt_u32_e32 vcc_lo, v33, v43
	s_or_b32 s3, s18, vcc_lo
	s_delay_alu instid0(SALU_CYCLE_1)
	s_and_saveexec_b32 s2, s3
	s_cbranch_execz .LBB248_188
; %bb.186:
	v_and_b32_e32 v9, 1, v41
	s_delay_alu instid0(VALU_DEP_1)
	v_cmp_eq_u32_e32 vcc_lo, 1, v9
	s_and_b32 exec_lo, exec_lo, vcc_lo
	s_cbranch_execz .LBB248_188
; %bb.187:
	v_mov_b32_e32 v34, 0
	s_delay_alu instid0(VALU_DEP_1) | instskip(NEXT) | instid1(VALU_DEP_1)
	v_lshlrev_b64 v[9:10], 2, v[33:34]
	v_add_co_u32 v9, vcc_lo, s0, v9
	s_delay_alu instid0(VALU_DEP_2)
	v_add_co_ci_u32_e32 v10, vcc_lo, s1, v10, vcc_lo
	global_store_b32 v[9:10], v5, off
.LBB248_188:
	;; [unrolled: 21-line block ×7, first 2 shown]
	s_or_b32 exec_lo, exec_lo, s2
.LBB248_204:
	v_cmp_eq_u32_e32 vcc_lo, 0, v0
	s_and_b32 s0, vcc_lo, s14
	s_delay_alu instid0(SALU_CYCLE_1)
	s_and_saveexec_b32 s1, s0
	s_cbranch_execz .LBB248_227
.LBB248_205:
	v_add_co_u32 v0, s0, s10, v19
	s_delay_alu instid0(VALU_DEP_1) | instskip(SKIP_1) | instid1(VALU_DEP_3)
	v_add_co_ci_u32_e64 v1, null, s11, 0, s0
	v_mov_b32_e32 v2, 0
	v_add_co_u32 v0, vcc_lo, v0, v20
	s_delay_alu instid0(VALU_DEP_3)
	v_add_co_ci_u32_e32 v1, vcc_lo, 0, v1, vcc_lo
	global_store_b64 v2, v[0:1], s[16:17]
	s_nop 0
	s_sendmsg sendmsg(MSG_DEALLOC_VGPRS)
	s_endpgm
.LBB248_206:
	s_and_b32 vcc_lo, exec_lo, s0
	s_cbranch_vccz .LBB248_204
; %bb.207:
	s_mov_b32 s0, exec_lo
	v_cmpx_eq_u32_e32 1, v17
	s_cbranch_execz .LBB248_209
; %bb.208:
	v_sub_nc_u32_e32 v9, v37, v20
	s_delay_alu instid0(VALU_DEP_1)
	v_lshlrev_b32_e32 v9, 2, v9
	ds_store_b32 v9, v7
.LBB248_209:
	s_or_b32 exec_lo, exec_lo, s0
	v_and_b32_e32 v7, 1, v42
	s_mov_b32 s0, exec_lo
	s_delay_alu instid0(VALU_DEP_1)
	v_cmpx_eq_u32_e32 1, v7
	s_cbranch_execz .LBB248_211
; %bb.210:
	v_sub_nc_u32_e32 v7, v35, v20
	s_delay_alu instid0(VALU_DEP_1)
	v_lshlrev_b32_e32 v7, 2, v7
	ds_store_b32 v7, v8
.LBB248_211:
	s_or_b32 exec_lo, exec_lo, s0
	v_and_b32_e32 v7, 1, v41
	s_mov_b32 s0, exec_lo
	s_delay_alu instid0(VALU_DEP_1)
	;; [unrolled: 12-line block ×7, first 2 shown]
	v_cmpx_eq_u32_e32 1, v1
	s_cbranch_execz .LBB248_223
; %bb.222:
	v_sub_nc_u32_e32 v1, v23, v20
	s_delay_alu instid0(VALU_DEP_1)
	v_lshlrev_b32_e32 v1, 2, v1
	ds_store_b32 v1, v2
.LBB248_223:
	s_or_b32 exec_lo, exec_lo, s0
	s_delay_alu instid0(SALU_CYCLE_1)
	s_mov_b32 s1, exec_lo
	s_waitcnt lgkmcnt(0)
	s_waitcnt_vscnt null, 0x0
	s_barrier
	buffer_gl0_inv
	v_cmpx_lt_u32_e64 v0, v19
	s_cbranch_execz .LBB248_226
; %bb.224:
	v_dual_mov_b32 v2, 0 :: v_dual_mov_b32 v1, v20
	s_lshl_b64 s[2:3], s[10:11], 2
	v_lshlrev_b32_e32 v3, 2, v0
	s_add_u32 s0, s6, s2
	s_addc_u32 s2, s7, s3
	v_lshlrev_b64 v[4:5], 2, v[1:2]
	v_mov_b32_e32 v1, v0
	s_delay_alu instid0(VALU_DEP_2) | instskip(NEXT) | instid1(VALU_DEP_3)
	v_add_co_u32 v4, vcc_lo, s0, v4
	v_add_co_ci_u32_e32 v5, vcc_lo, s2, v5, vcc_lo
	s_mov_b32 s2, 0
	.p2align	6
.LBB248_225:                            ; =>This Inner Loop Header: Depth=1
	ds_load_b32 v8, v3
	v_lshlrev_b64 v[6:7], 2, v[1:2]
	v_add_nc_u32_e32 v1, 0x180, v1
	v_add_nc_u32_e32 v3, 0x600, v3
	s_delay_alu instid0(VALU_DEP_2) | instskip(NEXT) | instid1(VALU_DEP_4)
	v_cmp_ge_u32_e32 vcc_lo, v1, v19
	v_add_co_u32 v6, s0, v4, v6
	s_delay_alu instid0(VALU_DEP_1)
	v_add_co_ci_u32_e64 v7, s0, v5, v7, s0
	s_or_b32 s2, vcc_lo, s2
	s_waitcnt lgkmcnt(0)
	global_store_b32 v[6:7], v8, off
	s_and_not1_b32 exec_lo, exec_lo, s2
	s_cbranch_execnz .LBB248_225
.LBB248_226:
	s_or_b32 exec_lo, exec_lo, s1
	v_cmp_eq_u32_e32 vcc_lo, 0, v0
	s_and_b32 s0, vcc_lo, s14
	s_delay_alu instid0(SALU_CYCLE_1)
	s_and_saveexec_b32 s1, s0
	s_cbranch_execnz .LBB248_205
.LBB248_227:
	s_nop 0
	s_sendmsg sendmsg(MSG_DEALLOC_VGPRS)
	s_endpgm
	.section	.rodata,"a",@progbits
	.p2align	6, 0x0
	.amdhsa_kernel _ZN7rocprim17ROCPRIM_400000_NS6detail17trampoline_kernelINS0_14default_configENS1_25partition_config_selectorILNS1_17partition_subalgoE9EjjbEEZZNS1_14partition_implILS5_9ELb0ES3_jN6thrust23THRUST_200600_302600_NS6detail15normal_iteratorINS9_10device_ptrIjEEEESE_PNS0_10empty_typeENS0_5tupleIJSE_SF_EEENSH_IJSE_SG_EEENS0_18inequality_wrapperI22is_equal_div_10_uniqueIjEEEPmJSF_EEE10hipError_tPvRmT3_T4_T5_T6_T7_T9_mT8_P12ihipStream_tbDpT10_ENKUlT_T0_E_clISt17integral_constantIbLb0EES18_EEDaS13_S14_EUlS13_E_NS1_11comp_targetILNS1_3genE9ELNS1_11target_archE1100ELNS1_3gpuE3ELNS1_3repE0EEENS1_30default_config_static_selectorELNS0_4arch9wavefront6targetE0EEEvT1_
		.amdhsa_group_segment_fixed_size 12680
		.amdhsa_private_segment_fixed_size 0
		.amdhsa_kernarg_size 112
		.amdhsa_user_sgpr_count 15
		.amdhsa_user_sgpr_dispatch_ptr 0
		.amdhsa_user_sgpr_queue_ptr 0
		.amdhsa_user_sgpr_kernarg_segment_ptr 1
		.amdhsa_user_sgpr_dispatch_id 0
		.amdhsa_user_sgpr_private_segment_size 0
		.amdhsa_wavefront_size32 1
		.amdhsa_uses_dynamic_stack 0
		.amdhsa_enable_private_segment 0
		.amdhsa_system_sgpr_workgroup_id_x 1
		.amdhsa_system_sgpr_workgroup_id_y 0
		.amdhsa_system_sgpr_workgroup_id_z 0
		.amdhsa_system_sgpr_workgroup_info 0
		.amdhsa_system_vgpr_workitem_id 0
		.amdhsa_next_free_vgpr 51
		.amdhsa_next_free_sgpr 25
		.amdhsa_reserve_vcc 1
		.amdhsa_float_round_mode_32 0
		.amdhsa_float_round_mode_16_64 0
		.amdhsa_float_denorm_mode_32 3
		.amdhsa_float_denorm_mode_16_64 3
		.amdhsa_dx10_clamp 1
		.amdhsa_ieee_mode 1
		.amdhsa_fp16_overflow 0
		.amdhsa_workgroup_processor_mode 1
		.amdhsa_memory_ordered 1
		.amdhsa_forward_progress 0
		.amdhsa_shared_vgpr_count 0
		.amdhsa_exception_fp_ieee_invalid_op 0
		.amdhsa_exception_fp_denorm_src 0
		.amdhsa_exception_fp_ieee_div_zero 0
		.amdhsa_exception_fp_ieee_overflow 0
		.amdhsa_exception_fp_ieee_underflow 0
		.amdhsa_exception_fp_ieee_inexact 0
		.amdhsa_exception_int_div_zero 0
	.end_amdhsa_kernel
	.section	.text._ZN7rocprim17ROCPRIM_400000_NS6detail17trampoline_kernelINS0_14default_configENS1_25partition_config_selectorILNS1_17partition_subalgoE9EjjbEEZZNS1_14partition_implILS5_9ELb0ES3_jN6thrust23THRUST_200600_302600_NS6detail15normal_iteratorINS9_10device_ptrIjEEEESE_PNS0_10empty_typeENS0_5tupleIJSE_SF_EEENSH_IJSE_SG_EEENS0_18inequality_wrapperI22is_equal_div_10_uniqueIjEEEPmJSF_EEE10hipError_tPvRmT3_T4_T5_T6_T7_T9_mT8_P12ihipStream_tbDpT10_ENKUlT_T0_E_clISt17integral_constantIbLb0EES18_EEDaS13_S14_EUlS13_E_NS1_11comp_targetILNS1_3genE9ELNS1_11target_archE1100ELNS1_3gpuE3ELNS1_3repE0EEENS1_30default_config_static_selectorELNS0_4arch9wavefront6targetE0EEEvT1_,"axG",@progbits,_ZN7rocprim17ROCPRIM_400000_NS6detail17trampoline_kernelINS0_14default_configENS1_25partition_config_selectorILNS1_17partition_subalgoE9EjjbEEZZNS1_14partition_implILS5_9ELb0ES3_jN6thrust23THRUST_200600_302600_NS6detail15normal_iteratorINS9_10device_ptrIjEEEESE_PNS0_10empty_typeENS0_5tupleIJSE_SF_EEENSH_IJSE_SG_EEENS0_18inequality_wrapperI22is_equal_div_10_uniqueIjEEEPmJSF_EEE10hipError_tPvRmT3_T4_T5_T6_T7_T9_mT8_P12ihipStream_tbDpT10_ENKUlT_T0_E_clISt17integral_constantIbLb0EES18_EEDaS13_S14_EUlS13_E_NS1_11comp_targetILNS1_3genE9ELNS1_11target_archE1100ELNS1_3gpuE3ELNS1_3repE0EEENS1_30default_config_static_selectorELNS0_4arch9wavefront6targetE0EEEvT1_,comdat
.Lfunc_end248:
	.size	_ZN7rocprim17ROCPRIM_400000_NS6detail17trampoline_kernelINS0_14default_configENS1_25partition_config_selectorILNS1_17partition_subalgoE9EjjbEEZZNS1_14partition_implILS5_9ELb0ES3_jN6thrust23THRUST_200600_302600_NS6detail15normal_iteratorINS9_10device_ptrIjEEEESE_PNS0_10empty_typeENS0_5tupleIJSE_SF_EEENSH_IJSE_SG_EEENS0_18inequality_wrapperI22is_equal_div_10_uniqueIjEEEPmJSF_EEE10hipError_tPvRmT3_T4_T5_T6_T7_T9_mT8_P12ihipStream_tbDpT10_ENKUlT_T0_E_clISt17integral_constantIbLb0EES18_EEDaS13_S14_EUlS13_E_NS1_11comp_targetILNS1_3genE9ELNS1_11target_archE1100ELNS1_3gpuE3ELNS1_3repE0EEENS1_30default_config_static_selectorELNS0_4arch9wavefront6targetE0EEEvT1_, .Lfunc_end248-_ZN7rocprim17ROCPRIM_400000_NS6detail17trampoline_kernelINS0_14default_configENS1_25partition_config_selectorILNS1_17partition_subalgoE9EjjbEEZZNS1_14partition_implILS5_9ELb0ES3_jN6thrust23THRUST_200600_302600_NS6detail15normal_iteratorINS9_10device_ptrIjEEEESE_PNS0_10empty_typeENS0_5tupleIJSE_SF_EEENSH_IJSE_SG_EEENS0_18inequality_wrapperI22is_equal_div_10_uniqueIjEEEPmJSF_EEE10hipError_tPvRmT3_T4_T5_T6_T7_T9_mT8_P12ihipStream_tbDpT10_ENKUlT_T0_E_clISt17integral_constantIbLb0EES18_EEDaS13_S14_EUlS13_E_NS1_11comp_targetILNS1_3genE9ELNS1_11target_archE1100ELNS1_3gpuE3ELNS1_3repE0EEENS1_30default_config_static_selectorELNS0_4arch9wavefront6targetE0EEEvT1_
                                        ; -- End function
	.section	.AMDGPU.csdata,"",@progbits
; Kernel info:
; codeLenInByte = 10644
; NumSgprs: 27
; NumVgprs: 51
; ScratchSize: 0
; MemoryBound: 0
; FloatMode: 240
; IeeeMode: 1
; LDSByteSize: 12680 bytes/workgroup (compile time only)
; SGPRBlocks: 3
; VGPRBlocks: 6
; NumSGPRsForWavesPerEU: 27
; NumVGPRsForWavesPerEU: 51
; Occupancy: 15
; WaveLimiterHint : 1
; COMPUTE_PGM_RSRC2:SCRATCH_EN: 0
; COMPUTE_PGM_RSRC2:USER_SGPR: 15
; COMPUTE_PGM_RSRC2:TRAP_HANDLER: 0
; COMPUTE_PGM_RSRC2:TGID_X_EN: 1
; COMPUTE_PGM_RSRC2:TGID_Y_EN: 0
; COMPUTE_PGM_RSRC2:TGID_Z_EN: 0
; COMPUTE_PGM_RSRC2:TIDIG_COMP_CNT: 0
	.section	.text._ZN7rocprim17ROCPRIM_400000_NS6detail17trampoline_kernelINS0_14default_configENS1_25partition_config_selectorILNS1_17partition_subalgoE9EjjbEEZZNS1_14partition_implILS5_9ELb0ES3_jN6thrust23THRUST_200600_302600_NS6detail15normal_iteratorINS9_10device_ptrIjEEEESE_PNS0_10empty_typeENS0_5tupleIJSE_SF_EEENSH_IJSE_SG_EEENS0_18inequality_wrapperI22is_equal_div_10_uniqueIjEEEPmJSF_EEE10hipError_tPvRmT3_T4_T5_T6_T7_T9_mT8_P12ihipStream_tbDpT10_ENKUlT_T0_E_clISt17integral_constantIbLb0EES18_EEDaS13_S14_EUlS13_E_NS1_11comp_targetILNS1_3genE8ELNS1_11target_archE1030ELNS1_3gpuE2ELNS1_3repE0EEENS1_30default_config_static_selectorELNS0_4arch9wavefront6targetE0EEEvT1_,"axG",@progbits,_ZN7rocprim17ROCPRIM_400000_NS6detail17trampoline_kernelINS0_14default_configENS1_25partition_config_selectorILNS1_17partition_subalgoE9EjjbEEZZNS1_14partition_implILS5_9ELb0ES3_jN6thrust23THRUST_200600_302600_NS6detail15normal_iteratorINS9_10device_ptrIjEEEESE_PNS0_10empty_typeENS0_5tupleIJSE_SF_EEENSH_IJSE_SG_EEENS0_18inequality_wrapperI22is_equal_div_10_uniqueIjEEEPmJSF_EEE10hipError_tPvRmT3_T4_T5_T6_T7_T9_mT8_P12ihipStream_tbDpT10_ENKUlT_T0_E_clISt17integral_constantIbLb0EES18_EEDaS13_S14_EUlS13_E_NS1_11comp_targetILNS1_3genE8ELNS1_11target_archE1030ELNS1_3gpuE2ELNS1_3repE0EEENS1_30default_config_static_selectorELNS0_4arch9wavefront6targetE0EEEvT1_,comdat
	.protected	_ZN7rocprim17ROCPRIM_400000_NS6detail17trampoline_kernelINS0_14default_configENS1_25partition_config_selectorILNS1_17partition_subalgoE9EjjbEEZZNS1_14partition_implILS5_9ELb0ES3_jN6thrust23THRUST_200600_302600_NS6detail15normal_iteratorINS9_10device_ptrIjEEEESE_PNS0_10empty_typeENS0_5tupleIJSE_SF_EEENSH_IJSE_SG_EEENS0_18inequality_wrapperI22is_equal_div_10_uniqueIjEEEPmJSF_EEE10hipError_tPvRmT3_T4_T5_T6_T7_T9_mT8_P12ihipStream_tbDpT10_ENKUlT_T0_E_clISt17integral_constantIbLb0EES18_EEDaS13_S14_EUlS13_E_NS1_11comp_targetILNS1_3genE8ELNS1_11target_archE1030ELNS1_3gpuE2ELNS1_3repE0EEENS1_30default_config_static_selectorELNS0_4arch9wavefront6targetE0EEEvT1_ ; -- Begin function _ZN7rocprim17ROCPRIM_400000_NS6detail17trampoline_kernelINS0_14default_configENS1_25partition_config_selectorILNS1_17partition_subalgoE9EjjbEEZZNS1_14partition_implILS5_9ELb0ES3_jN6thrust23THRUST_200600_302600_NS6detail15normal_iteratorINS9_10device_ptrIjEEEESE_PNS0_10empty_typeENS0_5tupleIJSE_SF_EEENSH_IJSE_SG_EEENS0_18inequality_wrapperI22is_equal_div_10_uniqueIjEEEPmJSF_EEE10hipError_tPvRmT3_T4_T5_T6_T7_T9_mT8_P12ihipStream_tbDpT10_ENKUlT_T0_E_clISt17integral_constantIbLb0EES18_EEDaS13_S14_EUlS13_E_NS1_11comp_targetILNS1_3genE8ELNS1_11target_archE1030ELNS1_3gpuE2ELNS1_3repE0EEENS1_30default_config_static_selectorELNS0_4arch9wavefront6targetE0EEEvT1_
	.globl	_ZN7rocprim17ROCPRIM_400000_NS6detail17trampoline_kernelINS0_14default_configENS1_25partition_config_selectorILNS1_17partition_subalgoE9EjjbEEZZNS1_14partition_implILS5_9ELb0ES3_jN6thrust23THRUST_200600_302600_NS6detail15normal_iteratorINS9_10device_ptrIjEEEESE_PNS0_10empty_typeENS0_5tupleIJSE_SF_EEENSH_IJSE_SG_EEENS0_18inequality_wrapperI22is_equal_div_10_uniqueIjEEEPmJSF_EEE10hipError_tPvRmT3_T4_T5_T6_T7_T9_mT8_P12ihipStream_tbDpT10_ENKUlT_T0_E_clISt17integral_constantIbLb0EES18_EEDaS13_S14_EUlS13_E_NS1_11comp_targetILNS1_3genE8ELNS1_11target_archE1030ELNS1_3gpuE2ELNS1_3repE0EEENS1_30default_config_static_selectorELNS0_4arch9wavefront6targetE0EEEvT1_
	.p2align	8
	.type	_ZN7rocprim17ROCPRIM_400000_NS6detail17trampoline_kernelINS0_14default_configENS1_25partition_config_selectorILNS1_17partition_subalgoE9EjjbEEZZNS1_14partition_implILS5_9ELb0ES3_jN6thrust23THRUST_200600_302600_NS6detail15normal_iteratorINS9_10device_ptrIjEEEESE_PNS0_10empty_typeENS0_5tupleIJSE_SF_EEENSH_IJSE_SG_EEENS0_18inequality_wrapperI22is_equal_div_10_uniqueIjEEEPmJSF_EEE10hipError_tPvRmT3_T4_T5_T6_T7_T9_mT8_P12ihipStream_tbDpT10_ENKUlT_T0_E_clISt17integral_constantIbLb0EES18_EEDaS13_S14_EUlS13_E_NS1_11comp_targetILNS1_3genE8ELNS1_11target_archE1030ELNS1_3gpuE2ELNS1_3repE0EEENS1_30default_config_static_selectorELNS0_4arch9wavefront6targetE0EEEvT1_,@function
_ZN7rocprim17ROCPRIM_400000_NS6detail17trampoline_kernelINS0_14default_configENS1_25partition_config_selectorILNS1_17partition_subalgoE9EjjbEEZZNS1_14partition_implILS5_9ELb0ES3_jN6thrust23THRUST_200600_302600_NS6detail15normal_iteratorINS9_10device_ptrIjEEEESE_PNS0_10empty_typeENS0_5tupleIJSE_SF_EEENSH_IJSE_SG_EEENS0_18inequality_wrapperI22is_equal_div_10_uniqueIjEEEPmJSF_EEE10hipError_tPvRmT3_T4_T5_T6_T7_T9_mT8_P12ihipStream_tbDpT10_ENKUlT_T0_E_clISt17integral_constantIbLb0EES18_EEDaS13_S14_EUlS13_E_NS1_11comp_targetILNS1_3genE8ELNS1_11target_archE1030ELNS1_3gpuE2ELNS1_3repE0EEENS1_30default_config_static_selectorELNS0_4arch9wavefront6targetE0EEEvT1_: ; @_ZN7rocprim17ROCPRIM_400000_NS6detail17trampoline_kernelINS0_14default_configENS1_25partition_config_selectorILNS1_17partition_subalgoE9EjjbEEZZNS1_14partition_implILS5_9ELb0ES3_jN6thrust23THRUST_200600_302600_NS6detail15normal_iteratorINS9_10device_ptrIjEEEESE_PNS0_10empty_typeENS0_5tupleIJSE_SF_EEENSH_IJSE_SG_EEENS0_18inequality_wrapperI22is_equal_div_10_uniqueIjEEEPmJSF_EEE10hipError_tPvRmT3_T4_T5_T6_T7_T9_mT8_P12ihipStream_tbDpT10_ENKUlT_T0_E_clISt17integral_constantIbLb0EES18_EEDaS13_S14_EUlS13_E_NS1_11comp_targetILNS1_3genE8ELNS1_11target_archE1030ELNS1_3gpuE2ELNS1_3repE0EEENS1_30default_config_static_selectorELNS0_4arch9wavefront6targetE0EEEvT1_
; %bb.0:
	.section	.rodata,"a",@progbits
	.p2align	6, 0x0
	.amdhsa_kernel _ZN7rocprim17ROCPRIM_400000_NS6detail17trampoline_kernelINS0_14default_configENS1_25partition_config_selectorILNS1_17partition_subalgoE9EjjbEEZZNS1_14partition_implILS5_9ELb0ES3_jN6thrust23THRUST_200600_302600_NS6detail15normal_iteratorINS9_10device_ptrIjEEEESE_PNS0_10empty_typeENS0_5tupleIJSE_SF_EEENSH_IJSE_SG_EEENS0_18inequality_wrapperI22is_equal_div_10_uniqueIjEEEPmJSF_EEE10hipError_tPvRmT3_T4_T5_T6_T7_T9_mT8_P12ihipStream_tbDpT10_ENKUlT_T0_E_clISt17integral_constantIbLb0EES18_EEDaS13_S14_EUlS13_E_NS1_11comp_targetILNS1_3genE8ELNS1_11target_archE1030ELNS1_3gpuE2ELNS1_3repE0EEENS1_30default_config_static_selectorELNS0_4arch9wavefront6targetE0EEEvT1_
		.amdhsa_group_segment_fixed_size 0
		.amdhsa_private_segment_fixed_size 0
		.amdhsa_kernarg_size 112
		.amdhsa_user_sgpr_count 15
		.amdhsa_user_sgpr_dispatch_ptr 0
		.amdhsa_user_sgpr_queue_ptr 0
		.amdhsa_user_sgpr_kernarg_segment_ptr 1
		.amdhsa_user_sgpr_dispatch_id 0
		.amdhsa_user_sgpr_private_segment_size 0
		.amdhsa_wavefront_size32 1
		.amdhsa_uses_dynamic_stack 0
		.amdhsa_enable_private_segment 0
		.amdhsa_system_sgpr_workgroup_id_x 1
		.amdhsa_system_sgpr_workgroup_id_y 0
		.amdhsa_system_sgpr_workgroup_id_z 0
		.amdhsa_system_sgpr_workgroup_info 0
		.amdhsa_system_vgpr_workitem_id 0
		.amdhsa_next_free_vgpr 1
		.amdhsa_next_free_sgpr 1
		.amdhsa_reserve_vcc 0
		.amdhsa_float_round_mode_32 0
		.amdhsa_float_round_mode_16_64 0
		.amdhsa_float_denorm_mode_32 3
		.amdhsa_float_denorm_mode_16_64 3
		.amdhsa_dx10_clamp 1
		.amdhsa_ieee_mode 1
		.amdhsa_fp16_overflow 0
		.amdhsa_workgroup_processor_mode 1
		.amdhsa_memory_ordered 1
		.amdhsa_forward_progress 0
		.amdhsa_shared_vgpr_count 0
		.amdhsa_exception_fp_ieee_invalid_op 0
		.amdhsa_exception_fp_denorm_src 0
		.amdhsa_exception_fp_ieee_div_zero 0
		.amdhsa_exception_fp_ieee_overflow 0
		.amdhsa_exception_fp_ieee_underflow 0
		.amdhsa_exception_fp_ieee_inexact 0
		.amdhsa_exception_int_div_zero 0
	.end_amdhsa_kernel
	.section	.text._ZN7rocprim17ROCPRIM_400000_NS6detail17trampoline_kernelINS0_14default_configENS1_25partition_config_selectorILNS1_17partition_subalgoE9EjjbEEZZNS1_14partition_implILS5_9ELb0ES3_jN6thrust23THRUST_200600_302600_NS6detail15normal_iteratorINS9_10device_ptrIjEEEESE_PNS0_10empty_typeENS0_5tupleIJSE_SF_EEENSH_IJSE_SG_EEENS0_18inequality_wrapperI22is_equal_div_10_uniqueIjEEEPmJSF_EEE10hipError_tPvRmT3_T4_T5_T6_T7_T9_mT8_P12ihipStream_tbDpT10_ENKUlT_T0_E_clISt17integral_constantIbLb0EES18_EEDaS13_S14_EUlS13_E_NS1_11comp_targetILNS1_3genE8ELNS1_11target_archE1030ELNS1_3gpuE2ELNS1_3repE0EEENS1_30default_config_static_selectorELNS0_4arch9wavefront6targetE0EEEvT1_,"axG",@progbits,_ZN7rocprim17ROCPRIM_400000_NS6detail17trampoline_kernelINS0_14default_configENS1_25partition_config_selectorILNS1_17partition_subalgoE9EjjbEEZZNS1_14partition_implILS5_9ELb0ES3_jN6thrust23THRUST_200600_302600_NS6detail15normal_iteratorINS9_10device_ptrIjEEEESE_PNS0_10empty_typeENS0_5tupleIJSE_SF_EEENSH_IJSE_SG_EEENS0_18inequality_wrapperI22is_equal_div_10_uniqueIjEEEPmJSF_EEE10hipError_tPvRmT3_T4_T5_T6_T7_T9_mT8_P12ihipStream_tbDpT10_ENKUlT_T0_E_clISt17integral_constantIbLb0EES18_EEDaS13_S14_EUlS13_E_NS1_11comp_targetILNS1_3genE8ELNS1_11target_archE1030ELNS1_3gpuE2ELNS1_3repE0EEENS1_30default_config_static_selectorELNS0_4arch9wavefront6targetE0EEEvT1_,comdat
.Lfunc_end249:
	.size	_ZN7rocprim17ROCPRIM_400000_NS6detail17trampoline_kernelINS0_14default_configENS1_25partition_config_selectorILNS1_17partition_subalgoE9EjjbEEZZNS1_14partition_implILS5_9ELb0ES3_jN6thrust23THRUST_200600_302600_NS6detail15normal_iteratorINS9_10device_ptrIjEEEESE_PNS0_10empty_typeENS0_5tupleIJSE_SF_EEENSH_IJSE_SG_EEENS0_18inequality_wrapperI22is_equal_div_10_uniqueIjEEEPmJSF_EEE10hipError_tPvRmT3_T4_T5_T6_T7_T9_mT8_P12ihipStream_tbDpT10_ENKUlT_T0_E_clISt17integral_constantIbLb0EES18_EEDaS13_S14_EUlS13_E_NS1_11comp_targetILNS1_3genE8ELNS1_11target_archE1030ELNS1_3gpuE2ELNS1_3repE0EEENS1_30default_config_static_selectorELNS0_4arch9wavefront6targetE0EEEvT1_, .Lfunc_end249-_ZN7rocprim17ROCPRIM_400000_NS6detail17trampoline_kernelINS0_14default_configENS1_25partition_config_selectorILNS1_17partition_subalgoE9EjjbEEZZNS1_14partition_implILS5_9ELb0ES3_jN6thrust23THRUST_200600_302600_NS6detail15normal_iteratorINS9_10device_ptrIjEEEESE_PNS0_10empty_typeENS0_5tupleIJSE_SF_EEENSH_IJSE_SG_EEENS0_18inequality_wrapperI22is_equal_div_10_uniqueIjEEEPmJSF_EEE10hipError_tPvRmT3_T4_T5_T6_T7_T9_mT8_P12ihipStream_tbDpT10_ENKUlT_T0_E_clISt17integral_constantIbLb0EES18_EEDaS13_S14_EUlS13_E_NS1_11comp_targetILNS1_3genE8ELNS1_11target_archE1030ELNS1_3gpuE2ELNS1_3repE0EEENS1_30default_config_static_selectorELNS0_4arch9wavefront6targetE0EEEvT1_
                                        ; -- End function
	.section	.AMDGPU.csdata,"",@progbits
; Kernel info:
; codeLenInByte = 0
; NumSgprs: 0
; NumVgprs: 0
; ScratchSize: 0
; MemoryBound: 0
; FloatMode: 240
; IeeeMode: 1
; LDSByteSize: 0 bytes/workgroup (compile time only)
; SGPRBlocks: 0
; VGPRBlocks: 0
; NumSGPRsForWavesPerEU: 1
; NumVGPRsForWavesPerEU: 1
; Occupancy: 16
; WaveLimiterHint : 0
; COMPUTE_PGM_RSRC2:SCRATCH_EN: 0
; COMPUTE_PGM_RSRC2:USER_SGPR: 15
; COMPUTE_PGM_RSRC2:TRAP_HANDLER: 0
; COMPUTE_PGM_RSRC2:TGID_X_EN: 1
; COMPUTE_PGM_RSRC2:TGID_Y_EN: 0
; COMPUTE_PGM_RSRC2:TGID_Z_EN: 0
; COMPUTE_PGM_RSRC2:TIDIG_COMP_CNT: 0
	.section	.text._ZN7rocprim17ROCPRIM_400000_NS6detail17trampoline_kernelINS0_14default_configENS1_25partition_config_selectorILNS1_17partition_subalgoE9EjjbEEZZNS1_14partition_implILS5_9ELb0ES3_jN6thrust23THRUST_200600_302600_NS6detail15normal_iteratorINS9_10device_ptrIjEEEESE_PNS0_10empty_typeENS0_5tupleIJSE_SF_EEENSH_IJSE_SG_EEENS0_18inequality_wrapperI22is_equal_div_10_uniqueIjEEEPmJSF_EEE10hipError_tPvRmT3_T4_T5_T6_T7_T9_mT8_P12ihipStream_tbDpT10_ENKUlT_T0_E_clISt17integral_constantIbLb1EES18_EEDaS13_S14_EUlS13_E_NS1_11comp_targetILNS1_3genE0ELNS1_11target_archE4294967295ELNS1_3gpuE0ELNS1_3repE0EEENS1_30default_config_static_selectorELNS0_4arch9wavefront6targetE0EEEvT1_,"axG",@progbits,_ZN7rocprim17ROCPRIM_400000_NS6detail17trampoline_kernelINS0_14default_configENS1_25partition_config_selectorILNS1_17partition_subalgoE9EjjbEEZZNS1_14partition_implILS5_9ELb0ES3_jN6thrust23THRUST_200600_302600_NS6detail15normal_iteratorINS9_10device_ptrIjEEEESE_PNS0_10empty_typeENS0_5tupleIJSE_SF_EEENSH_IJSE_SG_EEENS0_18inequality_wrapperI22is_equal_div_10_uniqueIjEEEPmJSF_EEE10hipError_tPvRmT3_T4_T5_T6_T7_T9_mT8_P12ihipStream_tbDpT10_ENKUlT_T0_E_clISt17integral_constantIbLb1EES18_EEDaS13_S14_EUlS13_E_NS1_11comp_targetILNS1_3genE0ELNS1_11target_archE4294967295ELNS1_3gpuE0ELNS1_3repE0EEENS1_30default_config_static_selectorELNS0_4arch9wavefront6targetE0EEEvT1_,comdat
	.protected	_ZN7rocprim17ROCPRIM_400000_NS6detail17trampoline_kernelINS0_14default_configENS1_25partition_config_selectorILNS1_17partition_subalgoE9EjjbEEZZNS1_14partition_implILS5_9ELb0ES3_jN6thrust23THRUST_200600_302600_NS6detail15normal_iteratorINS9_10device_ptrIjEEEESE_PNS0_10empty_typeENS0_5tupleIJSE_SF_EEENSH_IJSE_SG_EEENS0_18inequality_wrapperI22is_equal_div_10_uniqueIjEEEPmJSF_EEE10hipError_tPvRmT3_T4_T5_T6_T7_T9_mT8_P12ihipStream_tbDpT10_ENKUlT_T0_E_clISt17integral_constantIbLb1EES18_EEDaS13_S14_EUlS13_E_NS1_11comp_targetILNS1_3genE0ELNS1_11target_archE4294967295ELNS1_3gpuE0ELNS1_3repE0EEENS1_30default_config_static_selectorELNS0_4arch9wavefront6targetE0EEEvT1_ ; -- Begin function _ZN7rocprim17ROCPRIM_400000_NS6detail17trampoline_kernelINS0_14default_configENS1_25partition_config_selectorILNS1_17partition_subalgoE9EjjbEEZZNS1_14partition_implILS5_9ELb0ES3_jN6thrust23THRUST_200600_302600_NS6detail15normal_iteratorINS9_10device_ptrIjEEEESE_PNS0_10empty_typeENS0_5tupleIJSE_SF_EEENSH_IJSE_SG_EEENS0_18inequality_wrapperI22is_equal_div_10_uniqueIjEEEPmJSF_EEE10hipError_tPvRmT3_T4_T5_T6_T7_T9_mT8_P12ihipStream_tbDpT10_ENKUlT_T0_E_clISt17integral_constantIbLb1EES18_EEDaS13_S14_EUlS13_E_NS1_11comp_targetILNS1_3genE0ELNS1_11target_archE4294967295ELNS1_3gpuE0ELNS1_3repE0EEENS1_30default_config_static_selectorELNS0_4arch9wavefront6targetE0EEEvT1_
	.globl	_ZN7rocprim17ROCPRIM_400000_NS6detail17trampoline_kernelINS0_14default_configENS1_25partition_config_selectorILNS1_17partition_subalgoE9EjjbEEZZNS1_14partition_implILS5_9ELb0ES3_jN6thrust23THRUST_200600_302600_NS6detail15normal_iteratorINS9_10device_ptrIjEEEESE_PNS0_10empty_typeENS0_5tupleIJSE_SF_EEENSH_IJSE_SG_EEENS0_18inequality_wrapperI22is_equal_div_10_uniqueIjEEEPmJSF_EEE10hipError_tPvRmT3_T4_T5_T6_T7_T9_mT8_P12ihipStream_tbDpT10_ENKUlT_T0_E_clISt17integral_constantIbLb1EES18_EEDaS13_S14_EUlS13_E_NS1_11comp_targetILNS1_3genE0ELNS1_11target_archE4294967295ELNS1_3gpuE0ELNS1_3repE0EEENS1_30default_config_static_selectorELNS0_4arch9wavefront6targetE0EEEvT1_
	.p2align	8
	.type	_ZN7rocprim17ROCPRIM_400000_NS6detail17trampoline_kernelINS0_14default_configENS1_25partition_config_selectorILNS1_17partition_subalgoE9EjjbEEZZNS1_14partition_implILS5_9ELb0ES3_jN6thrust23THRUST_200600_302600_NS6detail15normal_iteratorINS9_10device_ptrIjEEEESE_PNS0_10empty_typeENS0_5tupleIJSE_SF_EEENSH_IJSE_SG_EEENS0_18inequality_wrapperI22is_equal_div_10_uniqueIjEEEPmJSF_EEE10hipError_tPvRmT3_T4_T5_T6_T7_T9_mT8_P12ihipStream_tbDpT10_ENKUlT_T0_E_clISt17integral_constantIbLb1EES18_EEDaS13_S14_EUlS13_E_NS1_11comp_targetILNS1_3genE0ELNS1_11target_archE4294967295ELNS1_3gpuE0ELNS1_3repE0EEENS1_30default_config_static_selectorELNS0_4arch9wavefront6targetE0EEEvT1_,@function
_ZN7rocprim17ROCPRIM_400000_NS6detail17trampoline_kernelINS0_14default_configENS1_25partition_config_selectorILNS1_17partition_subalgoE9EjjbEEZZNS1_14partition_implILS5_9ELb0ES3_jN6thrust23THRUST_200600_302600_NS6detail15normal_iteratorINS9_10device_ptrIjEEEESE_PNS0_10empty_typeENS0_5tupleIJSE_SF_EEENSH_IJSE_SG_EEENS0_18inequality_wrapperI22is_equal_div_10_uniqueIjEEEPmJSF_EEE10hipError_tPvRmT3_T4_T5_T6_T7_T9_mT8_P12ihipStream_tbDpT10_ENKUlT_T0_E_clISt17integral_constantIbLb1EES18_EEDaS13_S14_EUlS13_E_NS1_11comp_targetILNS1_3genE0ELNS1_11target_archE4294967295ELNS1_3gpuE0ELNS1_3repE0EEENS1_30default_config_static_selectorELNS0_4arch9wavefront6targetE0EEEvT1_: ; @_ZN7rocprim17ROCPRIM_400000_NS6detail17trampoline_kernelINS0_14default_configENS1_25partition_config_selectorILNS1_17partition_subalgoE9EjjbEEZZNS1_14partition_implILS5_9ELb0ES3_jN6thrust23THRUST_200600_302600_NS6detail15normal_iteratorINS9_10device_ptrIjEEEESE_PNS0_10empty_typeENS0_5tupleIJSE_SF_EEENSH_IJSE_SG_EEENS0_18inequality_wrapperI22is_equal_div_10_uniqueIjEEEPmJSF_EEE10hipError_tPvRmT3_T4_T5_T6_T7_T9_mT8_P12ihipStream_tbDpT10_ENKUlT_T0_E_clISt17integral_constantIbLb1EES18_EEDaS13_S14_EUlS13_E_NS1_11comp_targetILNS1_3genE0ELNS1_11target_archE4294967295ELNS1_3gpuE0ELNS1_3repE0EEENS1_30default_config_static_selectorELNS0_4arch9wavefront6targetE0EEEvT1_
; %bb.0:
	.section	.rodata,"a",@progbits
	.p2align	6, 0x0
	.amdhsa_kernel _ZN7rocprim17ROCPRIM_400000_NS6detail17trampoline_kernelINS0_14default_configENS1_25partition_config_selectorILNS1_17partition_subalgoE9EjjbEEZZNS1_14partition_implILS5_9ELb0ES3_jN6thrust23THRUST_200600_302600_NS6detail15normal_iteratorINS9_10device_ptrIjEEEESE_PNS0_10empty_typeENS0_5tupleIJSE_SF_EEENSH_IJSE_SG_EEENS0_18inequality_wrapperI22is_equal_div_10_uniqueIjEEEPmJSF_EEE10hipError_tPvRmT3_T4_T5_T6_T7_T9_mT8_P12ihipStream_tbDpT10_ENKUlT_T0_E_clISt17integral_constantIbLb1EES18_EEDaS13_S14_EUlS13_E_NS1_11comp_targetILNS1_3genE0ELNS1_11target_archE4294967295ELNS1_3gpuE0ELNS1_3repE0EEENS1_30default_config_static_selectorELNS0_4arch9wavefront6targetE0EEEvT1_
		.amdhsa_group_segment_fixed_size 0
		.amdhsa_private_segment_fixed_size 0
		.amdhsa_kernarg_size 128
		.amdhsa_user_sgpr_count 15
		.amdhsa_user_sgpr_dispatch_ptr 0
		.amdhsa_user_sgpr_queue_ptr 0
		.amdhsa_user_sgpr_kernarg_segment_ptr 1
		.amdhsa_user_sgpr_dispatch_id 0
		.amdhsa_user_sgpr_private_segment_size 0
		.amdhsa_wavefront_size32 1
		.amdhsa_uses_dynamic_stack 0
		.amdhsa_enable_private_segment 0
		.amdhsa_system_sgpr_workgroup_id_x 1
		.amdhsa_system_sgpr_workgroup_id_y 0
		.amdhsa_system_sgpr_workgroup_id_z 0
		.amdhsa_system_sgpr_workgroup_info 0
		.amdhsa_system_vgpr_workitem_id 0
		.amdhsa_next_free_vgpr 1
		.amdhsa_next_free_sgpr 1
		.amdhsa_reserve_vcc 0
		.amdhsa_float_round_mode_32 0
		.amdhsa_float_round_mode_16_64 0
		.amdhsa_float_denorm_mode_32 3
		.amdhsa_float_denorm_mode_16_64 3
		.amdhsa_dx10_clamp 1
		.amdhsa_ieee_mode 1
		.amdhsa_fp16_overflow 0
		.amdhsa_workgroup_processor_mode 1
		.amdhsa_memory_ordered 1
		.amdhsa_forward_progress 0
		.amdhsa_shared_vgpr_count 0
		.amdhsa_exception_fp_ieee_invalid_op 0
		.amdhsa_exception_fp_denorm_src 0
		.amdhsa_exception_fp_ieee_div_zero 0
		.amdhsa_exception_fp_ieee_overflow 0
		.amdhsa_exception_fp_ieee_underflow 0
		.amdhsa_exception_fp_ieee_inexact 0
		.amdhsa_exception_int_div_zero 0
	.end_amdhsa_kernel
	.section	.text._ZN7rocprim17ROCPRIM_400000_NS6detail17trampoline_kernelINS0_14default_configENS1_25partition_config_selectorILNS1_17partition_subalgoE9EjjbEEZZNS1_14partition_implILS5_9ELb0ES3_jN6thrust23THRUST_200600_302600_NS6detail15normal_iteratorINS9_10device_ptrIjEEEESE_PNS0_10empty_typeENS0_5tupleIJSE_SF_EEENSH_IJSE_SG_EEENS0_18inequality_wrapperI22is_equal_div_10_uniqueIjEEEPmJSF_EEE10hipError_tPvRmT3_T4_T5_T6_T7_T9_mT8_P12ihipStream_tbDpT10_ENKUlT_T0_E_clISt17integral_constantIbLb1EES18_EEDaS13_S14_EUlS13_E_NS1_11comp_targetILNS1_3genE0ELNS1_11target_archE4294967295ELNS1_3gpuE0ELNS1_3repE0EEENS1_30default_config_static_selectorELNS0_4arch9wavefront6targetE0EEEvT1_,"axG",@progbits,_ZN7rocprim17ROCPRIM_400000_NS6detail17trampoline_kernelINS0_14default_configENS1_25partition_config_selectorILNS1_17partition_subalgoE9EjjbEEZZNS1_14partition_implILS5_9ELb0ES3_jN6thrust23THRUST_200600_302600_NS6detail15normal_iteratorINS9_10device_ptrIjEEEESE_PNS0_10empty_typeENS0_5tupleIJSE_SF_EEENSH_IJSE_SG_EEENS0_18inequality_wrapperI22is_equal_div_10_uniqueIjEEEPmJSF_EEE10hipError_tPvRmT3_T4_T5_T6_T7_T9_mT8_P12ihipStream_tbDpT10_ENKUlT_T0_E_clISt17integral_constantIbLb1EES18_EEDaS13_S14_EUlS13_E_NS1_11comp_targetILNS1_3genE0ELNS1_11target_archE4294967295ELNS1_3gpuE0ELNS1_3repE0EEENS1_30default_config_static_selectorELNS0_4arch9wavefront6targetE0EEEvT1_,comdat
.Lfunc_end250:
	.size	_ZN7rocprim17ROCPRIM_400000_NS6detail17trampoline_kernelINS0_14default_configENS1_25partition_config_selectorILNS1_17partition_subalgoE9EjjbEEZZNS1_14partition_implILS5_9ELb0ES3_jN6thrust23THRUST_200600_302600_NS6detail15normal_iteratorINS9_10device_ptrIjEEEESE_PNS0_10empty_typeENS0_5tupleIJSE_SF_EEENSH_IJSE_SG_EEENS0_18inequality_wrapperI22is_equal_div_10_uniqueIjEEEPmJSF_EEE10hipError_tPvRmT3_T4_T5_T6_T7_T9_mT8_P12ihipStream_tbDpT10_ENKUlT_T0_E_clISt17integral_constantIbLb1EES18_EEDaS13_S14_EUlS13_E_NS1_11comp_targetILNS1_3genE0ELNS1_11target_archE4294967295ELNS1_3gpuE0ELNS1_3repE0EEENS1_30default_config_static_selectorELNS0_4arch9wavefront6targetE0EEEvT1_, .Lfunc_end250-_ZN7rocprim17ROCPRIM_400000_NS6detail17trampoline_kernelINS0_14default_configENS1_25partition_config_selectorILNS1_17partition_subalgoE9EjjbEEZZNS1_14partition_implILS5_9ELb0ES3_jN6thrust23THRUST_200600_302600_NS6detail15normal_iteratorINS9_10device_ptrIjEEEESE_PNS0_10empty_typeENS0_5tupleIJSE_SF_EEENSH_IJSE_SG_EEENS0_18inequality_wrapperI22is_equal_div_10_uniqueIjEEEPmJSF_EEE10hipError_tPvRmT3_T4_T5_T6_T7_T9_mT8_P12ihipStream_tbDpT10_ENKUlT_T0_E_clISt17integral_constantIbLb1EES18_EEDaS13_S14_EUlS13_E_NS1_11comp_targetILNS1_3genE0ELNS1_11target_archE4294967295ELNS1_3gpuE0ELNS1_3repE0EEENS1_30default_config_static_selectorELNS0_4arch9wavefront6targetE0EEEvT1_
                                        ; -- End function
	.section	.AMDGPU.csdata,"",@progbits
; Kernel info:
; codeLenInByte = 0
; NumSgprs: 0
; NumVgprs: 0
; ScratchSize: 0
; MemoryBound: 0
; FloatMode: 240
; IeeeMode: 1
; LDSByteSize: 0 bytes/workgroup (compile time only)
; SGPRBlocks: 0
; VGPRBlocks: 0
; NumSGPRsForWavesPerEU: 1
; NumVGPRsForWavesPerEU: 1
; Occupancy: 16
; WaveLimiterHint : 0
; COMPUTE_PGM_RSRC2:SCRATCH_EN: 0
; COMPUTE_PGM_RSRC2:USER_SGPR: 15
; COMPUTE_PGM_RSRC2:TRAP_HANDLER: 0
; COMPUTE_PGM_RSRC2:TGID_X_EN: 1
; COMPUTE_PGM_RSRC2:TGID_Y_EN: 0
; COMPUTE_PGM_RSRC2:TGID_Z_EN: 0
; COMPUTE_PGM_RSRC2:TIDIG_COMP_CNT: 0
	.section	.text._ZN7rocprim17ROCPRIM_400000_NS6detail17trampoline_kernelINS0_14default_configENS1_25partition_config_selectorILNS1_17partition_subalgoE9EjjbEEZZNS1_14partition_implILS5_9ELb0ES3_jN6thrust23THRUST_200600_302600_NS6detail15normal_iteratorINS9_10device_ptrIjEEEESE_PNS0_10empty_typeENS0_5tupleIJSE_SF_EEENSH_IJSE_SG_EEENS0_18inequality_wrapperI22is_equal_div_10_uniqueIjEEEPmJSF_EEE10hipError_tPvRmT3_T4_T5_T6_T7_T9_mT8_P12ihipStream_tbDpT10_ENKUlT_T0_E_clISt17integral_constantIbLb1EES18_EEDaS13_S14_EUlS13_E_NS1_11comp_targetILNS1_3genE5ELNS1_11target_archE942ELNS1_3gpuE9ELNS1_3repE0EEENS1_30default_config_static_selectorELNS0_4arch9wavefront6targetE0EEEvT1_,"axG",@progbits,_ZN7rocprim17ROCPRIM_400000_NS6detail17trampoline_kernelINS0_14default_configENS1_25partition_config_selectorILNS1_17partition_subalgoE9EjjbEEZZNS1_14partition_implILS5_9ELb0ES3_jN6thrust23THRUST_200600_302600_NS6detail15normal_iteratorINS9_10device_ptrIjEEEESE_PNS0_10empty_typeENS0_5tupleIJSE_SF_EEENSH_IJSE_SG_EEENS0_18inequality_wrapperI22is_equal_div_10_uniqueIjEEEPmJSF_EEE10hipError_tPvRmT3_T4_T5_T6_T7_T9_mT8_P12ihipStream_tbDpT10_ENKUlT_T0_E_clISt17integral_constantIbLb1EES18_EEDaS13_S14_EUlS13_E_NS1_11comp_targetILNS1_3genE5ELNS1_11target_archE942ELNS1_3gpuE9ELNS1_3repE0EEENS1_30default_config_static_selectorELNS0_4arch9wavefront6targetE0EEEvT1_,comdat
	.protected	_ZN7rocprim17ROCPRIM_400000_NS6detail17trampoline_kernelINS0_14default_configENS1_25partition_config_selectorILNS1_17partition_subalgoE9EjjbEEZZNS1_14partition_implILS5_9ELb0ES3_jN6thrust23THRUST_200600_302600_NS6detail15normal_iteratorINS9_10device_ptrIjEEEESE_PNS0_10empty_typeENS0_5tupleIJSE_SF_EEENSH_IJSE_SG_EEENS0_18inequality_wrapperI22is_equal_div_10_uniqueIjEEEPmJSF_EEE10hipError_tPvRmT3_T4_T5_T6_T7_T9_mT8_P12ihipStream_tbDpT10_ENKUlT_T0_E_clISt17integral_constantIbLb1EES18_EEDaS13_S14_EUlS13_E_NS1_11comp_targetILNS1_3genE5ELNS1_11target_archE942ELNS1_3gpuE9ELNS1_3repE0EEENS1_30default_config_static_selectorELNS0_4arch9wavefront6targetE0EEEvT1_ ; -- Begin function _ZN7rocprim17ROCPRIM_400000_NS6detail17trampoline_kernelINS0_14default_configENS1_25partition_config_selectorILNS1_17partition_subalgoE9EjjbEEZZNS1_14partition_implILS5_9ELb0ES3_jN6thrust23THRUST_200600_302600_NS6detail15normal_iteratorINS9_10device_ptrIjEEEESE_PNS0_10empty_typeENS0_5tupleIJSE_SF_EEENSH_IJSE_SG_EEENS0_18inequality_wrapperI22is_equal_div_10_uniqueIjEEEPmJSF_EEE10hipError_tPvRmT3_T4_T5_T6_T7_T9_mT8_P12ihipStream_tbDpT10_ENKUlT_T0_E_clISt17integral_constantIbLb1EES18_EEDaS13_S14_EUlS13_E_NS1_11comp_targetILNS1_3genE5ELNS1_11target_archE942ELNS1_3gpuE9ELNS1_3repE0EEENS1_30default_config_static_selectorELNS0_4arch9wavefront6targetE0EEEvT1_
	.globl	_ZN7rocprim17ROCPRIM_400000_NS6detail17trampoline_kernelINS0_14default_configENS1_25partition_config_selectorILNS1_17partition_subalgoE9EjjbEEZZNS1_14partition_implILS5_9ELb0ES3_jN6thrust23THRUST_200600_302600_NS6detail15normal_iteratorINS9_10device_ptrIjEEEESE_PNS0_10empty_typeENS0_5tupleIJSE_SF_EEENSH_IJSE_SG_EEENS0_18inequality_wrapperI22is_equal_div_10_uniqueIjEEEPmJSF_EEE10hipError_tPvRmT3_T4_T5_T6_T7_T9_mT8_P12ihipStream_tbDpT10_ENKUlT_T0_E_clISt17integral_constantIbLb1EES18_EEDaS13_S14_EUlS13_E_NS1_11comp_targetILNS1_3genE5ELNS1_11target_archE942ELNS1_3gpuE9ELNS1_3repE0EEENS1_30default_config_static_selectorELNS0_4arch9wavefront6targetE0EEEvT1_
	.p2align	8
	.type	_ZN7rocprim17ROCPRIM_400000_NS6detail17trampoline_kernelINS0_14default_configENS1_25partition_config_selectorILNS1_17partition_subalgoE9EjjbEEZZNS1_14partition_implILS5_9ELb0ES3_jN6thrust23THRUST_200600_302600_NS6detail15normal_iteratorINS9_10device_ptrIjEEEESE_PNS0_10empty_typeENS0_5tupleIJSE_SF_EEENSH_IJSE_SG_EEENS0_18inequality_wrapperI22is_equal_div_10_uniqueIjEEEPmJSF_EEE10hipError_tPvRmT3_T4_T5_T6_T7_T9_mT8_P12ihipStream_tbDpT10_ENKUlT_T0_E_clISt17integral_constantIbLb1EES18_EEDaS13_S14_EUlS13_E_NS1_11comp_targetILNS1_3genE5ELNS1_11target_archE942ELNS1_3gpuE9ELNS1_3repE0EEENS1_30default_config_static_selectorELNS0_4arch9wavefront6targetE0EEEvT1_,@function
_ZN7rocprim17ROCPRIM_400000_NS6detail17trampoline_kernelINS0_14default_configENS1_25partition_config_selectorILNS1_17partition_subalgoE9EjjbEEZZNS1_14partition_implILS5_9ELb0ES3_jN6thrust23THRUST_200600_302600_NS6detail15normal_iteratorINS9_10device_ptrIjEEEESE_PNS0_10empty_typeENS0_5tupleIJSE_SF_EEENSH_IJSE_SG_EEENS0_18inequality_wrapperI22is_equal_div_10_uniqueIjEEEPmJSF_EEE10hipError_tPvRmT3_T4_T5_T6_T7_T9_mT8_P12ihipStream_tbDpT10_ENKUlT_T0_E_clISt17integral_constantIbLb1EES18_EEDaS13_S14_EUlS13_E_NS1_11comp_targetILNS1_3genE5ELNS1_11target_archE942ELNS1_3gpuE9ELNS1_3repE0EEENS1_30default_config_static_selectorELNS0_4arch9wavefront6targetE0EEEvT1_: ; @_ZN7rocprim17ROCPRIM_400000_NS6detail17trampoline_kernelINS0_14default_configENS1_25partition_config_selectorILNS1_17partition_subalgoE9EjjbEEZZNS1_14partition_implILS5_9ELb0ES3_jN6thrust23THRUST_200600_302600_NS6detail15normal_iteratorINS9_10device_ptrIjEEEESE_PNS0_10empty_typeENS0_5tupleIJSE_SF_EEENSH_IJSE_SG_EEENS0_18inequality_wrapperI22is_equal_div_10_uniqueIjEEEPmJSF_EEE10hipError_tPvRmT3_T4_T5_T6_T7_T9_mT8_P12ihipStream_tbDpT10_ENKUlT_T0_E_clISt17integral_constantIbLb1EES18_EEDaS13_S14_EUlS13_E_NS1_11comp_targetILNS1_3genE5ELNS1_11target_archE942ELNS1_3gpuE9ELNS1_3repE0EEENS1_30default_config_static_selectorELNS0_4arch9wavefront6targetE0EEEvT1_
; %bb.0:
	.section	.rodata,"a",@progbits
	.p2align	6, 0x0
	.amdhsa_kernel _ZN7rocprim17ROCPRIM_400000_NS6detail17trampoline_kernelINS0_14default_configENS1_25partition_config_selectorILNS1_17partition_subalgoE9EjjbEEZZNS1_14partition_implILS5_9ELb0ES3_jN6thrust23THRUST_200600_302600_NS6detail15normal_iteratorINS9_10device_ptrIjEEEESE_PNS0_10empty_typeENS0_5tupleIJSE_SF_EEENSH_IJSE_SG_EEENS0_18inequality_wrapperI22is_equal_div_10_uniqueIjEEEPmJSF_EEE10hipError_tPvRmT3_T4_T5_T6_T7_T9_mT8_P12ihipStream_tbDpT10_ENKUlT_T0_E_clISt17integral_constantIbLb1EES18_EEDaS13_S14_EUlS13_E_NS1_11comp_targetILNS1_3genE5ELNS1_11target_archE942ELNS1_3gpuE9ELNS1_3repE0EEENS1_30default_config_static_selectorELNS0_4arch9wavefront6targetE0EEEvT1_
		.amdhsa_group_segment_fixed_size 0
		.amdhsa_private_segment_fixed_size 0
		.amdhsa_kernarg_size 128
		.amdhsa_user_sgpr_count 15
		.amdhsa_user_sgpr_dispatch_ptr 0
		.amdhsa_user_sgpr_queue_ptr 0
		.amdhsa_user_sgpr_kernarg_segment_ptr 1
		.amdhsa_user_sgpr_dispatch_id 0
		.amdhsa_user_sgpr_private_segment_size 0
		.amdhsa_wavefront_size32 1
		.amdhsa_uses_dynamic_stack 0
		.amdhsa_enable_private_segment 0
		.amdhsa_system_sgpr_workgroup_id_x 1
		.amdhsa_system_sgpr_workgroup_id_y 0
		.amdhsa_system_sgpr_workgroup_id_z 0
		.amdhsa_system_sgpr_workgroup_info 0
		.amdhsa_system_vgpr_workitem_id 0
		.amdhsa_next_free_vgpr 1
		.amdhsa_next_free_sgpr 1
		.amdhsa_reserve_vcc 0
		.amdhsa_float_round_mode_32 0
		.amdhsa_float_round_mode_16_64 0
		.amdhsa_float_denorm_mode_32 3
		.amdhsa_float_denorm_mode_16_64 3
		.amdhsa_dx10_clamp 1
		.amdhsa_ieee_mode 1
		.amdhsa_fp16_overflow 0
		.amdhsa_workgroup_processor_mode 1
		.amdhsa_memory_ordered 1
		.amdhsa_forward_progress 0
		.amdhsa_shared_vgpr_count 0
		.amdhsa_exception_fp_ieee_invalid_op 0
		.amdhsa_exception_fp_denorm_src 0
		.amdhsa_exception_fp_ieee_div_zero 0
		.amdhsa_exception_fp_ieee_overflow 0
		.amdhsa_exception_fp_ieee_underflow 0
		.amdhsa_exception_fp_ieee_inexact 0
		.amdhsa_exception_int_div_zero 0
	.end_amdhsa_kernel
	.section	.text._ZN7rocprim17ROCPRIM_400000_NS6detail17trampoline_kernelINS0_14default_configENS1_25partition_config_selectorILNS1_17partition_subalgoE9EjjbEEZZNS1_14partition_implILS5_9ELb0ES3_jN6thrust23THRUST_200600_302600_NS6detail15normal_iteratorINS9_10device_ptrIjEEEESE_PNS0_10empty_typeENS0_5tupleIJSE_SF_EEENSH_IJSE_SG_EEENS0_18inequality_wrapperI22is_equal_div_10_uniqueIjEEEPmJSF_EEE10hipError_tPvRmT3_T4_T5_T6_T7_T9_mT8_P12ihipStream_tbDpT10_ENKUlT_T0_E_clISt17integral_constantIbLb1EES18_EEDaS13_S14_EUlS13_E_NS1_11comp_targetILNS1_3genE5ELNS1_11target_archE942ELNS1_3gpuE9ELNS1_3repE0EEENS1_30default_config_static_selectorELNS0_4arch9wavefront6targetE0EEEvT1_,"axG",@progbits,_ZN7rocprim17ROCPRIM_400000_NS6detail17trampoline_kernelINS0_14default_configENS1_25partition_config_selectorILNS1_17partition_subalgoE9EjjbEEZZNS1_14partition_implILS5_9ELb0ES3_jN6thrust23THRUST_200600_302600_NS6detail15normal_iteratorINS9_10device_ptrIjEEEESE_PNS0_10empty_typeENS0_5tupleIJSE_SF_EEENSH_IJSE_SG_EEENS0_18inequality_wrapperI22is_equal_div_10_uniqueIjEEEPmJSF_EEE10hipError_tPvRmT3_T4_T5_T6_T7_T9_mT8_P12ihipStream_tbDpT10_ENKUlT_T0_E_clISt17integral_constantIbLb1EES18_EEDaS13_S14_EUlS13_E_NS1_11comp_targetILNS1_3genE5ELNS1_11target_archE942ELNS1_3gpuE9ELNS1_3repE0EEENS1_30default_config_static_selectorELNS0_4arch9wavefront6targetE0EEEvT1_,comdat
.Lfunc_end251:
	.size	_ZN7rocprim17ROCPRIM_400000_NS6detail17trampoline_kernelINS0_14default_configENS1_25partition_config_selectorILNS1_17partition_subalgoE9EjjbEEZZNS1_14partition_implILS5_9ELb0ES3_jN6thrust23THRUST_200600_302600_NS6detail15normal_iteratorINS9_10device_ptrIjEEEESE_PNS0_10empty_typeENS0_5tupleIJSE_SF_EEENSH_IJSE_SG_EEENS0_18inequality_wrapperI22is_equal_div_10_uniqueIjEEEPmJSF_EEE10hipError_tPvRmT3_T4_T5_T6_T7_T9_mT8_P12ihipStream_tbDpT10_ENKUlT_T0_E_clISt17integral_constantIbLb1EES18_EEDaS13_S14_EUlS13_E_NS1_11comp_targetILNS1_3genE5ELNS1_11target_archE942ELNS1_3gpuE9ELNS1_3repE0EEENS1_30default_config_static_selectorELNS0_4arch9wavefront6targetE0EEEvT1_, .Lfunc_end251-_ZN7rocprim17ROCPRIM_400000_NS6detail17trampoline_kernelINS0_14default_configENS1_25partition_config_selectorILNS1_17partition_subalgoE9EjjbEEZZNS1_14partition_implILS5_9ELb0ES3_jN6thrust23THRUST_200600_302600_NS6detail15normal_iteratorINS9_10device_ptrIjEEEESE_PNS0_10empty_typeENS0_5tupleIJSE_SF_EEENSH_IJSE_SG_EEENS0_18inequality_wrapperI22is_equal_div_10_uniqueIjEEEPmJSF_EEE10hipError_tPvRmT3_T4_T5_T6_T7_T9_mT8_P12ihipStream_tbDpT10_ENKUlT_T0_E_clISt17integral_constantIbLb1EES18_EEDaS13_S14_EUlS13_E_NS1_11comp_targetILNS1_3genE5ELNS1_11target_archE942ELNS1_3gpuE9ELNS1_3repE0EEENS1_30default_config_static_selectorELNS0_4arch9wavefront6targetE0EEEvT1_
                                        ; -- End function
	.section	.AMDGPU.csdata,"",@progbits
; Kernel info:
; codeLenInByte = 0
; NumSgprs: 0
; NumVgprs: 0
; ScratchSize: 0
; MemoryBound: 0
; FloatMode: 240
; IeeeMode: 1
; LDSByteSize: 0 bytes/workgroup (compile time only)
; SGPRBlocks: 0
; VGPRBlocks: 0
; NumSGPRsForWavesPerEU: 1
; NumVGPRsForWavesPerEU: 1
; Occupancy: 16
; WaveLimiterHint : 0
; COMPUTE_PGM_RSRC2:SCRATCH_EN: 0
; COMPUTE_PGM_RSRC2:USER_SGPR: 15
; COMPUTE_PGM_RSRC2:TRAP_HANDLER: 0
; COMPUTE_PGM_RSRC2:TGID_X_EN: 1
; COMPUTE_PGM_RSRC2:TGID_Y_EN: 0
; COMPUTE_PGM_RSRC2:TGID_Z_EN: 0
; COMPUTE_PGM_RSRC2:TIDIG_COMP_CNT: 0
	.section	.text._ZN7rocprim17ROCPRIM_400000_NS6detail17trampoline_kernelINS0_14default_configENS1_25partition_config_selectorILNS1_17partition_subalgoE9EjjbEEZZNS1_14partition_implILS5_9ELb0ES3_jN6thrust23THRUST_200600_302600_NS6detail15normal_iteratorINS9_10device_ptrIjEEEESE_PNS0_10empty_typeENS0_5tupleIJSE_SF_EEENSH_IJSE_SG_EEENS0_18inequality_wrapperI22is_equal_div_10_uniqueIjEEEPmJSF_EEE10hipError_tPvRmT3_T4_T5_T6_T7_T9_mT8_P12ihipStream_tbDpT10_ENKUlT_T0_E_clISt17integral_constantIbLb1EES18_EEDaS13_S14_EUlS13_E_NS1_11comp_targetILNS1_3genE4ELNS1_11target_archE910ELNS1_3gpuE8ELNS1_3repE0EEENS1_30default_config_static_selectorELNS0_4arch9wavefront6targetE0EEEvT1_,"axG",@progbits,_ZN7rocprim17ROCPRIM_400000_NS6detail17trampoline_kernelINS0_14default_configENS1_25partition_config_selectorILNS1_17partition_subalgoE9EjjbEEZZNS1_14partition_implILS5_9ELb0ES3_jN6thrust23THRUST_200600_302600_NS6detail15normal_iteratorINS9_10device_ptrIjEEEESE_PNS0_10empty_typeENS0_5tupleIJSE_SF_EEENSH_IJSE_SG_EEENS0_18inequality_wrapperI22is_equal_div_10_uniqueIjEEEPmJSF_EEE10hipError_tPvRmT3_T4_T5_T6_T7_T9_mT8_P12ihipStream_tbDpT10_ENKUlT_T0_E_clISt17integral_constantIbLb1EES18_EEDaS13_S14_EUlS13_E_NS1_11comp_targetILNS1_3genE4ELNS1_11target_archE910ELNS1_3gpuE8ELNS1_3repE0EEENS1_30default_config_static_selectorELNS0_4arch9wavefront6targetE0EEEvT1_,comdat
	.protected	_ZN7rocprim17ROCPRIM_400000_NS6detail17trampoline_kernelINS0_14default_configENS1_25partition_config_selectorILNS1_17partition_subalgoE9EjjbEEZZNS1_14partition_implILS5_9ELb0ES3_jN6thrust23THRUST_200600_302600_NS6detail15normal_iteratorINS9_10device_ptrIjEEEESE_PNS0_10empty_typeENS0_5tupleIJSE_SF_EEENSH_IJSE_SG_EEENS0_18inequality_wrapperI22is_equal_div_10_uniqueIjEEEPmJSF_EEE10hipError_tPvRmT3_T4_T5_T6_T7_T9_mT8_P12ihipStream_tbDpT10_ENKUlT_T0_E_clISt17integral_constantIbLb1EES18_EEDaS13_S14_EUlS13_E_NS1_11comp_targetILNS1_3genE4ELNS1_11target_archE910ELNS1_3gpuE8ELNS1_3repE0EEENS1_30default_config_static_selectorELNS0_4arch9wavefront6targetE0EEEvT1_ ; -- Begin function _ZN7rocprim17ROCPRIM_400000_NS6detail17trampoline_kernelINS0_14default_configENS1_25partition_config_selectorILNS1_17partition_subalgoE9EjjbEEZZNS1_14partition_implILS5_9ELb0ES3_jN6thrust23THRUST_200600_302600_NS6detail15normal_iteratorINS9_10device_ptrIjEEEESE_PNS0_10empty_typeENS0_5tupleIJSE_SF_EEENSH_IJSE_SG_EEENS0_18inequality_wrapperI22is_equal_div_10_uniqueIjEEEPmJSF_EEE10hipError_tPvRmT3_T4_T5_T6_T7_T9_mT8_P12ihipStream_tbDpT10_ENKUlT_T0_E_clISt17integral_constantIbLb1EES18_EEDaS13_S14_EUlS13_E_NS1_11comp_targetILNS1_3genE4ELNS1_11target_archE910ELNS1_3gpuE8ELNS1_3repE0EEENS1_30default_config_static_selectorELNS0_4arch9wavefront6targetE0EEEvT1_
	.globl	_ZN7rocprim17ROCPRIM_400000_NS6detail17trampoline_kernelINS0_14default_configENS1_25partition_config_selectorILNS1_17partition_subalgoE9EjjbEEZZNS1_14partition_implILS5_9ELb0ES3_jN6thrust23THRUST_200600_302600_NS6detail15normal_iteratorINS9_10device_ptrIjEEEESE_PNS0_10empty_typeENS0_5tupleIJSE_SF_EEENSH_IJSE_SG_EEENS0_18inequality_wrapperI22is_equal_div_10_uniqueIjEEEPmJSF_EEE10hipError_tPvRmT3_T4_T5_T6_T7_T9_mT8_P12ihipStream_tbDpT10_ENKUlT_T0_E_clISt17integral_constantIbLb1EES18_EEDaS13_S14_EUlS13_E_NS1_11comp_targetILNS1_3genE4ELNS1_11target_archE910ELNS1_3gpuE8ELNS1_3repE0EEENS1_30default_config_static_selectorELNS0_4arch9wavefront6targetE0EEEvT1_
	.p2align	8
	.type	_ZN7rocprim17ROCPRIM_400000_NS6detail17trampoline_kernelINS0_14default_configENS1_25partition_config_selectorILNS1_17partition_subalgoE9EjjbEEZZNS1_14partition_implILS5_9ELb0ES3_jN6thrust23THRUST_200600_302600_NS6detail15normal_iteratorINS9_10device_ptrIjEEEESE_PNS0_10empty_typeENS0_5tupleIJSE_SF_EEENSH_IJSE_SG_EEENS0_18inequality_wrapperI22is_equal_div_10_uniqueIjEEEPmJSF_EEE10hipError_tPvRmT3_T4_T5_T6_T7_T9_mT8_P12ihipStream_tbDpT10_ENKUlT_T0_E_clISt17integral_constantIbLb1EES18_EEDaS13_S14_EUlS13_E_NS1_11comp_targetILNS1_3genE4ELNS1_11target_archE910ELNS1_3gpuE8ELNS1_3repE0EEENS1_30default_config_static_selectorELNS0_4arch9wavefront6targetE0EEEvT1_,@function
_ZN7rocprim17ROCPRIM_400000_NS6detail17trampoline_kernelINS0_14default_configENS1_25partition_config_selectorILNS1_17partition_subalgoE9EjjbEEZZNS1_14partition_implILS5_9ELb0ES3_jN6thrust23THRUST_200600_302600_NS6detail15normal_iteratorINS9_10device_ptrIjEEEESE_PNS0_10empty_typeENS0_5tupleIJSE_SF_EEENSH_IJSE_SG_EEENS0_18inequality_wrapperI22is_equal_div_10_uniqueIjEEEPmJSF_EEE10hipError_tPvRmT3_T4_T5_T6_T7_T9_mT8_P12ihipStream_tbDpT10_ENKUlT_T0_E_clISt17integral_constantIbLb1EES18_EEDaS13_S14_EUlS13_E_NS1_11comp_targetILNS1_3genE4ELNS1_11target_archE910ELNS1_3gpuE8ELNS1_3repE0EEENS1_30default_config_static_selectorELNS0_4arch9wavefront6targetE0EEEvT1_: ; @_ZN7rocprim17ROCPRIM_400000_NS6detail17trampoline_kernelINS0_14default_configENS1_25partition_config_selectorILNS1_17partition_subalgoE9EjjbEEZZNS1_14partition_implILS5_9ELb0ES3_jN6thrust23THRUST_200600_302600_NS6detail15normal_iteratorINS9_10device_ptrIjEEEESE_PNS0_10empty_typeENS0_5tupleIJSE_SF_EEENSH_IJSE_SG_EEENS0_18inequality_wrapperI22is_equal_div_10_uniqueIjEEEPmJSF_EEE10hipError_tPvRmT3_T4_T5_T6_T7_T9_mT8_P12ihipStream_tbDpT10_ENKUlT_T0_E_clISt17integral_constantIbLb1EES18_EEDaS13_S14_EUlS13_E_NS1_11comp_targetILNS1_3genE4ELNS1_11target_archE910ELNS1_3gpuE8ELNS1_3repE0EEENS1_30default_config_static_selectorELNS0_4arch9wavefront6targetE0EEEvT1_
; %bb.0:
	.section	.rodata,"a",@progbits
	.p2align	6, 0x0
	.amdhsa_kernel _ZN7rocprim17ROCPRIM_400000_NS6detail17trampoline_kernelINS0_14default_configENS1_25partition_config_selectorILNS1_17partition_subalgoE9EjjbEEZZNS1_14partition_implILS5_9ELb0ES3_jN6thrust23THRUST_200600_302600_NS6detail15normal_iteratorINS9_10device_ptrIjEEEESE_PNS0_10empty_typeENS0_5tupleIJSE_SF_EEENSH_IJSE_SG_EEENS0_18inequality_wrapperI22is_equal_div_10_uniqueIjEEEPmJSF_EEE10hipError_tPvRmT3_T4_T5_T6_T7_T9_mT8_P12ihipStream_tbDpT10_ENKUlT_T0_E_clISt17integral_constantIbLb1EES18_EEDaS13_S14_EUlS13_E_NS1_11comp_targetILNS1_3genE4ELNS1_11target_archE910ELNS1_3gpuE8ELNS1_3repE0EEENS1_30default_config_static_selectorELNS0_4arch9wavefront6targetE0EEEvT1_
		.amdhsa_group_segment_fixed_size 0
		.amdhsa_private_segment_fixed_size 0
		.amdhsa_kernarg_size 128
		.amdhsa_user_sgpr_count 15
		.amdhsa_user_sgpr_dispatch_ptr 0
		.amdhsa_user_sgpr_queue_ptr 0
		.amdhsa_user_sgpr_kernarg_segment_ptr 1
		.amdhsa_user_sgpr_dispatch_id 0
		.amdhsa_user_sgpr_private_segment_size 0
		.amdhsa_wavefront_size32 1
		.amdhsa_uses_dynamic_stack 0
		.amdhsa_enable_private_segment 0
		.amdhsa_system_sgpr_workgroup_id_x 1
		.amdhsa_system_sgpr_workgroup_id_y 0
		.amdhsa_system_sgpr_workgroup_id_z 0
		.amdhsa_system_sgpr_workgroup_info 0
		.amdhsa_system_vgpr_workitem_id 0
		.amdhsa_next_free_vgpr 1
		.amdhsa_next_free_sgpr 1
		.amdhsa_reserve_vcc 0
		.amdhsa_float_round_mode_32 0
		.amdhsa_float_round_mode_16_64 0
		.amdhsa_float_denorm_mode_32 3
		.amdhsa_float_denorm_mode_16_64 3
		.amdhsa_dx10_clamp 1
		.amdhsa_ieee_mode 1
		.amdhsa_fp16_overflow 0
		.amdhsa_workgroup_processor_mode 1
		.amdhsa_memory_ordered 1
		.amdhsa_forward_progress 0
		.amdhsa_shared_vgpr_count 0
		.amdhsa_exception_fp_ieee_invalid_op 0
		.amdhsa_exception_fp_denorm_src 0
		.amdhsa_exception_fp_ieee_div_zero 0
		.amdhsa_exception_fp_ieee_overflow 0
		.amdhsa_exception_fp_ieee_underflow 0
		.amdhsa_exception_fp_ieee_inexact 0
		.amdhsa_exception_int_div_zero 0
	.end_amdhsa_kernel
	.section	.text._ZN7rocprim17ROCPRIM_400000_NS6detail17trampoline_kernelINS0_14default_configENS1_25partition_config_selectorILNS1_17partition_subalgoE9EjjbEEZZNS1_14partition_implILS5_9ELb0ES3_jN6thrust23THRUST_200600_302600_NS6detail15normal_iteratorINS9_10device_ptrIjEEEESE_PNS0_10empty_typeENS0_5tupleIJSE_SF_EEENSH_IJSE_SG_EEENS0_18inequality_wrapperI22is_equal_div_10_uniqueIjEEEPmJSF_EEE10hipError_tPvRmT3_T4_T5_T6_T7_T9_mT8_P12ihipStream_tbDpT10_ENKUlT_T0_E_clISt17integral_constantIbLb1EES18_EEDaS13_S14_EUlS13_E_NS1_11comp_targetILNS1_3genE4ELNS1_11target_archE910ELNS1_3gpuE8ELNS1_3repE0EEENS1_30default_config_static_selectorELNS0_4arch9wavefront6targetE0EEEvT1_,"axG",@progbits,_ZN7rocprim17ROCPRIM_400000_NS6detail17trampoline_kernelINS0_14default_configENS1_25partition_config_selectorILNS1_17partition_subalgoE9EjjbEEZZNS1_14partition_implILS5_9ELb0ES3_jN6thrust23THRUST_200600_302600_NS6detail15normal_iteratorINS9_10device_ptrIjEEEESE_PNS0_10empty_typeENS0_5tupleIJSE_SF_EEENSH_IJSE_SG_EEENS0_18inequality_wrapperI22is_equal_div_10_uniqueIjEEEPmJSF_EEE10hipError_tPvRmT3_T4_T5_T6_T7_T9_mT8_P12ihipStream_tbDpT10_ENKUlT_T0_E_clISt17integral_constantIbLb1EES18_EEDaS13_S14_EUlS13_E_NS1_11comp_targetILNS1_3genE4ELNS1_11target_archE910ELNS1_3gpuE8ELNS1_3repE0EEENS1_30default_config_static_selectorELNS0_4arch9wavefront6targetE0EEEvT1_,comdat
.Lfunc_end252:
	.size	_ZN7rocprim17ROCPRIM_400000_NS6detail17trampoline_kernelINS0_14default_configENS1_25partition_config_selectorILNS1_17partition_subalgoE9EjjbEEZZNS1_14partition_implILS5_9ELb0ES3_jN6thrust23THRUST_200600_302600_NS6detail15normal_iteratorINS9_10device_ptrIjEEEESE_PNS0_10empty_typeENS0_5tupleIJSE_SF_EEENSH_IJSE_SG_EEENS0_18inequality_wrapperI22is_equal_div_10_uniqueIjEEEPmJSF_EEE10hipError_tPvRmT3_T4_T5_T6_T7_T9_mT8_P12ihipStream_tbDpT10_ENKUlT_T0_E_clISt17integral_constantIbLb1EES18_EEDaS13_S14_EUlS13_E_NS1_11comp_targetILNS1_3genE4ELNS1_11target_archE910ELNS1_3gpuE8ELNS1_3repE0EEENS1_30default_config_static_selectorELNS0_4arch9wavefront6targetE0EEEvT1_, .Lfunc_end252-_ZN7rocprim17ROCPRIM_400000_NS6detail17trampoline_kernelINS0_14default_configENS1_25partition_config_selectorILNS1_17partition_subalgoE9EjjbEEZZNS1_14partition_implILS5_9ELb0ES3_jN6thrust23THRUST_200600_302600_NS6detail15normal_iteratorINS9_10device_ptrIjEEEESE_PNS0_10empty_typeENS0_5tupleIJSE_SF_EEENSH_IJSE_SG_EEENS0_18inequality_wrapperI22is_equal_div_10_uniqueIjEEEPmJSF_EEE10hipError_tPvRmT3_T4_T5_T6_T7_T9_mT8_P12ihipStream_tbDpT10_ENKUlT_T0_E_clISt17integral_constantIbLb1EES18_EEDaS13_S14_EUlS13_E_NS1_11comp_targetILNS1_3genE4ELNS1_11target_archE910ELNS1_3gpuE8ELNS1_3repE0EEENS1_30default_config_static_selectorELNS0_4arch9wavefront6targetE0EEEvT1_
                                        ; -- End function
	.section	.AMDGPU.csdata,"",@progbits
; Kernel info:
; codeLenInByte = 0
; NumSgprs: 0
; NumVgprs: 0
; ScratchSize: 0
; MemoryBound: 0
; FloatMode: 240
; IeeeMode: 1
; LDSByteSize: 0 bytes/workgroup (compile time only)
; SGPRBlocks: 0
; VGPRBlocks: 0
; NumSGPRsForWavesPerEU: 1
; NumVGPRsForWavesPerEU: 1
; Occupancy: 15
; WaveLimiterHint : 0
; COMPUTE_PGM_RSRC2:SCRATCH_EN: 0
; COMPUTE_PGM_RSRC2:USER_SGPR: 15
; COMPUTE_PGM_RSRC2:TRAP_HANDLER: 0
; COMPUTE_PGM_RSRC2:TGID_X_EN: 1
; COMPUTE_PGM_RSRC2:TGID_Y_EN: 0
; COMPUTE_PGM_RSRC2:TGID_Z_EN: 0
; COMPUTE_PGM_RSRC2:TIDIG_COMP_CNT: 0
	.section	.text._ZN7rocprim17ROCPRIM_400000_NS6detail17trampoline_kernelINS0_14default_configENS1_25partition_config_selectorILNS1_17partition_subalgoE9EjjbEEZZNS1_14partition_implILS5_9ELb0ES3_jN6thrust23THRUST_200600_302600_NS6detail15normal_iteratorINS9_10device_ptrIjEEEESE_PNS0_10empty_typeENS0_5tupleIJSE_SF_EEENSH_IJSE_SG_EEENS0_18inequality_wrapperI22is_equal_div_10_uniqueIjEEEPmJSF_EEE10hipError_tPvRmT3_T4_T5_T6_T7_T9_mT8_P12ihipStream_tbDpT10_ENKUlT_T0_E_clISt17integral_constantIbLb1EES18_EEDaS13_S14_EUlS13_E_NS1_11comp_targetILNS1_3genE3ELNS1_11target_archE908ELNS1_3gpuE7ELNS1_3repE0EEENS1_30default_config_static_selectorELNS0_4arch9wavefront6targetE0EEEvT1_,"axG",@progbits,_ZN7rocprim17ROCPRIM_400000_NS6detail17trampoline_kernelINS0_14default_configENS1_25partition_config_selectorILNS1_17partition_subalgoE9EjjbEEZZNS1_14partition_implILS5_9ELb0ES3_jN6thrust23THRUST_200600_302600_NS6detail15normal_iteratorINS9_10device_ptrIjEEEESE_PNS0_10empty_typeENS0_5tupleIJSE_SF_EEENSH_IJSE_SG_EEENS0_18inequality_wrapperI22is_equal_div_10_uniqueIjEEEPmJSF_EEE10hipError_tPvRmT3_T4_T5_T6_T7_T9_mT8_P12ihipStream_tbDpT10_ENKUlT_T0_E_clISt17integral_constantIbLb1EES18_EEDaS13_S14_EUlS13_E_NS1_11comp_targetILNS1_3genE3ELNS1_11target_archE908ELNS1_3gpuE7ELNS1_3repE0EEENS1_30default_config_static_selectorELNS0_4arch9wavefront6targetE0EEEvT1_,comdat
	.protected	_ZN7rocprim17ROCPRIM_400000_NS6detail17trampoline_kernelINS0_14default_configENS1_25partition_config_selectorILNS1_17partition_subalgoE9EjjbEEZZNS1_14partition_implILS5_9ELb0ES3_jN6thrust23THRUST_200600_302600_NS6detail15normal_iteratorINS9_10device_ptrIjEEEESE_PNS0_10empty_typeENS0_5tupleIJSE_SF_EEENSH_IJSE_SG_EEENS0_18inequality_wrapperI22is_equal_div_10_uniqueIjEEEPmJSF_EEE10hipError_tPvRmT3_T4_T5_T6_T7_T9_mT8_P12ihipStream_tbDpT10_ENKUlT_T0_E_clISt17integral_constantIbLb1EES18_EEDaS13_S14_EUlS13_E_NS1_11comp_targetILNS1_3genE3ELNS1_11target_archE908ELNS1_3gpuE7ELNS1_3repE0EEENS1_30default_config_static_selectorELNS0_4arch9wavefront6targetE0EEEvT1_ ; -- Begin function _ZN7rocprim17ROCPRIM_400000_NS6detail17trampoline_kernelINS0_14default_configENS1_25partition_config_selectorILNS1_17partition_subalgoE9EjjbEEZZNS1_14partition_implILS5_9ELb0ES3_jN6thrust23THRUST_200600_302600_NS6detail15normal_iteratorINS9_10device_ptrIjEEEESE_PNS0_10empty_typeENS0_5tupleIJSE_SF_EEENSH_IJSE_SG_EEENS0_18inequality_wrapperI22is_equal_div_10_uniqueIjEEEPmJSF_EEE10hipError_tPvRmT3_T4_T5_T6_T7_T9_mT8_P12ihipStream_tbDpT10_ENKUlT_T0_E_clISt17integral_constantIbLb1EES18_EEDaS13_S14_EUlS13_E_NS1_11comp_targetILNS1_3genE3ELNS1_11target_archE908ELNS1_3gpuE7ELNS1_3repE0EEENS1_30default_config_static_selectorELNS0_4arch9wavefront6targetE0EEEvT1_
	.globl	_ZN7rocprim17ROCPRIM_400000_NS6detail17trampoline_kernelINS0_14default_configENS1_25partition_config_selectorILNS1_17partition_subalgoE9EjjbEEZZNS1_14partition_implILS5_9ELb0ES3_jN6thrust23THRUST_200600_302600_NS6detail15normal_iteratorINS9_10device_ptrIjEEEESE_PNS0_10empty_typeENS0_5tupleIJSE_SF_EEENSH_IJSE_SG_EEENS0_18inequality_wrapperI22is_equal_div_10_uniqueIjEEEPmJSF_EEE10hipError_tPvRmT3_T4_T5_T6_T7_T9_mT8_P12ihipStream_tbDpT10_ENKUlT_T0_E_clISt17integral_constantIbLb1EES18_EEDaS13_S14_EUlS13_E_NS1_11comp_targetILNS1_3genE3ELNS1_11target_archE908ELNS1_3gpuE7ELNS1_3repE0EEENS1_30default_config_static_selectorELNS0_4arch9wavefront6targetE0EEEvT1_
	.p2align	8
	.type	_ZN7rocprim17ROCPRIM_400000_NS6detail17trampoline_kernelINS0_14default_configENS1_25partition_config_selectorILNS1_17partition_subalgoE9EjjbEEZZNS1_14partition_implILS5_9ELb0ES3_jN6thrust23THRUST_200600_302600_NS6detail15normal_iteratorINS9_10device_ptrIjEEEESE_PNS0_10empty_typeENS0_5tupleIJSE_SF_EEENSH_IJSE_SG_EEENS0_18inequality_wrapperI22is_equal_div_10_uniqueIjEEEPmJSF_EEE10hipError_tPvRmT3_T4_T5_T6_T7_T9_mT8_P12ihipStream_tbDpT10_ENKUlT_T0_E_clISt17integral_constantIbLb1EES18_EEDaS13_S14_EUlS13_E_NS1_11comp_targetILNS1_3genE3ELNS1_11target_archE908ELNS1_3gpuE7ELNS1_3repE0EEENS1_30default_config_static_selectorELNS0_4arch9wavefront6targetE0EEEvT1_,@function
_ZN7rocprim17ROCPRIM_400000_NS6detail17trampoline_kernelINS0_14default_configENS1_25partition_config_selectorILNS1_17partition_subalgoE9EjjbEEZZNS1_14partition_implILS5_9ELb0ES3_jN6thrust23THRUST_200600_302600_NS6detail15normal_iteratorINS9_10device_ptrIjEEEESE_PNS0_10empty_typeENS0_5tupleIJSE_SF_EEENSH_IJSE_SG_EEENS0_18inequality_wrapperI22is_equal_div_10_uniqueIjEEEPmJSF_EEE10hipError_tPvRmT3_T4_T5_T6_T7_T9_mT8_P12ihipStream_tbDpT10_ENKUlT_T0_E_clISt17integral_constantIbLb1EES18_EEDaS13_S14_EUlS13_E_NS1_11comp_targetILNS1_3genE3ELNS1_11target_archE908ELNS1_3gpuE7ELNS1_3repE0EEENS1_30default_config_static_selectorELNS0_4arch9wavefront6targetE0EEEvT1_: ; @_ZN7rocprim17ROCPRIM_400000_NS6detail17trampoline_kernelINS0_14default_configENS1_25partition_config_selectorILNS1_17partition_subalgoE9EjjbEEZZNS1_14partition_implILS5_9ELb0ES3_jN6thrust23THRUST_200600_302600_NS6detail15normal_iteratorINS9_10device_ptrIjEEEESE_PNS0_10empty_typeENS0_5tupleIJSE_SF_EEENSH_IJSE_SG_EEENS0_18inequality_wrapperI22is_equal_div_10_uniqueIjEEEPmJSF_EEE10hipError_tPvRmT3_T4_T5_T6_T7_T9_mT8_P12ihipStream_tbDpT10_ENKUlT_T0_E_clISt17integral_constantIbLb1EES18_EEDaS13_S14_EUlS13_E_NS1_11comp_targetILNS1_3genE3ELNS1_11target_archE908ELNS1_3gpuE7ELNS1_3repE0EEENS1_30default_config_static_selectorELNS0_4arch9wavefront6targetE0EEEvT1_
; %bb.0:
	.section	.rodata,"a",@progbits
	.p2align	6, 0x0
	.amdhsa_kernel _ZN7rocprim17ROCPRIM_400000_NS6detail17trampoline_kernelINS0_14default_configENS1_25partition_config_selectorILNS1_17partition_subalgoE9EjjbEEZZNS1_14partition_implILS5_9ELb0ES3_jN6thrust23THRUST_200600_302600_NS6detail15normal_iteratorINS9_10device_ptrIjEEEESE_PNS0_10empty_typeENS0_5tupleIJSE_SF_EEENSH_IJSE_SG_EEENS0_18inequality_wrapperI22is_equal_div_10_uniqueIjEEEPmJSF_EEE10hipError_tPvRmT3_T4_T5_T6_T7_T9_mT8_P12ihipStream_tbDpT10_ENKUlT_T0_E_clISt17integral_constantIbLb1EES18_EEDaS13_S14_EUlS13_E_NS1_11comp_targetILNS1_3genE3ELNS1_11target_archE908ELNS1_3gpuE7ELNS1_3repE0EEENS1_30default_config_static_selectorELNS0_4arch9wavefront6targetE0EEEvT1_
		.amdhsa_group_segment_fixed_size 0
		.amdhsa_private_segment_fixed_size 0
		.amdhsa_kernarg_size 128
		.amdhsa_user_sgpr_count 15
		.amdhsa_user_sgpr_dispatch_ptr 0
		.amdhsa_user_sgpr_queue_ptr 0
		.amdhsa_user_sgpr_kernarg_segment_ptr 1
		.amdhsa_user_sgpr_dispatch_id 0
		.amdhsa_user_sgpr_private_segment_size 0
		.amdhsa_wavefront_size32 1
		.amdhsa_uses_dynamic_stack 0
		.amdhsa_enable_private_segment 0
		.amdhsa_system_sgpr_workgroup_id_x 1
		.amdhsa_system_sgpr_workgroup_id_y 0
		.amdhsa_system_sgpr_workgroup_id_z 0
		.amdhsa_system_sgpr_workgroup_info 0
		.amdhsa_system_vgpr_workitem_id 0
		.amdhsa_next_free_vgpr 1
		.amdhsa_next_free_sgpr 1
		.amdhsa_reserve_vcc 0
		.amdhsa_float_round_mode_32 0
		.amdhsa_float_round_mode_16_64 0
		.amdhsa_float_denorm_mode_32 3
		.amdhsa_float_denorm_mode_16_64 3
		.amdhsa_dx10_clamp 1
		.amdhsa_ieee_mode 1
		.amdhsa_fp16_overflow 0
		.amdhsa_workgroup_processor_mode 1
		.amdhsa_memory_ordered 1
		.amdhsa_forward_progress 0
		.amdhsa_shared_vgpr_count 0
		.amdhsa_exception_fp_ieee_invalid_op 0
		.amdhsa_exception_fp_denorm_src 0
		.amdhsa_exception_fp_ieee_div_zero 0
		.amdhsa_exception_fp_ieee_overflow 0
		.amdhsa_exception_fp_ieee_underflow 0
		.amdhsa_exception_fp_ieee_inexact 0
		.amdhsa_exception_int_div_zero 0
	.end_amdhsa_kernel
	.section	.text._ZN7rocprim17ROCPRIM_400000_NS6detail17trampoline_kernelINS0_14default_configENS1_25partition_config_selectorILNS1_17partition_subalgoE9EjjbEEZZNS1_14partition_implILS5_9ELb0ES3_jN6thrust23THRUST_200600_302600_NS6detail15normal_iteratorINS9_10device_ptrIjEEEESE_PNS0_10empty_typeENS0_5tupleIJSE_SF_EEENSH_IJSE_SG_EEENS0_18inequality_wrapperI22is_equal_div_10_uniqueIjEEEPmJSF_EEE10hipError_tPvRmT3_T4_T5_T6_T7_T9_mT8_P12ihipStream_tbDpT10_ENKUlT_T0_E_clISt17integral_constantIbLb1EES18_EEDaS13_S14_EUlS13_E_NS1_11comp_targetILNS1_3genE3ELNS1_11target_archE908ELNS1_3gpuE7ELNS1_3repE0EEENS1_30default_config_static_selectorELNS0_4arch9wavefront6targetE0EEEvT1_,"axG",@progbits,_ZN7rocprim17ROCPRIM_400000_NS6detail17trampoline_kernelINS0_14default_configENS1_25partition_config_selectorILNS1_17partition_subalgoE9EjjbEEZZNS1_14partition_implILS5_9ELb0ES3_jN6thrust23THRUST_200600_302600_NS6detail15normal_iteratorINS9_10device_ptrIjEEEESE_PNS0_10empty_typeENS0_5tupleIJSE_SF_EEENSH_IJSE_SG_EEENS0_18inequality_wrapperI22is_equal_div_10_uniqueIjEEEPmJSF_EEE10hipError_tPvRmT3_T4_T5_T6_T7_T9_mT8_P12ihipStream_tbDpT10_ENKUlT_T0_E_clISt17integral_constantIbLb1EES18_EEDaS13_S14_EUlS13_E_NS1_11comp_targetILNS1_3genE3ELNS1_11target_archE908ELNS1_3gpuE7ELNS1_3repE0EEENS1_30default_config_static_selectorELNS0_4arch9wavefront6targetE0EEEvT1_,comdat
.Lfunc_end253:
	.size	_ZN7rocprim17ROCPRIM_400000_NS6detail17trampoline_kernelINS0_14default_configENS1_25partition_config_selectorILNS1_17partition_subalgoE9EjjbEEZZNS1_14partition_implILS5_9ELb0ES3_jN6thrust23THRUST_200600_302600_NS6detail15normal_iteratorINS9_10device_ptrIjEEEESE_PNS0_10empty_typeENS0_5tupleIJSE_SF_EEENSH_IJSE_SG_EEENS0_18inequality_wrapperI22is_equal_div_10_uniqueIjEEEPmJSF_EEE10hipError_tPvRmT3_T4_T5_T6_T7_T9_mT8_P12ihipStream_tbDpT10_ENKUlT_T0_E_clISt17integral_constantIbLb1EES18_EEDaS13_S14_EUlS13_E_NS1_11comp_targetILNS1_3genE3ELNS1_11target_archE908ELNS1_3gpuE7ELNS1_3repE0EEENS1_30default_config_static_selectorELNS0_4arch9wavefront6targetE0EEEvT1_, .Lfunc_end253-_ZN7rocprim17ROCPRIM_400000_NS6detail17trampoline_kernelINS0_14default_configENS1_25partition_config_selectorILNS1_17partition_subalgoE9EjjbEEZZNS1_14partition_implILS5_9ELb0ES3_jN6thrust23THRUST_200600_302600_NS6detail15normal_iteratorINS9_10device_ptrIjEEEESE_PNS0_10empty_typeENS0_5tupleIJSE_SF_EEENSH_IJSE_SG_EEENS0_18inequality_wrapperI22is_equal_div_10_uniqueIjEEEPmJSF_EEE10hipError_tPvRmT3_T4_T5_T6_T7_T9_mT8_P12ihipStream_tbDpT10_ENKUlT_T0_E_clISt17integral_constantIbLb1EES18_EEDaS13_S14_EUlS13_E_NS1_11comp_targetILNS1_3genE3ELNS1_11target_archE908ELNS1_3gpuE7ELNS1_3repE0EEENS1_30default_config_static_selectorELNS0_4arch9wavefront6targetE0EEEvT1_
                                        ; -- End function
	.section	.AMDGPU.csdata,"",@progbits
; Kernel info:
; codeLenInByte = 0
; NumSgprs: 0
; NumVgprs: 0
; ScratchSize: 0
; MemoryBound: 0
; FloatMode: 240
; IeeeMode: 1
; LDSByteSize: 0 bytes/workgroup (compile time only)
; SGPRBlocks: 0
; VGPRBlocks: 0
; NumSGPRsForWavesPerEU: 1
; NumVGPRsForWavesPerEU: 1
; Occupancy: 16
; WaveLimiterHint : 0
; COMPUTE_PGM_RSRC2:SCRATCH_EN: 0
; COMPUTE_PGM_RSRC2:USER_SGPR: 15
; COMPUTE_PGM_RSRC2:TRAP_HANDLER: 0
; COMPUTE_PGM_RSRC2:TGID_X_EN: 1
; COMPUTE_PGM_RSRC2:TGID_Y_EN: 0
; COMPUTE_PGM_RSRC2:TGID_Z_EN: 0
; COMPUTE_PGM_RSRC2:TIDIG_COMP_CNT: 0
	.section	.text._ZN7rocprim17ROCPRIM_400000_NS6detail17trampoline_kernelINS0_14default_configENS1_25partition_config_selectorILNS1_17partition_subalgoE9EjjbEEZZNS1_14partition_implILS5_9ELb0ES3_jN6thrust23THRUST_200600_302600_NS6detail15normal_iteratorINS9_10device_ptrIjEEEESE_PNS0_10empty_typeENS0_5tupleIJSE_SF_EEENSH_IJSE_SG_EEENS0_18inequality_wrapperI22is_equal_div_10_uniqueIjEEEPmJSF_EEE10hipError_tPvRmT3_T4_T5_T6_T7_T9_mT8_P12ihipStream_tbDpT10_ENKUlT_T0_E_clISt17integral_constantIbLb1EES18_EEDaS13_S14_EUlS13_E_NS1_11comp_targetILNS1_3genE2ELNS1_11target_archE906ELNS1_3gpuE6ELNS1_3repE0EEENS1_30default_config_static_selectorELNS0_4arch9wavefront6targetE0EEEvT1_,"axG",@progbits,_ZN7rocprim17ROCPRIM_400000_NS6detail17trampoline_kernelINS0_14default_configENS1_25partition_config_selectorILNS1_17partition_subalgoE9EjjbEEZZNS1_14partition_implILS5_9ELb0ES3_jN6thrust23THRUST_200600_302600_NS6detail15normal_iteratorINS9_10device_ptrIjEEEESE_PNS0_10empty_typeENS0_5tupleIJSE_SF_EEENSH_IJSE_SG_EEENS0_18inequality_wrapperI22is_equal_div_10_uniqueIjEEEPmJSF_EEE10hipError_tPvRmT3_T4_T5_T6_T7_T9_mT8_P12ihipStream_tbDpT10_ENKUlT_T0_E_clISt17integral_constantIbLb1EES18_EEDaS13_S14_EUlS13_E_NS1_11comp_targetILNS1_3genE2ELNS1_11target_archE906ELNS1_3gpuE6ELNS1_3repE0EEENS1_30default_config_static_selectorELNS0_4arch9wavefront6targetE0EEEvT1_,comdat
	.protected	_ZN7rocprim17ROCPRIM_400000_NS6detail17trampoline_kernelINS0_14default_configENS1_25partition_config_selectorILNS1_17partition_subalgoE9EjjbEEZZNS1_14partition_implILS5_9ELb0ES3_jN6thrust23THRUST_200600_302600_NS6detail15normal_iteratorINS9_10device_ptrIjEEEESE_PNS0_10empty_typeENS0_5tupleIJSE_SF_EEENSH_IJSE_SG_EEENS0_18inequality_wrapperI22is_equal_div_10_uniqueIjEEEPmJSF_EEE10hipError_tPvRmT3_T4_T5_T6_T7_T9_mT8_P12ihipStream_tbDpT10_ENKUlT_T0_E_clISt17integral_constantIbLb1EES18_EEDaS13_S14_EUlS13_E_NS1_11comp_targetILNS1_3genE2ELNS1_11target_archE906ELNS1_3gpuE6ELNS1_3repE0EEENS1_30default_config_static_selectorELNS0_4arch9wavefront6targetE0EEEvT1_ ; -- Begin function _ZN7rocprim17ROCPRIM_400000_NS6detail17trampoline_kernelINS0_14default_configENS1_25partition_config_selectorILNS1_17partition_subalgoE9EjjbEEZZNS1_14partition_implILS5_9ELb0ES3_jN6thrust23THRUST_200600_302600_NS6detail15normal_iteratorINS9_10device_ptrIjEEEESE_PNS0_10empty_typeENS0_5tupleIJSE_SF_EEENSH_IJSE_SG_EEENS0_18inequality_wrapperI22is_equal_div_10_uniqueIjEEEPmJSF_EEE10hipError_tPvRmT3_T4_T5_T6_T7_T9_mT8_P12ihipStream_tbDpT10_ENKUlT_T0_E_clISt17integral_constantIbLb1EES18_EEDaS13_S14_EUlS13_E_NS1_11comp_targetILNS1_3genE2ELNS1_11target_archE906ELNS1_3gpuE6ELNS1_3repE0EEENS1_30default_config_static_selectorELNS0_4arch9wavefront6targetE0EEEvT1_
	.globl	_ZN7rocprim17ROCPRIM_400000_NS6detail17trampoline_kernelINS0_14default_configENS1_25partition_config_selectorILNS1_17partition_subalgoE9EjjbEEZZNS1_14partition_implILS5_9ELb0ES3_jN6thrust23THRUST_200600_302600_NS6detail15normal_iteratorINS9_10device_ptrIjEEEESE_PNS0_10empty_typeENS0_5tupleIJSE_SF_EEENSH_IJSE_SG_EEENS0_18inequality_wrapperI22is_equal_div_10_uniqueIjEEEPmJSF_EEE10hipError_tPvRmT3_T4_T5_T6_T7_T9_mT8_P12ihipStream_tbDpT10_ENKUlT_T0_E_clISt17integral_constantIbLb1EES18_EEDaS13_S14_EUlS13_E_NS1_11comp_targetILNS1_3genE2ELNS1_11target_archE906ELNS1_3gpuE6ELNS1_3repE0EEENS1_30default_config_static_selectorELNS0_4arch9wavefront6targetE0EEEvT1_
	.p2align	8
	.type	_ZN7rocprim17ROCPRIM_400000_NS6detail17trampoline_kernelINS0_14default_configENS1_25partition_config_selectorILNS1_17partition_subalgoE9EjjbEEZZNS1_14partition_implILS5_9ELb0ES3_jN6thrust23THRUST_200600_302600_NS6detail15normal_iteratorINS9_10device_ptrIjEEEESE_PNS0_10empty_typeENS0_5tupleIJSE_SF_EEENSH_IJSE_SG_EEENS0_18inequality_wrapperI22is_equal_div_10_uniqueIjEEEPmJSF_EEE10hipError_tPvRmT3_T4_T5_T6_T7_T9_mT8_P12ihipStream_tbDpT10_ENKUlT_T0_E_clISt17integral_constantIbLb1EES18_EEDaS13_S14_EUlS13_E_NS1_11comp_targetILNS1_3genE2ELNS1_11target_archE906ELNS1_3gpuE6ELNS1_3repE0EEENS1_30default_config_static_selectorELNS0_4arch9wavefront6targetE0EEEvT1_,@function
_ZN7rocprim17ROCPRIM_400000_NS6detail17trampoline_kernelINS0_14default_configENS1_25partition_config_selectorILNS1_17partition_subalgoE9EjjbEEZZNS1_14partition_implILS5_9ELb0ES3_jN6thrust23THRUST_200600_302600_NS6detail15normal_iteratorINS9_10device_ptrIjEEEESE_PNS0_10empty_typeENS0_5tupleIJSE_SF_EEENSH_IJSE_SG_EEENS0_18inequality_wrapperI22is_equal_div_10_uniqueIjEEEPmJSF_EEE10hipError_tPvRmT3_T4_T5_T6_T7_T9_mT8_P12ihipStream_tbDpT10_ENKUlT_T0_E_clISt17integral_constantIbLb1EES18_EEDaS13_S14_EUlS13_E_NS1_11comp_targetILNS1_3genE2ELNS1_11target_archE906ELNS1_3gpuE6ELNS1_3repE0EEENS1_30default_config_static_selectorELNS0_4arch9wavefront6targetE0EEEvT1_: ; @_ZN7rocprim17ROCPRIM_400000_NS6detail17trampoline_kernelINS0_14default_configENS1_25partition_config_selectorILNS1_17partition_subalgoE9EjjbEEZZNS1_14partition_implILS5_9ELb0ES3_jN6thrust23THRUST_200600_302600_NS6detail15normal_iteratorINS9_10device_ptrIjEEEESE_PNS0_10empty_typeENS0_5tupleIJSE_SF_EEENSH_IJSE_SG_EEENS0_18inequality_wrapperI22is_equal_div_10_uniqueIjEEEPmJSF_EEE10hipError_tPvRmT3_T4_T5_T6_T7_T9_mT8_P12ihipStream_tbDpT10_ENKUlT_T0_E_clISt17integral_constantIbLb1EES18_EEDaS13_S14_EUlS13_E_NS1_11comp_targetILNS1_3genE2ELNS1_11target_archE906ELNS1_3gpuE6ELNS1_3repE0EEENS1_30default_config_static_selectorELNS0_4arch9wavefront6targetE0EEEvT1_
; %bb.0:
	.section	.rodata,"a",@progbits
	.p2align	6, 0x0
	.amdhsa_kernel _ZN7rocprim17ROCPRIM_400000_NS6detail17trampoline_kernelINS0_14default_configENS1_25partition_config_selectorILNS1_17partition_subalgoE9EjjbEEZZNS1_14partition_implILS5_9ELb0ES3_jN6thrust23THRUST_200600_302600_NS6detail15normal_iteratorINS9_10device_ptrIjEEEESE_PNS0_10empty_typeENS0_5tupleIJSE_SF_EEENSH_IJSE_SG_EEENS0_18inequality_wrapperI22is_equal_div_10_uniqueIjEEEPmJSF_EEE10hipError_tPvRmT3_T4_T5_T6_T7_T9_mT8_P12ihipStream_tbDpT10_ENKUlT_T0_E_clISt17integral_constantIbLb1EES18_EEDaS13_S14_EUlS13_E_NS1_11comp_targetILNS1_3genE2ELNS1_11target_archE906ELNS1_3gpuE6ELNS1_3repE0EEENS1_30default_config_static_selectorELNS0_4arch9wavefront6targetE0EEEvT1_
		.amdhsa_group_segment_fixed_size 0
		.amdhsa_private_segment_fixed_size 0
		.amdhsa_kernarg_size 128
		.amdhsa_user_sgpr_count 15
		.amdhsa_user_sgpr_dispatch_ptr 0
		.amdhsa_user_sgpr_queue_ptr 0
		.amdhsa_user_sgpr_kernarg_segment_ptr 1
		.amdhsa_user_sgpr_dispatch_id 0
		.amdhsa_user_sgpr_private_segment_size 0
		.amdhsa_wavefront_size32 1
		.amdhsa_uses_dynamic_stack 0
		.amdhsa_enable_private_segment 0
		.amdhsa_system_sgpr_workgroup_id_x 1
		.amdhsa_system_sgpr_workgroup_id_y 0
		.amdhsa_system_sgpr_workgroup_id_z 0
		.amdhsa_system_sgpr_workgroup_info 0
		.amdhsa_system_vgpr_workitem_id 0
		.amdhsa_next_free_vgpr 1
		.amdhsa_next_free_sgpr 1
		.amdhsa_reserve_vcc 0
		.amdhsa_float_round_mode_32 0
		.amdhsa_float_round_mode_16_64 0
		.amdhsa_float_denorm_mode_32 3
		.amdhsa_float_denorm_mode_16_64 3
		.amdhsa_dx10_clamp 1
		.amdhsa_ieee_mode 1
		.amdhsa_fp16_overflow 0
		.amdhsa_workgroup_processor_mode 1
		.amdhsa_memory_ordered 1
		.amdhsa_forward_progress 0
		.amdhsa_shared_vgpr_count 0
		.amdhsa_exception_fp_ieee_invalid_op 0
		.amdhsa_exception_fp_denorm_src 0
		.amdhsa_exception_fp_ieee_div_zero 0
		.amdhsa_exception_fp_ieee_overflow 0
		.amdhsa_exception_fp_ieee_underflow 0
		.amdhsa_exception_fp_ieee_inexact 0
		.amdhsa_exception_int_div_zero 0
	.end_amdhsa_kernel
	.section	.text._ZN7rocprim17ROCPRIM_400000_NS6detail17trampoline_kernelINS0_14default_configENS1_25partition_config_selectorILNS1_17partition_subalgoE9EjjbEEZZNS1_14partition_implILS5_9ELb0ES3_jN6thrust23THRUST_200600_302600_NS6detail15normal_iteratorINS9_10device_ptrIjEEEESE_PNS0_10empty_typeENS0_5tupleIJSE_SF_EEENSH_IJSE_SG_EEENS0_18inequality_wrapperI22is_equal_div_10_uniqueIjEEEPmJSF_EEE10hipError_tPvRmT3_T4_T5_T6_T7_T9_mT8_P12ihipStream_tbDpT10_ENKUlT_T0_E_clISt17integral_constantIbLb1EES18_EEDaS13_S14_EUlS13_E_NS1_11comp_targetILNS1_3genE2ELNS1_11target_archE906ELNS1_3gpuE6ELNS1_3repE0EEENS1_30default_config_static_selectorELNS0_4arch9wavefront6targetE0EEEvT1_,"axG",@progbits,_ZN7rocprim17ROCPRIM_400000_NS6detail17trampoline_kernelINS0_14default_configENS1_25partition_config_selectorILNS1_17partition_subalgoE9EjjbEEZZNS1_14partition_implILS5_9ELb0ES3_jN6thrust23THRUST_200600_302600_NS6detail15normal_iteratorINS9_10device_ptrIjEEEESE_PNS0_10empty_typeENS0_5tupleIJSE_SF_EEENSH_IJSE_SG_EEENS0_18inequality_wrapperI22is_equal_div_10_uniqueIjEEEPmJSF_EEE10hipError_tPvRmT3_T4_T5_T6_T7_T9_mT8_P12ihipStream_tbDpT10_ENKUlT_T0_E_clISt17integral_constantIbLb1EES18_EEDaS13_S14_EUlS13_E_NS1_11comp_targetILNS1_3genE2ELNS1_11target_archE906ELNS1_3gpuE6ELNS1_3repE0EEENS1_30default_config_static_selectorELNS0_4arch9wavefront6targetE0EEEvT1_,comdat
.Lfunc_end254:
	.size	_ZN7rocprim17ROCPRIM_400000_NS6detail17trampoline_kernelINS0_14default_configENS1_25partition_config_selectorILNS1_17partition_subalgoE9EjjbEEZZNS1_14partition_implILS5_9ELb0ES3_jN6thrust23THRUST_200600_302600_NS6detail15normal_iteratorINS9_10device_ptrIjEEEESE_PNS0_10empty_typeENS0_5tupleIJSE_SF_EEENSH_IJSE_SG_EEENS0_18inequality_wrapperI22is_equal_div_10_uniqueIjEEEPmJSF_EEE10hipError_tPvRmT3_T4_T5_T6_T7_T9_mT8_P12ihipStream_tbDpT10_ENKUlT_T0_E_clISt17integral_constantIbLb1EES18_EEDaS13_S14_EUlS13_E_NS1_11comp_targetILNS1_3genE2ELNS1_11target_archE906ELNS1_3gpuE6ELNS1_3repE0EEENS1_30default_config_static_selectorELNS0_4arch9wavefront6targetE0EEEvT1_, .Lfunc_end254-_ZN7rocprim17ROCPRIM_400000_NS6detail17trampoline_kernelINS0_14default_configENS1_25partition_config_selectorILNS1_17partition_subalgoE9EjjbEEZZNS1_14partition_implILS5_9ELb0ES3_jN6thrust23THRUST_200600_302600_NS6detail15normal_iteratorINS9_10device_ptrIjEEEESE_PNS0_10empty_typeENS0_5tupleIJSE_SF_EEENSH_IJSE_SG_EEENS0_18inequality_wrapperI22is_equal_div_10_uniqueIjEEEPmJSF_EEE10hipError_tPvRmT3_T4_T5_T6_T7_T9_mT8_P12ihipStream_tbDpT10_ENKUlT_T0_E_clISt17integral_constantIbLb1EES18_EEDaS13_S14_EUlS13_E_NS1_11comp_targetILNS1_3genE2ELNS1_11target_archE906ELNS1_3gpuE6ELNS1_3repE0EEENS1_30default_config_static_selectorELNS0_4arch9wavefront6targetE0EEEvT1_
                                        ; -- End function
	.section	.AMDGPU.csdata,"",@progbits
; Kernel info:
; codeLenInByte = 0
; NumSgprs: 0
; NumVgprs: 0
; ScratchSize: 0
; MemoryBound: 0
; FloatMode: 240
; IeeeMode: 1
; LDSByteSize: 0 bytes/workgroup (compile time only)
; SGPRBlocks: 0
; VGPRBlocks: 0
; NumSGPRsForWavesPerEU: 1
; NumVGPRsForWavesPerEU: 1
; Occupancy: 16
; WaveLimiterHint : 0
; COMPUTE_PGM_RSRC2:SCRATCH_EN: 0
; COMPUTE_PGM_RSRC2:USER_SGPR: 15
; COMPUTE_PGM_RSRC2:TRAP_HANDLER: 0
; COMPUTE_PGM_RSRC2:TGID_X_EN: 1
; COMPUTE_PGM_RSRC2:TGID_Y_EN: 0
; COMPUTE_PGM_RSRC2:TGID_Z_EN: 0
; COMPUTE_PGM_RSRC2:TIDIG_COMP_CNT: 0
	.section	.text._ZN7rocprim17ROCPRIM_400000_NS6detail17trampoline_kernelINS0_14default_configENS1_25partition_config_selectorILNS1_17partition_subalgoE9EjjbEEZZNS1_14partition_implILS5_9ELb0ES3_jN6thrust23THRUST_200600_302600_NS6detail15normal_iteratorINS9_10device_ptrIjEEEESE_PNS0_10empty_typeENS0_5tupleIJSE_SF_EEENSH_IJSE_SG_EEENS0_18inequality_wrapperI22is_equal_div_10_uniqueIjEEEPmJSF_EEE10hipError_tPvRmT3_T4_T5_T6_T7_T9_mT8_P12ihipStream_tbDpT10_ENKUlT_T0_E_clISt17integral_constantIbLb1EES18_EEDaS13_S14_EUlS13_E_NS1_11comp_targetILNS1_3genE10ELNS1_11target_archE1200ELNS1_3gpuE4ELNS1_3repE0EEENS1_30default_config_static_selectorELNS0_4arch9wavefront6targetE0EEEvT1_,"axG",@progbits,_ZN7rocprim17ROCPRIM_400000_NS6detail17trampoline_kernelINS0_14default_configENS1_25partition_config_selectorILNS1_17partition_subalgoE9EjjbEEZZNS1_14partition_implILS5_9ELb0ES3_jN6thrust23THRUST_200600_302600_NS6detail15normal_iteratorINS9_10device_ptrIjEEEESE_PNS0_10empty_typeENS0_5tupleIJSE_SF_EEENSH_IJSE_SG_EEENS0_18inequality_wrapperI22is_equal_div_10_uniqueIjEEEPmJSF_EEE10hipError_tPvRmT3_T4_T5_T6_T7_T9_mT8_P12ihipStream_tbDpT10_ENKUlT_T0_E_clISt17integral_constantIbLb1EES18_EEDaS13_S14_EUlS13_E_NS1_11comp_targetILNS1_3genE10ELNS1_11target_archE1200ELNS1_3gpuE4ELNS1_3repE0EEENS1_30default_config_static_selectorELNS0_4arch9wavefront6targetE0EEEvT1_,comdat
	.protected	_ZN7rocprim17ROCPRIM_400000_NS6detail17trampoline_kernelINS0_14default_configENS1_25partition_config_selectorILNS1_17partition_subalgoE9EjjbEEZZNS1_14partition_implILS5_9ELb0ES3_jN6thrust23THRUST_200600_302600_NS6detail15normal_iteratorINS9_10device_ptrIjEEEESE_PNS0_10empty_typeENS0_5tupleIJSE_SF_EEENSH_IJSE_SG_EEENS0_18inequality_wrapperI22is_equal_div_10_uniqueIjEEEPmJSF_EEE10hipError_tPvRmT3_T4_T5_T6_T7_T9_mT8_P12ihipStream_tbDpT10_ENKUlT_T0_E_clISt17integral_constantIbLb1EES18_EEDaS13_S14_EUlS13_E_NS1_11comp_targetILNS1_3genE10ELNS1_11target_archE1200ELNS1_3gpuE4ELNS1_3repE0EEENS1_30default_config_static_selectorELNS0_4arch9wavefront6targetE0EEEvT1_ ; -- Begin function _ZN7rocprim17ROCPRIM_400000_NS6detail17trampoline_kernelINS0_14default_configENS1_25partition_config_selectorILNS1_17partition_subalgoE9EjjbEEZZNS1_14partition_implILS5_9ELb0ES3_jN6thrust23THRUST_200600_302600_NS6detail15normal_iteratorINS9_10device_ptrIjEEEESE_PNS0_10empty_typeENS0_5tupleIJSE_SF_EEENSH_IJSE_SG_EEENS0_18inequality_wrapperI22is_equal_div_10_uniqueIjEEEPmJSF_EEE10hipError_tPvRmT3_T4_T5_T6_T7_T9_mT8_P12ihipStream_tbDpT10_ENKUlT_T0_E_clISt17integral_constantIbLb1EES18_EEDaS13_S14_EUlS13_E_NS1_11comp_targetILNS1_3genE10ELNS1_11target_archE1200ELNS1_3gpuE4ELNS1_3repE0EEENS1_30default_config_static_selectorELNS0_4arch9wavefront6targetE0EEEvT1_
	.globl	_ZN7rocprim17ROCPRIM_400000_NS6detail17trampoline_kernelINS0_14default_configENS1_25partition_config_selectorILNS1_17partition_subalgoE9EjjbEEZZNS1_14partition_implILS5_9ELb0ES3_jN6thrust23THRUST_200600_302600_NS6detail15normal_iteratorINS9_10device_ptrIjEEEESE_PNS0_10empty_typeENS0_5tupleIJSE_SF_EEENSH_IJSE_SG_EEENS0_18inequality_wrapperI22is_equal_div_10_uniqueIjEEEPmJSF_EEE10hipError_tPvRmT3_T4_T5_T6_T7_T9_mT8_P12ihipStream_tbDpT10_ENKUlT_T0_E_clISt17integral_constantIbLb1EES18_EEDaS13_S14_EUlS13_E_NS1_11comp_targetILNS1_3genE10ELNS1_11target_archE1200ELNS1_3gpuE4ELNS1_3repE0EEENS1_30default_config_static_selectorELNS0_4arch9wavefront6targetE0EEEvT1_
	.p2align	8
	.type	_ZN7rocprim17ROCPRIM_400000_NS6detail17trampoline_kernelINS0_14default_configENS1_25partition_config_selectorILNS1_17partition_subalgoE9EjjbEEZZNS1_14partition_implILS5_9ELb0ES3_jN6thrust23THRUST_200600_302600_NS6detail15normal_iteratorINS9_10device_ptrIjEEEESE_PNS0_10empty_typeENS0_5tupleIJSE_SF_EEENSH_IJSE_SG_EEENS0_18inequality_wrapperI22is_equal_div_10_uniqueIjEEEPmJSF_EEE10hipError_tPvRmT3_T4_T5_T6_T7_T9_mT8_P12ihipStream_tbDpT10_ENKUlT_T0_E_clISt17integral_constantIbLb1EES18_EEDaS13_S14_EUlS13_E_NS1_11comp_targetILNS1_3genE10ELNS1_11target_archE1200ELNS1_3gpuE4ELNS1_3repE0EEENS1_30default_config_static_selectorELNS0_4arch9wavefront6targetE0EEEvT1_,@function
_ZN7rocprim17ROCPRIM_400000_NS6detail17trampoline_kernelINS0_14default_configENS1_25partition_config_selectorILNS1_17partition_subalgoE9EjjbEEZZNS1_14partition_implILS5_9ELb0ES3_jN6thrust23THRUST_200600_302600_NS6detail15normal_iteratorINS9_10device_ptrIjEEEESE_PNS0_10empty_typeENS0_5tupleIJSE_SF_EEENSH_IJSE_SG_EEENS0_18inequality_wrapperI22is_equal_div_10_uniqueIjEEEPmJSF_EEE10hipError_tPvRmT3_T4_T5_T6_T7_T9_mT8_P12ihipStream_tbDpT10_ENKUlT_T0_E_clISt17integral_constantIbLb1EES18_EEDaS13_S14_EUlS13_E_NS1_11comp_targetILNS1_3genE10ELNS1_11target_archE1200ELNS1_3gpuE4ELNS1_3repE0EEENS1_30default_config_static_selectorELNS0_4arch9wavefront6targetE0EEEvT1_: ; @_ZN7rocprim17ROCPRIM_400000_NS6detail17trampoline_kernelINS0_14default_configENS1_25partition_config_selectorILNS1_17partition_subalgoE9EjjbEEZZNS1_14partition_implILS5_9ELb0ES3_jN6thrust23THRUST_200600_302600_NS6detail15normal_iteratorINS9_10device_ptrIjEEEESE_PNS0_10empty_typeENS0_5tupleIJSE_SF_EEENSH_IJSE_SG_EEENS0_18inequality_wrapperI22is_equal_div_10_uniqueIjEEEPmJSF_EEE10hipError_tPvRmT3_T4_T5_T6_T7_T9_mT8_P12ihipStream_tbDpT10_ENKUlT_T0_E_clISt17integral_constantIbLb1EES18_EEDaS13_S14_EUlS13_E_NS1_11comp_targetILNS1_3genE10ELNS1_11target_archE1200ELNS1_3gpuE4ELNS1_3repE0EEENS1_30default_config_static_selectorELNS0_4arch9wavefront6targetE0EEEvT1_
; %bb.0:
	.section	.rodata,"a",@progbits
	.p2align	6, 0x0
	.amdhsa_kernel _ZN7rocprim17ROCPRIM_400000_NS6detail17trampoline_kernelINS0_14default_configENS1_25partition_config_selectorILNS1_17partition_subalgoE9EjjbEEZZNS1_14partition_implILS5_9ELb0ES3_jN6thrust23THRUST_200600_302600_NS6detail15normal_iteratorINS9_10device_ptrIjEEEESE_PNS0_10empty_typeENS0_5tupleIJSE_SF_EEENSH_IJSE_SG_EEENS0_18inequality_wrapperI22is_equal_div_10_uniqueIjEEEPmJSF_EEE10hipError_tPvRmT3_T4_T5_T6_T7_T9_mT8_P12ihipStream_tbDpT10_ENKUlT_T0_E_clISt17integral_constantIbLb1EES18_EEDaS13_S14_EUlS13_E_NS1_11comp_targetILNS1_3genE10ELNS1_11target_archE1200ELNS1_3gpuE4ELNS1_3repE0EEENS1_30default_config_static_selectorELNS0_4arch9wavefront6targetE0EEEvT1_
		.amdhsa_group_segment_fixed_size 0
		.amdhsa_private_segment_fixed_size 0
		.amdhsa_kernarg_size 128
		.amdhsa_user_sgpr_count 15
		.amdhsa_user_sgpr_dispatch_ptr 0
		.amdhsa_user_sgpr_queue_ptr 0
		.amdhsa_user_sgpr_kernarg_segment_ptr 1
		.amdhsa_user_sgpr_dispatch_id 0
		.amdhsa_user_sgpr_private_segment_size 0
		.amdhsa_wavefront_size32 1
		.amdhsa_uses_dynamic_stack 0
		.amdhsa_enable_private_segment 0
		.amdhsa_system_sgpr_workgroup_id_x 1
		.amdhsa_system_sgpr_workgroup_id_y 0
		.amdhsa_system_sgpr_workgroup_id_z 0
		.amdhsa_system_sgpr_workgroup_info 0
		.amdhsa_system_vgpr_workitem_id 0
		.amdhsa_next_free_vgpr 1
		.amdhsa_next_free_sgpr 1
		.amdhsa_reserve_vcc 0
		.amdhsa_float_round_mode_32 0
		.amdhsa_float_round_mode_16_64 0
		.amdhsa_float_denorm_mode_32 3
		.amdhsa_float_denorm_mode_16_64 3
		.amdhsa_dx10_clamp 1
		.amdhsa_ieee_mode 1
		.amdhsa_fp16_overflow 0
		.amdhsa_workgroup_processor_mode 1
		.amdhsa_memory_ordered 1
		.amdhsa_forward_progress 0
		.amdhsa_shared_vgpr_count 0
		.amdhsa_exception_fp_ieee_invalid_op 0
		.amdhsa_exception_fp_denorm_src 0
		.amdhsa_exception_fp_ieee_div_zero 0
		.amdhsa_exception_fp_ieee_overflow 0
		.amdhsa_exception_fp_ieee_underflow 0
		.amdhsa_exception_fp_ieee_inexact 0
		.amdhsa_exception_int_div_zero 0
	.end_amdhsa_kernel
	.section	.text._ZN7rocprim17ROCPRIM_400000_NS6detail17trampoline_kernelINS0_14default_configENS1_25partition_config_selectorILNS1_17partition_subalgoE9EjjbEEZZNS1_14partition_implILS5_9ELb0ES3_jN6thrust23THRUST_200600_302600_NS6detail15normal_iteratorINS9_10device_ptrIjEEEESE_PNS0_10empty_typeENS0_5tupleIJSE_SF_EEENSH_IJSE_SG_EEENS0_18inequality_wrapperI22is_equal_div_10_uniqueIjEEEPmJSF_EEE10hipError_tPvRmT3_T4_T5_T6_T7_T9_mT8_P12ihipStream_tbDpT10_ENKUlT_T0_E_clISt17integral_constantIbLb1EES18_EEDaS13_S14_EUlS13_E_NS1_11comp_targetILNS1_3genE10ELNS1_11target_archE1200ELNS1_3gpuE4ELNS1_3repE0EEENS1_30default_config_static_selectorELNS0_4arch9wavefront6targetE0EEEvT1_,"axG",@progbits,_ZN7rocprim17ROCPRIM_400000_NS6detail17trampoline_kernelINS0_14default_configENS1_25partition_config_selectorILNS1_17partition_subalgoE9EjjbEEZZNS1_14partition_implILS5_9ELb0ES3_jN6thrust23THRUST_200600_302600_NS6detail15normal_iteratorINS9_10device_ptrIjEEEESE_PNS0_10empty_typeENS0_5tupleIJSE_SF_EEENSH_IJSE_SG_EEENS0_18inequality_wrapperI22is_equal_div_10_uniqueIjEEEPmJSF_EEE10hipError_tPvRmT3_T4_T5_T6_T7_T9_mT8_P12ihipStream_tbDpT10_ENKUlT_T0_E_clISt17integral_constantIbLb1EES18_EEDaS13_S14_EUlS13_E_NS1_11comp_targetILNS1_3genE10ELNS1_11target_archE1200ELNS1_3gpuE4ELNS1_3repE0EEENS1_30default_config_static_selectorELNS0_4arch9wavefront6targetE0EEEvT1_,comdat
.Lfunc_end255:
	.size	_ZN7rocprim17ROCPRIM_400000_NS6detail17trampoline_kernelINS0_14default_configENS1_25partition_config_selectorILNS1_17partition_subalgoE9EjjbEEZZNS1_14partition_implILS5_9ELb0ES3_jN6thrust23THRUST_200600_302600_NS6detail15normal_iteratorINS9_10device_ptrIjEEEESE_PNS0_10empty_typeENS0_5tupleIJSE_SF_EEENSH_IJSE_SG_EEENS0_18inequality_wrapperI22is_equal_div_10_uniqueIjEEEPmJSF_EEE10hipError_tPvRmT3_T4_T5_T6_T7_T9_mT8_P12ihipStream_tbDpT10_ENKUlT_T0_E_clISt17integral_constantIbLb1EES18_EEDaS13_S14_EUlS13_E_NS1_11comp_targetILNS1_3genE10ELNS1_11target_archE1200ELNS1_3gpuE4ELNS1_3repE0EEENS1_30default_config_static_selectorELNS0_4arch9wavefront6targetE0EEEvT1_, .Lfunc_end255-_ZN7rocprim17ROCPRIM_400000_NS6detail17trampoline_kernelINS0_14default_configENS1_25partition_config_selectorILNS1_17partition_subalgoE9EjjbEEZZNS1_14partition_implILS5_9ELb0ES3_jN6thrust23THRUST_200600_302600_NS6detail15normal_iteratorINS9_10device_ptrIjEEEESE_PNS0_10empty_typeENS0_5tupleIJSE_SF_EEENSH_IJSE_SG_EEENS0_18inequality_wrapperI22is_equal_div_10_uniqueIjEEEPmJSF_EEE10hipError_tPvRmT3_T4_T5_T6_T7_T9_mT8_P12ihipStream_tbDpT10_ENKUlT_T0_E_clISt17integral_constantIbLb1EES18_EEDaS13_S14_EUlS13_E_NS1_11comp_targetILNS1_3genE10ELNS1_11target_archE1200ELNS1_3gpuE4ELNS1_3repE0EEENS1_30default_config_static_selectorELNS0_4arch9wavefront6targetE0EEEvT1_
                                        ; -- End function
	.section	.AMDGPU.csdata,"",@progbits
; Kernel info:
; codeLenInByte = 0
; NumSgprs: 0
; NumVgprs: 0
; ScratchSize: 0
; MemoryBound: 0
; FloatMode: 240
; IeeeMode: 1
; LDSByteSize: 0 bytes/workgroup (compile time only)
; SGPRBlocks: 0
; VGPRBlocks: 0
; NumSGPRsForWavesPerEU: 1
; NumVGPRsForWavesPerEU: 1
; Occupancy: 15
; WaveLimiterHint : 0
; COMPUTE_PGM_RSRC2:SCRATCH_EN: 0
; COMPUTE_PGM_RSRC2:USER_SGPR: 15
; COMPUTE_PGM_RSRC2:TRAP_HANDLER: 0
; COMPUTE_PGM_RSRC2:TGID_X_EN: 1
; COMPUTE_PGM_RSRC2:TGID_Y_EN: 0
; COMPUTE_PGM_RSRC2:TGID_Z_EN: 0
; COMPUTE_PGM_RSRC2:TIDIG_COMP_CNT: 0
	.section	.text._ZN7rocprim17ROCPRIM_400000_NS6detail17trampoline_kernelINS0_14default_configENS1_25partition_config_selectorILNS1_17partition_subalgoE9EjjbEEZZNS1_14partition_implILS5_9ELb0ES3_jN6thrust23THRUST_200600_302600_NS6detail15normal_iteratorINS9_10device_ptrIjEEEESE_PNS0_10empty_typeENS0_5tupleIJSE_SF_EEENSH_IJSE_SG_EEENS0_18inequality_wrapperI22is_equal_div_10_uniqueIjEEEPmJSF_EEE10hipError_tPvRmT3_T4_T5_T6_T7_T9_mT8_P12ihipStream_tbDpT10_ENKUlT_T0_E_clISt17integral_constantIbLb1EES18_EEDaS13_S14_EUlS13_E_NS1_11comp_targetILNS1_3genE9ELNS1_11target_archE1100ELNS1_3gpuE3ELNS1_3repE0EEENS1_30default_config_static_selectorELNS0_4arch9wavefront6targetE0EEEvT1_,"axG",@progbits,_ZN7rocprim17ROCPRIM_400000_NS6detail17trampoline_kernelINS0_14default_configENS1_25partition_config_selectorILNS1_17partition_subalgoE9EjjbEEZZNS1_14partition_implILS5_9ELb0ES3_jN6thrust23THRUST_200600_302600_NS6detail15normal_iteratorINS9_10device_ptrIjEEEESE_PNS0_10empty_typeENS0_5tupleIJSE_SF_EEENSH_IJSE_SG_EEENS0_18inequality_wrapperI22is_equal_div_10_uniqueIjEEEPmJSF_EEE10hipError_tPvRmT3_T4_T5_T6_T7_T9_mT8_P12ihipStream_tbDpT10_ENKUlT_T0_E_clISt17integral_constantIbLb1EES18_EEDaS13_S14_EUlS13_E_NS1_11comp_targetILNS1_3genE9ELNS1_11target_archE1100ELNS1_3gpuE3ELNS1_3repE0EEENS1_30default_config_static_selectorELNS0_4arch9wavefront6targetE0EEEvT1_,comdat
	.protected	_ZN7rocprim17ROCPRIM_400000_NS6detail17trampoline_kernelINS0_14default_configENS1_25partition_config_selectorILNS1_17partition_subalgoE9EjjbEEZZNS1_14partition_implILS5_9ELb0ES3_jN6thrust23THRUST_200600_302600_NS6detail15normal_iteratorINS9_10device_ptrIjEEEESE_PNS0_10empty_typeENS0_5tupleIJSE_SF_EEENSH_IJSE_SG_EEENS0_18inequality_wrapperI22is_equal_div_10_uniqueIjEEEPmJSF_EEE10hipError_tPvRmT3_T4_T5_T6_T7_T9_mT8_P12ihipStream_tbDpT10_ENKUlT_T0_E_clISt17integral_constantIbLb1EES18_EEDaS13_S14_EUlS13_E_NS1_11comp_targetILNS1_3genE9ELNS1_11target_archE1100ELNS1_3gpuE3ELNS1_3repE0EEENS1_30default_config_static_selectorELNS0_4arch9wavefront6targetE0EEEvT1_ ; -- Begin function _ZN7rocprim17ROCPRIM_400000_NS6detail17trampoline_kernelINS0_14default_configENS1_25partition_config_selectorILNS1_17partition_subalgoE9EjjbEEZZNS1_14partition_implILS5_9ELb0ES3_jN6thrust23THRUST_200600_302600_NS6detail15normal_iteratorINS9_10device_ptrIjEEEESE_PNS0_10empty_typeENS0_5tupleIJSE_SF_EEENSH_IJSE_SG_EEENS0_18inequality_wrapperI22is_equal_div_10_uniqueIjEEEPmJSF_EEE10hipError_tPvRmT3_T4_T5_T6_T7_T9_mT8_P12ihipStream_tbDpT10_ENKUlT_T0_E_clISt17integral_constantIbLb1EES18_EEDaS13_S14_EUlS13_E_NS1_11comp_targetILNS1_3genE9ELNS1_11target_archE1100ELNS1_3gpuE3ELNS1_3repE0EEENS1_30default_config_static_selectorELNS0_4arch9wavefront6targetE0EEEvT1_
	.globl	_ZN7rocprim17ROCPRIM_400000_NS6detail17trampoline_kernelINS0_14default_configENS1_25partition_config_selectorILNS1_17partition_subalgoE9EjjbEEZZNS1_14partition_implILS5_9ELb0ES3_jN6thrust23THRUST_200600_302600_NS6detail15normal_iteratorINS9_10device_ptrIjEEEESE_PNS0_10empty_typeENS0_5tupleIJSE_SF_EEENSH_IJSE_SG_EEENS0_18inequality_wrapperI22is_equal_div_10_uniqueIjEEEPmJSF_EEE10hipError_tPvRmT3_T4_T5_T6_T7_T9_mT8_P12ihipStream_tbDpT10_ENKUlT_T0_E_clISt17integral_constantIbLb1EES18_EEDaS13_S14_EUlS13_E_NS1_11comp_targetILNS1_3genE9ELNS1_11target_archE1100ELNS1_3gpuE3ELNS1_3repE0EEENS1_30default_config_static_selectorELNS0_4arch9wavefront6targetE0EEEvT1_
	.p2align	8
	.type	_ZN7rocprim17ROCPRIM_400000_NS6detail17trampoline_kernelINS0_14default_configENS1_25partition_config_selectorILNS1_17partition_subalgoE9EjjbEEZZNS1_14partition_implILS5_9ELb0ES3_jN6thrust23THRUST_200600_302600_NS6detail15normal_iteratorINS9_10device_ptrIjEEEESE_PNS0_10empty_typeENS0_5tupleIJSE_SF_EEENSH_IJSE_SG_EEENS0_18inequality_wrapperI22is_equal_div_10_uniqueIjEEEPmJSF_EEE10hipError_tPvRmT3_T4_T5_T6_T7_T9_mT8_P12ihipStream_tbDpT10_ENKUlT_T0_E_clISt17integral_constantIbLb1EES18_EEDaS13_S14_EUlS13_E_NS1_11comp_targetILNS1_3genE9ELNS1_11target_archE1100ELNS1_3gpuE3ELNS1_3repE0EEENS1_30default_config_static_selectorELNS0_4arch9wavefront6targetE0EEEvT1_,@function
_ZN7rocprim17ROCPRIM_400000_NS6detail17trampoline_kernelINS0_14default_configENS1_25partition_config_selectorILNS1_17partition_subalgoE9EjjbEEZZNS1_14partition_implILS5_9ELb0ES3_jN6thrust23THRUST_200600_302600_NS6detail15normal_iteratorINS9_10device_ptrIjEEEESE_PNS0_10empty_typeENS0_5tupleIJSE_SF_EEENSH_IJSE_SG_EEENS0_18inequality_wrapperI22is_equal_div_10_uniqueIjEEEPmJSF_EEE10hipError_tPvRmT3_T4_T5_T6_T7_T9_mT8_P12ihipStream_tbDpT10_ENKUlT_T0_E_clISt17integral_constantIbLb1EES18_EEDaS13_S14_EUlS13_E_NS1_11comp_targetILNS1_3genE9ELNS1_11target_archE1100ELNS1_3gpuE3ELNS1_3repE0EEENS1_30default_config_static_selectorELNS0_4arch9wavefront6targetE0EEEvT1_: ; @_ZN7rocprim17ROCPRIM_400000_NS6detail17trampoline_kernelINS0_14default_configENS1_25partition_config_selectorILNS1_17partition_subalgoE9EjjbEEZZNS1_14partition_implILS5_9ELb0ES3_jN6thrust23THRUST_200600_302600_NS6detail15normal_iteratorINS9_10device_ptrIjEEEESE_PNS0_10empty_typeENS0_5tupleIJSE_SF_EEENSH_IJSE_SG_EEENS0_18inequality_wrapperI22is_equal_div_10_uniqueIjEEEPmJSF_EEE10hipError_tPvRmT3_T4_T5_T6_T7_T9_mT8_P12ihipStream_tbDpT10_ENKUlT_T0_E_clISt17integral_constantIbLb1EES18_EEDaS13_S14_EUlS13_E_NS1_11comp_targetILNS1_3genE9ELNS1_11target_archE1100ELNS1_3gpuE3ELNS1_3repE0EEENS1_30default_config_static_selectorELNS0_4arch9wavefront6targetE0EEEvT1_
; %bb.0:
	s_clause 0x4
	s_load_b128 s[4:7], s[0:1], 0x8
	s_load_b64 s[18:19], s[0:1], 0x18
	s_load_b128 s[8:11], s[0:1], 0x40
	s_load_b64 s[22:23], s[0:1], 0x50
	s_load_b64 s[16:17], s[0:1], 0x60
	v_cmp_ne_u32_e64 s3, 0, v0
	v_cmp_eq_u32_e64 s2, 0, v0
	s_delay_alu instid0(VALU_DEP_1)
	s_and_saveexec_b32 s12, s2
	s_cbranch_execz .LBB256_4
; %bb.1:
	s_mov_b32 s14, exec_lo
	s_mov_b32 s13, exec_lo
	v_mbcnt_lo_u32_b32 v1, s14, 0
                                        ; implicit-def: $vgpr2
	s_delay_alu instid0(VALU_DEP_1)
	v_cmpx_eq_u32_e32 0, v1
	s_cbranch_execz .LBB256_3
; %bb.2:
	s_load_b64 s[20:21], s[0:1], 0x70
	s_bcnt1_i32_b32 s14, s14
	s_delay_alu instid0(SALU_CYCLE_1)
	v_dual_mov_b32 v2, 0 :: v_dual_mov_b32 v3, s14
	s_waitcnt lgkmcnt(0)
	global_atomic_add_u32 v2, v2, v3, s[20:21] glc
.LBB256_3:
	s_or_b32 exec_lo, exec_lo, s13
	s_waitcnt vmcnt(0)
	v_readfirstlane_b32 s13, v2
	s_delay_alu instid0(VALU_DEP_1)
	v_dual_mov_b32 v2, 0 :: v_dual_add_nc_u32 v1, s13, v1
	ds_store_b32 v2, v1
.LBB256_4:
	s_or_b32 exec_lo, exec_lo, s12
	v_dual_mov_b32 v1, 0 :: v_dual_add_nc_u32 v22, 0x300, v0
	s_clause 0x1
	s_load_b128 s[12:15], s[0:1], 0x28
	s_load_b32 s0, s[0:1], 0x68
	s_waitcnt lgkmcnt(0)
	s_barrier
	buffer_gl0_inv
	ds_load_b32 v3, v1
	s_waitcnt lgkmcnt(0)
	s_barrier
	buffer_gl0_inv
	global_load_b64 v[1:2], v1, s[10:11]
	s_lshl_b64 s[20:21], s[6:7], 2
	s_mov_b32 s11, 0
	s_add_u32 s26, s4, s20
	s_addc_u32 s28, s5, s21
	v_lshrrev_b32_e32 v20, 3, v0
	v_add_nc_u32_e32 v25, 0x180, v0
	v_add_nc_u32_e32 v21, 0x480, v0
	v_or_b32_e32 v23, 0x600, v0
	v_add_nc_u32_e32 v18, 0x780, v0
	v_add_nc_u32_e32 v17, 0x900, v0
	;; [unrolled: 1-line block ×3, first 2 shown]
	s_mul_i32 s1, s0, 0xc00
	s_delay_alu instid0(SALU_CYCLE_1) | instskip(NEXT) | instid1(SALU_CYCLE_1)
	s_add_i32 s4, s1, s6
	s_sub_i32 s25, s22, s4
	s_add_i32 s4, s0, -1
	s_addk_i32 s25, 0xc00
	s_add_u32 s0, s6, s1
	v_readfirstlane_b32 s24, v3
	s_addc_u32 s1, s7, 0
	s_delay_alu instid0(SALU_CYCLE_1) | instskip(NEXT) | instid1(VALU_DEP_2)
	v_cmp_ge_u64_e64 s0, s[0:1], s[22:23]
	s_cmp_eq_u32 s24, s4
	s_mul_i32 s10, s24, 0xc00
	s_cselect_b32 s22, -1, 0
	s_lshl_b64 s[4:5], s[10:11], 2
	s_delay_alu instid0(VALU_DEP_1) | instskip(NEXT) | instid1(SALU_CYCLE_1)
	s_and_b32 s1, s0, s22
	s_xor_b32 s23, s1, -1
	s_add_u32 s27, s26, s4
	s_addc_u32 s26, s28, s5
	s_and_b32 vcc_lo, exec_lo, s23
	s_mov_b32 s28, -1
	s_waitcnt vmcnt(0)
	v_readfirstlane_b32 s10, v1
	v_readfirstlane_b32 s11, v2
	s_cbranch_vccz .LBB256_6
; %bb.5:
	v_lshlrev_b32_e32 v7, 2, v0
	v_lshrrev_b32_e32 v11, 3, v25
	v_lshrrev_b32_e32 v12, 3, v22
	;; [unrolled: 1-line block ×4, first 2 shown]
	v_add_co_u32 v1, s0, s27, v7
	s_delay_alu instid0(VALU_DEP_1) | instskip(SKIP_1) | instid1(VALU_DEP_3)
	v_add_co_ci_u32_e64 v2, null, s26, 0, s0
	v_lshrrev_b32_e32 v15, 3, v18
	v_add_co_u32 v3, vcc_lo, 0x1000, v1
	s_delay_alu instid0(VALU_DEP_3)
	v_add_co_ci_u32_e32 v4, vcc_lo, 0, v2, vcc_lo
	v_add_co_u32 v5, vcc_lo, 0x2000, v1
	v_add_co_ci_u32_e32 v6, vcc_lo, 0, v2, vcc_lo
	s_clause 0x7
	flat_load_b32 v8, v[1:2]
	flat_load_b32 v9, v[1:2] offset:1536
	flat_load_b32 v1, v[1:2] offset:3072
	;; [unrolled: 1-line block ×7, first 2 shown]
	v_and_b32_e32 v6, 60, v20
	v_lshrrev_b32_e32 v16, 3, v17
	v_lshrrev_b32_e32 v19, 3, v24
	v_and_b32_e32 v11, 0x7c, v11
	v_and_b32_e32 v12, 0xfc, v12
	;; [unrolled: 1-line block ×4, first 2 shown]
	v_add_nc_u32_e32 v6, v6, v7
	v_and_b32_e32 v15, 0x1fc, v15
	v_and_b32_e32 v16, 0x17c, v16
	;; [unrolled: 1-line block ×3, first 2 shown]
	v_add_nc_u32_e32 v11, v11, v7
	v_add_nc_u32_e32 v12, v12, v7
	v_add_nc_u32_e32 v13, v13, v7
	v_add_nc_u32_e32 v14, v14, v7
	s_mov_b32 s28, 0
	v_add_nc_u32_e32 v15, v15, v7
	v_add_nc_u32_e32 v16, v16, v7
	;; [unrolled: 1-line block ×3, first 2 shown]
	s_waitcnt vmcnt(7) lgkmcnt(7)
	ds_store_b32 v6, v8
	s_waitcnt vmcnt(6) lgkmcnt(7)
	ds_store_b32 v11, v9 offset:1536
	s_waitcnt vmcnt(5) lgkmcnt(7)
	ds_store_b32 v12, v1 offset:3072
	;; [unrolled: 2-line block ×7, first 2 shown]
	s_waitcnt lgkmcnt(0)
	s_barrier
.LBB256_6:
	v_cmp_gt_u32_e64 s0, s25, v0
	s_and_not1_b32 vcc_lo, exec_lo, s28
	s_cbranch_vccnz .LBB256_24
; %bb.7:
                                        ; implicit-def: $vgpr1_vgpr2_vgpr3_vgpr4_vgpr5_vgpr6_vgpr7_vgpr8
	s_delay_alu instid0(VALU_DEP_1)
	s_and_saveexec_b32 s28, s0
	s_cbranch_execz .LBB256_15
; %bb.8:
	v_lshlrev_b32_e32 v1, 2, v0
	s_delay_alu instid0(VALU_DEP_1) | instskip(NEXT) | instid1(VALU_DEP_1)
	v_add_co_u32 v1, s0, s27, v1
	v_add_co_ci_u32_e64 v2, null, s26, 0, s0
	flat_load_b32 v1, v[1:2]
	s_or_b32 exec_lo, exec_lo, s28
	s_delay_alu instid0(SALU_CYCLE_1)
	s_mov_b32 s0, exec_lo
	v_cmpx_gt_u32_e64 s25, v25
	s_cbranch_execnz .LBB256_16
.LBB256_9:
	s_or_b32 exec_lo, exec_lo, s0
	s_delay_alu instid0(SALU_CYCLE_1)
	s_mov_b32 s0, exec_lo
	v_cmpx_gt_u32_e64 s25, v22
	s_cbranch_execz .LBB256_17
.LBB256_10:
	v_lshlrev_b32_e32 v3, 2, v0
	s_delay_alu instid0(VALU_DEP_1) | instskip(NEXT) | instid1(VALU_DEP_1)
	v_add_co_u32 v9, s28, s27, v3
	v_add_co_ci_u32_e64 v10, null, s26, 0, s28
	flat_load_b32 v3, v[9:10] offset:3072
	s_or_b32 exec_lo, exec_lo, s0
	s_delay_alu instid0(SALU_CYCLE_1)
	s_mov_b32 s0, exec_lo
	v_cmpx_gt_u32_e64 s25, v21
	s_cbranch_execnz .LBB256_18
.LBB256_11:
	s_or_b32 exec_lo, exec_lo, s0
	s_delay_alu instid0(SALU_CYCLE_1)
	s_mov_b32 s0, exec_lo
	v_cmpx_gt_u32_e64 s25, v23
	s_cbranch_execz .LBB256_19
.LBB256_12:
	v_lshlrev_b32_e32 v5, 2, v23
	s_delay_alu instid0(VALU_DEP_1) | instskip(NEXT) | instid1(VALU_DEP_1)
	v_add_co_u32 v9, s28, s27, v5
	v_add_co_ci_u32_e64 v10, null, s26, 0, s28
	flat_load_b32 v5, v[9:10]
	s_or_b32 exec_lo, exec_lo, s0
	s_delay_alu instid0(SALU_CYCLE_1)
	s_mov_b32 s0, exec_lo
	v_cmpx_gt_u32_e64 s25, v18
	s_cbranch_execnz .LBB256_20
.LBB256_13:
	s_or_b32 exec_lo, exec_lo, s0
	s_delay_alu instid0(SALU_CYCLE_1)
	s_mov_b32 s0, exec_lo
	v_cmpx_gt_u32_e64 s25, v17
	s_cbranch_execz .LBB256_21
.LBB256_14:
	v_lshlrev_b32_e32 v7, 2, v17
	s_delay_alu instid0(VALU_DEP_1) | instskip(NEXT) | instid1(VALU_DEP_1)
	v_add_co_u32 v9, s28, s27, v7
	v_add_co_ci_u32_e64 v10, null, s26, 0, s28
	flat_load_b32 v7, v[9:10]
	s_or_b32 exec_lo, exec_lo, s0
	s_delay_alu instid0(SALU_CYCLE_1)
	s_mov_b32 s0, exec_lo
	v_cmpx_gt_u32_e64 s25, v24
	s_cbranch_execnz .LBB256_22
	s_branch .LBB256_23
.LBB256_15:
	s_or_b32 exec_lo, exec_lo, s28
	s_delay_alu instid0(SALU_CYCLE_1)
	s_mov_b32 s0, exec_lo
	v_cmpx_gt_u32_e64 s25, v25
	s_cbranch_execz .LBB256_9
.LBB256_16:
	v_lshlrev_b32_e32 v2, 2, v0
	s_delay_alu instid0(VALU_DEP_1) | instskip(NEXT) | instid1(VALU_DEP_1)
	v_add_co_u32 v9, s28, s27, v2
	v_add_co_ci_u32_e64 v10, null, s26, 0, s28
	flat_load_b32 v2, v[9:10] offset:1536
	s_or_b32 exec_lo, exec_lo, s0
	s_delay_alu instid0(SALU_CYCLE_1)
	s_mov_b32 s0, exec_lo
	v_cmpx_gt_u32_e64 s25, v22
	s_cbranch_execnz .LBB256_10
.LBB256_17:
	s_or_b32 exec_lo, exec_lo, s0
	s_delay_alu instid0(SALU_CYCLE_1)
	s_mov_b32 s0, exec_lo
	v_cmpx_gt_u32_e64 s25, v21
	s_cbranch_execz .LBB256_11
.LBB256_18:
	v_lshlrev_b32_e32 v4, 2, v21
	s_delay_alu instid0(VALU_DEP_1) | instskip(NEXT) | instid1(VALU_DEP_1)
	v_add_co_u32 v9, s28, s27, v4
	v_add_co_ci_u32_e64 v10, null, s26, 0, s28
	flat_load_b32 v4, v[9:10]
	s_or_b32 exec_lo, exec_lo, s0
	s_delay_alu instid0(SALU_CYCLE_1)
	s_mov_b32 s0, exec_lo
	v_cmpx_gt_u32_e64 s25, v23
	s_cbranch_execnz .LBB256_12
.LBB256_19:
	s_or_b32 exec_lo, exec_lo, s0
	s_delay_alu instid0(SALU_CYCLE_1)
	s_mov_b32 s0, exec_lo
	v_cmpx_gt_u32_e64 s25, v18
	s_cbranch_execz .LBB256_13
.LBB256_20:
	v_lshlrev_b32_e32 v6, 2, v18
	s_delay_alu instid0(VALU_DEP_1) | instskip(NEXT) | instid1(VALU_DEP_1)
	v_add_co_u32 v9, s28, s27, v6
	v_add_co_ci_u32_e64 v10, null, s26, 0, s28
	flat_load_b32 v6, v[9:10]
	s_or_b32 exec_lo, exec_lo, s0
	s_delay_alu instid0(SALU_CYCLE_1)
	s_mov_b32 s0, exec_lo
	v_cmpx_gt_u32_e64 s25, v17
	s_cbranch_execnz .LBB256_14
.LBB256_21:
	s_or_b32 exec_lo, exec_lo, s0
	s_delay_alu instid0(SALU_CYCLE_1)
	s_mov_b32 s0, exec_lo
	v_cmpx_gt_u32_e64 s25, v24
	s_cbranch_execz .LBB256_23
.LBB256_22:
	v_lshlrev_b32_e32 v8, 2, v24
	s_delay_alu instid0(VALU_DEP_1) | instskip(NEXT) | instid1(VALU_DEP_1)
	v_add_co_u32 v8, s28, s27, v8
	v_add_co_ci_u32_e64 v9, null, s26, 0, s28
	flat_load_b32 v8, v[8:9]
.LBB256_23:
	s_or_b32 exec_lo, exec_lo, s0
	v_lshrrev_b32_e32 v9, 3, v25
	v_lshrrev_b32_e32 v10, 3, v22
	;; [unrolled: 1-line block ×4, first 2 shown]
	v_and_b32_e32 v11, 60, v20
	v_lshlrev_b32_e32 v12, 2, v0
	v_lshrrev_b32_e32 v15, 3, v18
	v_lshrrev_b32_e32 v16, 3, v17
	;; [unrolled: 1-line block ×3, first 2 shown]
	v_and_b32_e32 v9, 0x7c, v9
	v_and_b32_e32 v10, 0xfc, v10
	;; [unrolled: 1-line block ×4, first 2 shown]
	v_add_nc_u32_e32 v11, v11, v12
	v_and_b32_e32 v15, 0x1fc, v15
	v_and_b32_e32 v16, 0x1fc, v16
	;; [unrolled: 1-line block ×3, first 2 shown]
	v_add_nc_u32_e32 v9, v9, v12
	v_add_nc_u32_e32 v10, v10, v12
	;; [unrolled: 1-line block ×7, first 2 shown]
	s_waitcnt vmcnt(0) lgkmcnt(0)
	ds_store_b32 v11, v1
	ds_store_b32 v9, v2 offset:1536
	ds_store_b32 v10, v3 offset:3072
	;; [unrolled: 1-line block ×7, first 2 shown]
	s_waitcnt lgkmcnt(0)
	s_barrier
.LBB256_24:
	v_lshlrev_b32_e32 v19, 3, v0
	v_lshrrev_b32_e32 v1, 2, v0
	buffer_gl0_inv
	s_add_u32 s0, s18, s20
	s_addc_u32 s18, s19, s21
	s_add_u32 s0, s0, s4
	v_add_lshl_u32 v1, v1, v19, 2
	s_addc_u32 s4, s18, s5
	s_and_b32 vcc_lo, exec_lo, s23
	s_mov_b32 s5, -1
	ds_load_2addr_b32 v[15:16], v1 offset1:1
	ds_load_2addr_b32 v[13:14], v1 offset0:2 offset1:3
	ds_load_2addr_b32 v[11:12], v1 offset0:4 offset1:5
	ds_load_2addr_b32 v[9:10], v1 offset0:6 offset1:7
	s_waitcnt lgkmcnt(0)
	s_barrier
	buffer_gl0_inv
	s_cbranch_vccz .LBB256_26
; %bb.25:
	v_lshlrev_b32_e32 v8, 2, v0
	v_lshrrev_b32_e32 v29, 3, v25
	v_lshrrev_b32_e32 v30, 3, v22
	;; [unrolled: 1-line block ×4, first 2 shown]
	v_add_co_u32 v2, s5, s0, v8
	s_delay_alu instid0(VALU_DEP_1) | instskip(SKIP_1) | instid1(VALU_DEP_3)
	v_add_co_ci_u32_e64 v3, null, s4, 0, s5
	v_lshrrev_b32_e32 v33, 3, v18
	v_add_co_u32 v4, vcc_lo, 0x1000, v2
	s_delay_alu instid0(VALU_DEP_3)
	v_add_co_ci_u32_e32 v5, vcc_lo, 0, v3, vcc_lo
	v_add_co_u32 v6, vcc_lo, 0x2000, v2
	v_add_co_ci_u32_e32 v7, vcc_lo, 0, v3, vcc_lo
	s_clause 0x7
	flat_load_b32 v26, v[2:3]
	flat_load_b32 v27, v[2:3] offset:1536
	flat_load_b32 v2, v[2:3] offset:3072
	;; [unrolled: 1-line block ×7, first 2 shown]
	v_and_b32_e32 v7, 60, v20
	v_lshrrev_b32_e32 v34, 3, v17
	v_lshrrev_b32_e32 v35, 3, v24
	v_and_b32_e32 v29, 0x7c, v29
	v_and_b32_e32 v30, 0xfc, v30
	;; [unrolled: 1-line block ×4, first 2 shown]
	v_add_nc_u32_e32 v7, v7, v8
	v_and_b32_e32 v33, 0x1fc, v33
	v_and_b32_e32 v34, 0x17c, v34
	;; [unrolled: 1-line block ×3, first 2 shown]
	v_add_nc_u32_e32 v29, v29, v8
	v_add_nc_u32_e32 v30, v30, v8
	;; [unrolled: 1-line block ×4, first 2 shown]
	s_mov_b32 s5, 0
	v_add_nc_u32_e32 v33, v33, v8
	v_add_nc_u32_e32 v34, v34, v8
	v_add_nc_u32_e32 v8, v35, v8
	s_waitcnt vmcnt(7) lgkmcnt(7)
	ds_store_b32 v7, v26
	s_waitcnt vmcnt(6) lgkmcnt(7)
	ds_store_b32 v29, v27 offset:1536
	s_waitcnt vmcnt(5) lgkmcnt(7)
	ds_store_b32 v30, v2 offset:3072
	;; [unrolled: 2-line block ×7, first 2 shown]
	s_waitcnt lgkmcnt(0)
	s_barrier
.LBB256_26:
	s_and_not1_b32 vcc_lo, exec_lo, s5
	s_cbranch_vccnz .LBB256_44
; %bb.27:
	s_mov_b32 s5, exec_lo
                                        ; implicit-def: $vgpr2
	v_cmpx_gt_u32_e64 s25, v0
	s_cbranch_execz .LBB256_29
; %bb.28:
	v_lshlrev_b32_e32 v2, 2, v0
	s_delay_alu instid0(VALU_DEP_1) | instskip(NEXT) | instid1(VALU_DEP_1)
	v_add_co_u32 v2, s18, s0, v2
	v_add_co_ci_u32_e64 v3, null, s4, 0, s18
	flat_load_b32 v2, v[2:3]
.LBB256_29:
	s_or_b32 exec_lo, exec_lo, s5
	s_delay_alu instid0(SALU_CYCLE_1)
	s_mov_b32 s5, exec_lo
                                        ; implicit-def: $vgpr3
	v_cmpx_gt_u32_e64 s25, v25
	s_cbranch_execz .LBB256_31
; %bb.30:
	v_lshlrev_b32_e32 v3, 2, v0
	s_delay_alu instid0(VALU_DEP_1) | instskip(NEXT) | instid1(VALU_DEP_1)
	v_add_co_u32 v3, s18, s0, v3
	v_add_co_ci_u32_e64 v4, null, s4, 0, s18
	flat_load_b32 v3, v[3:4] offset:1536
.LBB256_31:
	s_or_b32 exec_lo, exec_lo, s5
	s_delay_alu instid0(SALU_CYCLE_1)
	s_mov_b32 s5, exec_lo
                                        ; implicit-def: $vgpr4
	v_cmpx_gt_u32_e64 s25, v22
	s_cbranch_execz .LBB256_33
; %bb.32:
	v_lshlrev_b32_e32 v4, 2, v0
	s_delay_alu instid0(VALU_DEP_1) | instskip(NEXT) | instid1(VALU_DEP_1)
	v_add_co_u32 v4, s18, s0, v4
	v_add_co_ci_u32_e64 v5, null, s4, 0, s18
	flat_load_b32 v4, v[4:5] offset:3072
.LBB256_33:
	s_or_b32 exec_lo, exec_lo, s5
	s_delay_alu instid0(SALU_CYCLE_1)
	s_mov_b32 s5, exec_lo
                                        ; implicit-def: $vgpr5
	v_cmpx_gt_u32_e64 s25, v21
	s_cbranch_execz .LBB256_35
; %bb.34:
	v_lshlrev_b32_e32 v5, 2, v21
	s_delay_alu instid0(VALU_DEP_1) | instskip(NEXT) | instid1(VALU_DEP_1)
	v_add_co_u32 v5, s18, s0, v5
	v_add_co_ci_u32_e64 v6, null, s4, 0, s18
	flat_load_b32 v5, v[5:6]
.LBB256_35:
	s_or_b32 exec_lo, exec_lo, s5
	s_delay_alu instid0(SALU_CYCLE_1)
	s_mov_b32 s5, exec_lo
                                        ; implicit-def: $vgpr6
	v_cmpx_gt_u32_e64 s25, v23
	s_cbranch_execz .LBB256_37
; %bb.36:
	v_lshlrev_b32_e32 v6, 2, v23
	s_delay_alu instid0(VALU_DEP_1) | instskip(NEXT) | instid1(VALU_DEP_1)
	v_add_co_u32 v6, s18, s0, v6
	v_add_co_ci_u32_e64 v7, null, s4, 0, s18
	flat_load_b32 v6, v[6:7]
.LBB256_37:
	s_or_b32 exec_lo, exec_lo, s5
	s_delay_alu instid0(SALU_CYCLE_1)
	s_mov_b32 s5, exec_lo
                                        ; implicit-def: $vgpr7
	v_cmpx_gt_u32_e64 s25, v18
	s_cbranch_execz .LBB256_39
; %bb.38:
	v_lshlrev_b32_e32 v7, 2, v18
	s_delay_alu instid0(VALU_DEP_1) | instskip(NEXT) | instid1(VALU_DEP_1)
	v_add_co_u32 v7, s18, s0, v7
	v_add_co_ci_u32_e64 v8, null, s4, 0, s18
	flat_load_b32 v7, v[7:8]
.LBB256_39:
	s_or_b32 exec_lo, exec_lo, s5
	s_delay_alu instid0(SALU_CYCLE_1)
	s_mov_b32 s5, exec_lo
                                        ; implicit-def: $vgpr8
	v_cmpx_gt_u32_e64 s25, v17
	s_cbranch_execz .LBB256_41
; %bb.40:
	v_lshlrev_b32_e32 v8, 2, v17
	s_delay_alu instid0(VALU_DEP_1) | instskip(NEXT) | instid1(VALU_DEP_1)
	v_add_co_u32 v26, s18, s0, v8
	v_add_co_ci_u32_e64 v27, null, s4, 0, s18
	flat_load_b32 v8, v[26:27]
.LBB256_41:
	s_or_b32 exec_lo, exec_lo, s5
	s_delay_alu instid0(SALU_CYCLE_1)
	s_mov_b32 s5, exec_lo
                                        ; implicit-def: $vgpr26
	v_cmpx_gt_u32_e64 s25, v24
	s_cbranch_execz .LBB256_43
; %bb.42:
	v_lshlrev_b32_e32 v26, 2, v24
	s_delay_alu instid0(VALU_DEP_1) | instskip(NEXT) | instid1(VALU_DEP_1)
	v_add_co_u32 v26, s0, s0, v26
	v_add_co_ci_u32_e64 v27, null, s4, 0, s0
	flat_load_b32 v26, v[26:27]
.LBB256_43:
	s_or_b32 exec_lo, exec_lo, s5
	v_lshrrev_b32_e32 v25, 3, v25
	v_lshrrev_b32_e32 v22, 3, v22
	;; [unrolled: 1-line block ×4, first 2 shown]
	v_and_b32_e32 v20, 60, v20
	v_lshlrev_b32_e32 v27, 2, v0
	v_lshrrev_b32_e32 v18, 3, v18
	v_lshrrev_b32_e32 v17, 3, v17
	;; [unrolled: 1-line block ×3, first 2 shown]
	v_and_b32_e32 v25, 0x7c, v25
	v_and_b32_e32 v22, 0xfc, v22
	;; [unrolled: 1-line block ×4, first 2 shown]
	v_add_nc_u32_e32 v20, v20, v27
	v_and_b32_e32 v18, 0x1fc, v18
	v_and_b32_e32 v17, 0x1fc, v17
	v_and_b32_e32 v24, 0x1fc, v24
	v_add_nc_u32_e32 v25, v25, v27
	v_add_nc_u32_e32 v22, v22, v27
	v_add_nc_u32_e32 v21, v21, v27
	v_add_nc_u32_e32 v23, v23, v27
	v_add_nc_u32_e32 v18, v18, v27
	v_add_nc_u32_e32 v17, v17, v27
	v_add_nc_u32_e32 v24, v24, v27
	s_waitcnt vmcnt(0) lgkmcnt(0)
	ds_store_b32 v20, v2
	ds_store_b32 v25, v3 offset:1536
	ds_store_b32 v22, v4 offset:3072
	;; [unrolled: 1-line block ×7, first 2 shown]
	s_waitcnt lgkmcnt(0)
	s_barrier
.LBB256_44:
	buffer_gl0_inv
	ds_load_2addr_b32 v[7:8], v1 offset1:1
	ds_load_2addr_b32 v[5:6], v1 offset0:2 offset1:3
	ds_load_2addr_b32 v[3:4], v1 offset0:4 offset1:5
	;; [unrolled: 1-line block ×3, first 2 shown]
	s_cmp_lg_u32 s24, 0
	s_waitcnt lgkmcnt(0)
	s_cselect_b32 s18, -1, 0
	s_cmp_lg_u64 s[6:7], 0
	s_barrier
	s_cselect_b32 s0, -1, 0
	buffer_gl0_inv
	s_or_b32 s0, s0, s18
	s_delay_alu instid0(SALU_CYCLE_1)
	s_and_b32 vcc_lo, exec_lo, s0
	s_mov_b32 s0, 0
	s_cbranch_vccz .LBB256_49
; %bb.45:
	v_add_co_u32 v17, s0, -4, s27
	s_delay_alu instid0(VALU_DEP_1)
	v_add_co_ci_u32_e64 v18, null, -1, s26, s0
	v_lshlrev_b32_e32 v21, 2, v0
	s_mov_b32 s0, -1
	s_and_b32 vcc_lo, exec_lo, s23
	flat_load_b32 v20, v[17:18]
	ds_store_b32 v21, v10
	s_cbranch_vccz .LBB256_50
; %bb.46:
	s_waitcnt vmcnt(0) lgkmcnt(1)
	v_mov_b32_e32 v17, v20
	s_waitcnt lgkmcnt(0)
	s_barrier
	buffer_gl0_inv
	s_and_saveexec_b32 s0, s3
	s_cbranch_execz .LBB256_48
; %bb.47:
	v_add_nc_u32_e32 v17, -4, v21
	ds_load_b32 v17, v17
.LBB256_48:
	s_or_b32 exec_lo, exec_lo, s0
	v_mul_hi_i32 v18, 0x66666667, v9
	v_mul_hi_i32 v22, 0x66666667, v10
	;; [unrolled: 1-line block ×5, first 2 shown]
	s_waitcnt lgkmcnt(0)
	v_mul_hi_i32 v17, 0x66666667, v17
	v_lshrrev_b32_e32 v26, 31, v18
	v_ashrrev_i32_e32 v18, 2, v18
	v_lshrrev_b32_e32 v27, 31, v22
	v_ashrrev_i32_e32 v22, 2, v22
	;; [unrolled: 2-line block ×3, first 2 shown]
	v_add_nc_u32_e32 v18, v18, v26
	v_lshrrev_b32_e32 v29, 31, v24
	v_add_nc_u32_e32 v22, v22, v27
	v_ashrrev_i32_e32 v24, 2, v24
	v_add_nc_u32_e32 v23, v23, v28
	v_mul_hi_i32 v27, 0x66666667, v13
	v_lshrrev_b32_e32 v26, 31, v25
	v_cmp_ne_u32_e32 vcc_lo, v18, v22
	v_add_nc_u32_e32 v24, v24, v29
	v_ashrrev_i32_e32 v25, 2, v25
	v_mul_hi_i32 v28, 0x66666667, v16
	v_mul_hi_i32 v29, 0x66666667, v15
	v_cndmask_b32_e64 v22, 0, 1, vcc_lo
	v_cmp_ne_u32_e32 vcc_lo, v23, v18
	v_add_nc_u32_e32 v25, v25, v26
	v_lshrrev_b32_e32 v26, 31, v27
	v_ashrrev_i32_e32 v27, 2, v27
	v_lshlrev_b16 v22, 8, v22
	v_cndmask_b32_e64 v18, 0, 1, vcc_lo
	v_cmp_ne_u32_e32 vcc_lo, v24, v23
	v_lshrrev_b32_e32 v30, 31, v28
	v_ashrrev_i32_e32 v28, 2, v28
	v_add_nc_u32_e32 v26, v27, v26
	v_lshrrev_b32_e32 v31, 31, v29
	v_cndmask_b32_e64 v23, 0, 1, vcc_lo
	v_cmp_ne_u32_e32 vcc_lo, v25, v24
	v_ashrrev_i32_e32 v29, 2, v29
	v_add_nc_u32_e32 v27, v28, v30
	v_or_b32_e32 v18, v18, v22
	v_lshlrev_b16 v23, 8, v23
	v_cndmask_b32_e64 v24, 0, 1, vcc_lo
	v_cmp_ne_u32_e32 vcc_lo, v26, v25
	v_add_nc_u32_e32 v28, v29, v31
	v_lshrrev_b32_e32 v29, 31, v17
	v_ashrrev_i32_e32 v17, 2, v17
	v_or_b32_e32 v23, v24, v23
	v_cndmask_b32_e64 v25, 0, 1, vcc_lo
	v_cmp_ne_u32_e32 vcc_lo, v27, v26
	v_lshlrev_b32_e32 v18, 16, v18
	v_add_nc_u32_e32 v17, v17, v29
	v_and_b32_e32 v23, 0xffff, v23
	v_lshlrev_b16 v25, 8, v25
	v_cndmask_b32_e64 v26, 0, 1, vcc_lo
	v_cmp_ne_u32_e32 vcc_lo, v28, v27
	v_cmp_ne_u32_e64 s4, v17, v28
	v_or_b32_e32 v18, v23, v18
	s_delay_alu instid0(VALU_DEP_4) | instskip(SKIP_1) | instid1(VALU_DEP_2)
	v_or_b32_e32 v25, v26, v25
	v_cndmask_b32_e64 v27, 0, 1, vcc_lo
	v_lshlrev_b32_e32 v22, 16, v25
	s_delay_alu instid0(VALU_DEP_2) | instskip(NEXT) | instid1(VALU_DEP_1)
	v_lshlrev_b16 v26, 8, v27
	v_and_b32_e32 v24, 0xffff, v26
	s_delay_alu instid0(VALU_DEP_1)
	v_or_b32_e32 v17, v24, v22
	s_branch .LBB256_70
.LBB256_49:
                                        ; implicit-def: $sgpr4
                                        ; implicit-def: $vgpr18
	s_branch .LBB256_71
.LBB256_50:
                                        ; implicit-def: $sgpr4
                                        ; implicit-def: $vgpr18
	s_and_b32 vcc_lo, exec_lo, s0
	s_cbranch_vccz .LBB256_70
; %bb.51:
	v_or_b32_e32 v17, 7, v19
	s_mov_b32 s0, 0
	s_mov_b32 s4, 0
	s_mov_b32 s5, exec_lo
	s_delay_alu instid0(VALU_DEP_1)
	v_cmpx_gt_u32_e64 s25, v17
; %bb.52:
	v_mul_hi_i32 v17, 0x66666667, v9
	v_mul_hi_i32 v18, 0x66666667, v10
	s_delay_alu instid0(VALU_DEP_2) | instskip(SKIP_1) | instid1(VALU_DEP_3)
	v_lshrrev_b32_e32 v22, 31, v17
	v_ashrrev_i32_e32 v17, 2, v17
	v_lshrrev_b32_e32 v23, 31, v18
	v_ashrrev_i32_e32 v18, 2, v18
	s_delay_alu instid0(VALU_DEP_3) | instskip(NEXT) | instid1(VALU_DEP_2)
	v_add_nc_u32_e32 v17, v17, v22
	v_add_nc_u32_e32 v18, v18, v23
	s_delay_alu instid0(VALU_DEP_1)
	v_cmp_ne_u32_e32 vcc_lo, v17, v18
	s_and_b32 s4, vcc_lo, exec_lo
; %bb.53:
	s_or_b32 exec_lo, exec_lo, s5
	v_or_b32_e32 v17, 6, v19
	s_mov_b32 s5, exec_lo
	s_delay_alu instid0(VALU_DEP_1)
	v_cmpx_gt_u32_e64 s25, v17
; %bb.54:
	v_mul_hi_i32 v17, 0x66666667, v12
	v_mul_hi_i32 v18, 0x66666667, v9
	s_delay_alu instid0(VALU_DEP_2) | instskip(SKIP_1) | instid1(VALU_DEP_3)
	v_lshrrev_b32_e32 v22, 31, v17
	v_ashrrev_i32_e32 v17, 2, v17
	v_lshrrev_b32_e32 v23, 31, v18
	v_ashrrev_i32_e32 v18, 2, v18
	s_delay_alu instid0(VALU_DEP_3) | instskip(NEXT) | instid1(VALU_DEP_2)
	v_add_nc_u32_e32 v17, v17, v22
	v_add_nc_u32_e32 v18, v18, v23
	s_delay_alu instid0(VALU_DEP_1)
	v_cmp_ne_u32_e32 vcc_lo, v17, v18
	s_and_b32 s0, vcc_lo, exec_lo
; %bb.55:
	s_or_b32 exec_lo, exec_lo, s5
	v_or_b32_e32 v17, 5, v19
	s_mov_b32 s6, 0
	s_mov_b32 s5, 0
	s_mov_b32 s7, exec_lo
	s_delay_alu instid0(VALU_DEP_1)
	v_cmpx_gt_u32_e64 s25, v17
; %bb.56:
	v_mul_hi_i32 v17, 0x66666667, v11
	v_mul_hi_i32 v18, 0x66666667, v12
	s_delay_alu instid0(VALU_DEP_2) | instskip(SKIP_1) | instid1(VALU_DEP_3)
	v_lshrrev_b32_e32 v22, 31, v17
	v_ashrrev_i32_e32 v17, 2, v17
	v_lshrrev_b32_e32 v23, 31, v18
	v_ashrrev_i32_e32 v18, 2, v18
	s_delay_alu instid0(VALU_DEP_3) | instskip(NEXT) | instid1(VALU_DEP_2)
	v_add_nc_u32_e32 v17, v17, v22
	v_add_nc_u32_e32 v18, v18, v23
	s_delay_alu instid0(VALU_DEP_1)
	v_cmp_ne_u32_e32 vcc_lo, v17, v18
	s_and_b32 s5, vcc_lo, exec_lo
; %bb.57:
	s_or_b32 exec_lo, exec_lo, s7
	v_or_b32_e32 v17, 4, v19
	s_mov_b32 s7, exec_lo
	s_delay_alu instid0(VALU_DEP_1)
	v_cmpx_gt_u32_e64 s25, v17
; %bb.58:
	v_mul_hi_i32 v17, 0x66666667, v14
	v_mul_hi_i32 v18, 0x66666667, v11
	s_delay_alu instid0(VALU_DEP_2) | instskip(SKIP_1) | instid1(VALU_DEP_3)
	v_lshrrev_b32_e32 v22, 31, v17
	v_ashrrev_i32_e32 v17, 2, v17
	v_lshrrev_b32_e32 v23, 31, v18
	v_ashrrev_i32_e32 v18, 2, v18
	s_delay_alu instid0(VALU_DEP_3) | instskip(NEXT) | instid1(VALU_DEP_2)
	v_add_nc_u32_e32 v17, v17, v22
	v_add_nc_u32_e32 v18, v18, v23
	s_delay_alu instid0(VALU_DEP_1)
	v_cmp_ne_u32_e32 vcc_lo, v17, v18
	s_and_b32 s6, vcc_lo, exec_lo
; %bb.59:
	s_or_b32 exec_lo, exec_lo, s7
	;; [unrolled: 42-line block ×3, first 2 shown]
	v_or_b32_e32 v17, 1, v19
	s_mov_b32 s20, 0
	s_mov_b32 s21, exec_lo
	s_delay_alu instid0(VALU_DEP_1)
	v_cmpx_gt_u32_e64 s25, v17
; %bb.64:
	v_mul_hi_i32 v17, 0x66666667, v15
	v_mul_hi_i32 v18, 0x66666667, v16
	s_delay_alu instid0(VALU_DEP_2) | instskip(SKIP_1) | instid1(VALU_DEP_3)
	v_lshrrev_b32_e32 v22, 31, v17
	v_ashrrev_i32_e32 v17, 2, v17
	v_lshrrev_b32_e32 v23, 31, v18
	v_ashrrev_i32_e32 v18, 2, v18
	s_delay_alu instid0(VALU_DEP_3) | instskip(NEXT) | instid1(VALU_DEP_2)
	v_add_nc_u32_e32 v17, v17, v22
	v_add_nc_u32_e32 v18, v18, v23
	s_delay_alu instid0(VALU_DEP_1)
	v_cmp_ne_u32_e32 vcc_lo, v17, v18
	s_and_b32 s20, vcc_lo, exec_lo
; %bb.65:
	s_or_b32 exec_lo, exec_lo, s21
	s_waitcnt vmcnt(0) lgkmcnt(0)
	s_barrier
	buffer_gl0_inv
	s_and_saveexec_b32 s21, s3
	s_cbranch_execz .LBB256_67
; %bb.66:
	v_add_nc_u32_e32 v17, -4, v21
	ds_load_b32 v20, v17
.LBB256_67:
	s_or_b32 exec_lo, exec_lo, s21
	v_cndmask_b32_e64 v18, 0, 1, s7
	v_cndmask_b32_e64 v22, 0, 1, s5
	;; [unrolled: 1-line block ×7, first 2 shown]
	v_lshlrev_b16 v18, 8, v18
	v_lshlrev_b16 v22, 8, v22
	;; [unrolled: 1-line block ×3, first 2 shown]
	s_mov_b32 s4, 0
	v_lshlrev_b16 v25, 8, v25
	v_or_b32_e32 v18, v17, v18
	v_or_b32_e32 v21, v21, v22
	;; [unrolled: 1-line block ×3, first 2 shown]
	s_mov_b32 s0, exec_lo
	v_and_b32_e32 v17, 0xffff, v25
	v_lshlrev_b32_e32 v18, 16, v18
	v_and_b32_e32 v21, 0xffff, v21
	v_lshlrev_b32_e32 v22, 16, v22
	v_cmpx_gt_u32_e64 s25, v19
	s_cbranch_execz .LBB256_69
; %bb.68:
	s_waitcnt lgkmcnt(0)
	v_mul_hi_i32 v20, 0x66666667, v20
	v_mul_hi_i32 v23, 0x66666667, v15
	s_delay_alu instid0(VALU_DEP_2) | instskip(SKIP_1) | instid1(VALU_DEP_3)
	v_lshrrev_b32_e32 v24, 31, v20
	v_ashrrev_i32_e32 v20, 2, v20
	v_lshrrev_b32_e32 v25, 31, v23
	v_ashrrev_i32_e32 v23, 2, v23
	s_delay_alu instid0(VALU_DEP_3) | instskip(NEXT) | instid1(VALU_DEP_2)
	v_add_nc_u32_e32 v20, v20, v24
	v_add_nc_u32_e32 v23, v23, v25
	s_delay_alu instid0(VALU_DEP_1)
	v_cmp_ne_u32_e32 vcc_lo, v20, v23
	s_and_b32 s4, vcc_lo, exec_lo
.LBB256_69:
	s_or_b32 exec_lo, exec_lo, s0
	v_or_b32_e32 v17, v17, v18
	v_or_b32_e32 v18, v21, v22
.LBB256_70:
	s_mov_b32 s0, -1
	s_cbranch_execnz .LBB256_95
.LBB256_71:
	v_mul_hi_i32 v26, 0x66666667, v9
	v_mul_hi_i32 v25, 0x66666667, v12
	;; [unrolled: 1-line block ×6, first 2 shown]
	s_waitcnt vmcnt(0) lgkmcnt(0)
	v_lshlrev_b32_e32 v20, 2, v0
	s_and_b32 vcc_lo, exec_lo, s23
	ds_store_b32 v20, v10
	s_cbranch_vccz .LBB256_75
; %bb.72:
	v_mul_hi_i32 v17, 0x66666667, v10
	v_lshrrev_b32_e32 v18, 31, v26
	v_ashrrev_i32_e32 v27, 2, v26
	v_lshrrev_b32_e32 v28, 31, v25
	v_ashrrev_i32_e32 v29, 2, v25
	;; [unrolled: 2-line block ×3, first 2 shown]
	v_add_nc_u32_e32 v18, v27, v18
	v_lshrrev_b32_e32 v31, 31, v17
	v_ashrrev_i32_e32 v17, 2, v17
	v_add_nc_u32_e32 v27, v29, v28
	v_lshrrev_b32_e32 v28, 31, v23
	v_ashrrev_i32_e32 v29, 2, v23
	v_ashrrev_i32_e32 v34, 2, v21
	v_add_nc_u32_e32 v17, v17, v31
	v_cmp_ne_u32_e32 vcc_lo, v27, v18
	v_mul_hi_i32 v31, 0x66666667, v15
	v_add_nc_u32_e32 v28, v29, v28
	v_lshrrev_b32_e32 v29, 31, v22
	s_waitcnt lgkmcnt(0)
	v_cndmask_b32_e64 v33, 0, 1, vcc_lo
	v_cmp_ne_u32_e32 vcc_lo, v18, v17
	v_add_nc_u32_e32 v18, v32, v30
	v_ashrrev_i32_e32 v30, 2, v22
	v_lshrrev_b32_e32 v32, 31, v21
	v_lshrrev_b32_e32 v35, 31, v31
	v_cndmask_b32_e64 v17, 0, 1, vcc_lo
	v_cmp_ne_u32_e32 vcc_lo, v18, v27
	v_ashrrev_i32_e32 v31, 2, v31
	v_add_nc_u32_e32 v29, v30, v29
	v_add_nc_u32_e32 v30, v34, v32
	v_lshlrev_b16 v17, 8, v17
	v_cndmask_b32_e64 v36, 0, 1, vcc_lo
	v_cmp_ne_u32_e32 vcc_lo, v28, v18
	v_add_nc_u32_e32 v27, v31, v35
	s_barrier
	v_or_b32_e32 v17, v33, v17
	buffer_gl0_inv
	v_cndmask_b32_e64 v18, 0, 1, vcc_lo
	v_cmp_ne_u32_e32 vcc_lo, v29, v28
                                        ; implicit-def: $sgpr4
	v_lshlrev_b32_e32 v17, 16, v17
	v_cndmask_b32_e64 v28, 0, 1, vcc_lo
	v_cmp_ne_u32_e32 vcc_lo, v27, v30
	s_delay_alu instid0(VALU_DEP_2) | instskip(SKIP_3) | instid1(VALU_DEP_3)
	v_lshlrev_b16 v28, 8, v28
	v_cndmask_b32_e64 v31, 0, 1, vcc_lo
	v_cmp_ne_u32_e32 vcc_lo, v30, v29
	v_lshlrev_b16 v30, 8, v36
	v_lshlrev_b16 v31, 8, v31
	v_cndmask_b32_e64 v29, 0, 1, vcc_lo
	s_delay_alu instid0(VALU_DEP_3) | instskip(NEXT) | instid1(VALU_DEP_2)
	v_or_b32_e32 v18, v18, v30
	v_or_b32_e32 v28, v29, v28
	s_delay_alu instid0(VALU_DEP_4) | instskip(NEXT) | instid1(VALU_DEP_3)
	v_or_b32_e32 v29, 1, v31
	v_and_b32_e32 v18, 0xffff, v18
	s_delay_alu instid0(VALU_DEP_3) | instskip(NEXT) | instid1(VALU_DEP_3)
	v_lshlrev_b32_e32 v28, 16, v28
	v_and_b32_e32 v29, 0xffff, v29
	s_delay_alu instid0(VALU_DEP_3) | instskip(NEXT) | instid1(VALU_DEP_2)
	v_or_b32_e32 v18, v18, v17
	v_or_b32_e32 v17, v29, v28
	s_and_saveexec_b32 s5, s3
	s_delay_alu instid0(SALU_CYCLE_1)
	s_xor_b32 s5, exec_lo, s5
	s_cbranch_execz .LBB256_74
; %bb.73:
	v_add_nc_u32_e32 v28, -4, v20
	s_or_b32 s0, s0, exec_lo
	ds_load_b32 v28, v28
	s_waitcnt lgkmcnt(0)
	v_mul_hi_i32 v28, 0x66666667, v28
	s_delay_alu instid0(VALU_DEP_1) | instskip(SKIP_1) | instid1(VALU_DEP_1)
	v_lshrrev_b32_e32 v29, 31, v28
	v_ashrrev_i32_e32 v28, 2, v28
	v_add_nc_u32_e32 v28, v28, v29
	s_delay_alu instid0(VALU_DEP_1)
	v_cmp_ne_u32_e32 vcc_lo, v28, v27
	s_and_b32 s4, vcc_lo, exec_lo
.LBB256_74:
	s_or_b32 exec_lo, exec_lo, s5
	s_branch .LBB256_95
.LBB256_75:
                                        ; implicit-def: $sgpr4
                                        ; implicit-def: $vgpr18
	s_cbranch_execz .LBB256_95
; %bb.76:
	v_or_b32_e32 v17, 7, v19
	s_mov_b32 s4, 0
	s_mov_b32 s5, 0
	s_mov_b32 s6, exec_lo
	s_delay_alu instid0(VALU_DEP_1)
	v_cmpx_gt_u32_e64 s25, v17
; %bb.77:
	v_mul_hi_i32 v17, 0x66666667, v10
	v_lshrrev_b32_e32 v18, 31, v26
	v_ashrrev_i32_e32 v27, 2, v26
	s_delay_alu instid0(VALU_DEP_1) | instskip(NEXT) | instid1(VALU_DEP_4)
	v_add_nc_u32_e32 v18, v27, v18
	v_lshrrev_b32_e32 v28, 31, v17
	v_ashrrev_i32_e32 v17, 2, v17
	s_delay_alu instid0(VALU_DEP_1) | instskip(NEXT) | instid1(VALU_DEP_1)
	v_add_nc_u32_e32 v17, v17, v28
	v_cmp_ne_u32_e32 vcc_lo, v18, v17
	s_and_b32 s5, vcc_lo, exec_lo
; %bb.78:
	s_or_b32 exec_lo, exec_lo, s6
	v_or_b32_e32 v17, 6, v19
	s_mov_b32 s6, exec_lo
	s_delay_alu instid0(VALU_DEP_1)
	v_cmpx_gt_u32_e64 s25, v17
; %bb.79:
	v_lshrrev_b32_e32 v17, 31, v25
	v_ashrrev_i32_e32 v18, 2, v25
	v_lshrrev_b32_e32 v27, 31, v26
	v_ashrrev_i32_e32 v26, 2, v26
	s_delay_alu instid0(VALU_DEP_3) | instskip(NEXT) | instid1(VALU_DEP_2)
	v_add_nc_u32_e32 v17, v18, v17
	v_add_nc_u32_e32 v18, v26, v27
	s_delay_alu instid0(VALU_DEP_1)
	v_cmp_ne_u32_e32 vcc_lo, v17, v18
	s_and_b32 s4, vcc_lo, exec_lo
; %bb.80:
	s_or_b32 exec_lo, exec_lo, s6
	v_or_b32_e32 v17, 5, v19
	s_mov_b32 s6, 0
	s_mov_b32 s7, 0
	s_mov_b32 s19, exec_lo
	s_delay_alu instid0(VALU_DEP_1)
	v_cmpx_gt_u32_e64 s25, v17
; %bb.81:
	v_lshrrev_b32_e32 v17, 31, v24
	v_ashrrev_i32_e32 v18, 2, v24
	v_lshrrev_b32_e32 v26, 31, v25
	v_ashrrev_i32_e32 v25, 2, v25
	s_delay_alu instid0(VALU_DEP_3) | instskip(NEXT) | instid1(VALU_DEP_2)
	v_add_nc_u32_e32 v17, v18, v17
	v_add_nc_u32_e32 v18, v25, v26
	s_delay_alu instid0(VALU_DEP_1)
	v_cmp_ne_u32_e32 vcc_lo, v17, v18
	s_and_b32 s7, vcc_lo, exec_lo
; %bb.82:
	s_or_b32 exec_lo, exec_lo, s19
	v_or_b32_e32 v17, 4, v19
	s_mov_b32 s19, exec_lo
	s_delay_alu instid0(VALU_DEP_1)
	v_cmpx_gt_u32_e64 s25, v17
; %bb.83:
	v_lshrrev_b32_e32 v17, 31, v23
	v_ashrrev_i32_e32 v18, 2, v23
	v_lshrrev_b32_e32 v25, 31, v24
	v_ashrrev_i32_e32 v24, 2, v24
	s_delay_alu instid0(VALU_DEP_3) | instskip(NEXT) | instid1(VALU_DEP_2)
	v_add_nc_u32_e32 v17, v18, v17
	v_add_nc_u32_e32 v18, v24, v25
	s_delay_alu instid0(VALU_DEP_1)
	v_cmp_ne_u32_e32 vcc_lo, v17, v18
	s_and_b32 s6, vcc_lo, exec_lo
; %bb.84:
	s_or_b32 exec_lo, exec_lo, s19
	v_or_b32_e32 v17, 3, v19
	s_mov_b32 s20, 0
	s_mov_b32 s19, 0
	s_mov_b32 s21, exec_lo
	s_delay_alu instid0(VALU_DEP_1)
	v_cmpx_gt_u32_e64 s25, v17
; %bb.85:
	v_lshrrev_b32_e32 v17, 31, v22
	v_ashrrev_i32_e32 v18, 2, v22
	v_lshrrev_b32_e32 v24, 31, v23
	v_ashrrev_i32_e32 v23, 2, v23
	s_delay_alu instid0(VALU_DEP_3) | instskip(NEXT) | instid1(VALU_DEP_2)
	v_add_nc_u32_e32 v17, v18, v17
	v_add_nc_u32_e32 v18, v23, v24
	s_delay_alu instid0(VALU_DEP_1)
	v_cmp_ne_u32_e32 vcc_lo, v17, v18
	s_and_b32 s19, vcc_lo, exec_lo
; %bb.86:
	s_or_b32 exec_lo, exec_lo, s21
	v_or_b32_e32 v17, 2, v19
	s_mov_b32 s21, exec_lo
	s_delay_alu instid0(VALU_DEP_1)
	v_cmpx_gt_u32_e64 s25, v17
; %bb.87:
	v_lshrrev_b32_e32 v17, 31, v21
	v_ashrrev_i32_e32 v18, 2, v21
	v_lshrrev_b32_e32 v23, 31, v22
	v_ashrrev_i32_e32 v22, 2, v22
	s_delay_alu instid0(VALU_DEP_3) | instskip(NEXT) | instid1(VALU_DEP_2)
	v_add_nc_u32_e32 v17, v18, v17
	v_add_nc_u32_e32 v18, v22, v23
	s_delay_alu instid0(VALU_DEP_1)
	v_cmp_ne_u32_e32 vcc_lo, v17, v18
	s_and_b32 s20, vcc_lo, exec_lo
; %bb.88:
	s_or_b32 exec_lo, exec_lo, s21
	v_or_b32_e32 v17, 1, v19
	s_mov_b32 s26, 0
	s_mov_b32 s21, exec_lo
	s_delay_alu instid0(VALU_DEP_1)
	v_cmpx_gt_u32_e64 s25, v17
; %bb.89:
	v_mul_hi_i32 v17, 0x66666667, v15
	v_lshrrev_b32_e32 v18, 31, v21
	v_ashrrev_i32_e32 v21, 2, v21
	s_delay_alu instid0(VALU_DEP_1) | instskip(NEXT) | instid1(VALU_DEP_4)
	v_add_nc_u32_e32 v18, v21, v18
	v_lshrrev_b32_e32 v22, 31, v17
	v_ashrrev_i32_e32 v17, 2, v17
	s_delay_alu instid0(VALU_DEP_1) | instskip(NEXT) | instid1(VALU_DEP_1)
	v_add_nc_u32_e32 v17, v17, v22
	v_cmp_ne_u32_e32 vcc_lo, v17, v18
	s_and_b32 s26, vcc_lo, exec_lo
; %bb.90:
	s_or_b32 exec_lo, exec_lo, s21
	v_cndmask_b32_e64 v18, 0, 1, s19
	v_cndmask_b32_e64 v21, 0, 1, s7
	;; [unrolled: 1-line block ×7, first 2 shown]
	v_lshlrev_b16 v21, 8, v21
	v_lshlrev_b16 v22, 8, v22
	;; [unrolled: 1-line block ×4, first 2 shown]
	s_waitcnt lgkmcnt(0)
	v_or_b32_e32 v21, v24, v21
	v_or_b32_e32 v22, v25, v22
	;; [unrolled: 1-line block ×4, first 2 shown]
	s_barrier
	v_and_b32_e32 v18, 0xffff, v21
	v_lshlrev_b32_e32 v21, 16, v22
	v_and_b32_e32 v22, 0xffff, v23
	v_lshlrev_b32_e32 v17, 16, v17
	buffer_gl0_inv
                                        ; implicit-def: $sgpr4
	v_or_b32_e32 v18, v18, v21
	v_or_b32_e32 v17, v22, v17
	s_and_saveexec_b32 s5, s3
	s_cbranch_execz .LBB256_94
; %bb.91:
	s_mov_b32 s4, 0
	s_mov_b32 s3, exec_lo
	v_cmpx_gt_u32_e64 s25, v19
	s_cbranch_execz .LBB256_93
; %bb.92:
	v_add_nc_u32_e32 v20, -4, v20
	v_mul_hi_i32 v21, 0x66666667, v15
	ds_load_b32 v20, v20
	v_lshrrev_b32_e32 v22, 31, v21
	v_ashrrev_i32_e32 v21, 2, v21
	s_delay_alu instid0(VALU_DEP_1) | instskip(SKIP_2) | instid1(VALU_DEP_1)
	v_add_nc_u32_e32 v21, v21, v22
	s_waitcnt lgkmcnt(0)
	v_mul_hi_i32 v20, 0x66666667, v20
	v_lshrrev_b32_e32 v23, 31, v20
	v_ashrrev_i32_e32 v20, 2, v20
	s_delay_alu instid0(VALU_DEP_1) | instskip(NEXT) | instid1(VALU_DEP_1)
	v_add_nc_u32_e32 v20, v20, v23
	v_cmp_ne_u32_e32 vcc_lo, v20, v21
	s_and_b32 s4, vcc_lo, exec_lo
.LBB256_93:
	s_or_b32 exec_lo, exec_lo, s3
	s_delay_alu instid0(SALU_CYCLE_1)
	s_and_b32 s4, s4, exec_lo
	s_or_b32 s0, s0, exec_lo
.LBB256_94:
	s_or_b32 exec_lo, exec_lo, s5
.LBB256_95:
	s_and_saveexec_b32 s3, s0
	s_cbranch_execz .LBB256_97
; %bb.96:
	s_waitcnt vmcnt(0) lgkmcnt(0)
	v_and_b32_e32 v20, 0xffffff00, v17
	v_cndmask_b32_e64 v21, 0, 1, s4
	s_delay_alu instid0(VALU_DEP_1) | instskip(NEXT) | instid1(VALU_DEP_1)
	v_or_b32_e32 v20, v21, v20
	v_and_b32_e32 v20, 0xffff, v20
	s_delay_alu instid0(VALU_DEP_1)
	v_and_or_b32 v17, 0xffff0000, v17, v20
.LBB256_97:
	s_or_b32 exec_lo, exec_lo, s3
	s_delay_alu instid0(SALU_CYCLE_1)
	s_and_not1_b32 vcc_lo, exec_lo, s1
	s_cbranch_vccnz .LBB256_99
; %bb.98:
	v_cmp_gt_u32_e32 vcc_lo, s25, v19
	v_or_b32_e32 v21, 1, v19
	v_and_b32_e32 v22, 0xffffff00, v18
	v_or_b32_e32 v23, 2, v19
	s_waitcnt vmcnt(0) lgkmcnt(0)
	v_cndmask_b32_e32 v20, 0, v17, vcc_lo
	v_cmp_gt_u32_e32 vcc_lo, s25, v21
	v_or_b32_e32 v21, 4, v19
	v_cmp_gt_u32_e64 s0, s25, v23
	v_or_b32_e32 v23, 3, v19
	v_and_b32_e32 v20, 0xff, v20
	s_delay_alu instid0(VALU_DEP_2) | instskip(NEXT) | instid1(VALU_DEP_2)
	v_cmp_gt_u32_e64 s1, s25, v23
	v_cndmask_b32_e32 v20, v20, v17, vcc_lo
	v_cmp_gt_u32_e32 vcc_lo, s25, v21
	s_delay_alu instid0(VALU_DEP_2) | instskip(SKIP_1) | instid1(VALU_DEP_2)
	v_dual_cndmask_b32 v21, v22, v18 :: v_dual_and_b32 v20, 0xffff, v20
	v_or_b32_e32 v22, 5, v19
	v_cndmask_b32_e64 v20, v20, v17, s0
	s_delay_alu instid0(VALU_DEP_3) | instskip(NEXT) | instid1(VALU_DEP_3)
	v_and_b32_e32 v21, 0xffff00ff, v21
	v_cmp_gt_u32_e64 s0, s25, v22
	v_or_b32_e32 v22, 6, v19
	v_or_b32_e32 v19, 7, v19
	v_and_b32_e32 v20, 0xffffff, v20
	s_delay_alu instid0(VALU_DEP_4) | instskip(NEXT) | instid1(VALU_DEP_2)
	v_cndmask_b32_e64 v21, v21, v18, s0
	v_cndmask_b32_e64 v20, v20, v17, s1
	s_delay_alu instid0(VALU_DEP_2) | instskip(NEXT) | instid1(VALU_DEP_2)
	v_and_b32_e32 v21, 0xff00ffff, v21
	v_cndmask_b32_e32 v20, v20, v17, vcc_lo
	v_cmp_gt_u32_e32 vcc_lo, s25, v22
	s_delay_alu instid0(VALU_DEP_2) | instskip(NEXT) | instid1(VALU_DEP_1)
	v_cndmask_b32_e64 v20, v20, v17, s0
	v_dual_cndmask_b32 v21, v21, v18 :: v_dual_cndmask_b32 v20, v20, v17
	s_delay_alu instid0(VALU_DEP_1) | instskip(SKIP_1) | instid1(VALU_DEP_2)
	v_and_b32_e32 v21, 0xffffff, v21
	v_cmp_gt_u32_e32 vcc_lo, s25, v19
	v_dual_cndmask_b32 v18, v21, v18 :: v_dual_cndmask_b32 v17, v20, v17
.LBB256_99:
	s_delay_alu instid0(VALU_DEP_1) | instskip(NEXT) | instid1(VALU_DEP_2)
	v_and_b32_e32 v28, 0xff, v17
	v_alignbit_b32 v19, v18, v17, 24
	v_bfe_u32 v30, v17, 8, 8
	v_bfe_u32 v32, v17, 16, 8
	v_and_b32_e32 v36, 0xff, v18
	v_bfe_u32 v38, v18, 8, 8
	v_and_b32_e32 v34, 0xff, v19
	v_add_nc_u32_e32 v19, v30, v28
	s_waitcnt vmcnt(0) lgkmcnt(0)
	v_and_b32_e32 v20, 0x1e0, v0
	v_mbcnt_lo_u32_b32 v41, -1, 0
	v_bfe_u32 v40, v18, 16, 8
	v_lshrrev_b32_e32 v39, 24, v18
	v_add3_u32 v19, v19, v32, v34
	v_min_u32_e32 v20, 0x160, v20
	v_and_b32_e32 v21, 15, v41
	v_lshrrev_b32_e32 v42, 5, v0
	s_and_b32 vcc_lo, exec_lo, s18
	v_add3_u32 v19, v19, v36, v38
	v_or_b32_e32 v20, 31, v20
	v_cmp_eq_u32_e64 s3, 0, v21
	v_cmp_lt_u32_e64 s4, 1, v21
	v_cmp_lt_u32_e64 s1, 3, v21
	v_add3_u32 v43, v19, v40, v39
	v_and_b32_e32 v19, 16, v41
	v_cmp_lt_u32_e64 s0, 7, v21
	v_cmp_eq_u32_e64 s5, v20, v0
	s_mov_b32 s7, -1
	s_delay_alu instid0(VALU_DEP_3)
	v_cmp_eq_u32_e64 s6, 0, v19
	s_barrier
	buffer_gl0_inv
	s_cbranch_vccz .LBB256_130
; %bb.100:
	v_mov_b32_dpp v19, v43 row_shr:1 row_mask:0xf bank_mask:0xf
	s_delay_alu instid0(VALU_DEP_1) | instskip(NEXT) | instid1(VALU_DEP_1)
	v_cndmask_b32_e64 v19, v19, 0, s3
	v_add_nc_u32_e32 v19, v19, v43
	s_delay_alu instid0(VALU_DEP_1) | instskip(NEXT) | instid1(VALU_DEP_1)
	v_mov_b32_dpp v20, v19 row_shr:2 row_mask:0xf bank_mask:0xf
	v_cndmask_b32_e64 v20, 0, v20, s4
	s_delay_alu instid0(VALU_DEP_1) | instskip(NEXT) | instid1(VALU_DEP_1)
	v_add_nc_u32_e32 v19, v19, v20
	v_mov_b32_dpp v20, v19 row_shr:4 row_mask:0xf bank_mask:0xf
	s_delay_alu instid0(VALU_DEP_1) | instskip(NEXT) | instid1(VALU_DEP_1)
	v_cndmask_b32_e64 v20, 0, v20, s1
	v_add_nc_u32_e32 v19, v19, v20
	s_delay_alu instid0(VALU_DEP_1) | instskip(NEXT) | instid1(VALU_DEP_1)
	v_mov_b32_dpp v20, v19 row_shr:8 row_mask:0xf bank_mask:0xf
	v_cndmask_b32_e64 v20, 0, v20, s0
	s_delay_alu instid0(VALU_DEP_1) | instskip(SKIP_3) | instid1(VALU_DEP_1)
	v_add_nc_u32_e32 v19, v19, v20
	ds_swizzle_b32 v20, v19 offset:swizzle(BROADCAST,32,15)
	s_waitcnt lgkmcnt(0)
	v_cndmask_b32_e64 v20, v20, 0, s6
	v_add_nc_u32_e32 v19, v19, v20
	s_and_saveexec_b32 s7, s5
	s_cbranch_execz .LBB256_102
; %bb.101:
	v_lshlrev_b32_e32 v20, 2, v42
	ds_store_b32 v20, v19
.LBB256_102:
	s_or_b32 exec_lo, exec_lo, s7
	s_delay_alu instid0(SALU_CYCLE_1)
	s_mov_b32 s7, exec_lo
	s_waitcnt lgkmcnt(0)
	s_barrier
	buffer_gl0_inv
	v_cmpx_gt_u32_e32 12, v0
	s_cbranch_execz .LBB256_104
; %bb.103:
	v_lshlrev_b32_e32 v20, 2, v0
	ds_load_b32 v21, v20
	s_waitcnt lgkmcnt(0)
	v_mov_b32_dpp v22, v21 row_shr:1 row_mask:0xf bank_mask:0xf
	s_delay_alu instid0(VALU_DEP_1) | instskip(NEXT) | instid1(VALU_DEP_1)
	v_cndmask_b32_e64 v22, v22, 0, s3
	v_add_nc_u32_e32 v21, v22, v21
	s_delay_alu instid0(VALU_DEP_1) | instskip(NEXT) | instid1(VALU_DEP_1)
	v_mov_b32_dpp v22, v21 row_shr:2 row_mask:0xf bank_mask:0xf
	v_cndmask_b32_e64 v22, 0, v22, s4
	s_delay_alu instid0(VALU_DEP_1) | instskip(NEXT) | instid1(VALU_DEP_1)
	v_add_nc_u32_e32 v21, v21, v22
	v_mov_b32_dpp v22, v21 row_shr:4 row_mask:0xf bank_mask:0xf
	s_delay_alu instid0(VALU_DEP_1) | instskip(NEXT) | instid1(VALU_DEP_1)
	v_cndmask_b32_e64 v22, 0, v22, s1
	v_add_nc_u32_e32 v21, v21, v22
	s_delay_alu instid0(VALU_DEP_1) | instskip(NEXT) | instid1(VALU_DEP_1)
	v_mov_b32_dpp v22, v21 row_shr:8 row_mask:0xf bank_mask:0xf
	v_cndmask_b32_e64 v22, 0, v22, s0
	s_delay_alu instid0(VALU_DEP_1)
	v_add_nc_u32_e32 v21, v21, v22
	ds_store_b32 v20, v21
.LBB256_104:
	s_or_b32 exec_lo, exec_lo, s7
	v_cmp_gt_u32_e32 vcc_lo, 32, v0
	s_mov_b32 s18, exec_lo
	s_waitcnt lgkmcnt(0)
	s_barrier
	buffer_gl0_inv
                                        ; implicit-def: $vgpr27
	v_cmpx_lt_u32_e32 31, v0
	s_cbranch_execz .LBB256_106
; %bb.105:
	v_lshl_add_u32 v20, v42, 2, -4
	ds_load_b32 v27, v20
	s_waitcnt lgkmcnt(0)
	v_add_nc_u32_e32 v19, v27, v19
.LBB256_106:
	s_or_b32 exec_lo, exec_lo, s18
	v_add_nc_u32_e32 v20, -1, v41
	s_delay_alu instid0(VALU_DEP_1) | instskip(NEXT) | instid1(VALU_DEP_1)
	v_cmp_gt_i32_e64 s7, 0, v20
	v_cndmask_b32_e64 v20, v20, v41, s7
	v_cmp_eq_u32_e64 s7, 0, v41
	s_delay_alu instid0(VALU_DEP_2)
	v_lshlrev_b32_e32 v20, 2, v20
	ds_bpermute_b32 v29, v20, v19
	s_and_saveexec_b32 s18, vcc_lo
	s_cbranch_execz .LBB256_129
; %bb.107:
	v_mov_b32_e32 v23, 0
	ds_load_b32 v19, v23 offset:44
	s_and_saveexec_b32 s19, s7
	s_cbranch_execz .LBB256_109
; %bb.108:
	s_add_i32 s20, s24, 32
	s_mov_b32 s21, 0
	v_mov_b32_e32 v20, 1
	s_lshl_b64 s[20:21], s[20:21], 3
	s_delay_alu instid0(SALU_CYCLE_1)
	s_add_u32 s20, s16, s20
	s_addc_u32 s21, s17, s21
	s_waitcnt lgkmcnt(0)
	global_store_b64 v23, v[19:20], s[20:21]
.LBB256_109:
	s_or_b32 exec_lo, exec_lo, s19
	v_xad_u32 v21, v41, -1, s24
	s_mov_b32 s20, 0
	s_mov_b32 s19, exec_lo
	s_delay_alu instid0(VALU_DEP_1) | instskip(NEXT) | instid1(VALU_DEP_1)
	v_add_nc_u32_e32 v22, 32, v21
	v_lshlrev_b64 v[22:23], 3, v[22:23]
	s_delay_alu instid0(VALU_DEP_1) | instskip(NEXT) | instid1(VALU_DEP_2)
	v_add_co_u32 v25, vcc_lo, s16, v22
	v_add_co_ci_u32_e32 v26, vcc_lo, s17, v23, vcc_lo
	global_load_b64 v[23:24], v[25:26], off glc
	s_waitcnt vmcnt(0)
	v_and_b32_e32 v20, 0xff, v24
	s_delay_alu instid0(VALU_DEP_1)
	v_cmpx_eq_u16_e32 0, v20
	s_cbranch_execz .LBB256_115
; %bb.110:
	s_mov_b32 s21, 1
	.p2align	6
.LBB256_111:                            ; =>This Loop Header: Depth=1
                                        ;     Child Loop BB256_112 Depth 2
	s_delay_alu instid0(SALU_CYCLE_1)
	s_max_u32 s25, s21, 1
.LBB256_112:                            ;   Parent Loop BB256_111 Depth=1
                                        ; =>  This Inner Loop Header: Depth=2
	s_delay_alu instid0(SALU_CYCLE_1)
	s_add_i32 s25, s25, -1
	s_sleep 1
	s_cmp_eq_u32 s25, 0
	s_cbranch_scc0 .LBB256_112
; %bb.113:                              ;   in Loop: Header=BB256_111 Depth=1
	global_load_b64 v[23:24], v[25:26], off glc
	s_cmp_lt_u32 s21, 32
	s_cselect_b32 s25, -1, 0
	s_delay_alu instid0(SALU_CYCLE_1) | instskip(SKIP_3) | instid1(VALU_DEP_1)
	s_cmp_lg_u32 s25, 0
	s_addc_u32 s21, s21, 0
	s_waitcnt vmcnt(0)
	v_and_b32_e32 v20, 0xff, v24
	v_cmp_ne_u16_e32 vcc_lo, 0, v20
	s_or_b32 s20, vcc_lo, s20
	s_delay_alu instid0(SALU_CYCLE_1)
	s_and_not1_b32 exec_lo, exec_lo, s20
	s_cbranch_execnz .LBB256_111
; %bb.114:
	s_or_b32 exec_lo, exec_lo, s20
.LBB256_115:
	s_delay_alu instid0(SALU_CYCLE_1)
	s_or_b32 exec_lo, exec_lo, s19
	v_cmp_ne_u32_e32 vcc_lo, 31, v41
	v_lshlrev_b32_e64 v33, v41, -1
	v_add_nc_u32_e32 v37, 2, v41
	v_add_nc_u32_e32 v45, 4, v41
	;; [unrolled: 1-line block ×3, first 2 shown]
	v_add_co_ci_u32_e32 v20, vcc_lo, 0, v41, vcc_lo
	v_add_nc_u32_e32 v49, 16, v41
	s_delay_alu instid0(VALU_DEP_2)
	v_lshlrev_b32_e32 v31, 2, v20
	v_and_b32_e32 v20, 0xff, v24
	ds_bpermute_b32 v22, v31, v23
	v_cmp_eq_u16_e32 vcc_lo, 2, v20
	v_and_or_b32 v20, vcc_lo, v33, 0x80000000
	v_cmp_gt_u32_e32 vcc_lo, 30, v41
	s_delay_alu instid0(VALU_DEP_2) | instskip(SKIP_1) | instid1(VALU_DEP_2)
	v_ctz_i32_b32_e32 v20, v20
	v_cndmask_b32_e64 v25, 0, 1, vcc_lo
	v_cmp_lt_u32_e32 vcc_lo, v41, v20
	s_waitcnt lgkmcnt(0)
	s_delay_alu instid0(VALU_DEP_2) | instskip(NEXT) | instid1(VALU_DEP_1)
	v_dual_cndmask_b32 v22, 0, v22 :: v_dual_lshlrev_b32 v25, 1, v25
	v_add_lshl_u32 v35, v25, v41, 2
	v_cmp_gt_u32_e32 vcc_lo, 28, v41
	s_delay_alu instid0(VALU_DEP_3) | instskip(SKIP_4) | instid1(VALU_DEP_1)
	v_add_nc_u32_e32 v22, v22, v23
	v_cndmask_b32_e64 v25, 0, 1, vcc_lo
	v_cmp_le_u32_e32 vcc_lo, v37, v20
	ds_bpermute_b32 v23, v35, v22
	v_lshlrev_b32_e32 v25, 2, v25
	v_add_lshl_u32 v44, v25, v41, 2
	s_waitcnt lgkmcnt(0)
	v_cndmask_b32_e32 v23, 0, v23, vcc_lo
	v_cmp_gt_u32_e32 vcc_lo, 24, v41
	s_delay_alu instid0(VALU_DEP_2) | instskip(SKIP_4) | instid1(VALU_DEP_1)
	v_add_nc_u32_e32 v22, v22, v23
	v_cndmask_b32_e64 v25, 0, 1, vcc_lo
	v_cmp_le_u32_e32 vcc_lo, v45, v20
	ds_bpermute_b32 v23, v44, v22
	v_lshlrev_b32_e32 v25, 3, v25
	v_add_lshl_u32 v46, v25, v41, 2
	s_waitcnt lgkmcnt(0)
	v_cndmask_b32_e32 v23, 0, v23, vcc_lo
	v_cmp_gt_u32_e32 vcc_lo, 16, v41
	s_delay_alu instid0(VALU_DEP_2) | instskip(SKIP_4) | instid1(VALU_DEP_1)
	v_add_nc_u32_e32 v22, v22, v23
	v_cndmask_b32_e64 v25, 0, 1, vcc_lo
	v_cmp_le_u32_e32 vcc_lo, v47, v20
	ds_bpermute_b32 v23, v46, v22
	v_lshlrev_b32_e32 v25, 4, v25
	v_add_lshl_u32 v48, v25, v41, 2
	s_waitcnt lgkmcnt(0)
	v_cndmask_b32_e32 v23, 0, v23, vcc_lo
	v_cmp_le_u32_e32 vcc_lo, v49, v20
	s_delay_alu instid0(VALU_DEP_2) | instskip(SKIP_3) | instid1(VALU_DEP_1)
	v_add_nc_u32_e32 v22, v22, v23
	ds_bpermute_b32 v23, v48, v22
	s_waitcnt lgkmcnt(0)
	v_cndmask_b32_e32 v20, 0, v23, vcc_lo
	v_dual_mov_b32 v22, 0 :: v_dual_add_nc_u32 v23, v22, v20
	s_branch .LBB256_117
.LBB256_116:                            ;   in Loop: Header=BB256_117 Depth=1
	s_or_b32 exec_lo, exec_lo, s19
	ds_bpermute_b32 v26, v31, v23
	v_and_b32_e32 v25, 0xff, v24
	v_subrev_nc_u32_e32 v21, 32, v21
	s_delay_alu instid0(VALU_DEP_2) | instskip(SKIP_1) | instid1(VALU_DEP_1)
	v_cmp_eq_u16_e32 vcc_lo, 2, v25
	v_and_or_b32 v25, vcc_lo, v33, 0x80000000
	v_ctz_i32_b32_e32 v25, v25
	s_delay_alu instid0(VALU_DEP_1) | instskip(SKIP_3) | instid1(VALU_DEP_2)
	v_cmp_lt_u32_e32 vcc_lo, v41, v25
	s_waitcnt lgkmcnt(0)
	v_cndmask_b32_e32 v26, 0, v26, vcc_lo
	v_cmp_le_u32_e32 vcc_lo, v37, v25
	v_add_nc_u32_e32 v23, v26, v23
	ds_bpermute_b32 v26, v35, v23
	s_waitcnt lgkmcnt(0)
	v_cndmask_b32_e32 v26, 0, v26, vcc_lo
	v_cmp_le_u32_e32 vcc_lo, v45, v25
	s_delay_alu instid0(VALU_DEP_2) | instskip(SKIP_4) | instid1(VALU_DEP_2)
	v_add_nc_u32_e32 v23, v23, v26
	ds_bpermute_b32 v26, v44, v23
	s_waitcnt lgkmcnt(0)
	v_cndmask_b32_e32 v26, 0, v26, vcc_lo
	v_cmp_le_u32_e32 vcc_lo, v47, v25
	v_add_nc_u32_e32 v23, v23, v26
	ds_bpermute_b32 v26, v46, v23
	s_waitcnt lgkmcnt(0)
	v_cndmask_b32_e32 v26, 0, v26, vcc_lo
	v_cmp_le_u32_e32 vcc_lo, v49, v25
	s_delay_alu instid0(VALU_DEP_2) | instskip(SKIP_3) | instid1(VALU_DEP_1)
	v_add_nc_u32_e32 v23, v23, v26
	ds_bpermute_b32 v26, v48, v23
	s_waitcnt lgkmcnt(0)
	v_cndmask_b32_e32 v25, 0, v26, vcc_lo
	v_add3_u32 v23, v25, v20, v23
.LBB256_117:                            ; =>This Loop Header: Depth=1
                                        ;     Child Loop BB256_120 Depth 2
                                        ;       Child Loop BB256_121 Depth 3
	v_and_b32_e32 v20, 0xff, v24
	s_delay_alu instid0(VALU_DEP_1) | instskip(SKIP_2) | instid1(VALU_DEP_1)
	v_cmp_ne_u16_e32 vcc_lo, 2, v20
	v_cndmask_b32_e64 v20, 0, 1, vcc_lo
	;;#ASMSTART
	;;#ASMEND
	v_cmp_ne_u32_e32 vcc_lo, 0, v20
	v_mov_b32_e32 v20, v23
	s_cmp_lg_u32 vcc_lo, exec_lo
	s_cbranch_scc1 .LBB256_124
; %bb.118:                              ;   in Loop: Header=BB256_117 Depth=1
	v_lshlrev_b64 v[23:24], 3, v[21:22]
	s_mov_b32 s19, exec_lo
	s_delay_alu instid0(VALU_DEP_1) | instskip(NEXT) | instid1(VALU_DEP_2)
	v_add_co_u32 v25, vcc_lo, s16, v23
	v_add_co_ci_u32_e32 v26, vcc_lo, s17, v24, vcc_lo
	global_load_b64 v[23:24], v[25:26], off glc
	s_waitcnt vmcnt(0)
	v_and_b32_e32 v50, 0xff, v24
	s_delay_alu instid0(VALU_DEP_1)
	v_cmpx_eq_u16_e32 0, v50
	s_cbranch_execz .LBB256_116
; %bb.119:                              ;   in Loop: Header=BB256_117 Depth=1
	s_mov_b32 s21, 1
	s_mov_b32 s20, 0
	.p2align	6
.LBB256_120:                            ;   Parent Loop BB256_117 Depth=1
                                        ; =>  This Loop Header: Depth=2
                                        ;       Child Loop BB256_121 Depth 3
	s_max_u32 s25, s21, 1
.LBB256_121:                            ;   Parent Loop BB256_117 Depth=1
                                        ;     Parent Loop BB256_120 Depth=2
                                        ; =>    This Inner Loop Header: Depth=3
	s_delay_alu instid0(SALU_CYCLE_1)
	s_add_i32 s25, s25, -1
	s_sleep 1
	s_cmp_eq_u32 s25, 0
	s_cbranch_scc0 .LBB256_121
; %bb.122:                              ;   in Loop: Header=BB256_120 Depth=2
	global_load_b64 v[23:24], v[25:26], off glc
	s_cmp_lt_u32 s21, 32
	s_cselect_b32 s25, -1, 0
	s_delay_alu instid0(SALU_CYCLE_1) | instskip(SKIP_3) | instid1(VALU_DEP_1)
	s_cmp_lg_u32 s25, 0
	s_addc_u32 s21, s21, 0
	s_waitcnt vmcnt(0)
	v_and_b32_e32 v50, 0xff, v24
	v_cmp_ne_u16_e32 vcc_lo, 0, v50
	s_or_b32 s20, vcc_lo, s20
	s_delay_alu instid0(SALU_CYCLE_1)
	s_and_not1_b32 exec_lo, exec_lo, s20
	s_cbranch_execnz .LBB256_120
; %bb.123:                              ;   in Loop: Header=BB256_117 Depth=1
	s_or_b32 exec_lo, exec_lo, s20
	s_branch .LBB256_116
.LBB256_124:                            ;   in Loop: Header=BB256_117 Depth=1
                                        ; implicit-def: $vgpr23
                                        ; implicit-def: $vgpr24
	s_cbranch_execz .LBB256_117
; %bb.125:
	s_and_saveexec_b32 s19, s7
	s_cbranch_execz .LBB256_127
; %bb.126:
	s_add_i32 s20, s24, 32
	s_mov_b32 s21, 0
	v_dual_mov_b32 v22, 2 :: v_dual_add_nc_u32 v21, v20, v19
	s_lshl_b64 s[20:21], s[20:21], 3
	v_mov_b32_e32 v23, 0
	s_add_u32 s20, s16, s20
	s_addc_u32 s21, s17, s21
	global_store_b64 v23, v[21:22], s[20:21]
	ds_store_b64 v23, v[19:20] offset:12672
.LBB256_127:
	s_or_b32 exec_lo, exec_lo, s19
	s_delay_alu instid0(SALU_CYCLE_1)
	s_and_b32 exec_lo, exec_lo, s2
	s_cbranch_execz .LBB256_129
; %bb.128:
	v_mov_b32_e32 v19, 0
	ds_store_b32 v19, v20 offset:44
.LBB256_129:
	s_or_b32 exec_lo, exec_lo, s18
	v_mov_b32_e32 v19, 0
	s_waitcnt lgkmcnt(0)
	s_waitcnt_vscnt null, 0x0
	s_barrier
	buffer_gl0_inv
	v_cndmask_b32_e64 v21, v29, v27, s7
	ds_load_b32 v20, v19 offset:44
	s_waitcnt lgkmcnt(0)
	s_barrier
	buffer_gl0_inv
	v_cndmask_b32_e64 v21, v21, 0, s2
	s_delay_alu instid0(VALU_DEP_1) | instskip(SKIP_2) | instid1(VALU_DEP_1)
	v_add_nc_u32_e32 v37, v20, v21
	ds_load_b64 v[19:20], v19 offset:12672
	v_add_nc_u32_e32 v35, v37, v28
	v_add_nc_u32_e32 v33, v35, v30
	s_delay_alu instid0(VALU_DEP_1) | instskip(NEXT) | instid1(VALU_DEP_1)
	v_add_nc_u32_e32 v31, v33, v32
	v_add_nc_u32_e32 v29, v31, v34
	s_delay_alu instid0(VALU_DEP_1) | instskip(NEXT) | instid1(VALU_DEP_1)
	v_add_nc_u32_e32 v27, v29, v36
	v_add_nc_u32_e32 v25, v27, v38
	s_delay_alu instid0(VALU_DEP_1)
	v_add_nc_u32_e32 v23, v25, v40
	v_lshrrev_b64 v[21:22], 24, v[17:18]
	s_branch .LBB256_140
.LBB256_130:
                                        ; implicit-def: $vgpr23
                                        ; implicit-def: $vgpr25
                                        ; implicit-def: $vgpr27
                                        ; implicit-def: $vgpr29
                                        ; implicit-def: $vgpr31
                                        ; implicit-def: $vgpr33
                                        ; implicit-def: $vgpr35
                                        ; implicit-def: $vgpr37
                                        ; implicit-def: $vgpr20
	v_lshrrev_b64 v[21:22], 24, v[17:18]
	s_and_b32 vcc_lo, exec_lo, s7
	s_cbranch_vccz .LBB256_140
; %bb.131:
	s_waitcnt lgkmcnt(0)
	v_mov_b32_dpp v19, v43 row_shr:1 row_mask:0xf bank_mask:0xf
	s_delay_alu instid0(VALU_DEP_1) | instskip(NEXT) | instid1(VALU_DEP_1)
	v_cndmask_b32_e64 v19, v19, 0, s3
	v_add_nc_u32_e32 v19, v19, v43
	s_delay_alu instid0(VALU_DEP_1) | instskip(NEXT) | instid1(VALU_DEP_1)
	v_mov_b32_dpp v20, v19 row_shr:2 row_mask:0xf bank_mask:0xf
	v_cndmask_b32_e64 v20, 0, v20, s4
	s_delay_alu instid0(VALU_DEP_1) | instskip(NEXT) | instid1(VALU_DEP_1)
	v_add_nc_u32_e32 v19, v19, v20
	v_mov_b32_dpp v20, v19 row_shr:4 row_mask:0xf bank_mask:0xf
	s_delay_alu instid0(VALU_DEP_1) | instskip(NEXT) | instid1(VALU_DEP_1)
	v_cndmask_b32_e64 v20, 0, v20, s1
	v_add_nc_u32_e32 v19, v19, v20
	s_delay_alu instid0(VALU_DEP_1) | instskip(NEXT) | instid1(VALU_DEP_1)
	v_mov_b32_dpp v20, v19 row_shr:8 row_mask:0xf bank_mask:0xf
	v_cndmask_b32_e64 v20, 0, v20, s0
	s_delay_alu instid0(VALU_DEP_1) | instskip(SKIP_3) | instid1(VALU_DEP_1)
	v_add_nc_u32_e32 v19, v19, v20
	ds_swizzle_b32 v20, v19 offset:swizzle(BROADCAST,32,15)
	s_waitcnt lgkmcnt(0)
	v_cndmask_b32_e64 v20, v20, 0, s6
	v_add_nc_u32_e32 v19, v19, v20
	s_and_saveexec_b32 s6, s5
	s_cbranch_execz .LBB256_133
; %bb.132:
	v_lshlrev_b32_e32 v20, 2, v42
	ds_store_b32 v20, v19
.LBB256_133:
	s_or_b32 exec_lo, exec_lo, s6
	s_delay_alu instid0(SALU_CYCLE_1)
	s_mov_b32 s5, exec_lo
	s_waitcnt lgkmcnt(0)
	s_barrier
	buffer_gl0_inv
	v_cmpx_gt_u32_e32 12, v0
	s_cbranch_execz .LBB256_135
; %bb.134:
	v_lshlrev_b32_e32 v20, 2, v0
	ds_load_b32 v22, v20
	s_waitcnt lgkmcnt(0)
	v_mov_b32_dpp v23, v22 row_shr:1 row_mask:0xf bank_mask:0xf
	s_delay_alu instid0(VALU_DEP_1) | instskip(NEXT) | instid1(VALU_DEP_1)
	v_cndmask_b32_e64 v23, v23, 0, s3
	v_add_nc_u32_e32 v22, v23, v22
	s_delay_alu instid0(VALU_DEP_1) | instskip(NEXT) | instid1(VALU_DEP_1)
	v_mov_b32_dpp v23, v22 row_shr:2 row_mask:0xf bank_mask:0xf
	v_cndmask_b32_e64 v23, 0, v23, s4
	s_delay_alu instid0(VALU_DEP_1) | instskip(NEXT) | instid1(VALU_DEP_1)
	v_add_nc_u32_e32 v22, v22, v23
	v_mov_b32_dpp v23, v22 row_shr:4 row_mask:0xf bank_mask:0xf
	s_delay_alu instid0(VALU_DEP_1) | instskip(NEXT) | instid1(VALU_DEP_1)
	v_cndmask_b32_e64 v23, 0, v23, s1
	v_add_nc_u32_e32 v22, v22, v23
	s_delay_alu instid0(VALU_DEP_1) | instskip(NEXT) | instid1(VALU_DEP_1)
	v_mov_b32_dpp v23, v22 row_shr:8 row_mask:0xf bank_mask:0xf
	v_cndmask_b32_e64 v23, 0, v23, s0
	s_delay_alu instid0(VALU_DEP_1)
	v_add_nc_u32_e32 v22, v22, v23
	ds_store_b32 v20, v22
.LBB256_135:
	s_or_b32 exec_lo, exec_lo, s5
	v_mov_b32_e32 v20, 0
	v_mov_b32_e32 v22, 0
	s_mov_b32 s0, exec_lo
	s_waitcnt lgkmcnt(0)
	s_barrier
	buffer_gl0_inv
	v_cmpx_lt_u32_e32 31, v0
	s_cbranch_execz .LBB256_137
; %bb.136:
	v_lshl_add_u32 v22, v42, 2, -4
	ds_load_b32 v22, v22
.LBB256_137:
	s_or_b32 exec_lo, exec_lo, s0
	v_add_nc_u32_e32 v23, -1, v41
	s_waitcnt lgkmcnt(0)
	v_add_nc_u32_e32 v19, v22, v19
	s_delay_alu instid0(VALU_DEP_2) | instskip(SKIP_1) | instid1(VALU_DEP_1)
	v_cmp_gt_i32_e32 vcc_lo, 0, v23
	v_cndmask_b32_e32 v23, v23, v41, vcc_lo
	v_lshlrev_b32_e32 v23, 2, v23
	ds_bpermute_b32 v23, v23, v19
	ds_load_b32 v19, v20 offset:44
	s_and_saveexec_b32 s0, s2
	s_cbranch_execz .LBB256_139
; %bb.138:
	v_mov_b32_e32 v24, 0
	v_mov_b32_e32 v20, 2
	s_waitcnt lgkmcnt(0)
	global_store_b64 v24, v[19:20], s[16:17] offset:256
.LBB256_139:
	s_or_b32 exec_lo, exec_lo, s0
	v_cmp_eq_u32_e32 vcc_lo, 0, v41
	s_waitcnt lgkmcnt(0)
	s_waitcnt_vscnt null, 0x0
	s_barrier
	buffer_gl0_inv
	v_cndmask_b32_e32 v20, v23, v22, vcc_lo
	s_delay_alu instid0(VALU_DEP_1) | instskip(NEXT) | instid1(VALU_DEP_1)
	v_cndmask_b32_e64 v37, v20, 0, s2
	v_dual_mov_b32 v20, 0 :: v_dual_add_nc_u32 v35, v37, v28
	s_delay_alu instid0(VALU_DEP_1) | instskip(NEXT) | instid1(VALU_DEP_1)
	v_add_nc_u32_e32 v33, v35, v30
	v_add_nc_u32_e32 v31, v33, v32
	s_delay_alu instid0(VALU_DEP_1) | instskip(NEXT) | instid1(VALU_DEP_1)
	v_add_nc_u32_e32 v29, v31, v34
	v_add_nc_u32_e32 v27, v29, v36
	;; [unrolled: 3-line block ×3, first 2 shown]
.LBB256_140:
	s_waitcnt lgkmcnt(0)
	v_add_nc_u32_e32 v43, v20, v19
	v_cmp_gt_u32_e64 s0, 0x181, v19
	v_lshrrev_b32_e32 v42, 8, v17
	v_lshrrev_b32_e32 v41, 16, v17
	;; [unrolled: 1-line block ×4, first 2 shown]
	v_cmp_lt_u32_e64 s1, v37, v43
	s_and_b32 vcc_lo, exec_lo, s0
	s_mov_b32 s3, -1
	s_cbranch_vccz .LBB256_166
; %bb.141:
	s_lshl_b64 s[4:5], s[10:11], 2
	s_delay_alu instid0(SALU_CYCLE_1) | instskip(SKIP_2) | instid1(SALU_CYCLE_1)
	s_add_u32 s3, s12, s4
	s_addc_u32 s4, s13, s5
	s_or_b32 s5, s23, s1
	s_and_saveexec_b32 s1, s5
	s_cbranch_execz .LBB256_144
; %bb.142:
	v_and_b32_e32 v24, 1, v17
	s_delay_alu instid0(VALU_DEP_1)
	v_cmp_eq_u32_e32 vcc_lo, 1, v24
	s_and_b32 exec_lo, exec_lo, vcc_lo
	s_cbranch_execz .LBB256_144
; %bb.143:
	v_mov_b32_e32 v38, 0
	s_delay_alu instid0(VALU_DEP_1) | instskip(NEXT) | instid1(VALU_DEP_1)
	v_lshlrev_b64 v[44:45], 2, v[37:38]
	v_add_co_u32 v44, vcc_lo, s3, v44
	s_delay_alu instid0(VALU_DEP_2)
	v_add_co_ci_u32_e32 v45, vcc_lo, s4, v45, vcc_lo
	global_store_b32 v[44:45], v15, off
.LBB256_144:
	s_or_b32 exec_lo, exec_lo, s1
	v_cmp_lt_u32_e32 vcc_lo, v35, v43
	s_or_b32 s5, s23, vcc_lo
	s_delay_alu instid0(SALU_CYCLE_1)
	s_and_saveexec_b32 s1, s5
	s_cbranch_execz .LBB256_147
; %bb.145:
	v_and_b32_e32 v24, 1, v42
	s_delay_alu instid0(VALU_DEP_1)
	v_cmp_eq_u32_e32 vcc_lo, 1, v24
	s_and_b32 exec_lo, exec_lo, vcc_lo
	s_cbranch_execz .LBB256_147
; %bb.146:
	v_mov_b32_e32 v36, 0
	s_delay_alu instid0(VALU_DEP_1) | instskip(NEXT) | instid1(VALU_DEP_1)
	v_lshlrev_b64 v[44:45], 2, v[35:36]
	v_add_co_u32 v44, vcc_lo, s3, v44
	s_delay_alu instid0(VALU_DEP_2)
	v_add_co_ci_u32_e32 v45, vcc_lo, s4, v45, vcc_lo
	global_store_b32 v[44:45], v16, off
.LBB256_147:
	s_or_b32 exec_lo, exec_lo, s1
	v_cmp_lt_u32_e32 vcc_lo, v33, v43
	s_or_b32 s5, s23, vcc_lo
	s_delay_alu instid0(SALU_CYCLE_1)
	;; [unrolled: 21-line block ×7, first 2 shown]
	s_and_saveexec_b32 s1, s5
	s_cbranch_execz .LBB256_165
; %bb.163:
	v_and_b32_e32 v24, 1, v39
	s_delay_alu instid0(VALU_DEP_1)
	v_cmp_eq_u32_e32 vcc_lo, 1, v24
	s_and_b32 exec_lo, exec_lo, vcc_lo
	s_cbranch_execz .LBB256_165
; %bb.164:
	v_mov_b32_e32 v24, 0
	s_delay_alu instid0(VALU_DEP_1) | instskip(NEXT) | instid1(VALU_DEP_1)
	v_lshlrev_b64 v[44:45], 2, v[23:24]
	v_add_co_u32 v44, vcc_lo, s3, v44
	s_delay_alu instid0(VALU_DEP_2)
	v_add_co_ci_u32_e32 v45, vcc_lo, s4, v45, vcc_lo
	global_store_b32 v[44:45], v10, off
.LBB256_165:
	s_or_b32 exec_lo, exec_lo, s1
	s_mov_b32 s3, 0
.LBB256_166:
	v_and_b32_e32 v17, 1, v17
	s_and_b32 vcc_lo, exec_lo, s3
	s_delay_alu instid0(VALU_DEP_1)
	v_cmp_eq_u32_e64 s1, 1, v17
	s_cbranch_vccz .LBB256_187
; %bb.167:
	s_delay_alu instid0(VALU_DEP_1)
	s_and_saveexec_b32 s3, s1
	s_cbranch_execz .LBB256_169
; %bb.168:
	v_sub_nc_u32_e32 v24, v37, v20
	s_delay_alu instid0(VALU_DEP_1)
	v_lshlrev_b32_e32 v24, 2, v24
	ds_store_b32 v24, v15
.LBB256_169:
	s_or_b32 exec_lo, exec_lo, s3
	v_and_b32_e32 v15, 1, v42
	s_mov_b32 s1, exec_lo
	s_delay_alu instid0(VALU_DEP_1)
	v_cmpx_eq_u32_e32 1, v15
	s_cbranch_execz .LBB256_171
; %bb.170:
	v_sub_nc_u32_e32 v15, v35, v20
	s_delay_alu instid0(VALU_DEP_1)
	v_lshlrev_b32_e32 v15, 2, v15
	ds_store_b32 v15, v16
.LBB256_171:
	s_or_b32 exec_lo, exec_lo, s1
	v_and_b32_e32 v15, 1, v41
	s_mov_b32 s1, exec_lo
	s_delay_alu instid0(VALU_DEP_1)
	v_cmpx_eq_u32_e32 1, v15
	;; [unrolled: 12-line block ×7, first 2 shown]
	s_cbranch_execz .LBB256_183
; %bb.182:
	v_sub_nc_u32_e32 v9, v23, v20
	s_delay_alu instid0(VALU_DEP_1)
	v_lshlrev_b32_e32 v9, 2, v9
	ds_store_b32 v9, v10
.LBB256_183:
	s_or_b32 exec_lo, exec_lo, s1
	s_delay_alu instid0(SALU_CYCLE_1)
	s_mov_b32 s3, exec_lo
	s_waitcnt lgkmcnt(0)
	s_waitcnt_vscnt null, 0x0
	s_barrier
	buffer_gl0_inv
	v_cmpx_lt_u32_e64 v0, v19
	s_cbranch_execz .LBB256_186
; %bb.184:
	v_dual_mov_b32 v10, 0 :: v_dual_mov_b32 v9, v20
	s_lshl_b64 s[4:5], s[10:11], 2
	v_lshlrev_b32_e32 v11, 2, v0
	s_add_u32 s1, s12, s4
	s_addc_u32 s4, s13, s5
	v_lshlrev_b64 v[12:13], 2, v[9:10]
	v_mov_b32_e32 v9, v0
	s_delay_alu instid0(VALU_DEP_2) | instskip(NEXT) | instid1(VALU_DEP_3)
	v_add_co_u32 v12, vcc_lo, s1, v12
	v_add_co_ci_u32_e32 v13, vcc_lo, s4, v13, vcc_lo
	s_mov_b32 s4, 0
	.p2align	6
.LBB256_185:                            ; =>This Inner Loop Header: Depth=1
	ds_load_b32 v16, v11
	v_lshlrev_b64 v[14:15], 2, v[9:10]
	v_add_nc_u32_e32 v9, 0x180, v9
	v_add_nc_u32_e32 v11, 0x600, v11
	s_delay_alu instid0(VALU_DEP_2) | instskip(NEXT) | instid1(VALU_DEP_4)
	v_cmp_ge_u32_e32 vcc_lo, v9, v19
	v_add_co_u32 v14, s1, v12, v14
	s_delay_alu instid0(VALU_DEP_1)
	v_add_co_ci_u32_e64 v15, s1, v13, v15, s1
	s_or_b32 s4, vcc_lo, s4
	s_waitcnt lgkmcnt(0)
	global_store_b32 v[14:15], v16, off
	s_and_not1_b32 exec_lo, exec_lo, s4
	s_cbranch_execnz .LBB256_185
.LBB256_186:
	s_or_b32 exec_lo, exec_lo, s3
.LBB256_187:
	s_delay_alu instid0(SALU_CYCLE_1)
	s_and_b32 vcc_lo, exec_lo, s0
	s_mov_b32 s0, -1
	s_waitcnt_vscnt null, 0x0
	s_barrier
	buffer_gl0_inv
	s_cbranch_vccz .LBB256_215
; %bb.188:
	v_cmp_lt_u32_e32 vcc_lo, v37, v43
	s_lshl_b64 s[0:1], s[10:11], 2
	s_delay_alu instid0(SALU_CYCLE_1) | instskip(SKIP_2) | instid1(SALU_CYCLE_1)
	s_add_u32 s0, s14, s0
	s_addc_u32 s1, s15, s1
	s_or_b32 s4, s23, vcc_lo
	s_and_saveexec_b32 s3, s4
	s_cbranch_execz .LBB256_191
; %bb.189:
	v_cmp_eq_u32_e32 vcc_lo, 1, v17
	s_and_b32 exec_lo, exec_lo, vcc_lo
	s_cbranch_execz .LBB256_191
; %bb.190:
	v_mov_b32_e32 v38, 0
	s_delay_alu instid0(VALU_DEP_1) | instskip(NEXT) | instid1(VALU_DEP_1)
	v_lshlrev_b64 v[9:10], 2, v[37:38]
	v_add_co_u32 v9, vcc_lo, s0, v9
	s_delay_alu instid0(VALU_DEP_2)
	v_add_co_ci_u32_e32 v10, vcc_lo, s1, v10, vcc_lo
	global_store_b32 v[9:10], v7, off
.LBB256_191:
	s_or_b32 exec_lo, exec_lo, s3
	v_cmp_lt_u32_e32 vcc_lo, v35, v43
	s_or_b32 s4, s23, vcc_lo
	s_delay_alu instid0(SALU_CYCLE_1)
	s_and_saveexec_b32 s3, s4
	s_cbranch_execz .LBB256_194
; %bb.192:
	v_and_b32_e32 v9, 1, v42
	s_delay_alu instid0(VALU_DEP_1)
	v_cmp_eq_u32_e32 vcc_lo, 1, v9
	s_and_b32 exec_lo, exec_lo, vcc_lo
	s_cbranch_execz .LBB256_194
; %bb.193:
	v_mov_b32_e32 v36, 0
	s_delay_alu instid0(VALU_DEP_1) | instskip(NEXT) | instid1(VALU_DEP_1)
	v_lshlrev_b64 v[9:10], 2, v[35:36]
	v_add_co_u32 v9, vcc_lo, s0, v9
	s_delay_alu instid0(VALU_DEP_2)
	v_add_co_ci_u32_e32 v10, vcc_lo, s1, v10, vcc_lo
	global_store_b32 v[9:10], v8, off
.LBB256_194:
	s_or_b32 exec_lo, exec_lo, s3
	v_cmp_lt_u32_e32 vcc_lo, v33, v43
	s_or_b32 s4, s23, vcc_lo
	s_delay_alu instid0(SALU_CYCLE_1)
	s_and_saveexec_b32 s3, s4
	s_cbranch_execz .LBB256_197
; %bb.195:
	v_and_b32_e32 v9, 1, v41
	s_delay_alu instid0(VALU_DEP_1)
	v_cmp_eq_u32_e32 vcc_lo, 1, v9
	s_and_b32 exec_lo, exec_lo, vcc_lo
	s_cbranch_execz .LBB256_197
; %bb.196:
	v_mov_b32_e32 v34, 0
	s_delay_alu instid0(VALU_DEP_1) | instskip(NEXT) | instid1(VALU_DEP_1)
	v_lshlrev_b64 v[9:10], 2, v[33:34]
	v_add_co_u32 v9, vcc_lo, s0, v9
	s_delay_alu instid0(VALU_DEP_2)
	v_add_co_ci_u32_e32 v10, vcc_lo, s1, v10, vcc_lo
	global_store_b32 v[9:10], v5, off
.LBB256_197:
	;; [unrolled: 21-line block ×7, first 2 shown]
	s_or_b32 exec_lo, exec_lo, s3
.LBB256_213:
	s_and_b32 s0, s2, s22
	s_delay_alu instid0(SALU_CYCLE_1)
	s_and_saveexec_b32 s1, s0
	s_cbranch_execz .LBB256_236
.LBB256_214:
	v_add_co_u32 v0, s0, s10, v19
	s_delay_alu instid0(VALU_DEP_1) | instskip(SKIP_1) | instid1(VALU_DEP_3)
	v_add_co_ci_u32_e64 v1, null, s11, 0, s0
	v_mov_b32_e32 v2, 0
	v_add_co_u32 v0, vcc_lo, v0, v20
	s_delay_alu instid0(VALU_DEP_3)
	v_add_co_ci_u32_e32 v1, vcc_lo, 0, v1, vcc_lo
	global_store_b64 v2, v[0:1], s[8:9]
	s_nop 0
	s_sendmsg sendmsg(MSG_DEALLOC_VGPRS)
	s_endpgm
.LBB256_215:
	s_and_b32 vcc_lo, exec_lo, s0
	s_cbranch_vccz .LBB256_213
; %bb.216:
	s_mov_b32 s0, exec_lo
	v_cmpx_eq_u32_e32 1, v17
	s_cbranch_execz .LBB256_218
; %bb.217:
	v_sub_nc_u32_e32 v9, v37, v20
	s_delay_alu instid0(VALU_DEP_1)
	v_lshlrev_b32_e32 v9, 2, v9
	ds_store_b32 v9, v7
.LBB256_218:
	s_or_b32 exec_lo, exec_lo, s0
	v_and_b32_e32 v7, 1, v42
	s_mov_b32 s0, exec_lo
	s_delay_alu instid0(VALU_DEP_1)
	v_cmpx_eq_u32_e32 1, v7
	s_cbranch_execz .LBB256_220
; %bb.219:
	v_sub_nc_u32_e32 v7, v35, v20
	s_delay_alu instid0(VALU_DEP_1)
	v_lshlrev_b32_e32 v7, 2, v7
	ds_store_b32 v7, v8
.LBB256_220:
	s_or_b32 exec_lo, exec_lo, s0
	v_and_b32_e32 v7, 1, v41
	s_mov_b32 s0, exec_lo
	s_delay_alu instid0(VALU_DEP_1)
	;; [unrolled: 12-line block ×7, first 2 shown]
	v_cmpx_eq_u32_e32 1, v1
	s_cbranch_execz .LBB256_232
; %bb.231:
	v_sub_nc_u32_e32 v1, v23, v20
	s_delay_alu instid0(VALU_DEP_1)
	v_lshlrev_b32_e32 v1, 2, v1
	ds_store_b32 v1, v2
.LBB256_232:
	s_or_b32 exec_lo, exec_lo, s0
	s_delay_alu instid0(SALU_CYCLE_1)
	s_mov_b32 s1, exec_lo
	s_waitcnt lgkmcnt(0)
	s_waitcnt_vscnt null, 0x0
	s_barrier
	buffer_gl0_inv
	v_cmpx_lt_u32_e64 v0, v19
	s_cbranch_execz .LBB256_235
; %bb.233:
	v_dual_mov_b32 v1, 0 :: v_dual_mov_b32 v2, v20
	s_lshl_b64 s[4:5], s[10:11], 2
	v_lshlrev_b32_e32 v4, 2, v0
	s_add_u32 s0, s14, s4
	s_delay_alu instid0(VALU_DEP_2) | instskip(SKIP_1) | instid1(VALU_DEP_1)
	v_mov_b32_e32 v3, v1
	s_addc_u32 s3, s15, s5
	v_lshlrev_b64 v[2:3], 2, v[2:3]
	s_delay_alu instid0(VALU_DEP_1) | instskip(NEXT) | instid1(VALU_DEP_2)
	v_add_co_u32 v2, vcc_lo, s0, v2
	v_add_co_ci_u32_e32 v3, vcc_lo, s3, v3, vcc_lo
	s_mov_b32 s3, 0
	.p2align	6
.LBB256_234:                            ; =>This Inner Loop Header: Depth=1
	ds_load_b32 v7, v4
	v_lshlrev_b64 v[5:6], 2, v[0:1]
	v_add_nc_u32_e32 v0, 0x180, v0
	v_add_nc_u32_e32 v4, 0x600, v4
	s_delay_alu instid0(VALU_DEP_2) | instskip(NEXT) | instid1(VALU_DEP_4)
	v_cmp_ge_u32_e32 vcc_lo, v0, v19
	v_add_co_u32 v5, s0, v2, v5
	s_delay_alu instid0(VALU_DEP_1)
	v_add_co_ci_u32_e64 v6, s0, v3, v6, s0
	s_or_b32 s3, vcc_lo, s3
	s_waitcnt lgkmcnt(0)
	global_store_b32 v[5:6], v7, off
	s_and_not1_b32 exec_lo, exec_lo, s3
	s_cbranch_execnz .LBB256_234
.LBB256_235:
	s_or_b32 exec_lo, exec_lo, s1
	s_and_b32 s0, s2, s22
	s_delay_alu instid0(SALU_CYCLE_1)
	s_and_saveexec_b32 s1, s0
	s_cbranch_execnz .LBB256_214
.LBB256_236:
	s_nop 0
	s_sendmsg sendmsg(MSG_DEALLOC_VGPRS)
	s_endpgm
	.section	.rodata,"a",@progbits
	.p2align	6, 0x0
	.amdhsa_kernel _ZN7rocprim17ROCPRIM_400000_NS6detail17trampoline_kernelINS0_14default_configENS1_25partition_config_selectorILNS1_17partition_subalgoE9EjjbEEZZNS1_14partition_implILS5_9ELb0ES3_jN6thrust23THRUST_200600_302600_NS6detail15normal_iteratorINS9_10device_ptrIjEEEESE_PNS0_10empty_typeENS0_5tupleIJSE_SF_EEENSH_IJSE_SG_EEENS0_18inequality_wrapperI22is_equal_div_10_uniqueIjEEEPmJSF_EEE10hipError_tPvRmT3_T4_T5_T6_T7_T9_mT8_P12ihipStream_tbDpT10_ENKUlT_T0_E_clISt17integral_constantIbLb1EES18_EEDaS13_S14_EUlS13_E_NS1_11comp_targetILNS1_3genE9ELNS1_11target_archE1100ELNS1_3gpuE3ELNS1_3repE0EEENS1_30default_config_static_selectorELNS0_4arch9wavefront6targetE0EEEvT1_
		.amdhsa_group_segment_fixed_size 12680
		.amdhsa_private_segment_fixed_size 0
		.amdhsa_kernarg_size 128
		.amdhsa_user_sgpr_count 15
		.amdhsa_user_sgpr_dispatch_ptr 0
		.amdhsa_user_sgpr_queue_ptr 0
		.amdhsa_user_sgpr_kernarg_segment_ptr 1
		.amdhsa_user_sgpr_dispatch_id 0
		.amdhsa_user_sgpr_private_segment_size 0
		.amdhsa_wavefront_size32 1
		.amdhsa_uses_dynamic_stack 0
		.amdhsa_enable_private_segment 0
		.amdhsa_system_sgpr_workgroup_id_x 1
		.amdhsa_system_sgpr_workgroup_id_y 0
		.amdhsa_system_sgpr_workgroup_id_z 0
		.amdhsa_system_sgpr_workgroup_info 0
		.amdhsa_system_vgpr_workitem_id 0
		.amdhsa_next_free_vgpr 51
		.amdhsa_next_free_sgpr 29
		.amdhsa_reserve_vcc 1
		.amdhsa_float_round_mode_32 0
		.amdhsa_float_round_mode_16_64 0
		.amdhsa_float_denorm_mode_32 3
		.amdhsa_float_denorm_mode_16_64 3
		.amdhsa_dx10_clamp 1
		.amdhsa_ieee_mode 1
		.amdhsa_fp16_overflow 0
		.amdhsa_workgroup_processor_mode 1
		.amdhsa_memory_ordered 1
		.amdhsa_forward_progress 0
		.amdhsa_shared_vgpr_count 0
		.amdhsa_exception_fp_ieee_invalid_op 0
		.amdhsa_exception_fp_denorm_src 0
		.amdhsa_exception_fp_ieee_div_zero 0
		.amdhsa_exception_fp_ieee_overflow 0
		.amdhsa_exception_fp_ieee_underflow 0
		.amdhsa_exception_fp_ieee_inexact 0
		.amdhsa_exception_int_div_zero 0
	.end_amdhsa_kernel
	.section	.text._ZN7rocprim17ROCPRIM_400000_NS6detail17trampoline_kernelINS0_14default_configENS1_25partition_config_selectorILNS1_17partition_subalgoE9EjjbEEZZNS1_14partition_implILS5_9ELb0ES3_jN6thrust23THRUST_200600_302600_NS6detail15normal_iteratorINS9_10device_ptrIjEEEESE_PNS0_10empty_typeENS0_5tupleIJSE_SF_EEENSH_IJSE_SG_EEENS0_18inequality_wrapperI22is_equal_div_10_uniqueIjEEEPmJSF_EEE10hipError_tPvRmT3_T4_T5_T6_T7_T9_mT8_P12ihipStream_tbDpT10_ENKUlT_T0_E_clISt17integral_constantIbLb1EES18_EEDaS13_S14_EUlS13_E_NS1_11comp_targetILNS1_3genE9ELNS1_11target_archE1100ELNS1_3gpuE3ELNS1_3repE0EEENS1_30default_config_static_selectorELNS0_4arch9wavefront6targetE0EEEvT1_,"axG",@progbits,_ZN7rocprim17ROCPRIM_400000_NS6detail17trampoline_kernelINS0_14default_configENS1_25partition_config_selectorILNS1_17partition_subalgoE9EjjbEEZZNS1_14partition_implILS5_9ELb0ES3_jN6thrust23THRUST_200600_302600_NS6detail15normal_iteratorINS9_10device_ptrIjEEEESE_PNS0_10empty_typeENS0_5tupleIJSE_SF_EEENSH_IJSE_SG_EEENS0_18inequality_wrapperI22is_equal_div_10_uniqueIjEEEPmJSF_EEE10hipError_tPvRmT3_T4_T5_T6_T7_T9_mT8_P12ihipStream_tbDpT10_ENKUlT_T0_E_clISt17integral_constantIbLb1EES18_EEDaS13_S14_EUlS13_E_NS1_11comp_targetILNS1_3genE9ELNS1_11target_archE1100ELNS1_3gpuE3ELNS1_3repE0EEENS1_30default_config_static_selectorELNS0_4arch9wavefront6targetE0EEEvT1_,comdat
.Lfunc_end256:
	.size	_ZN7rocprim17ROCPRIM_400000_NS6detail17trampoline_kernelINS0_14default_configENS1_25partition_config_selectorILNS1_17partition_subalgoE9EjjbEEZZNS1_14partition_implILS5_9ELb0ES3_jN6thrust23THRUST_200600_302600_NS6detail15normal_iteratorINS9_10device_ptrIjEEEESE_PNS0_10empty_typeENS0_5tupleIJSE_SF_EEENSH_IJSE_SG_EEENS0_18inequality_wrapperI22is_equal_div_10_uniqueIjEEEPmJSF_EEE10hipError_tPvRmT3_T4_T5_T6_T7_T9_mT8_P12ihipStream_tbDpT10_ENKUlT_T0_E_clISt17integral_constantIbLb1EES18_EEDaS13_S14_EUlS13_E_NS1_11comp_targetILNS1_3genE9ELNS1_11target_archE1100ELNS1_3gpuE3ELNS1_3repE0EEENS1_30default_config_static_selectorELNS0_4arch9wavefront6targetE0EEEvT1_, .Lfunc_end256-_ZN7rocprim17ROCPRIM_400000_NS6detail17trampoline_kernelINS0_14default_configENS1_25partition_config_selectorILNS1_17partition_subalgoE9EjjbEEZZNS1_14partition_implILS5_9ELb0ES3_jN6thrust23THRUST_200600_302600_NS6detail15normal_iteratorINS9_10device_ptrIjEEEESE_PNS0_10empty_typeENS0_5tupleIJSE_SF_EEENSH_IJSE_SG_EEENS0_18inequality_wrapperI22is_equal_div_10_uniqueIjEEEPmJSF_EEE10hipError_tPvRmT3_T4_T5_T6_T7_T9_mT8_P12ihipStream_tbDpT10_ENKUlT_T0_E_clISt17integral_constantIbLb1EES18_EEDaS13_S14_EUlS13_E_NS1_11comp_targetILNS1_3genE9ELNS1_11target_archE1100ELNS1_3gpuE3ELNS1_3repE0EEENS1_30default_config_static_selectorELNS0_4arch9wavefront6targetE0EEEvT1_
                                        ; -- End function
	.section	.AMDGPU.csdata,"",@progbits
; Kernel info:
; codeLenInByte = 10880
; NumSgprs: 31
; NumVgprs: 51
; ScratchSize: 0
; MemoryBound: 0
; FloatMode: 240
; IeeeMode: 1
; LDSByteSize: 12680 bytes/workgroup (compile time only)
; SGPRBlocks: 3
; VGPRBlocks: 6
; NumSGPRsForWavesPerEU: 31
; NumVGPRsForWavesPerEU: 51
; Occupancy: 15
; WaveLimiterHint : 1
; COMPUTE_PGM_RSRC2:SCRATCH_EN: 0
; COMPUTE_PGM_RSRC2:USER_SGPR: 15
; COMPUTE_PGM_RSRC2:TRAP_HANDLER: 0
; COMPUTE_PGM_RSRC2:TGID_X_EN: 1
; COMPUTE_PGM_RSRC2:TGID_Y_EN: 0
; COMPUTE_PGM_RSRC2:TGID_Z_EN: 0
; COMPUTE_PGM_RSRC2:TIDIG_COMP_CNT: 0
	.section	.text._ZN7rocprim17ROCPRIM_400000_NS6detail17trampoline_kernelINS0_14default_configENS1_25partition_config_selectorILNS1_17partition_subalgoE9EjjbEEZZNS1_14partition_implILS5_9ELb0ES3_jN6thrust23THRUST_200600_302600_NS6detail15normal_iteratorINS9_10device_ptrIjEEEESE_PNS0_10empty_typeENS0_5tupleIJSE_SF_EEENSH_IJSE_SG_EEENS0_18inequality_wrapperI22is_equal_div_10_uniqueIjEEEPmJSF_EEE10hipError_tPvRmT3_T4_T5_T6_T7_T9_mT8_P12ihipStream_tbDpT10_ENKUlT_T0_E_clISt17integral_constantIbLb1EES18_EEDaS13_S14_EUlS13_E_NS1_11comp_targetILNS1_3genE8ELNS1_11target_archE1030ELNS1_3gpuE2ELNS1_3repE0EEENS1_30default_config_static_selectorELNS0_4arch9wavefront6targetE0EEEvT1_,"axG",@progbits,_ZN7rocprim17ROCPRIM_400000_NS6detail17trampoline_kernelINS0_14default_configENS1_25partition_config_selectorILNS1_17partition_subalgoE9EjjbEEZZNS1_14partition_implILS5_9ELb0ES3_jN6thrust23THRUST_200600_302600_NS6detail15normal_iteratorINS9_10device_ptrIjEEEESE_PNS0_10empty_typeENS0_5tupleIJSE_SF_EEENSH_IJSE_SG_EEENS0_18inequality_wrapperI22is_equal_div_10_uniqueIjEEEPmJSF_EEE10hipError_tPvRmT3_T4_T5_T6_T7_T9_mT8_P12ihipStream_tbDpT10_ENKUlT_T0_E_clISt17integral_constantIbLb1EES18_EEDaS13_S14_EUlS13_E_NS1_11comp_targetILNS1_3genE8ELNS1_11target_archE1030ELNS1_3gpuE2ELNS1_3repE0EEENS1_30default_config_static_selectorELNS0_4arch9wavefront6targetE0EEEvT1_,comdat
	.protected	_ZN7rocprim17ROCPRIM_400000_NS6detail17trampoline_kernelINS0_14default_configENS1_25partition_config_selectorILNS1_17partition_subalgoE9EjjbEEZZNS1_14partition_implILS5_9ELb0ES3_jN6thrust23THRUST_200600_302600_NS6detail15normal_iteratorINS9_10device_ptrIjEEEESE_PNS0_10empty_typeENS0_5tupleIJSE_SF_EEENSH_IJSE_SG_EEENS0_18inequality_wrapperI22is_equal_div_10_uniqueIjEEEPmJSF_EEE10hipError_tPvRmT3_T4_T5_T6_T7_T9_mT8_P12ihipStream_tbDpT10_ENKUlT_T0_E_clISt17integral_constantIbLb1EES18_EEDaS13_S14_EUlS13_E_NS1_11comp_targetILNS1_3genE8ELNS1_11target_archE1030ELNS1_3gpuE2ELNS1_3repE0EEENS1_30default_config_static_selectorELNS0_4arch9wavefront6targetE0EEEvT1_ ; -- Begin function _ZN7rocprim17ROCPRIM_400000_NS6detail17trampoline_kernelINS0_14default_configENS1_25partition_config_selectorILNS1_17partition_subalgoE9EjjbEEZZNS1_14partition_implILS5_9ELb0ES3_jN6thrust23THRUST_200600_302600_NS6detail15normal_iteratorINS9_10device_ptrIjEEEESE_PNS0_10empty_typeENS0_5tupleIJSE_SF_EEENSH_IJSE_SG_EEENS0_18inequality_wrapperI22is_equal_div_10_uniqueIjEEEPmJSF_EEE10hipError_tPvRmT3_T4_T5_T6_T7_T9_mT8_P12ihipStream_tbDpT10_ENKUlT_T0_E_clISt17integral_constantIbLb1EES18_EEDaS13_S14_EUlS13_E_NS1_11comp_targetILNS1_3genE8ELNS1_11target_archE1030ELNS1_3gpuE2ELNS1_3repE0EEENS1_30default_config_static_selectorELNS0_4arch9wavefront6targetE0EEEvT1_
	.globl	_ZN7rocprim17ROCPRIM_400000_NS6detail17trampoline_kernelINS0_14default_configENS1_25partition_config_selectorILNS1_17partition_subalgoE9EjjbEEZZNS1_14partition_implILS5_9ELb0ES3_jN6thrust23THRUST_200600_302600_NS6detail15normal_iteratorINS9_10device_ptrIjEEEESE_PNS0_10empty_typeENS0_5tupleIJSE_SF_EEENSH_IJSE_SG_EEENS0_18inequality_wrapperI22is_equal_div_10_uniqueIjEEEPmJSF_EEE10hipError_tPvRmT3_T4_T5_T6_T7_T9_mT8_P12ihipStream_tbDpT10_ENKUlT_T0_E_clISt17integral_constantIbLb1EES18_EEDaS13_S14_EUlS13_E_NS1_11comp_targetILNS1_3genE8ELNS1_11target_archE1030ELNS1_3gpuE2ELNS1_3repE0EEENS1_30default_config_static_selectorELNS0_4arch9wavefront6targetE0EEEvT1_
	.p2align	8
	.type	_ZN7rocprim17ROCPRIM_400000_NS6detail17trampoline_kernelINS0_14default_configENS1_25partition_config_selectorILNS1_17partition_subalgoE9EjjbEEZZNS1_14partition_implILS5_9ELb0ES3_jN6thrust23THRUST_200600_302600_NS6detail15normal_iteratorINS9_10device_ptrIjEEEESE_PNS0_10empty_typeENS0_5tupleIJSE_SF_EEENSH_IJSE_SG_EEENS0_18inequality_wrapperI22is_equal_div_10_uniqueIjEEEPmJSF_EEE10hipError_tPvRmT3_T4_T5_T6_T7_T9_mT8_P12ihipStream_tbDpT10_ENKUlT_T0_E_clISt17integral_constantIbLb1EES18_EEDaS13_S14_EUlS13_E_NS1_11comp_targetILNS1_3genE8ELNS1_11target_archE1030ELNS1_3gpuE2ELNS1_3repE0EEENS1_30default_config_static_selectorELNS0_4arch9wavefront6targetE0EEEvT1_,@function
_ZN7rocprim17ROCPRIM_400000_NS6detail17trampoline_kernelINS0_14default_configENS1_25partition_config_selectorILNS1_17partition_subalgoE9EjjbEEZZNS1_14partition_implILS5_9ELb0ES3_jN6thrust23THRUST_200600_302600_NS6detail15normal_iteratorINS9_10device_ptrIjEEEESE_PNS0_10empty_typeENS0_5tupleIJSE_SF_EEENSH_IJSE_SG_EEENS0_18inequality_wrapperI22is_equal_div_10_uniqueIjEEEPmJSF_EEE10hipError_tPvRmT3_T4_T5_T6_T7_T9_mT8_P12ihipStream_tbDpT10_ENKUlT_T0_E_clISt17integral_constantIbLb1EES18_EEDaS13_S14_EUlS13_E_NS1_11comp_targetILNS1_3genE8ELNS1_11target_archE1030ELNS1_3gpuE2ELNS1_3repE0EEENS1_30default_config_static_selectorELNS0_4arch9wavefront6targetE0EEEvT1_: ; @_ZN7rocprim17ROCPRIM_400000_NS6detail17trampoline_kernelINS0_14default_configENS1_25partition_config_selectorILNS1_17partition_subalgoE9EjjbEEZZNS1_14partition_implILS5_9ELb0ES3_jN6thrust23THRUST_200600_302600_NS6detail15normal_iteratorINS9_10device_ptrIjEEEESE_PNS0_10empty_typeENS0_5tupleIJSE_SF_EEENSH_IJSE_SG_EEENS0_18inequality_wrapperI22is_equal_div_10_uniqueIjEEEPmJSF_EEE10hipError_tPvRmT3_T4_T5_T6_T7_T9_mT8_P12ihipStream_tbDpT10_ENKUlT_T0_E_clISt17integral_constantIbLb1EES18_EEDaS13_S14_EUlS13_E_NS1_11comp_targetILNS1_3genE8ELNS1_11target_archE1030ELNS1_3gpuE2ELNS1_3repE0EEENS1_30default_config_static_selectorELNS0_4arch9wavefront6targetE0EEEvT1_
; %bb.0:
	.section	.rodata,"a",@progbits
	.p2align	6, 0x0
	.amdhsa_kernel _ZN7rocprim17ROCPRIM_400000_NS6detail17trampoline_kernelINS0_14default_configENS1_25partition_config_selectorILNS1_17partition_subalgoE9EjjbEEZZNS1_14partition_implILS5_9ELb0ES3_jN6thrust23THRUST_200600_302600_NS6detail15normal_iteratorINS9_10device_ptrIjEEEESE_PNS0_10empty_typeENS0_5tupleIJSE_SF_EEENSH_IJSE_SG_EEENS0_18inequality_wrapperI22is_equal_div_10_uniqueIjEEEPmJSF_EEE10hipError_tPvRmT3_T4_T5_T6_T7_T9_mT8_P12ihipStream_tbDpT10_ENKUlT_T0_E_clISt17integral_constantIbLb1EES18_EEDaS13_S14_EUlS13_E_NS1_11comp_targetILNS1_3genE8ELNS1_11target_archE1030ELNS1_3gpuE2ELNS1_3repE0EEENS1_30default_config_static_selectorELNS0_4arch9wavefront6targetE0EEEvT1_
		.amdhsa_group_segment_fixed_size 0
		.amdhsa_private_segment_fixed_size 0
		.amdhsa_kernarg_size 128
		.amdhsa_user_sgpr_count 15
		.amdhsa_user_sgpr_dispatch_ptr 0
		.amdhsa_user_sgpr_queue_ptr 0
		.amdhsa_user_sgpr_kernarg_segment_ptr 1
		.amdhsa_user_sgpr_dispatch_id 0
		.amdhsa_user_sgpr_private_segment_size 0
		.amdhsa_wavefront_size32 1
		.amdhsa_uses_dynamic_stack 0
		.amdhsa_enable_private_segment 0
		.amdhsa_system_sgpr_workgroup_id_x 1
		.amdhsa_system_sgpr_workgroup_id_y 0
		.amdhsa_system_sgpr_workgroup_id_z 0
		.amdhsa_system_sgpr_workgroup_info 0
		.amdhsa_system_vgpr_workitem_id 0
		.amdhsa_next_free_vgpr 1
		.amdhsa_next_free_sgpr 1
		.amdhsa_reserve_vcc 0
		.amdhsa_float_round_mode_32 0
		.amdhsa_float_round_mode_16_64 0
		.amdhsa_float_denorm_mode_32 3
		.amdhsa_float_denorm_mode_16_64 3
		.amdhsa_dx10_clamp 1
		.amdhsa_ieee_mode 1
		.amdhsa_fp16_overflow 0
		.amdhsa_workgroup_processor_mode 1
		.amdhsa_memory_ordered 1
		.amdhsa_forward_progress 0
		.amdhsa_shared_vgpr_count 0
		.amdhsa_exception_fp_ieee_invalid_op 0
		.amdhsa_exception_fp_denorm_src 0
		.amdhsa_exception_fp_ieee_div_zero 0
		.amdhsa_exception_fp_ieee_overflow 0
		.amdhsa_exception_fp_ieee_underflow 0
		.amdhsa_exception_fp_ieee_inexact 0
		.amdhsa_exception_int_div_zero 0
	.end_amdhsa_kernel
	.section	.text._ZN7rocprim17ROCPRIM_400000_NS6detail17trampoline_kernelINS0_14default_configENS1_25partition_config_selectorILNS1_17partition_subalgoE9EjjbEEZZNS1_14partition_implILS5_9ELb0ES3_jN6thrust23THRUST_200600_302600_NS6detail15normal_iteratorINS9_10device_ptrIjEEEESE_PNS0_10empty_typeENS0_5tupleIJSE_SF_EEENSH_IJSE_SG_EEENS0_18inequality_wrapperI22is_equal_div_10_uniqueIjEEEPmJSF_EEE10hipError_tPvRmT3_T4_T5_T6_T7_T9_mT8_P12ihipStream_tbDpT10_ENKUlT_T0_E_clISt17integral_constantIbLb1EES18_EEDaS13_S14_EUlS13_E_NS1_11comp_targetILNS1_3genE8ELNS1_11target_archE1030ELNS1_3gpuE2ELNS1_3repE0EEENS1_30default_config_static_selectorELNS0_4arch9wavefront6targetE0EEEvT1_,"axG",@progbits,_ZN7rocprim17ROCPRIM_400000_NS6detail17trampoline_kernelINS0_14default_configENS1_25partition_config_selectorILNS1_17partition_subalgoE9EjjbEEZZNS1_14partition_implILS5_9ELb0ES3_jN6thrust23THRUST_200600_302600_NS6detail15normal_iteratorINS9_10device_ptrIjEEEESE_PNS0_10empty_typeENS0_5tupleIJSE_SF_EEENSH_IJSE_SG_EEENS0_18inequality_wrapperI22is_equal_div_10_uniqueIjEEEPmJSF_EEE10hipError_tPvRmT3_T4_T5_T6_T7_T9_mT8_P12ihipStream_tbDpT10_ENKUlT_T0_E_clISt17integral_constantIbLb1EES18_EEDaS13_S14_EUlS13_E_NS1_11comp_targetILNS1_3genE8ELNS1_11target_archE1030ELNS1_3gpuE2ELNS1_3repE0EEENS1_30default_config_static_selectorELNS0_4arch9wavefront6targetE0EEEvT1_,comdat
.Lfunc_end257:
	.size	_ZN7rocprim17ROCPRIM_400000_NS6detail17trampoline_kernelINS0_14default_configENS1_25partition_config_selectorILNS1_17partition_subalgoE9EjjbEEZZNS1_14partition_implILS5_9ELb0ES3_jN6thrust23THRUST_200600_302600_NS6detail15normal_iteratorINS9_10device_ptrIjEEEESE_PNS0_10empty_typeENS0_5tupleIJSE_SF_EEENSH_IJSE_SG_EEENS0_18inequality_wrapperI22is_equal_div_10_uniqueIjEEEPmJSF_EEE10hipError_tPvRmT3_T4_T5_T6_T7_T9_mT8_P12ihipStream_tbDpT10_ENKUlT_T0_E_clISt17integral_constantIbLb1EES18_EEDaS13_S14_EUlS13_E_NS1_11comp_targetILNS1_3genE8ELNS1_11target_archE1030ELNS1_3gpuE2ELNS1_3repE0EEENS1_30default_config_static_selectorELNS0_4arch9wavefront6targetE0EEEvT1_, .Lfunc_end257-_ZN7rocprim17ROCPRIM_400000_NS6detail17trampoline_kernelINS0_14default_configENS1_25partition_config_selectorILNS1_17partition_subalgoE9EjjbEEZZNS1_14partition_implILS5_9ELb0ES3_jN6thrust23THRUST_200600_302600_NS6detail15normal_iteratorINS9_10device_ptrIjEEEESE_PNS0_10empty_typeENS0_5tupleIJSE_SF_EEENSH_IJSE_SG_EEENS0_18inequality_wrapperI22is_equal_div_10_uniqueIjEEEPmJSF_EEE10hipError_tPvRmT3_T4_T5_T6_T7_T9_mT8_P12ihipStream_tbDpT10_ENKUlT_T0_E_clISt17integral_constantIbLb1EES18_EEDaS13_S14_EUlS13_E_NS1_11comp_targetILNS1_3genE8ELNS1_11target_archE1030ELNS1_3gpuE2ELNS1_3repE0EEENS1_30default_config_static_selectorELNS0_4arch9wavefront6targetE0EEEvT1_
                                        ; -- End function
	.section	.AMDGPU.csdata,"",@progbits
; Kernel info:
; codeLenInByte = 0
; NumSgprs: 0
; NumVgprs: 0
; ScratchSize: 0
; MemoryBound: 0
; FloatMode: 240
; IeeeMode: 1
; LDSByteSize: 0 bytes/workgroup (compile time only)
; SGPRBlocks: 0
; VGPRBlocks: 0
; NumSGPRsForWavesPerEU: 1
; NumVGPRsForWavesPerEU: 1
; Occupancy: 16
; WaveLimiterHint : 0
; COMPUTE_PGM_RSRC2:SCRATCH_EN: 0
; COMPUTE_PGM_RSRC2:USER_SGPR: 15
; COMPUTE_PGM_RSRC2:TRAP_HANDLER: 0
; COMPUTE_PGM_RSRC2:TGID_X_EN: 1
; COMPUTE_PGM_RSRC2:TGID_Y_EN: 0
; COMPUTE_PGM_RSRC2:TGID_Z_EN: 0
; COMPUTE_PGM_RSRC2:TIDIG_COMP_CNT: 0
	.section	.text._ZN7rocprim17ROCPRIM_400000_NS6detail17trampoline_kernelINS0_14default_configENS1_25partition_config_selectorILNS1_17partition_subalgoE9EjjbEEZZNS1_14partition_implILS5_9ELb0ES3_jN6thrust23THRUST_200600_302600_NS6detail15normal_iteratorINS9_10device_ptrIjEEEESE_PNS0_10empty_typeENS0_5tupleIJSE_SF_EEENSH_IJSE_SG_EEENS0_18inequality_wrapperI22is_equal_div_10_uniqueIjEEEPmJSF_EEE10hipError_tPvRmT3_T4_T5_T6_T7_T9_mT8_P12ihipStream_tbDpT10_ENKUlT_T0_E_clISt17integral_constantIbLb1EES17_IbLb0EEEEDaS13_S14_EUlS13_E_NS1_11comp_targetILNS1_3genE0ELNS1_11target_archE4294967295ELNS1_3gpuE0ELNS1_3repE0EEENS1_30default_config_static_selectorELNS0_4arch9wavefront6targetE0EEEvT1_,"axG",@progbits,_ZN7rocprim17ROCPRIM_400000_NS6detail17trampoline_kernelINS0_14default_configENS1_25partition_config_selectorILNS1_17partition_subalgoE9EjjbEEZZNS1_14partition_implILS5_9ELb0ES3_jN6thrust23THRUST_200600_302600_NS6detail15normal_iteratorINS9_10device_ptrIjEEEESE_PNS0_10empty_typeENS0_5tupleIJSE_SF_EEENSH_IJSE_SG_EEENS0_18inequality_wrapperI22is_equal_div_10_uniqueIjEEEPmJSF_EEE10hipError_tPvRmT3_T4_T5_T6_T7_T9_mT8_P12ihipStream_tbDpT10_ENKUlT_T0_E_clISt17integral_constantIbLb1EES17_IbLb0EEEEDaS13_S14_EUlS13_E_NS1_11comp_targetILNS1_3genE0ELNS1_11target_archE4294967295ELNS1_3gpuE0ELNS1_3repE0EEENS1_30default_config_static_selectorELNS0_4arch9wavefront6targetE0EEEvT1_,comdat
	.protected	_ZN7rocprim17ROCPRIM_400000_NS6detail17trampoline_kernelINS0_14default_configENS1_25partition_config_selectorILNS1_17partition_subalgoE9EjjbEEZZNS1_14partition_implILS5_9ELb0ES3_jN6thrust23THRUST_200600_302600_NS6detail15normal_iteratorINS9_10device_ptrIjEEEESE_PNS0_10empty_typeENS0_5tupleIJSE_SF_EEENSH_IJSE_SG_EEENS0_18inequality_wrapperI22is_equal_div_10_uniqueIjEEEPmJSF_EEE10hipError_tPvRmT3_T4_T5_T6_T7_T9_mT8_P12ihipStream_tbDpT10_ENKUlT_T0_E_clISt17integral_constantIbLb1EES17_IbLb0EEEEDaS13_S14_EUlS13_E_NS1_11comp_targetILNS1_3genE0ELNS1_11target_archE4294967295ELNS1_3gpuE0ELNS1_3repE0EEENS1_30default_config_static_selectorELNS0_4arch9wavefront6targetE0EEEvT1_ ; -- Begin function _ZN7rocprim17ROCPRIM_400000_NS6detail17trampoline_kernelINS0_14default_configENS1_25partition_config_selectorILNS1_17partition_subalgoE9EjjbEEZZNS1_14partition_implILS5_9ELb0ES3_jN6thrust23THRUST_200600_302600_NS6detail15normal_iteratorINS9_10device_ptrIjEEEESE_PNS0_10empty_typeENS0_5tupleIJSE_SF_EEENSH_IJSE_SG_EEENS0_18inequality_wrapperI22is_equal_div_10_uniqueIjEEEPmJSF_EEE10hipError_tPvRmT3_T4_T5_T6_T7_T9_mT8_P12ihipStream_tbDpT10_ENKUlT_T0_E_clISt17integral_constantIbLb1EES17_IbLb0EEEEDaS13_S14_EUlS13_E_NS1_11comp_targetILNS1_3genE0ELNS1_11target_archE4294967295ELNS1_3gpuE0ELNS1_3repE0EEENS1_30default_config_static_selectorELNS0_4arch9wavefront6targetE0EEEvT1_
	.globl	_ZN7rocprim17ROCPRIM_400000_NS6detail17trampoline_kernelINS0_14default_configENS1_25partition_config_selectorILNS1_17partition_subalgoE9EjjbEEZZNS1_14partition_implILS5_9ELb0ES3_jN6thrust23THRUST_200600_302600_NS6detail15normal_iteratorINS9_10device_ptrIjEEEESE_PNS0_10empty_typeENS0_5tupleIJSE_SF_EEENSH_IJSE_SG_EEENS0_18inequality_wrapperI22is_equal_div_10_uniqueIjEEEPmJSF_EEE10hipError_tPvRmT3_T4_T5_T6_T7_T9_mT8_P12ihipStream_tbDpT10_ENKUlT_T0_E_clISt17integral_constantIbLb1EES17_IbLb0EEEEDaS13_S14_EUlS13_E_NS1_11comp_targetILNS1_3genE0ELNS1_11target_archE4294967295ELNS1_3gpuE0ELNS1_3repE0EEENS1_30default_config_static_selectorELNS0_4arch9wavefront6targetE0EEEvT1_
	.p2align	8
	.type	_ZN7rocprim17ROCPRIM_400000_NS6detail17trampoline_kernelINS0_14default_configENS1_25partition_config_selectorILNS1_17partition_subalgoE9EjjbEEZZNS1_14partition_implILS5_9ELb0ES3_jN6thrust23THRUST_200600_302600_NS6detail15normal_iteratorINS9_10device_ptrIjEEEESE_PNS0_10empty_typeENS0_5tupleIJSE_SF_EEENSH_IJSE_SG_EEENS0_18inequality_wrapperI22is_equal_div_10_uniqueIjEEEPmJSF_EEE10hipError_tPvRmT3_T4_T5_T6_T7_T9_mT8_P12ihipStream_tbDpT10_ENKUlT_T0_E_clISt17integral_constantIbLb1EES17_IbLb0EEEEDaS13_S14_EUlS13_E_NS1_11comp_targetILNS1_3genE0ELNS1_11target_archE4294967295ELNS1_3gpuE0ELNS1_3repE0EEENS1_30default_config_static_selectorELNS0_4arch9wavefront6targetE0EEEvT1_,@function
_ZN7rocprim17ROCPRIM_400000_NS6detail17trampoline_kernelINS0_14default_configENS1_25partition_config_selectorILNS1_17partition_subalgoE9EjjbEEZZNS1_14partition_implILS5_9ELb0ES3_jN6thrust23THRUST_200600_302600_NS6detail15normal_iteratorINS9_10device_ptrIjEEEESE_PNS0_10empty_typeENS0_5tupleIJSE_SF_EEENSH_IJSE_SG_EEENS0_18inequality_wrapperI22is_equal_div_10_uniqueIjEEEPmJSF_EEE10hipError_tPvRmT3_T4_T5_T6_T7_T9_mT8_P12ihipStream_tbDpT10_ENKUlT_T0_E_clISt17integral_constantIbLb1EES17_IbLb0EEEEDaS13_S14_EUlS13_E_NS1_11comp_targetILNS1_3genE0ELNS1_11target_archE4294967295ELNS1_3gpuE0ELNS1_3repE0EEENS1_30default_config_static_selectorELNS0_4arch9wavefront6targetE0EEEvT1_: ; @_ZN7rocprim17ROCPRIM_400000_NS6detail17trampoline_kernelINS0_14default_configENS1_25partition_config_selectorILNS1_17partition_subalgoE9EjjbEEZZNS1_14partition_implILS5_9ELb0ES3_jN6thrust23THRUST_200600_302600_NS6detail15normal_iteratorINS9_10device_ptrIjEEEESE_PNS0_10empty_typeENS0_5tupleIJSE_SF_EEENSH_IJSE_SG_EEENS0_18inequality_wrapperI22is_equal_div_10_uniqueIjEEEPmJSF_EEE10hipError_tPvRmT3_T4_T5_T6_T7_T9_mT8_P12ihipStream_tbDpT10_ENKUlT_T0_E_clISt17integral_constantIbLb1EES17_IbLb0EEEEDaS13_S14_EUlS13_E_NS1_11comp_targetILNS1_3genE0ELNS1_11target_archE4294967295ELNS1_3gpuE0ELNS1_3repE0EEENS1_30default_config_static_selectorELNS0_4arch9wavefront6targetE0EEEvT1_
; %bb.0:
	.section	.rodata,"a",@progbits
	.p2align	6, 0x0
	.amdhsa_kernel _ZN7rocprim17ROCPRIM_400000_NS6detail17trampoline_kernelINS0_14default_configENS1_25partition_config_selectorILNS1_17partition_subalgoE9EjjbEEZZNS1_14partition_implILS5_9ELb0ES3_jN6thrust23THRUST_200600_302600_NS6detail15normal_iteratorINS9_10device_ptrIjEEEESE_PNS0_10empty_typeENS0_5tupleIJSE_SF_EEENSH_IJSE_SG_EEENS0_18inequality_wrapperI22is_equal_div_10_uniqueIjEEEPmJSF_EEE10hipError_tPvRmT3_T4_T5_T6_T7_T9_mT8_P12ihipStream_tbDpT10_ENKUlT_T0_E_clISt17integral_constantIbLb1EES17_IbLb0EEEEDaS13_S14_EUlS13_E_NS1_11comp_targetILNS1_3genE0ELNS1_11target_archE4294967295ELNS1_3gpuE0ELNS1_3repE0EEENS1_30default_config_static_selectorELNS0_4arch9wavefront6targetE0EEEvT1_
		.amdhsa_group_segment_fixed_size 0
		.amdhsa_private_segment_fixed_size 0
		.amdhsa_kernarg_size 112
		.amdhsa_user_sgpr_count 15
		.amdhsa_user_sgpr_dispatch_ptr 0
		.amdhsa_user_sgpr_queue_ptr 0
		.amdhsa_user_sgpr_kernarg_segment_ptr 1
		.amdhsa_user_sgpr_dispatch_id 0
		.amdhsa_user_sgpr_private_segment_size 0
		.amdhsa_wavefront_size32 1
		.amdhsa_uses_dynamic_stack 0
		.amdhsa_enable_private_segment 0
		.amdhsa_system_sgpr_workgroup_id_x 1
		.amdhsa_system_sgpr_workgroup_id_y 0
		.amdhsa_system_sgpr_workgroup_id_z 0
		.amdhsa_system_sgpr_workgroup_info 0
		.amdhsa_system_vgpr_workitem_id 0
		.amdhsa_next_free_vgpr 1
		.amdhsa_next_free_sgpr 1
		.amdhsa_reserve_vcc 0
		.amdhsa_float_round_mode_32 0
		.amdhsa_float_round_mode_16_64 0
		.amdhsa_float_denorm_mode_32 3
		.amdhsa_float_denorm_mode_16_64 3
		.amdhsa_dx10_clamp 1
		.amdhsa_ieee_mode 1
		.amdhsa_fp16_overflow 0
		.amdhsa_workgroup_processor_mode 1
		.amdhsa_memory_ordered 1
		.amdhsa_forward_progress 0
		.amdhsa_shared_vgpr_count 0
		.amdhsa_exception_fp_ieee_invalid_op 0
		.amdhsa_exception_fp_denorm_src 0
		.amdhsa_exception_fp_ieee_div_zero 0
		.amdhsa_exception_fp_ieee_overflow 0
		.amdhsa_exception_fp_ieee_underflow 0
		.amdhsa_exception_fp_ieee_inexact 0
		.amdhsa_exception_int_div_zero 0
	.end_amdhsa_kernel
	.section	.text._ZN7rocprim17ROCPRIM_400000_NS6detail17trampoline_kernelINS0_14default_configENS1_25partition_config_selectorILNS1_17partition_subalgoE9EjjbEEZZNS1_14partition_implILS5_9ELb0ES3_jN6thrust23THRUST_200600_302600_NS6detail15normal_iteratorINS9_10device_ptrIjEEEESE_PNS0_10empty_typeENS0_5tupleIJSE_SF_EEENSH_IJSE_SG_EEENS0_18inequality_wrapperI22is_equal_div_10_uniqueIjEEEPmJSF_EEE10hipError_tPvRmT3_T4_T5_T6_T7_T9_mT8_P12ihipStream_tbDpT10_ENKUlT_T0_E_clISt17integral_constantIbLb1EES17_IbLb0EEEEDaS13_S14_EUlS13_E_NS1_11comp_targetILNS1_3genE0ELNS1_11target_archE4294967295ELNS1_3gpuE0ELNS1_3repE0EEENS1_30default_config_static_selectorELNS0_4arch9wavefront6targetE0EEEvT1_,"axG",@progbits,_ZN7rocprim17ROCPRIM_400000_NS6detail17trampoline_kernelINS0_14default_configENS1_25partition_config_selectorILNS1_17partition_subalgoE9EjjbEEZZNS1_14partition_implILS5_9ELb0ES3_jN6thrust23THRUST_200600_302600_NS6detail15normal_iteratorINS9_10device_ptrIjEEEESE_PNS0_10empty_typeENS0_5tupleIJSE_SF_EEENSH_IJSE_SG_EEENS0_18inequality_wrapperI22is_equal_div_10_uniqueIjEEEPmJSF_EEE10hipError_tPvRmT3_T4_T5_T6_T7_T9_mT8_P12ihipStream_tbDpT10_ENKUlT_T0_E_clISt17integral_constantIbLb1EES17_IbLb0EEEEDaS13_S14_EUlS13_E_NS1_11comp_targetILNS1_3genE0ELNS1_11target_archE4294967295ELNS1_3gpuE0ELNS1_3repE0EEENS1_30default_config_static_selectorELNS0_4arch9wavefront6targetE0EEEvT1_,comdat
.Lfunc_end258:
	.size	_ZN7rocprim17ROCPRIM_400000_NS6detail17trampoline_kernelINS0_14default_configENS1_25partition_config_selectorILNS1_17partition_subalgoE9EjjbEEZZNS1_14partition_implILS5_9ELb0ES3_jN6thrust23THRUST_200600_302600_NS6detail15normal_iteratorINS9_10device_ptrIjEEEESE_PNS0_10empty_typeENS0_5tupleIJSE_SF_EEENSH_IJSE_SG_EEENS0_18inequality_wrapperI22is_equal_div_10_uniqueIjEEEPmJSF_EEE10hipError_tPvRmT3_T4_T5_T6_T7_T9_mT8_P12ihipStream_tbDpT10_ENKUlT_T0_E_clISt17integral_constantIbLb1EES17_IbLb0EEEEDaS13_S14_EUlS13_E_NS1_11comp_targetILNS1_3genE0ELNS1_11target_archE4294967295ELNS1_3gpuE0ELNS1_3repE0EEENS1_30default_config_static_selectorELNS0_4arch9wavefront6targetE0EEEvT1_, .Lfunc_end258-_ZN7rocprim17ROCPRIM_400000_NS6detail17trampoline_kernelINS0_14default_configENS1_25partition_config_selectorILNS1_17partition_subalgoE9EjjbEEZZNS1_14partition_implILS5_9ELb0ES3_jN6thrust23THRUST_200600_302600_NS6detail15normal_iteratorINS9_10device_ptrIjEEEESE_PNS0_10empty_typeENS0_5tupleIJSE_SF_EEENSH_IJSE_SG_EEENS0_18inequality_wrapperI22is_equal_div_10_uniqueIjEEEPmJSF_EEE10hipError_tPvRmT3_T4_T5_T6_T7_T9_mT8_P12ihipStream_tbDpT10_ENKUlT_T0_E_clISt17integral_constantIbLb1EES17_IbLb0EEEEDaS13_S14_EUlS13_E_NS1_11comp_targetILNS1_3genE0ELNS1_11target_archE4294967295ELNS1_3gpuE0ELNS1_3repE0EEENS1_30default_config_static_selectorELNS0_4arch9wavefront6targetE0EEEvT1_
                                        ; -- End function
	.section	.AMDGPU.csdata,"",@progbits
; Kernel info:
; codeLenInByte = 0
; NumSgprs: 0
; NumVgprs: 0
; ScratchSize: 0
; MemoryBound: 0
; FloatMode: 240
; IeeeMode: 1
; LDSByteSize: 0 bytes/workgroup (compile time only)
; SGPRBlocks: 0
; VGPRBlocks: 0
; NumSGPRsForWavesPerEU: 1
; NumVGPRsForWavesPerEU: 1
; Occupancy: 16
; WaveLimiterHint : 0
; COMPUTE_PGM_RSRC2:SCRATCH_EN: 0
; COMPUTE_PGM_RSRC2:USER_SGPR: 15
; COMPUTE_PGM_RSRC2:TRAP_HANDLER: 0
; COMPUTE_PGM_RSRC2:TGID_X_EN: 1
; COMPUTE_PGM_RSRC2:TGID_Y_EN: 0
; COMPUTE_PGM_RSRC2:TGID_Z_EN: 0
; COMPUTE_PGM_RSRC2:TIDIG_COMP_CNT: 0
	.section	.text._ZN7rocprim17ROCPRIM_400000_NS6detail17trampoline_kernelINS0_14default_configENS1_25partition_config_selectorILNS1_17partition_subalgoE9EjjbEEZZNS1_14partition_implILS5_9ELb0ES3_jN6thrust23THRUST_200600_302600_NS6detail15normal_iteratorINS9_10device_ptrIjEEEESE_PNS0_10empty_typeENS0_5tupleIJSE_SF_EEENSH_IJSE_SG_EEENS0_18inequality_wrapperI22is_equal_div_10_uniqueIjEEEPmJSF_EEE10hipError_tPvRmT3_T4_T5_T6_T7_T9_mT8_P12ihipStream_tbDpT10_ENKUlT_T0_E_clISt17integral_constantIbLb1EES17_IbLb0EEEEDaS13_S14_EUlS13_E_NS1_11comp_targetILNS1_3genE5ELNS1_11target_archE942ELNS1_3gpuE9ELNS1_3repE0EEENS1_30default_config_static_selectorELNS0_4arch9wavefront6targetE0EEEvT1_,"axG",@progbits,_ZN7rocprim17ROCPRIM_400000_NS6detail17trampoline_kernelINS0_14default_configENS1_25partition_config_selectorILNS1_17partition_subalgoE9EjjbEEZZNS1_14partition_implILS5_9ELb0ES3_jN6thrust23THRUST_200600_302600_NS6detail15normal_iteratorINS9_10device_ptrIjEEEESE_PNS0_10empty_typeENS0_5tupleIJSE_SF_EEENSH_IJSE_SG_EEENS0_18inequality_wrapperI22is_equal_div_10_uniqueIjEEEPmJSF_EEE10hipError_tPvRmT3_T4_T5_T6_T7_T9_mT8_P12ihipStream_tbDpT10_ENKUlT_T0_E_clISt17integral_constantIbLb1EES17_IbLb0EEEEDaS13_S14_EUlS13_E_NS1_11comp_targetILNS1_3genE5ELNS1_11target_archE942ELNS1_3gpuE9ELNS1_3repE0EEENS1_30default_config_static_selectorELNS0_4arch9wavefront6targetE0EEEvT1_,comdat
	.protected	_ZN7rocprim17ROCPRIM_400000_NS6detail17trampoline_kernelINS0_14default_configENS1_25partition_config_selectorILNS1_17partition_subalgoE9EjjbEEZZNS1_14partition_implILS5_9ELb0ES3_jN6thrust23THRUST_200600_302600_NS6detail15normal_iteratorINS9_10device_ptrIjEEEESE_PNS0_10empty_typeENS0_5tupleIJSE_SF_EEENSH_IJSE_SG_EEENS0_18inequality_wrapperI22is_equal_div_10_uniqueIjEEEPmJSF_EEE10hipError_tPvRmT3_T4_T5_T6_T7_T9_mT8_P12ihipStream_tbDpT10_ENKUlT_T0_E_clISt17integral_constantIbLb1EES17_IbLb0EEEEDaS13_S14_EUlS13_E_NS1_11comp_targetILNS1_3genE5ELNS1_11target_archE942ELNS1_3gpuE9ELNS1_3repE0EEENS1_30default_config_static_selectorELNS0_4arch9wavefront6targetE0EEEvT1_ ; -- Begin function _ZN7rocprim17ROCPRIM_400000_NS6detail17trampoline_kernelINS0_14default_configENS1_25partition_config_selectorILNS1_17partition_subalgoE9EjjbEEZZNS1_14partition_implILS5_9ELb0ES3_jN6thrust23THRUST_200600_302600_NS6detail15normal_iteratorINS9_10device_ptrIjEEEESE_PNS0_10empty_typeENS0_5tupleIJSE_SF_EEENSH_IJSE_SG_EEENS0_18inequality_wrapperI22is_equal_div_10_uniqueIjEEEPmJSF_EEE10hipError_tPvRmT3_T4_T5_T6_T7_T9_mT8_P12ihipStream_tbDpT10_ENKUlT_T0_E_clISt17integral_constantIbLb1EES17_IbLb0EEEEDaS13_S14_EUlS13_E_NS1_11comp_targetILNS1_3genE5ELNS1_11target_archE942ELNS1_3gpuE9ELNS1_3repE0EEENS1_30default_config_static_selectorELNS0_4arch9wavefront6targetE0EEEvT1_
	.globl	_ZN7rocprim17ROCPRIM_400000_NS6detail17trampoline_kernelINS0_14default_configENS1_25partition_config_selectorILNS1_17partition_subalgoE9EjjbEEZZNS1_14partition_implILS5_9ELb0ES3_jN6thrust23THRUST_200600_302600_NS6detail15normal_iteratorINS9_10device_ptrIjEEEESE_PNS0_10empty_typeENS0_5tupleIJSE_SF_EEENSH_IJSE_SG_EEENS0_18inequality_wrapperI22is_equal_div_10_uniqueIjEEEPmJSF_EEE10hipError_tPvRmT3_T4_T5_T6_T7_T9_mT8_P12ihipStream_tbDpT10_ENKUlT_T0_E_clISt17integral_constantIbLb1EES17_IbLb0EEEEDaS13_S14_EUlS13_E_NS1_11comp_targetILNS1_3genE5ELNS1_11target_archE942ELNS1_3gpuE9ELNS1_3repE0EEENS1_30default_config_static_selectorELNS0_4arch9wavefront6targetE0EEEvT1_
	.p2align	8
	.type	_ZN7rocprim17ROCPRIM_400000_NS6detail17trampoline_kernelINS0_14default_configENS1_25partition_config_selectorILNS1_17partition_subalgoE9EjjbEEZZNS1_14partition_implILS5_9ELb0ES3_jN6thrust23THRUST_200600_302600_NS6detail15normal_iteratorINS9_10device_ptrIjEEEESE_PNS0_10empty_typeENS0_5tupleIJSE_SF_EEENSH_IJSE_SG_EEENS0_18inequality_wrapperI22is_equal_div_10_uniqueIjEEEPmJSF_EEE10hipError_tPvRmT3_T4_T5_T6_T7_T9_mT8_P12ihipStream_tbDpT10_ENKUlT_T0_E_clISt17integral_constantIbLb1EES17_IbLb0EEEEDaS13_S14_EUlS13_E_NS1_11comp_targetILNS1_3genE5ELNS1_11target_archE942ELNS1_3gpuE9ELNS1_3repE0EEENS1_30default_config_static_selectorELNS0_4arch9wavefront6targetE0EEEvT1_,@function
_ZN7rocprim17ROCPRIM_400000_NS6detail17trampoline_kernelINS0_14default_configENS1_25partition_config_selectorILNS1_17partition_subalgoE9EjjbEEZZNS1_14partition_implILS5_9ELb0ES3_jN6thrust23THRUST_200600_302600_NS6detail15normal_iteratorINS9_10device_ptrIjEEEESE_PNS0_10empty_typeENS0_5tupleIJSE_SF_EEENSH_IJSE_SG_EEENS0_18inequality_wrapperI22is_equal_div_10_uniqueIjEEEPmJSF_EEE10hipError_tPvRmT3_T4_T5_T6_T7_T9_mT8_P12ihipStream_tbDpT10_ENKUlT_T0_E_clISt17integral_constantIbLb1EES17_IbLb0EEEEDaS13_S14_EUlS13_E_NS1_11comp_targetILNS1_3genE5ELNS1_11target_archE942ELNS1_3gpuE9ELNS1_3repE0EEENS1_30default_config_static_selectorELNS0_4arch9wavefront6targetE0EEEvT1_: ; @_ZN7rocprim17ROCPRIM_400000_NS6detail17trampoline_kernelINS0_14default_configENS1_25partition_config_selectorILNS1_17partition_subalgoE9EjjbEEZZNS1_14partition_implILS5_9ELb0ES3_jN6thrust23THRUST_200600_302600_NS6detail15normal_iteratorINS9_10device_ptrIjEEEESE_PNS0_10empty_typeENS0_5tupleIJSE_SF_EEENSH_IJSE_SG_EEENS0_18inequality_wrapperI22is_equal_div_10_uniqueIjEEEPmJSF_EEE10hipError_tPvRmT3_T4_T5_T6_T7_T9_mT8_P12ihipStream_tbDpT10_ENKUlT_T0_E_clISt17integral_constantIbLb1EES17_IbLb0EEEEDaS13_S14_EUlS13_E_NS1_11comp_targetILNS1_3genE5ELNS1_11target_archE942ELNS1_3gpuE9ELNS1_3repE0EEENS1_30default_config_static_selectorELNS0_4arch9wavefront6targetE0EEEvT1_
; %bb.0:
	.section	.rodata,"a",@progbits
	.p2align	6, 0x0
	.amdhsa_kernel _ZN7rocprim17ROCPRIM_400000_NS6detail17trampoline_kernelINS0_14default_configENS1_25partition_config_selectorILNS1_17partition_subalgoE9EjjbEEZZNS1_14partition_implILS5_9ELb0ES3_jN6thrust23THRUST_200600_302600_NS6detail15normal_iteratorINS9_10device_ptrIjEEEESE_PNS0_10empty_typeENS0_5tupleIJSE_SF_EEENSH_IJSE_SG_EEENS0_18inequality_wrapperI22is_equal_div_10_uniqueIjEEEPmJSF_EEE10hipError_tPvRmT3_T4_T5_T6_T7_T9_mT8_P12ihipStream_tbDpT10_ENKUlT_T0_E_clISt17integral_constantIbLb1EES17_IbLb0EEEEDaS13_S14_EUlS13_E_NS1_11comp_targetILNS1_3genE5ELNS1_11target_archE942ELNS1_3gpuE9ELNS1_3repE0EEENS1_30default_config_static_selectorELNS0_4arch9wavefront6targetE0EEEvT1_
		.amdhsa_group_segment_fixed_size 0
		.amdhsa_private_segment_fixed_size 0
		.amdhsa_kernarg_size 112
		.amdhsa_user_sgpr_count 15
		.amdhsa_user_sgpr_dispatch_ptr 0
		.amdhsa_user_sgpr_queue_ptr 0
		.amdhsa_user_sgpr_kernarg_segment_ptr 1
		.amdhsa_user_sgpr_dispatch_id 0
		.amdhsa_user_sgpr_private_segment_size 0
		.amdhsa_wavefront_size32 1
		.amdhsa_uses_dynamic_stack 0
		.amdhsa_enable_private_segment 0
		.amdhsa_system_sgpr_workgroup_id_x 1
		.amdhsa_system_sgpr_workgroup_id_y 0
		.amdhsa_system_sgpr_workgroup_id_z 0
		.amdhsa_system_sgpr_workgroup_info 0
		.amdhsa_system_vgpr_workitem_id 0
		.amdhsa_next_free_vgpr 1
		.amdhsa_next_free_sgpr 1
		.amdhsa_reserve_vcc 0
		.amdhsa_float_round_mode_32 0
		.amdhsa_float_round_mode_16_64 0
		.amdhsa_float_denorm_mode_32 3
		.amdhsa_float_denorm_mode_16_64 3
		.amdhsa_dx10_clamp 1
		.amdhsa_ieee_mode 1
		.amdhsa_fp16_overflow 0
		.amdhsa_workgroup_processor_mode 1
		.amdhsa_memory_ordered 1
		.amdhsa_forward_progress 0
		.amdhsa_shared_vgpr_count 0
		.amdhsa_exception_fp_ieee_invalid_op 0
		.amdhsa_exception_fp_denorm_src 0
		.amdhsa_exception_fp_ieee_div_zero 0
		.amdhsa_exception_fp_ieee_overflow 0
		.amdhsa_exception_fp_ieee_underflow 0
		.amdhsa_exception_fp_ieee_inexact 0
		.amdhsa_exception_int_div_zero 0
	.end_amdhsa_kernel
	.section	.text._ZN7rocprim17ROCPRIM_400000_NS6detail17trampoline_kernelINS0_14default_configENS1_25partition_config_selectorILNS1_17partition_subalgoE9EjjbEEZZNS1_14partition_implILS5_9ELb0ES3_jN6thrust23THRUST_200600_302600_NS6detail15normal_iteratorINS9_10device_ptrIjEEEESE_PNS0_10empty_typeENS0_5tupleIJSE_SF_EEENSH_IJSE_SG_EEENS0_18inequality_wrapperI22is_equal_div_10_uniqueIjEEEPmJSF_EEE10hipError_tPvRmT3_T4_T5_T6_T7_T9_mT8_P12ihipStream_tbDpT10_ENKUlT_T0_E_clISt17integral_constantIbLb1EES17_IbLb0EEEEDaS13_S14_EUlS13_E_NS1_11comp_targetILNS1_3genE5ELNS1_11target_archE942ELNS1_3gpuE9ELNS1_3repE0EEENS1_30default_config_static_selectorELNS0_4arch9wavefront6targetE0EEEvT1_,"axG",@progbits,_ZN7rocprim17ROCPRIM_400000_NS6detail17trampoline_kernelINS0_14default_configENS1_25partition_config_selectorILNS1_17partition_subalgoE9EjjbEEZZNS1_14partition_implILS5_9ELb0ES3_jN6thrust23THRUST_200600_302600_NS6detail15normal_iteratorINS9_10device_ptrIjEEEESE_PNS0_10empty_typeENS0_5tupleIJSE_SF_EEENSH_IJSE_SG_EEENS0_18inequality_wrapperI22is_equal_div_10_uniqueIjEEEPmJSF_EEE10hipError_tPvRmT3_T4_T5_T6_T7_T9_mT8_P12ihipStream_tbDpT10_ENKUlT_T0_E_clISt17integral_constantIbLb1EES17_IbLb0EEEEDaS13_S14_EUlS13_E_NS1_11comp_targetILNS1_3genE5ELNS1_11target_archE942ELNS1_3gpuE9ELNS1_3repE0EEENS1_30default_config_static_selectorELNS0_4arch9wavefront6targetE0EEEvT1_,comdat
.Lfunc_end259:
	.size	_ZN7rocprim17ROCPRIM_400000_NS6detail17trampoline_kernelINS0_14default_configENS1_25partition_config_selectorILNS1_17partition_subalgoE9EjjbEEZZNS1_14partition_implILS5_9ELb0ES3_jN6thrust23THRUST_200600_302600_NS6detail15normal_iteratorINS9_10device_ptrIjEEEESE_PNS0_10empty_typeENS0_5tupleIJSE_SF_EEENSH_IJSE_SG_EEENS0_18inequality_wrapperI22is_equal_div_10_uniqueIjEEEPmJSF_EEE10hipError_tPvRmT3_T4_T5_T6_T7_T9_mT8_P12ihipStream_tbDpT10_ENKUlT_T0_E_clISt17integral_constantIbLb1EES17_IbLb0EEEEDaS13_S14_EUlS13_E_NS1_11comp_targetILNS1_3genE5ELNS1_11target_archE942ELNS1_3gpuE9ELNS1_3repE0EEENS1_30default_config_static_selectorELNS0_4arch9wavefront6targetE0EEEvT1_, .Lfunc_end259-_ZN7rocprim17ROCPRIM_400000_NS6detail17trampoline_kernelINS0_14default_configENS1_25partition_config_selectorILNS1_17partition_subalgoE9EjjbEEZZNS1_14partition_implILS5_9ELb0ES3_jN6thrust23THRUST_200600_302600_NS6detail15normal_iteratorINS9_10device_ptrIjEEEESE_PNS0_10empty_typeENS0_5tupleIJSE_SF_EEENSH_IJSE_SG_EEENS0_18inequality_wrapperI22is_equal_div_10_uniqueIjEEEPmJSF_EEE10hipError_tPvRmT3_T4_T5_T6_T7_T9_mT8_P12ihipStream_tbDpT10_ENKUlT_T0_E_clISt17integral_constantIbLb1EES17_IbLb0EEEEDaS13_S14_EUlS13_E_NS1_11comp_targetILNS1_3genE5ELNS1_11target_archE942ELNS1_3gpuE9ELNS1_3repE0EEENS1_30default_config_static_selectorELNS0_4arch9wavefront6targetE0EEEvT1_
                                        ; -- End function
	.section	.AMDGPU.csdata,"",@progbits
; Kernel info:
; codeLenInByte = 0
; NumSgprs: 0
; NumVgprs: 0
; ScratchSize: 0
; MemoryBound: 0
; FloatMode: 240
; IeeeMode: 1
; LDSByteSize: 0 bytes/workgroup (compile time only)
; SGPRBlocks: 0
; VGPRBlocks: 0
; NumSGPRsForWavesPerEU: 1
; NumVGPRsForWavesPerEU: 1
; Occupancy: 16
; WaveLimiterHint : 0
; COMPUTE_PGM_RSRC2:SCRATCH_EN: 0
; COMPUTE_PGM_RSRC2:USER_SGPR: 15
; COMPUTE_PGM_RSRC2:TRAP_HANDLER: 0
; COMPUTE_PGM_RSRC2:TGID_X_EN: 1
; COMPUTE_PGM_RSRC2:TGID_Y_EN: 0
; COMPUTE_PGM_RSRC2:TGID_Z_EN: 0
; COMPUTE_PGM_RSRC2:TIDIG_COMP_CNT: 0
	.section	.text._ZN7rocprim17ROCPRIM_400000_NS6detail17trampoline_kernelINS0_14default_configENS1_25partition_config_selectorILNS1_17partition_subalgoE9EjjbEEZZNS1_14partition_implILS5_9ELb0ES3_jN6thrust23THRUST_200600_302600_NS6detail15normal_iteratorINS9_10device_ptrIjEEEESE_PNS0_10empty_typeENS0_5tupleIJSE_SF_EEENSH_IJSE_SG_EEENS0_18inequality_wrapperI22is_equal_div_10_uniqueIjEEEPmJSF_EEE10hipError_tPvRmT3_T4_T5_T6_T7_T9_mT8_P12ihipStream_tbDpT10_ENKUlT_T0_E_clISt17integral_constantIbLb1EES17_IbLb0EEEEDaS13_S14_EUlS13_E_NS1_11comp_targetILNS1_3genE4ELNS1_11target_archE910ELNS1_3gpuE8ELNS1_3repE0EEENS1_30default_config_static_selectorELNS0_4arch9wavefront6targetE0EEEvT1_,"axG",@progbits,_ZN7rocprim17ROCPRIM_400000_NS6detail17trampoline_kernelINS0_14default_configENS1_25partition_config_selectorILNS1_17partition_subalgoE9EjjbEEZZNS1_14partition_implILS5_9ELb0ES3_jN6thrust23THRUST_200600_302600_NS6detail15normal_iteratorINS9_10device_ptrIjEEEESE_PNS0_10empty_typeENS0_5tupleIJSE_SF_EEENSH_IJSE_SG_EEENS0_18inequality_wrapperI22is_equal_div_10_uniqueIjEEEPmJSF_EEE10hipError_tPvRmT3_T4_T5_T6_T7_T9_mT8_P12ihipStream_tbDpT10_ENKUlT_T0_E_clISt17integral_constantIbLb1EES17_IbLb0EEEEDaS13_S14_EUlS13_E_NS1_11comp_targetILNS1_3genE4ELNS1_11target_archE910ELNS1_3gpuE8ELNS1_3repE0EEENS1_30default_config_static_selectorELNS0_4arch9wavefront6targetE0EEEvT1_,comdat
	.protected	_ZN7rocprim17ROCPRIM_400000_NS6detail17trampoline_kernelINS0_14default_configENS1_25partition_config_selectorILNS1_17partition_subalgoE9EjjbEEZZNS1_14partition_implILS5_9ELb0ES3_jN6thrust23THRUST_200600_302600_NS6detail15normal_iteratorINS9_10device_ptrIjEEEESE_PNS0_10empty_typeENS0_5tupleIJSE_SF_EEENSH_IJSE_SG_EEENS0_18inequality_wrapperI22is_equal_div_10_uniqueIjEEEPmJSF_EEE10hipError_tPvRmT3_T4_T5_T6_T7_T9_mT8_P12ihipStream_tbDpT10_ENKUlT_T0_E_clISt17integral_constantIbLb1EES17_IbLb0EEEEDaS13_S14_EUlS13_E_NS1_11comp_targetILNS1_3genE4ELNS1_11target_archE910ELNS1_3gpuE8ELNS1_3repE0EEENS1_30default_config_static_selectorELNS0_4arch9wavefront6targetE0EEEvT1_ ; -- Begin function _ZN7rocprim17ROCPRIM_400000_NS6detail17trampoline_kernelINS0_14default_configENS1_25partition_config_selectorILNS1_17partition_subalgoE9EjjbEEZZNS1_14partition_implILS5_9ELb0ES3_jN6thrust23THRUST_200600_302600_NS6detail15normal_iteratorINS9_10device_ptrIjEEEESE_PNS0_10empty_typeENS0_5tupleIJSE_SF_EEENSH_IJSE_SG_EEENS0_18inequality_wrapperI22is_equal_div_10_uniqueIjEEEPmJSF_EEE10hipError_tPvRmT3_T4_T5_T6_T7_T9_mT8_P12ihipStream_tbDpT10_ENKUlT_T0_E_clISt17integral_constantIbLb1EES17_IbLb0EEEEDaS13_S14_EUlS13_E_NS1_11comp_targetILNS1_3genE4ELNS1_11target_archE910ELNS1_3gpuE8ELNS1_3repE0EEENS1_30default_config_static_selectorELNS0_4arch9wavefront6targetE0EEEvT1_
	.globl	_ZN7rocprim17ROCPRIM_400000_NS6detail17trampoline_kernelINS0_14default_configENS1_25partition_config_selectorILNS1_17partition_subalgoE9EjjbEEZZNS1_14partition_implILS5_9ELb0ES3_jN6thrust23THRUST_200600_302600_NS6detail15normal_iteratorINS9_10device_ptrIjEEEESE_PNS0_10empty_typeENS0_5tupleIJSE_SF_EEENSH_IJSE_SG_EEENS0_18inequality_wrapperI22is_equal_div_10_uniqueIjEEEPmJSF_EEE10hipError_tPvRmT3_T4_T5_T6_T7_T9_mT8_P12ihipStream_tbDpT10_ENKUlT_T0_E_clISt17integral_constantIbLb1EES17_IbLb0EEEEDaS13_S14_EUlS13_E_NS1_11comp_targetILNS1_3genE4ELNS1_11target_archE910ELNS1_3gpuE8ELNS1_3repE0EEENS1_30default_config_static_selectorELNS0_4arch9wavefront6targetE0EEEvT1_
	.p2align	8
	.type	_ZN7rocprim17ROCPRIM_400000_NS6detail17trampoline_kernelINS0_14default_configENS1_25partition_config_selectorILNS1_17partition_subalgoE9EjjbEEZZNS1_14partition_implILS5_9ELb0ES3_jN6thrust23THRUST_200600_302600_NS6detail15normal_iteratorINS9_10device_ptrIjEEEESE_PNS0_10empty_typeENS0_5tupleIJSE_SF_EEENSH_IJSE_SG_EEENS0_18inequality_wrapperI22is_equal_div_10_uniqueIjEEEPmJSF_EEE10hipError_tPvRmT3_T4_T5_T6_T7_T9_mT8_P12ihipStream_tbDpT10_ENKUlT_T0_E_clISt17integral_constantIbLb1EES17_IbLb0EEEEDaS13_S14_EUlS13_E_NS1_11comp_targetILNS1_3genE4ELNS1_11target_archE910ELNS1_3gpuE8ELNS1_3repE0EEENS1_30default_config_static_selectorELNS0_4arch9wavefront6targetE0EEEvT1_,@function
_ZN7rocprim17ROCPRIM_400000_NS6detail17trampoline_kernelINS0_14default_configENS1_25partition_config_selectorILNS1_17partition_subalgoE9EjjbEEZZNS1_14partition_implILS5_9ELb0ES3_jN6thrust23THRUST_200600_302600_NS6detail15normal_iteratorINS9_10device_ptrIjEEEESE_PNS0_10empty_typeENS0_5tupleIJSE_SF_EEENSH_IJSE_SG_EEENS0_18inequality_wrapperI22is_equal_div_10_uniqueIjEEEPmJSF_EEE10hipError_tPvRmT3_T4_T5_T6_T7_T9_mT8_P12ihipStream_tbDpT10_ENKUlT_T0_E_clISt17integral_constantIbLb1EES17_IbLb0EEEEDaS13_S14_EUlS13_E_NS1_11comp_targetILNS1_3genE4ELNS1_11target_archE910ELNS1_3gpuE8ELNS1_3repE0EEENS1_30default_config_static_selectorELNS0_4arch9wavefront6targetE0EEEvT1_: ; @_ZN7rocprim17ROCPRIM_400000_NS6detail17trampoline_kernelINS0_14default_configENS1_25partition_config_selectorILNS1_17partition_subalgoE9EjjbEEZZNS1_14partition_implILS5_9ELb0ES3_jN6thrust23THRUST_200600_302600_NS6detail15normal_iteratorINS9_10device_ptrIjEEEESE_PNS0_10empty_typeENS0_5tupleIJSE_SF_EEENSH_IJSE_SG_EEENS0_18inequality_wrapperI22is_equal_div_10_uniqueIjEEEPmJSF_EEE10hipError_tPvRmT3_T4_T5_T6_T7_T9_mT8_P12ihipStream_tbDpT10_ENKUlT_T0_E_clISt17integral_constantIbLb1EES17_IbLb0EEEEDaS13_S14_EUlS13_E_NS1_11comp_targetILNS1_3genE4ELNS1_11target_archE910ELNS1_3gpuE8ELNS1_3repE0EEENS1_30default_config_static_selectorELNS0_4arch9wavefront6targetE0EEEvT1_
; %bb.0:
	.section	.rodata,"a",@progbits
	.p2align	6, 0x0
	.amdhsa_kernel _ZN7rocprim17ROCPRIM_400000_NS6detail17trampoline_kernelINS0_14default_configENS1_25partition_config_selectorILNS1_17partition_subalgoE9EjjbEEZZNS1_14partition_implILS5_9ELb0ES3_jN6thrust23THRUST_200600_302600_NS6detail15normal_iteratorINS9_10device_ptrIjEEEESE_PNS0_10empty_typeENS0_5tupleIJSE_SF_EEENSH_IJSE_SG_EEENS0_18inequality_wrapperI22is_equal_div_10_uniqueIjEEEPmJSF_EEE10hipError_tPvRmT3_T4_T5_T6_T7_T9_mT8_P12ihipStream_tbDpT10_ENKUlT_T0_E_clISt17integral_constantIbLb1EES17_IbLb0EEEEDaS13_S14_EUlS13_E_NS1_11comp_targetILNS1_3genE4ELNS1_11target_archE910ELNS1_3gpuE8ELNS1_3repE0EEENS1_30default_config_static_selectorELNS0_4arch9wavefront6targetE0EEEvT1_
		.amdhsa_group_segment_fixed_size 0
		.amdhsa_private_segment_fixed_size 0
		.amdhsa_kernarg_size 112
		.amdhsa_user_sgpr_count 15
		.amdhsa_user_sgpr_dispatch_ptr 0
		.amdhsa_user_sgpr_queue_ptr 0
		.amdhsa_user_sgpr_kernarg_segment_ptr 1
		.amdhsa_user_sgpr_dispatch_id 0
		.amdhsa_user_sgpr_private_segment_size 0
		.amdhsa_wavefront_size32 1
		.amdhsa_uses_dynamic_stack 0
		.amdhsa_enable_private_segment 0
		.amdhsa_system_sgpr_workgroup_id_x 1
		.amdhsa_system_sgpr_workgroup_id_y 0
		.amdhsa_system_sgpr_workgroup_id_z 0
		.amdhsa_system_sgpr_workgroup_info 0
		.amdhsa_system_vgpr_workitem_id 0
		.amdhsa_next_free_vgpr 1
		.amdhsa_next_free_sgpr 1
		.amdhsa_reserve_vcc 0
		.amdhsa_float_round_mode_32 0
		.amdhsa_float_round_mode_16_64 0
		.amdhsa_float_denorm_mode_32 3
		.amdhsa_float_denorm_mode_16_64 3
		.amdhsa_dx10_clamp 1
		.amdhsa_ieee_mode 1
		.amdhsa_fp16_overflow 0
		.amdhsa_workgroup_processor_mode 1
		.amdhsa_memory_ordered 1
		.amdhsa_forward_progress 0
		.amdhsa_shared_vgpr_count 0
		.amdhsa_exception_fp_ieee_invalid_op 0
		.amdhsa_exception_fp_denorm_src 0
		.amdhsa_exception_fp_ieee_div_zero 0
		.amdhsa_exception_fp_ieee_overflow 0
		.amdhsa_exception_fp_ieee_underflow 0
		.amdhsa_exception_fp_ieee_inexact 0
		.amdhsa_exception_int_div_zero 0
	.end_amdhsa_kernel
	.section	.text._ZN7rocprim17ROCPRIM_400000_NS6detail17trampoline_kernelINS0_14default_configENS1_25partition_config_selectorILNS1_17partition_subalgoE9EjjbEEZZNS1_14partition_implILS5_9ELb0ES3_jN6thrust23THRUST_200600_302600_NS6detail15normal_iteratorINS9_10device_ptrIjEEEESE_PNS0_10empty_typeENS0_5tupleIJSE_SF_EEENSH_IJSE_SG_EEENS0_18inequality_wrapperI22is_equal_div_10_uniqueIjEEEPmJSF_EEE10hipError_tPvRmT3_T4_T5_T6_T7_T9_mT8_P12ihipStream_tbDpT10_ENKUlT_T0_E_clISt17integral_constantIbLb1EES17_IbLb0EEEEDaS13_S14_EUlS13_E_NS1_11comp_targetILNS1_3genE4ELNS1_11target_archE910ELNS1_3gpuE8ELNS1_3repE0EEENS1_30default_config_static_selectorELNS0_4arch9wavefront6targetE0EEEvT1_,"axG",@progbits,_ZN7rocprim17ROCPRIM_400000_NS6detail17trampoline_kernelINS0_14default_configENS1_25partition_config_selectorILNS1_17partition_subalgoE9EjjbEEZZNS1_14partition_implILS5_9ELb0ES3_jN6thrust23THRUST_200600_302600_NS6detail15normal_iteratorINS9_10device_ptrIjEEEESE_PNS0_10empty_typeENS0_5tupleIJSE_SF_EEENSH_IJSE_SG_EEENS0_18inequality_wrapperI22is_equal_div_10_uniqueIjEEEPmJSF_EEE10hipError_tPvRmT3_T4_T5_T6_T7_T9_mT8_P12ihipStream_tbDpT10_ENKUlT_T0_E_clISt17integral_constantIbLb1EES17_IbLb0EEEEDaS13_S14_EUlS13_E_NS1_11comp_targetILNS1_3genE4ELNS1_11target_archE910ELNS1_3gpuE8ELNS1_3repE0EEENS1_30default_config_static_selectorELNS0_4arch9wavefront6targetE0EEEvT1_,comdat
.Lfunc_end260:
	.size	_ZN7rocprim17ROCPRIM_400000_NS6detail17trampoline_kernelINS0_14default_configENS1_25partition_config_selectorILNS1_17partition_subalgoE9EjjbEEZZNS1_14partition_implILS5_9ELb0ES3_jN6thrust23THRUST_200600_302600_NS6detail15normal_iteratorINS9_10device_ptrIjEEEESE_PNS0_10empty_typeENS0_5tupleIJSE_SF_EEENSH_IJSE_SG_EEENS0_18inequality_wrapperI22is_equal_div_10_uniqueIjEEEPmJSF_EEE10hipError_tPvRmT3_T4_T5_T6_T7_T9_mT8_P12ihipStream_tbDpT10_ENKUlT_T0_E_clISt17integral_constantIbLb1EES17_IbLb0EEEEDaS13_S14_EUlS13_E_NS1_11comp_targetILNS1_3genE4ELNS1_11target_archE910ELNS1_3gpuE8ELNS1_3repE0EEENS1_30default_config_static_selectorELNS0_4arch9wavefront6targetE0EEEvT1_, .Lfunc_end260-_ZN7rocprim17ROCPRIM_400000_NS6detail17trampoline_kernelINS0_14default_configENS1_25partition_config_selectorILNS1_17partition_subalgoE9EjjbEEZZNS1_14partition_implILS5_9ELb0ES3_jN6thrust23THRUST_200600_302600_NS6detail15normal_iteratorINS9_10device_ptrIjEEEESE_PNS0_10empty_typeENS0_5tupleIJSE_SF_EEENSH_IJSE_SG_EEENS0_18inequality_wrapperI22is_equal_div_10_uniqueIjEEEPmJSF_EEE10hipError_tPvRmT3_T4_T5_T6_T7_T9_mT8_P12ihipStream_tbDpT10_ENKUlT_T0_E_clISt17integral_constantIbLb1EES17_IbLb0EEEEDaS13_S14_EUlS13_E_NS1_11comp_targetILNS1_3genE4ELNS1_11target_archE910ELNS1_3gpuE8ELNS1_3repE0EEENS1_30default_config_static_selectorELNS0_4arch9wavefront6targetE0EEEvT1_
                                        ; -- End function
	.section	.AMDGPU.csdata,"",@progbits
; Kernel info:
; codeLenInByte = 0
; NumSgprs: 0
; NumVgprs: 0
; ScratchSize: 0
; MemoryBound: 0
; FloatMode: 240
; IeeeMode: 1
; LDSByteSize: 0 bytes/workgroup (compile time only)
; SGPRBlocks: 0
; VGPRBlocks: 0
; NumSGPRsForWavesPerEU: 1
; NumVGPRsForWavesPerEU: 1
; Occupancy: 15
; WaveLimiterHint : 0
; COMPUTE_PGM_RSRC2:SCRATCH_EN: 0
; COMPUTE_PGM_RSRC2:USER_SGPR: 15
; COMPUTE_PGM_RSRC2:TRAP_HANDLER: 0
; COMPUTE_PGM_RSRC2:TGID_X_EN: 1
; COMPUTE_PGM_RSRC2:TGID_Y_EN: 0
; COMPUTE_PGM_RSRC2:TGID_Z_EN: 0
; COMPUTE_PGM_RSRC2:TIDIG_COMP_CNT: 0
	.section	.text._ZN7rocprim17ROCPRIM_400000_NS6detail17trampoline_kernelINS0_14default_configENS1_25partition_config_selectorILNS1_17partition_subalgoE9EjjbEEZZNS1_14partition_implILS5_9ELb0ES3_jN6thrust23THRUST_200600_302600_NS6detail15normal_iteratorINS9_10device_ptrIjEEEESE_PNS0_10empty_typeENS0_5tupleIJSE_SF_EEENSH_IJSE_SG_EEENS0_18inequality_wrapperI22is_equal_div_10_uniqueIjEEEPmJSF_EEE10hipError_tPvRmT3_T4_T5_T6_T7_T9_mT8_P12ihipStream_tbDpT10_ENKUlT_T0_E_clISt17integral_constantIbLb1EES17_IbLb0EEEEDaS13_S14_EUlS13_E_NS1_11comp_targetILNS1_3genE3ELNS1_11target_archE908ELNS1_3gpuE7ELNS1_3repE0EEENS1_30default_config_static_selectorELNS0_4arch9wavefront6targetE0EEEvT1_,"axG",@progbits,_ZN7rocprim17ROCPRIM_400000_NS6detail17trampoline_kernelINS0_14default_configENS1_25partition_config_selectorILNS1_17partition_subalgoE9EjjbEEZZNS1_14partition_implILS5_9ELb0ES3_jN6thrust23THRUST_200600_302600_NS6detail15normal_iteratorINS9_10device_ptrIjEEEESE_PNS0_10empty_typeENS0_5tupleIJSE_SF_EEENSH_IJSE_SG_EEENS0_18inequality_wrapperI22is_equal_div_10_uniqueIjEEEPmJSF_EEE10hipError_tPvRmT3_T4_T5_T6_T7_T9_mT8_P12ihipStream_tbDpT10_ENKUlT_T0_E_clISt17integral_constantIbLb1EES17_IbLb0EEEEDaS13_S14_EUlS13_E_NS1_11comp_targetILNS1_3genE3ELNS1_11target_archE908ELNS1_3gpuE7ELNS1_3repE0EEENS1_30default_config_static_selectorELNS0_4arch9wavefront6targetE0EEEvT1_,comdat
	.protected	_ZN7rocprim17ROCPRIM_400000_NS6detail17trampoline_kernelINS0_14default_configENS1_25partition_config_selectorILNS1_17partition_subalgoE9EjjbEEZZNS1_14partition_implILS5_9ELb0ES3_jN6thrust23THRUST_200600_302600_NS6detail15normal_iteratorINS9_10device_ptrIjEEEESE_PNS0_10empty_typeENS0_5tupleIJSE_SF_EEENSH_IJSE_SG_EEENS0_18inequality_wrapperI22is_equal_div_10_uniqueIjEEEPmJSF_EEE10hipError_tPvRmT3_T4_T5_T6_T7_T9_mT8_P12ihipStream_tbDpT10_ENKUlT_T0_E_clISt17integral_constantIbLb1EES17_IbLb0EEEEDaS13_S14_EUlS13_E_NS1_11comp_targetILNS1_3genE3ELNS1_11target_archE908ELNS1_3gpuE7ELNS1_3repE0EEENS1_30default_config_static_selectorELNS0_4arch9wavefront6targetE0EEEvT1_ ; -- Begin function _ZN7rocprim17ROCPRIM_400000_NS6detail17trampoline_kernelINS0_14default_configENS1_25partition_config_selectorILNS1_17partition_subalgoE9EjjbEEZZNS1_14partition_implILS5_9ELb0ES3_jN6thrust23THRUST_200600_302600_NS6detail15normal_iteratorINS9_10device_ptrIjEEEESE_PNS0_10empty_typeENS0_5tupleIJSE_SF_EEENSH_IJSE_SG_EEENS0_18inequality_wrapperI22is_equal_div_10_uniqueIjEEEPmJSF_EEE10hipError_tPvRmT3_T4_T5_T6_T7_T9_mT8_P12ihipStream_tbDpT10_ENKUlT_T0_E_clISt17integral_constantIbLb1EES17_IbLb0EEEEDaS13_S14_EUlS13_E_NS1_11comp_targetILNS1_3genE3ELNS1_11target_archE908ELNS1_3gpuE7ELNS1_3repE0EEENS1_30default_config_static_selectorELNS0_4arch9wavefront6targetE0EEEvT1_
	.globl	_ZN7rocprim17ROCPRIM_400000_NS6detail17trampoline_kernelINS0_14default_configENS1_25partition_config_selectorILNS1_17partition_subalgoE9EjjbEEZZNS1_14partition_implILS5_9ELb0ES3_jN6thrust23THRUST_200600_302600_NS6detail15normal_iteratorINS9_10device_ptrIjEEEESE_PNS0_10empty_typeENS0_5tupleIJSE_SF_EEENSH_IJSE_SG_EEENS0_18inequality_wrapperI22is_equal_div_10_uniqueIjEEEPmJSF_EEE10hipError_tPvRmT3_T4_T5_T6_T7_T9_mT8_P12ihipStream_tbDpT10_ENKUlT_T0_E_clISt17integral_constantIbLb1EES17_IbLb0EEEEDaS13_S14_EUlS13_E_NS1_11comp_targetILNS1_3genE3ELNS1_11target_archE908ELNS1_3gpuE7ELNS1_3repE0EEENS1_30default_config_static_selectorELNS0_4arch9wavefront6targetE0EEEvT1_
	.p2align	8
	.type	_ZN7rocprim17ROCPRIM_400000_NS6detail17trampoline_kernelINS0_14default_configENS1_25partition_config_selectorILNS1_17partition_subalgoE9EjjbEEZZNS1_14partition_implILS5_9ELb0ES3_jN6thrust23THRUST_200600_302600_NS6detail15normal_iteratorINS9_10device_ptrIjEEEESE_PNS0_10empty_typeENS0_5tupleIJSE_SF_EEENSH_IJSE_SG_EEENS0_18inequality_wrapperI22is_equal_div_10_uniqueIjEEEPmJSF_EEE10hipError_tPvRmT3_T4_T5_T6_T7_T9_mT8_P12ihipStream_tbDpT10_ENKUlT_T0_E_clISt17integral_constantIbLb1EES17_IbLb0EEEEDaS13_S14_EUlS13_E_NS1_11comp_targetILNS1_3genE3ELNS1_11target_archE908ELNS1_3gpuE7ELNS1_3repE0EEENS1_30default_config_static_selectorELNS0_4arch9wavefront6targetE0EEEvT1_,@function
_ZN7rocprim17ROCPRIM_400000_NS6detail17trampoline_kernelINS0_14default_configENS1_25partition_config_selectorILNS1_17partition_subalgoE9EjjbEEZZNS1_14partition_implILS5_9ELb0ES3_jN6thrust23THRUST_200600_302600_NS6detail15normal_iteratorINS9_10device_ptrIjEEEESE_PNS0_10empty_typeENS0_5tupleIJSE_SF_EEENSH_IJSE_SG_EEENS0_18inequality_wrapperI22is_equal_div_10_uniqueIjEEEPmJSF_EEE10hipError_tPvRmT3_T4_T5_T6_T7_T9_mT8_P12ihipStream_tbDpT10_ENKUlT_T0_E_clISt17integral_constantIbLb1EES17_IbLb0EEEEDaS13_S14_EUlS13_E_NS1_11comp_targetILNS1_3genE3ELNS1_11target_archE908ELNS1_3gpuE7ELNS1_3repE0EEENS1_30default_config_static_selectorELNS0_4arch9wavefront6targetE0EEEvT1_: ; @_ZN7rocprim17ROCPRIM_400000_NS6detail17trampoline_kernelINS0_14default_configENS1_25partition_config_selectorILNS1_17partition_subalgoE9EjjbEEZZNS1_14partition_implILS5_9ELb0ES3_jN6thrust23THRUST_200600_302600_NS6detail15normal_iteratorINS9_10device_ptrIjEEEESE_PNS0_10empty_typeENS0_5tupleIJSE_SF_EEENSH_IJSE_SG_EEENS0_18inequality_wrapperI22is_equal_div_10_uniqueIjEEEPmJSF_EEE10hipError_tPvRmT3_T4_T5_T6_T7_T9_mT8_P12ihipStream_tbDpT10_ENKUlT_T0_E_clISt17integral_constantIbLb1EES17_IbLb0EEEEDaS13_S14_EUlS13_E_NS1_11comp_targetILNS1_3genE3ELNS1_11target_archE908ELNS1_3gpuE7ELNS1_3repE0EEENS1_30default_config_static_selectorELNS0_4arch9wavefront6targetE0EEEvT1_
; %bb.0:
	.section	.rodata,"a",@progbits
	.p2align	6, 0x0
	.amdhsa_kernel _ZN7rocprim17ROCPRIM_400000_NS6detail17trampoline_kernelINS0_14default_configENS1_25partition_config_selectorILNS1_17partition_subalgoE9EjjbEEZZNS1_14partition_implILS5_9ELb0ES3_jN6thrust23THRUST_200600_302600_NS6detail15normal_iteratorINS9_10device_ptrIjEEEESE_PNS0_10empty_typeENS0_5tupleIJSE_SF_EEENSH_IJSE_SG_EEENS0_18inequality_wrapperI22is_equal_div_10_uniqueIjEEEPmJSF_EEE10hipError_tPvRmT3_T4_T5_T6_T7_T9_mT8_P12ihipStream_tbDpT10_ENKUlT_T0_E_clISt17integral_constantIbLb1EES17_IbLb0EEEEDaS13_S14_EUlS13_E_NS1_11comp_targetILNS1_3genE3ELNS1_11target_archE908ELNS1_3gpuE7ELNS1_3repE0EEENS1_30default_config_static_selectorELNS0_4arch9wavefront6targetE0EEEvT1_
		.amdhsa_group_segment_fixed_size 0
		.amdhsa_private_segment_fixed_size 0
		.amdhsa_kernarg_size 112
		.amdhsa_user_sgpr_count 15
		.amdhsa_user_sgpr_dispatch_ptr 0
		.amdhsa_user_sgpr_queue_ptr 0
		.amdhsa_user_sgpr_kernarg_segment_ptr 1
		.amdhsa_user_sgpr_dispatch_id 0
		.amdhsa_user_sgpr_private_segment_size 0
		.amdhsa_wavefront_size32 1
		.amdhsa_uses_dynamic_stack 0
		.amdhsa_enable_private_segment 0
		.amdhsa_system_sgpr_workgroup_id_x 1
		.amdhsa_system_sgpr_workgroup_id_y 0
		.amdhsa_system_sgpr_workgroup_id_z 0
		.amdhsa_system_sgpr_workgroup_info 0
		.amdhsa_system_vgpr_workitem_id 0
		.amdhsa_next_free_vgpr 1
		.amdhsa_next_free_sgpr 1
		.amdhsa_reserve_vcc 0
		.amdhsa_float_round_mode_32 0
		.amdhsa_float_round_mode_16_64 0
		.amdhsa_float_denorm_mode_32 3
		.amdhsa_float_denorm_mode_16_64 3
		.amdhsa_dx10_clamp 1
		.amdhsa_ieee_mode 1
		.amdhsa_fp16_overflow 0
		.amdhsa_workgroup_processor_mode 1
		.amdhsa_memory_ordered 1
		.amdhsa_forward_progress 0
		.amdhsa_shared_vgpr_count 0
		.amdhsa_exception_fp_ieee_invalid_op 0
		.amdhsa_exception_fp_denorm_src 0
		.amdhsa_exception_fp_ieee_div_zero 0
		.amdhsa_exception_fp_ieee_overflow 0
		.amdhsa_exception_fp_ieee_underflow 0
		.amdhsa_exception_fp_ieee_inexact 0
		.amdhsa_exception_int_div_zero 0
	.end_amdhsa_kernel
	.section	.text._ZN7rocprim17ROCPRIM_400000_NS6detail17trampoline_kernelINS0_14default_configENS1_25partition_config_selectorILNS1_17partition_subalgoE9EjjbEEZZNS1_14partition_implILS5_9ELb0ES3_jN6thrust23THRUST_200600_302600_NS6detail15normal_iteratorINS9_10device_ptrIjEEEESE_PNS0_10empty_typeENS0_5tupleIJSE_SF_EEENSH_IJSE_SG_EEENS0_18inequality_wrapperI22is_equal_div_10_uniqueIjEEEPmJSF_EEE10hipError_tPvRmT3_T4_T5_T6_T7_T9_mT8_P12ihipStream_tbDpT10_ENKUlT_T0_E_clISt17integral_constantIbLb1EES17_IbLb0EEEEDaS13_S14_EUlS13_E_NS1_11comp_targetILNS1_3genE3ELNS1_11target_archE908ELNS1_3gpuE7ELNS1_3repE0EEENS1_30default_config_static_selectorELNS0_4arch9wavefront6targetE0EEEvT1_,"axG",@progbits,_ZN7rocprim17ROCPRIM_400000_NS6detail17trampoline_kernelINS0_14default_configENS1_25partition_config_selectorILNS1_17partition_subalgoE9EjjbEEZZNS1_14partition_implILS5_9ELb0ES3_jN6thrust23THRUST_200600_302600_NS6detail15normal_iteratorINS9_10device_ptrIjEEEESE_PNS0_10empty_typeENS0_5tupleIJSE_SF_EEENSH_IJSE_SG_EEENS0_18inequality_wrapperI22is_equal_div_10_uniqueIjEEEPmJSF_EEE10hipError_tPvRmT3_T4_T5_T6_T7_T9_mT8_P12ihipStream_tbDpT10_ENKUlT_T0_E_clISt17integral_constantIbLb1EES17_IbLb0EEEEDaS13_S14_EUlS13_E_NS1_11comp_targetILNS1_3genE3ELNS1_11target_archE908ELNS1_3gpuE7ELNS1_3repE0EEENS1_30default_config_static_selectorELNS0_4arch9wavefront6targetE0EEEvT1_,comdat
.Lfunc_end261:
	.size	_ZN7rocprim17ROCPRIM_400000_NS6detail17trampoline_kernelINS0_14default_configENS1_25partition_config_selectorILNS1_17partition_subalgoE9EjjbEEZZNS1_14partition_implILS5_9ELb0ES3_jN6thrust23THRUST_200600_302600_NS6detail15normal_iteratorINS9_10device_ptrIjEEEESE_PNS0_10empty_typeENS0_5tupleIJSE_SF_EEENSH_IJSE_SG_EEENS0_18inequality_wrapperI22is_equal_div_10_uniqueIjEEEPmJSF_EEE10hipError_tPvRmT3_T4_T5_T6_T7_T9_mT8_P12ihipStream_tbDpT10_ENKUlT_T0_E_clISt17integral_constantIbLb1EES17_IbLb0EEEEDaS13_S14_EUlS13_E_NS1_11comp_targetILNS1_3genE3ELNS1_11target_archE908ELNS1_3gpuE7ELNS1_3repE0EEENS1_30default_config_static_selectorELNS0_4arch9wavefront6targetE0EEEvT1_, .Lfunc_end261-_ZN7rocprim17ROCPRIM_400000_NS6detail17trampoline_kernelINS0_14default_configENS1_25partition_config_selectorILNS1_17partition_subalgoE9EjjbEEZZNS1_14partition_implILS5_9ELb0ES3_jN6thrust23THRUST_200600_302600_NS6detail15normal_iteratorINS9_10device_ptrIjEEEESE_PNS0_10empty_typeENS0_5tupleIJSE_SF_EEENSH_IJSE_SG_EEENS0_18inequality_wrapperI22is_equal_div_10_uniqueIjEEEPmJSF_EEE10hipError_tPvRmT3_T4_T5_T6_T7_T9_mT8_P12ihipStream_tbDpT10_ENKUlT_T0_E_clISt17integral_constantIbLb1EES17_IbLb0EEEEDaS13_S14_EUlS13_E_NS1_11comp_targetILNS1_3genE3ELNS1_11target_archE908ELNS1_3gpuE7ELNS1_3repE0EEENS1_30default_config_static_selectorELNS0_4arch9wavefront6targetE0EEEvT1_
                                        ; -- End function
	.section	.AMDGPU.csdata,"",@progbits
; Kernel info:
; codeLenInByte = 0
; NumSgprs: 0
; NumVgprs: 0
; ScratchSize: 0
; MemoryBound: 0
; FloatMode: 240
; IeeeMode: 1
; LDSByteSize: 0 bytes/workgroup (compile time only)
; SGPRBlocks: 0
; VGPRBlocks: 0
; NumSGPRsForWavesPerEU: 1
; NumVGPRsForWavesPerEU: 1
; Occupancy: 16
; WaveLimiterHint : 0
; COMPUTE_PGM_RSRC2:SCRATCH_EN: 0
; COMPUTE_PGM_RSRC2:USER_SGPR: 15
; COMPUTE_PGM_RSRC2:TRAP_HANDLER: 0
; COMPUTE_PGM_RSRC2:TGID_X_EN: 1
; COMPUTE_PGM_RSRC2:TGID_Y_EN: 0
; COMPUTE_PGM_RSRC2:TGID_Z_EN: 0
; COMPUTE_PGM_RSRC2:TIDIG_COMP_CNT: 0
	.section	.text._ZN7rocprim17ROCPRIM_400000_NS6detail17trampoline_kernelINS0_14default_configENS1_25partition_config_selectorILNS1_17partition_subalgoE9EjjbEEZZNS1_14partition_implILS5_9ELb0ES3_jN6thrust23THRUST_200600_302600_NS6detail15normal_iteratorINS9_10device_ptrIjEEEESE_PNS0_10empty_typeENS0_5tupleIJSE_SF_EEENSH_IJSE_SG_EEENS0_18inequality_wrapperI22is_equal_div_10_uniqueIjEEEPmJSF_EEE10hipError_tPvRmT3_T4_T5_T6_T7_T9_mT8_P12ihipStream_tbDpT10_ENKUlT_T0_E_clISt17integral_constantIbLb1EES17_IbLb0EEEEDaS13_S14_EUlS13_E_NS1_11comp_targetILNS1_3genE2ELNS1_11target_archE906ELNS1_3gpuE6ELNS1_3repE0EEENS1_30default_config_static_selectorELNS0_4arch9wavefront6targetE0EEEvT1_,"axG",@progbits,_ZN7rocprim17ROCPRIM_400000_NS6detail17trampoline_kernelINS0_14default_configENS1_25partition_config_selectorILNS1_17partition_subalgoE9EjjbEEZZNS1_14partition_implILS5_9ELb0ES3_jN6thrust23THRUST_200600_302600_NS6detail15normal_iteratorINS9_10device_ptrIjEEEESE_PNS0_10empty_typeENS0_5tupleIJSE_SF_EEENSH_IJSE_SG_EEENS0_18inequality_wrapperI22is_equal_div_10_uniqueIjEEEPmJSF_EEE10hipError_tPvRmT3_T4_T5_T6_T7_T9_mT8_P12ihipStream_tbDpT10_ENKUlT_T0_E_clISt17integral_constantIbLb1EES17_IbLb0EEEEDaS13_S14_EUlS13_E_NS1_11comp_targetILNS1_3genE2ELNS1_11target_archE906ELNS1_3gpuE6ELNS1_3repE0EEENS1_30default_config_static_selectorELNS0_4arch9wavefront6targetE0EEEvT1_,comdat
	.protected	_ZN7rocprim17ROCPRIM_400000_NS6detail17trampoline_kernelINS0_14default_configENS1_25partition_config_selectorILNS1_17partition_subalgoE9EjjbEEZZNS1_14partition_implILS5_9ELb0ES3_jN6thrust23THRUST_200600_302600_NS6detail15normal_iteratorINS9_10device_ptrIjEEEESE_PNS0_10empty_typeENS0_5tupleIJSE_SF_EEENSH_IJSE_SG_EEENS0_18inequality_wrapperI22is_equal_div_10_uniqueIjEEEPmJSF_EEE10hipError_tPvRmT3_T4_T5_T6_T7_T9_mT8_P12ihipStream_tbDpT10_ENKUlT_T0_E_clISt17integral_constantIbLb1EES17_IbLb0EEEEDaS13_S14_EUlS13_E_NS1_11comp_targetILNS1_3genE2ELNS1_11target_archE906ELNS1_3gpuE6ELNS1_3repE0EEENS1_30default_config_static_selectorELNS0_4arch9wavefront6targetE0EEEvT1_ ; -- Begin function _ZN7rocprim17ROCPRIM_400000_NS6detail17trampoline_kernelINS0_14default_configENS1_25partition_config_selectorILNS1_17partition_subalgoE9EjjbEEZZNS1_14partition_implILS5_9ELb0ES3_jN6thrust23THRUST_200600_302600_NS6detail15normal_iteratorINS9_10device_ptrIjEEEESE_PNS0_10empty_typeENS0_5tupleIJSE_SF_EEENSH_IJSE_SG_EEENS0_18inequality_wrapperI22is_equal_div_10_uniqueIjEEEPmJSF_EEE10hipError_tPvRmT3_T4_T5_T6_T7_T9_mT8_P12ihipStream_tbDpT10_ENKUlT_T0_E_clISt17integral_constantIbLb1EES17_IbLb0EEEEDaS13_S14_EUlS13_E_NS1_11comp_targetILNS1_3genE2ELNS1_11target_archE906ELNS1_3gpuE6ELNS1_3repE0EEENS1_30default_config_static_selectorELNS0_4arch9wavefront6targetE0EEEvT1_
	.globl	_ZN7rocprim17ROCPRIM_400000_NS6detail17trampoline_kernelINS0_14default_configENS1_25partition_config_selectorILNS1_17partition_subalgoE9EjjbEEZZNS1_14partition_implILS5_9ELb0ES3_jN6thrust23THRUST_200600_302600_NS6detail15normal_iteratorINS9_10device_ptrIjEEEESE_PNS0_10empty_typeENS0_5tupleIJSE_SF_EEENSH_IJSE_SG_EEENS0_18inequality_wrapperI22is_equal_div_10_uniqueIjEEEPmJSF_EEE10hipError_tPvRmT3_T4_T5_T6_T7_T9_mT8_P12ihipStream_tbDpT10_ENKUlT_T0_E_clISt17integral_constantIbLb1EES17_IbLb0EEEEDaS13_S14_EUlS13_E_NS1_11comp_targetILNS1_3genE2ELNS1_11target_archE906ELNS1_3gpuE6ELNS1_3repE0EEENS1_30default_config_static_selectorELNS0_4arch9wavefront6targetE0EEEvT1_
	.p2align	8
	.type	_ZN7rocprim17ROCPRIM_400000_NS6detail17trampoline_kernelINS0_14default_configENS1_25partition_config_selectorILNS1_17partition_subalgoE9EjjbEEZZNS1_14partition_implILS5_9ELb0ES3_jN6thrust23THRUST_200600_302600_NS6detail15normal_iteratorINS9_10device_ptrIjEEEESE_PNS0_10empty_typeENS0_5tupleIJSE_SF_EEENSH_IJSE_SG_EEENS0_18inequality_wrapperI22is_equal_div_10_uniqueIjEEEPmJSF_EEE10hipError_tPvRmT3_T4_T5_T6_T7_T9_mT8_P12ihipStream_tbDpT10_ENKUlT_T0_E_clISt17integral_constantIbLb1EES17_IbLb0EEEEDaS13_S14_EUlS13_E_NS1_11comp_targetILNS1_3genE2ELNS1_11target_archE906ELNS1_3gpuE6ELNS1_3repE0EEENS1_30default_config_static_selectorELNS0_4arch9wavefront6targetE0EEEvT1_,@function
_ZN7rocprim17ROCPRIM_400000_NS6detail17trampoline_kernelINS0_14default_configENS1_25partition_config_selectorILNS1_17partition_subalgoE9EjjbEEZZNS1_14partition_implILS5_9ELb0ES3_jN6thrust23THRUST_200600_302600_NS6detail15normal_iteratorINS9_10device_ptrIjEEEESE_PNS0_10empty_typeENS0_5tupleIJSE_SF_EEENSH_IJSE_SG_EEENS0_18inequality_wrapperI22is_equal_div_10_uniqueIjEEEPmJSF_EEE10hipError_tPvRmT3_T4_T5_T6_T7_T9_mT8_P12ihipStream_tbDpT10_ENKUlT_T0_E_clISt17integral_constantIbLb1EES17_IbLb0EEEEDaS13_S14_EUlS13_E_NS1_11comp_targetILNS1_3genE2ELNS1_11target_archE906ELNS1_3gpuE6ELNS1_3repE0EEENS1_30default_config_static_selectorELNS0_4arch9wavefront6targetE0EEEvT1_: ; @_ZN7rocprim17ROCPRIM_400000_NS6detail17trampoline_kernelINS0_14default_configENS1_25partition_config_selectorILNS1_17partition_subalgoE9EjjbEEZZNS1_14partition_implILS5_9ELb0ES3_jN6thrust23THRUST_200600_302600_NS6detail15normal_iteratorINS9_10device_ptrIjEEEESE_PNS0_10empty_typeENS0_5tupleIJSE_SF_EEENSH_IJSE_SG_EEENS0_18inequality_wrapperI22is_equal_div_10_uniqueIjEEEPmJSF_EEE10hipError_tPvRmT3_T4_T5_T6_T7_T9_mT8_P12ihipStream_tbDpT10_ENKUlT_T0_E_clISt17integral_constantIbLb1EES17_IbLb0EEEEDaS13_S14_EUlS13_E_NS1_11comp_targetILNS1_3genE2ELNS1_11target_archE906ELNS1_3gpuE6ELNS1_3repE0EEENS1_30default_config_static_selectorELNS0_4arch9wavefront6targetE0EEEvT1_
; %bb.0:
	.section	.rodata,"a",@progbits
	.p2align	6, 0x0
	.amdhsa_kernel _ZN7rocprim17ROCPRIM_400000_NS6detail17trampoline_kernelINS0_14default_configENS1_25partition_config_selectorILNS1_17partition_subalgoE9EjjbEEZZNS1_14partition_implILS5_9ELb0ES3_jN6thrust23THRUST_200600_302600_NS6detail15normal_iteratorINS9_10device_ptrIjEEEESE_PNS0_10empty_typeENS0_5tupleIJSE_SF_EEENSH_IJSE_SG_EEENS0_18inequality_wrapperI22is_equal_div_10_uniqueIjEEEPmJSF_EEE10hipError_tPvRmT3_T4_T5_T6_T7_T9_mT8_P12ihipStream_tbDpT10_ENKUlT_T0_E_clISt17integral_constantIbLb1EES17_IbLb0EEEEDaS13_S14_EUlS13_E_NS1_11comp_targetILNS1_3genE2ELNS1_11target_archE906ELNS1_3gpuE6ELNS1_3repE0EEENS1_30default_config_static_selectorELNS0_4arch9wavefront6targetE0EEEvT1_
		.amdhsa_group_segment_fixed_size 0
		.amdhsa_private_segment_fixed_size 0
		.amdhsa_kernarg_size 112
		.amdhsa_user_sgpr_count 15
		.amdhsa_user_sgpr_dispatch_ptr 0
		.amdhsa_user_sgpr_queue_ptr 0
		.amdhsa_user_sgpr_kernarg_segment_ptr 1
		.amdhsa_user_sgpr_dispatch_id 0
		.amdhsa_user_sgpr_private_segment_size 0
		.amdhsa_wavefront_size32 1
		.amdhsa_uses_dynamic_stack 0
		.amdhsa_enable_private_segment 0
		.amdhsa_system_sgpr_workgroup_id_x 1
		.amdhsa_system_sgpr_workgroup_id_y 0
		.amdhsa_system_sgpr_workgroup_id_z 0
		.amdhsa_system_sgpr_workgroup_info 0
		.amdhsa_system_vgpr_workitem_id 0
		.amdhsa_next_free_vgpr 1
		.amdhsa_next_free_sgpr 1
		.amdhsa_reserve_vcc 0
		.amdhsa_float_round_mode_32 0
		.amdhsa_float_round_mode_16_64 0
		.amdhsa_float_denorm_mode_32 3
		.amdhsa_float_denorm_mode_16_64 3
		.amdhsa_dx10_clamp 1
		.amdhsa_ieee_mode 1
		.amdhsa_fp16_overflow 0
		.amdhsa_workgroup_processor_mode 1
		.amdhsa_memory_ordered 1
		.amdhsa_forward_progress 0
		.amdhsa_shared_vgpr_count 0
		.amdhsa_exception_fp_ieee_invalid_op 0
		.amdhsa_exception_fp_denorm_src 0
		.amdhsa_exception_fp_ieee_div_zero 0
		.amdhsa_exception_fp_ieee_overflow 0
		.amdhsa_exception_fp_ieee_underflow 0
		.amdhsa_exception_fp_ieee_inexact 0
		.amdhsa_exception_int_div_zero 0
	.end_amdhsa_kernel
	.section	.text._ZN7rocprim17ROCPRIM_400000_NS6detail17trampoline_kernelINS0_14default_configENS1_25partition_config_selectorILNS1_17partition_subalgoE9EjjbEEZZNS1_14partition_implILS5_9ELb0ES3_jN6thrust23THRUST_200600_302600_NS6detail15normal_iteratorINS9_10device_ptrIjEEEESE_PNS0_10empty_typeENS0_5tupleIJSE_SF_EEENSH_IJSE_SG_EEENS0_18inequality_wrapperI22is_equal_div_10_uniqueIjEEEPmJSF_EEE10hipError_tPvRmT3_T4_T5_T6_T7_T9_mT8_P12ihipStream_tbDpT10_ENKUlT_T0_E_clISt17integral_constantIbLb1EES17_IbLb0EEEEDaS13_S14_EUlS13_E_NS1_11comp_targetILNS1_3genE2ELNS1_11target_archE906ELNS1_3gpuE6ELNS1_3repE0EEENS1_30default_config_static_selectorELNS0_4arch9wavefront6targetE0EEEvT1_,"axG",@progbits,_ZN7rocprim17ROCPRIM_400000_NS6detail17trampoline_kernelINS0_14default_configENS1_25partition_config_selectorILNS1_17partition_subalgoE9EjjbEEZZNS1_14partition_implILS5_9ELb0ES3_jN6thrust23THRUST_200600_302600_NS6detail15normal_iteratorINS9_10device_ptrIjEEEESE_PNS0_10empty_typeENS0_5tupleIJSE_SF_EEENSH_IJSE_SG_EEENS0_18inequality_wrapperI22is_equal_div_10_uniqueIjEEEPmJSF_EEE10hipError_tPvRmT3_T4_T5_T6_T7_T9_mT8_P12ihipStream_tbDpT10_ENKUlT_T0_E_clISt17integral_constantIbLb1EES17_IbLb0EEEEDaS13_S14_EUlS13_E_NS1_11comp_targetILNS1_3genE2ELNS1_11target_archE906ELNS1_3gpuE6ELNS1_3repE0EEENS1_30default_config_static_selectorELNS0_4arch9wavefront6targetE0EEEvT1_,comdat
.Lfunc_end262:
	.size	_ZN7rocprim17ROCPRIM_400000_NS6detail17trampoline_kernelINS0_14default_configENS1_25partition_config_selectorILNS1_17partition_subalgoE9EjjbEEZZNS1_14partition_implILS5_9ELb0ES3_jN6thrust23THRUST_200600_302600_NS6detail15normal_iteratorINS9_10device_ptrIjEEEESE_PNS0_10empty_typeENS0_5tupleIJSE_SF_EEENSH_IJSE_SG_EEENS0_18inequality_wrapperI22is_equal_div_10_uniqueIjEEEPmJSF_EEE10hipError_tPvRmT3_T4_T5_T6_T7_T9_mT8_P12ihipStream_tbDpT10_ENKUlT_T0_E_clISt17integral_constantIbLb1EES17_IbLb0EEEEDaS13_S14_EUlS13_E_NS1_11comp_targetILNS1_3genE2ELNS1_11target_archE906ELNS1_3gpuE6ELNS1_3repE0EEENS1_30default_config_static_selectorELNS0_4arch9wavefront6targetE0EEEvT1_, .Lfunc_end262-_ZN7rocprim17ROCPRIM_400000_NS6detail17trampoline_kernelINS0_14default_configENS1_25partition_config_selectorILNS1_17partition_subalgoE9EjjbEEZZNS1_14partition_implILS5_9ELb0ES3_jN6thrust23THRUST_200600_302600_NS6detail15normal_iteratorINS9_10device_ptrIjEEEESE_PNS0_10empty_typeENS0_5tupleIJSE_SF_EEENSH_IJSE_SG_EEENS0_18inequality_wrapperI22is_equal_div_10_uniqueIjEEEPmJSF_EEE10hipError_tPvRmT3_T4_T5_T6_T7_T9_mT8_P12ihipStream_tbDpT10_ENKUlT_T0_E_clISt17integral_constantIbLb1EES17_IbLb0EEEEDaS13_S14_EUlS13_E_NS1_11comp_targetILNS1_3genE2ELNS1_11target_archE906ELNS1_3gpuE6ELNS1_3repE0EEENS1_30default_config_static_selectorELNS0_4arch9wavefront6targetE0EEEvT1_
                                        ; -- End function
	.section	.AMDGPU.csdata,"",@progbits
; Kernel info:
; codeLenInByte = 0
; NumSgprs: 0
; NumVgprs: 0
; ScratchSize: 0
; MemoryBound: 0
; FloatMode: 240
; IeeeMode: 1
; LDSByteSize: 0 bytes/workgroup (compile time only)
; SGPRBlocks: 0
; VGPRBlocks: 0
; NumSGPRsForWavesPerEU: 1
; NumVGPRsForWavesPerEU: 1
; Occupancy: 16
; WaveLimiterHint : 0
; COMPUTE_PGM_RSRC2:SCRATCH_EN: 0
; COMPUTE_PGM_RSRC2:USER_SGPR: 15
; COMPUTE_PGM_RSRC2:TRAP_HANDLER: 0
; COMPUTE_PGM_RSRC2:TGID_X_EN: 1
; COMPUTE_PGM_RSRC2:TGID_Y_EN: 0
; COMPUTE_PGM_RSRC2:TGID_Z_EN: 0
; COMPUTE_PGM_RSRC2:TIDIG_COMP_CNT: 0
	.section	.text._ZN7rocprim17ROCPRIM_400000_NS6detail17trampoline_kernelINS0_14default_configENS1_25partition_config_selectorILNS1_17partition_subalgoE9EjjbEEZZNS1_14partition_implILS5_9ELb0ES3_jN6thrust23THRUST_200600_302600_NS6detail15normal_iteratorINS9_10device_ptrIjEEEESE_PNS0_10empty_typeENS0_5tupleIJSE_SF_EEENSH_IJSE_SG_EEENS0_18inequality_wrapperI22is_equal_div_10_uniqueIjEEEPmJSF_EEE10hipError_tPvRmT3_T4_T5_T6_T7_T9_mT8_P12ihipStream_tbDpT10_ENKUlT_T0_E_clISt17integral_constantIbLb1EES17_IbLb0EEEEDaS13_S14_EUlS13_E_NS1_11comp_targetILNS1_3genE10ELNS1_11target_archE1200ELNS1_3gpuE4ELNS1_3repE0EEENS1_30default_config_static_selectorELNS0_4arch9wavefront6targetE0EEEvT1_,"axG",@progbits,_ZN7rocprim17ROCPRIM_400000_NS6detail17trampoline_kernelINS0_14default_configENS1_25partition_config_selectorILNS1_17partition_subalgoE9EjjbEEZZNS1_14partition_implILS5_9ELb0ES3_jN6thrust23THRUST_200600_302600_NS6detail15normal_iteratorINS9_10device_ptrIjEEEESE_PNS0_10empty_typeENS0_5tupleIJSE_SF_EEENSH_IJSE_SG_EEENS0_18inequality_wrapperI22is_equal_div_10_uniqueIjEEEPmJSF_EEE10hipError_tPvRmT3_T4_T5_T6_T7_T9_mT8_P12ihipStream_tbDpT10_ENKUlT_T0_E_clISt17integral_constantIbLb1EES17_IbLb0EEEEDaS13_S14_EUlS13_E_NS1_11comp_targetILNS1_3genE10ELNS1_11target_archE1200ELNS1_3gpuE4ELNS1_3repE0EEENS1_30default_config_static_selectorELNS0_4arch9wavefront6targetE0EEEvT1_,comdat
	.protected	_ZN7rocprim17ROCPRIM_400000_NS6detail17trampoline_kernelINS0_14default_configENS1_25partition_config_selectorILNS1_17partition_subalgoE9EjjbEEZZNS1_14partition_implILS5_9ELb0ES3_jN6thrust23THRUST_200600_302600_NS6detail15normal_iteratorINS9_10device_ptrIjEEEESE_PNS0_10empty_typeENS0_5tupleIJSE_SF_EEENSH_IJSE_SG_EEENS0_18inequality_wrapperI22is_equal_div_10_uniqueIjEEEPmJSF_EEE10hipError_tPvRmT3_T4_T5_T6_T7_T9_mT8_P12ihipStream_tbDpT10_ENKUlT_T0_E_clISt17integral_constantIbLb1EES17_IbLb0EEEEDaS13_S14_EUlS13_E_NS1_11comp_targetILNS1_3genE10ELNS1_11target_archE1200ELNS1_3gpuE4ELNS1_3repE0EEENS1_30default_config_static_selectorELNS0_4arch9wavefront6targetE0EEEvT1_ ; -- Begin function _ZN7rocprim17ROCPRIM_400000_NS6detail17trampoline_kernelINS0_14default_configENS1_25partition_config_selectorILNS1_17partition_subalgoE9EjjbEEZZNS1_14partition_implILS5_9ELb0ES3_jN6thrust23THRUST_200600_302600_NS6detail15normal_iteratorINS9_10device_ptrIjEEEESE_PNS0_10empty_typeENS0_5tupleIJSE_SF_EEENSH_IJSE_SG_EEENS0_18inequality_wrapperI22is_equal_div_10_uniqueIjEEEPmJSF_EEE10hipError_tPvRmT3_T4_T5_T6_T7_T9_mT8_P12ihipStream_tbDpT10_ENKUlT_T0_E_clISt17integral_constantIbLb1EES17_IbLb0EEEEDaS13_S14_EUlS13_E_NS1_11comp_targetILNS1_3genE10ELNS1_11target_archE1200ELNS1_3gpuE4ELNS1_3repE0EEENS1_30default_config_static_selectorELNS0_4arch9wavefront6targetE0EEEvT1_
	.globl	_ZN7rocprim17ROCPRIM_400000_NS6detail17trampoline_kernelINS0_14default_configENS1_25partition_config_selectorILNS1_17partition_subalgoE9EjjbEEZZNS1_14partition_implILS5_9ELb0ES3_jN6thrust23THRUST_200600_302600_NS6detail15normal_iteratorINS9_10device_ptrIjEEEESE_PNS0_10empty_typeENS0_5tupleIJSE_SF_EEENSH_IJSE_SG_EEENS0_18inequality_wrapperI22is_equal_div_10_uniqueIjEEEPmJSF_EEE10hipError_tPvRmT3_T4_T5_T6_T7_T9_mT8_P12ihipStream_tbDpT10_ENKUlT_T0_E_clISt17integral_constantIbLb1EES17_IbLb0EEEEDaS13_S14_EUlS13_E_NS1_11comp_targetILNS1_3genE10ELNS1_11target_archE1200ELNS1_3gpuE4ELNS1_3repE0EEENS1_30default_config_static_selectorELNS0_4arch9wavefront6targetE0EEEvT1_
	.p2align	8
	.type	_ZN7rocprim17ROCPRIM_400000_NS6detail17trampoline_kernelINS0_14default_configENS1_25partition_config_selectorILNS1_17partition_subalgoE9EjjbEEZZNS1_14partition_implILS5_9ELb0ES3_jN6thrust23THRUST_200600_302600_NS6detail15normal_iteratorINS9_10device_ptrIjEEEESE_PNS0_10empty_typeENS0_5tupleIJSE_SF_EEENSH_IJSE_SG_EEENS0_18inequality_wrapperI22is_equal_div_10_uniqueIjEEEPmJSF_EEE10hipError_tPvRmT3_T4_T5_T6_T7_T9_mT8_P12ihipStream_tbDpT10_ENKUlT_T0_E_clISt17integral_constantIbLb1EES17_IbLb0EEEEDaS13_S14_EUlS13_E_NS1_11comp_targetILNS1_3genE10ELNS1_11target_archE1200ELNS1_3gpuE4ELNS1_3repE0EEENS1_30default_config_static_selectorELNS0_4arch9wavefront6targetE0EEEvT1_,@function
_ZN7rocprim17ROCPRIM_400000_NS6detail17trampoline_kernelINS0_14default_configENS1_25partition_config_selectorILNS1_17partition_subalgoE9EjjbEEZZNS1_14partition_implILS5_9ELb0ES3_jN6thrust23THRUST_200600_302600_NS6detail15normal_iteratorINS9_10device_ptrIjEEEESE_PNS0_10empty_typeENS0_5tupleIJSE_SF_EEENSH_IJSE_SG_EEENS0_18inequality_wrapperI22is_equal_div_10_uniqueIjEEEPmJSF_EEE10hipError_tPvRmT3_T4_T5_T6_T7_T9_mT8_P12ihipStream_tbDpT10_ENKUlT_T0_E_clISt17integral_constantIbLb1EES17_IbLb0EEEEDaS13_S14_EUlS13_E_NS1_11comp_targetILNS1_3genE10ELNS1_11target_archE1200ELNS1_3gpuE4ELNS1_3repE0EEENS1_30default_config_static_selectorELNS0_4arch9wavefront6targetE0EEEvT1_: ; @_ZN7rocprim17ROCPRIM_400000_NS6detail17trampoline_kernelINS0_14default_configENS1_25partition_config_selectorILNS1_17partition_subalgoE9EjjbEEZZNS1_14partition_implILS5_9ELb0ES3_jN6thrust23THRUST_200600_302600_NS6detail15normal_iteratorINS9_10device_ptrIjEEEESE_PNS0_10empty_typeENS0_5tupleIJSE_SF_EEENSH_IJSE_SG_EEENS0_18inequality_wrapperI22is_equal_div_10_uniqueIjEEEPmJSF_EEE10hipError_tPvRmT3_T4_T5_T6_T7_T9_mT8_P12ihipStream_tbDpT10_ENKUlT_T0_E_clISt17integral_constantIbLb1EES17_IbLb0EEEEDaS13_S14_EUlS13_E_NS1_11comp_targetILNS1_3genE10ELNS1_11target_archE1200ELNS1_3gpuE4ELNS1_3repE0EEENS1_30default_config_static_selectorELNS0_4arch9wavefront6targetE0EEEvT1_
; %bb.0:
	.section	.rodata,"a",@progbits
	.p2align	6, 0x0
	.amdhsa_kernel _ZN7rocprim17ROCPRIM_400000_NS6detail17trampoline_kernelINS0_14default_configENS1_25partition_config_selectorILNS1_17partition_subalgoE9EjjbEEZZNS1_14partition_implILS5_9ELb0ES3_jN6thrust23THRUST_200600_302600_NS6detail15normal_iteratorINS9_10device_ptrIjEEEESE_PNS0_10empty_typeENS0_5tupleIJSE_SF_EEENSH_IJSE_SG_EEENS0_18inequality_wrapperI22is_equal_div_10_uniqueIjEEEPmJSF_EEE10hipError_tPvRmT3_T4_T5_T6_T7_T9_mT8_P12ihipStream_tbDpT10_ENKUlT_T0_E_clISt17integral_constantIbLb1EES17_IbLb0EEEEDaS13_S14_EUlS13_E_NS1_11comp_targetILNS1_3genE10ELNS1_11target_archE1200ELNS1_3gpuE4ELNS1_3repE0EEENS1_30default_config_static_selectorELNS0_4arch9wavefront6targetE0EEEvT1_
		.amdhsa_group_segment_fixed_size 0
		.amdhsa_private_segment_fixed_size 0
		.amdhsa_kernarg_size 112
		.amdhsa_user_sgpr_count 15
		.amdhsa_user_sgpr_dispatch_ptr 0
		.amdhsa_user_sgpr_queue_ptr 0
		.amdhsa_user_sgpr_kernarg_segment_ptr 1
		.amdhsa_user_sgpr_dispatch_id 0
		.amdhsa_user_sgpr_private_segment_size 0
		.amdhsa_wavefront_size32 1
		.amdhsa_uses_dynamic_stack 0
		.amdhsa_enable_private_segment 0
		.amdhsa_system_sgpr_workgroup_id_x 1
		.amdhsa_system_sgpr_workgroup_id_y 0
		.amdhsa_system_sgpr_workgroup_id_z 0
		.amdhsa_system_sgpr_workgroup_info 0
		.amdhsa_system_vgpr_workitem_id 0
		.amdhsa_next_free_vgpr 1
		.amdhsa_next_free_sgpr 1
		.amdhsa_reserve_vcc 0
		.amdhsa_float_round_mode_32 0
		.amdhsa_float_round_mode_16_64 0
		.amdhsa_float_denorm_mode_32 3
		.amdhsa_float_denorm_mode_16_64 3
		.amdhsa_dx10_clamp 1
		.amdhsa_ieee_mode 1
		.amdhsa_fp16_overflow 0
		.amdhsa_workgroup_processor_mode 1
		.amdhsa_memory_ordered 1
		.amdhsa_forward_progress 0
		.amdhsa_shared_vgpr_count 0
		.amdhsa_exception_fp_ieee_invalid_op 0
		.amdhsa_exception_fp_denorm_src 0
		.amdhsa_exception_fp_ieee_div_zero 0
		.amdhsa_exception_fp_ieee_overflow 0
		.amdhsa_exception_fp_ieee_underflow 0
		.amdhsa_exception_fp_ieee_inexact 0
		.amdhsa_exception_int_div_zero 0
	.end_amdhsa_kernel
	.section	.text._ZN7rocprim17ROCPRIM_400000_NS6detail17trampoline_kernelINS0_14default_configENS1_25partition_config_selectorILNS1_17partition_subalgoE9EjjbEEZZNS1_14partition_implILS5_9ELb0ES3_jN6thrust23THRUST_200600_302600_NS6detail15normal_iteratorINS9_10device_ptrIjEEEESE_PNS0_10empty_typeENS0_5tupleIJSE_SF_EEENSH_IJSE_SG_EEENS0_18inequality_wrapperI22is_equal_div_10_uniqueIjEEEPmJSF_EEE10hipError_tPvRmT3_T4_T5_T6_T7_T9_mT8_P12ihipStream_tbDpT10_ENKUlT_T0_E_clISt17integral_constantIbLb1EES17_IbLb0EEEEDaS13_S14_EUlS13_E_NS1_11comp_targetILNS1_3genE10ELNS1_11target_archE1200ELNS1_3gpuE4ELNS1_3repE0EEENS1_30default_config_static_selectorELNS0_4arch9wavefront6targetE0EEEvT1_,"axG",@progbits,_ZN7rocprim17ROCPRIM_400000_NS6detail17trampoline_kernelINS0_14default_configENS1_25partition_config_selectorILNS1_17partition_subalgoE9EjjbEEZZNS1_14partition_implILS5_9ELb0ES3_jN6thrust23THRUST_200600_302600_NS6detail15normal_iteratorINS9_10device_ptrIjEEEESE_PNS0_10empty_typeENS0_5tupleIJSE_SF_EEENSH_IJSE_SG_EEENS0_18inequality_wrapperI22is_equal_div_10_uniqueIjEEEPmJSF_EEE10hipError_tPvRmT3_T4_T5_T6_T7_T9_mT8_P12ihipStream_tbDpT10_ENKUlT_T0_E_clISt17integral_constantIbLb1EES17_IbLb0EEEEDaS13_S14_EUlS13_E_NS1_11comp_targetILNS1_3genE10ELNS1_11target_archE1200ELNS1_3gpuE4ELNS1_3repE0EEENS1_30default_config_static_selectorELNS0_4arch9wavefront6targetE0EEEvT1_,comdat
.Lfunc_end263:
	.size	_ZN7rocprim17ROCPRIM_400000_NS6detail17trampoline_kernelINS0_14default_configENS1_25partition_config_selectorILNS1_17partition_subalgoE9EjjbEEZZNS1_14partition_implILS5_9ELb0ES3_jN6thrust23THRUST_200600_302600_NS6detail15normal_iteratorINS9_10device_ptrIjEEEESE_PNS0_10empty_typeENS0_5tupleIJSE_SF_EEENSH_IJSE_SG_EEENS0_18inequality_wrapperI22is_equal_div_10_uniqueIjEEEPmJSF_EEE10hipError_tPvRmT3_T4_T5_T6_T7_T9_mT8_P12ihipStream_tbDpT10_ENKUlT_T0_E_clISt17integral_constantIbLb1EES17_IbLb0EEEEDaS13_S14_EUlS13_E_NS1_11comp_targetILNS1_3genE10ELNS1_11target_archE1200ELNS1_3gpuE4ELNS1_3repE0EEENS1_30default_config_static_selectorELNS0_4arch9wavefront6targetE0EEEvT1_, .Lfunc_end263-_ZN7rocprim17ROCPRIM_400000_NS6detail17trampoline_kernelINS0_14default_configENS1_25partition_config_selectorILNS1_17partition_subalgoE9EjjbEEZZNS1_14partition_implILS5_9ELb0ES3_jN6thrust23THRUST_200600_302600_NS6detail15normal_iteratorINS9_10device_ptrIjEEEESE_PNS0_10empty_typeENS0_5tupleIJSE_SF_EEENSH_IJSE_SG_EEENS0_18inequality_wrapperI22is_equal_div_10_uniqueIjEEEPmJSF_EEE10hipError_tPvRmT3_T4_T5_T6_T7_T9_mT8_P12ihipStream_tbDpT10_ENKUlT_T0_E_clISt17integral_constantIbLb1EES17_IbLb0EEEEDaS13_S14_EUlS13_E_NS1_11comp_targetILNS1_3genE10ELNS1_11target_archE1200ELNS1_3gpuE4ELNS1_3repE0EEENS1_30default_config_static_selectorELNS0_4arch9wavefront6targetE0EEEvT1_
                                        ; -- End function
	.section	.AMDGPU.csdata,"",@progbits
; Kernel info:
; codeLenInByte = 0
; NumSgprs: 0
; NumVgprs: 0
; ScratchSize: 0
; MemoryBound: 0
; FloatMode: 240
; IeeeMode: 1
; LDSByteSize: 0 bytes/workgroup (compile time only)
; SGPRBlocks: 0
; VGPRBlocks: 0
; NumSGPRsForWavesPerEU: 1
; NumVGPRsForWavesPerEU: 1
; Occupancy: 15
; WaveLimiterHint : 0
; COMPUTE_PGM_RSRC2:SCRATCH_EN: 0
; COMPUTE_PGM_RSRC2:USER_SGPR: 15
; COMPUTE_PGM_RSRC2:TRAP_HANDLER: 0
; COMPUTE_PGM_RSRC2:TGID_X_EN: 1
; COMPUTE_PGM_RSRC2:TGID_Y_EN: 0
; COMPUTE_PGM_RSRC2:TGID_Z_EN: 0
; COMPUTE_PGM_RSRC2:TIDIG_COMP_CNT: 0
	.section	.text._ZN7rocprim17ROCPRIM_400000_NS6detail17trampoline_kernelINS0_14default_configENS1_25partition_config_selectorILNS1_17partition_subalgoE9EjjbEEZZNS1_14partition_implILS5_9ELb0ES3_jN6thrust23THRUST_200600_302600_NS6detail15normal_iteratorINS9_10device_ptrIjEEEESE_PNS0_10empty_typeENS0_5tupleIJSE_SF_EEENSH_IJSE_SG_EEENS0_18inequality_wrapperI22is_equal_div_10_uniqueIjEEEPmJSF_EEE10hipError_tPvRmT3_T4_T5_T6_T7_T9_mT8_P12ihipStream_tbDpT10_ENKUlT_T0_E_clISt17integral_constantIbLb1EES17_IbLb0EEEEDaS13_S14_EUlS13_E_NS1_11comp_targetILNS1_3genE9ELNS1_11target_archE1100ELNS1_3gpuE3ELNS1_3repE0EEENS1_30default_config_static_selectorELNS0_4arch9wavefront6targetE0EEEvT1_,"axG",@progbits,_ZN7rocprim17ROCPRIM_400000_NS6detail17trampoline_kernelINS0_14default_configENS1_25partition_config_selectorILNS1_17partition_subalgoE9EjjbEEZZNS1_14partition_implILS5_9ELb0ES3_jN6thrust23THRUST_200600_302600_NS6detail15normal_iteratorINS9_10device_ptrIjEEEESE_PNS0_10empty_typeENS0_5tupleIJSE_SF_EEENSH_IJSE_SG_EEENS0_18inequality_wrapperI22is_equal_div_10_uniqueIjEEEPmJSF_EEE10hipError_tPvRmT3_T4_T5_T6_T7_T9_mT8_P12ihipStream_tbDpT10_ENKUlT_T0_E_clISt17integral_constantIbLb1EES17_IbLb0EEEEDaS13_S14_EUlS13_E_NS1_11comp_targetILNS1_3genE9ELNS1_11target_archE1100ELNS1_3gpuE3ELNS1_3repE0EEENS1_30default_config_static_selectorELNS0_4arch9wavefront6targetE0EEEvT1_,comdat
	.protected	_ZN7rocprim17ROCPRIM_400000_NS6detail17trampoline_kernelINS0_14default_configENS1_25partition_config_selectorILNS1_17partition_subalgoE9EjjbEEZZNS1_14partition_implILS5_9ELb0ES3_jN6thrust23THRUST_200600_302600_NS6detail15normal_iteratorINS9_10device_ptrIjEEEESE_PNS0_10empty_typeENS0_5tupleIJSE_SF_EEENSH_IJSE_SG_EEENS0_18inequality_wrapperI22is_equal_div_10_uniqueIjEEEPmJSF_EEE10hipError_tPvRmT3_T4_T5_T6_T7_T9_mT8_P12ihipStream_tbDpT10_ENKUlT_T0_E_clISt17integral_constantIbLb1EES17_IbLb0EEEEDaS13_S14_EUlS13_E_NS1_11comp_targetILNS1_3genE9ELNS1_11target_archE1100ELNS1_3gpuE3ELNS1_3repE0EEENS1_30default_config_static_selectorELNS0_4arch9wavefront6targetE0EEEvT1_ ; -- Begin function _ZN7rocprim17ROCPRIM_400000_NS6detail17trampoline_kernelINS0_14default_configENS1_25partition_config_selectorILNS1_17partition_subalgoE9EjjbEEZZNS1_14partition_implILS5_9ELb0ES3_jN6thrust23THRUST_200600_302600_NS6detail15normal_iteratorINS9_10device_ptrIjEEEESE_PNS0_10empty_typeENS0_5tupleIJSE_SF_EEENSH_IJSE_SG_EEENS0_18inequality_wrapperI22is_equal_div_10_uniqueIjEEEPmJSF_EEE10hipError_tPvRmT3_T4_T5_T6_T7_T9_mT8_P12ihipStream_tbDpT10_ENKUlT_T0_E_clISt17integral_constantIbLb1EES17_IbLb0EEEEDaS13_S14_EUlS13_E_NS1_11comp_targetILNS1_3genE9ELNS1_11target_archE1100ELNS1_3gpuE3ELNS1_3repE0EEENS1_30default_config_static_selectorELNS0_4arch9wavefront6targetE0EEEvT1_
	.globl	_ZN7rocprim17ROCPRIM_400000_NS6detail17trampoline_kernelINS0_14default_configENS1_25partition_config_selectorILNS1_17partition_subalgoE9EjjbEEZZNS1_14partition_implILS5_9ELb0ES3_jN6thrust23THRUST_200600_302600_NS6detail15normal_iteratorINS9_10device_ptrIjEEEESE_PNS0_10empty_typeENS0_5tupleIJSE_SF_EEENSH_IJSE_SG_EEENS0_18inequality_wrapperI22is_equal_div_10_uniqueIjEEEPmJSF_EEE10hipError_tPvRmT3_T4_T5_T6_T7_T9_mT8_P12ihipStream_tbDpT10_ENKUlT_T0_E_clISt17integral_constantIbLb1EES17_IbLb0EEEEDaS13_S14_EUlS13_E_NS1_11comp_targetILNS1_3genE9ELNS1_11target_archE1100ELNS1_3gpuE3ELNS1_3repE0EEENS1_30default_config_static_selectorELNS0_4arch9wavefront6targetE0EEEvT1_
	.p2align	8
	.type	_ZN7rocprim17ROCPRIM_400000_NS6detail17trampoline_kernelINS0_14default_configENS1_25partition_config_selectorILNS1_17partition_subalgoE9EjjbEEZZNS1_14partition_implILS5_9ELb0ES3_jN6thrust23THRUST_200600_302600_NS6detail15normal_iteratorINS9_10device_ptrIjEEEESE_PNS0_10empty_typeENS0_5tupleIJSE_SF_EEENSH_IJSE_SG_EEENS0_18inequality_wrapperI22is_equal_div_10_uniqueIjEEEPmJSF_EEE10hipError_tPvRmT3_T4_T5_T6_T7_T9_mT8_P12ihipStream_tbDpT10_ENKUlT_T0_E_clISt17integral_constantIbLb1EES17_IbLb0EEEEDaS13_S14_EUlS13_E_NS1_11comp_targetILNS1_3genE9ELNS1_11target_archE1100ELNS1_3gpuE3ELNS1_3repE0EEENS1_30default_config_static_selectorELNS0_4arch9wavefront6targetE0EEEvT1_,@function
_ZN7rocprim17ROCPRIM_400000_NS6detail17trampoline_kernelINS0_14default_configENS1_25partition_config_selectorILNS1_17partition_subalgoE9EjjbEEZZNS1_14partition_implILS5_9ELb0ES3_jN6thrust23THRUST_200600_302600_NS6detail15normal_iteratorINS9_10device_ptrIjEEEESE_PNS0_10empty_typeENS0_5tupleIJSE_SF_EEENSH_IJSE_SG_EEENS0_18inequality_wrapperI22is_equal_div_10_uniqueIjEEEPmJSF_EEE10hipError_tPvRmT3_T4_T5_T6_T7_T9_mT8_P12ihipStream_tbDpT10_ENKUlT_T0_E_clISt17integral_constantIbLb1EES17_IbLb0EEEEDaS13_S14_EUlS13_E_NS1_11comp_targetILNS1_3genE9ELNS1_11target_archE1100ELNS1_3gpuE3ELNS1_3repE0EEENS1_30default_config_static_selectorELNS0_4arch9wavefront6targetE0EEEvT1_: ; @_ZN7rocprim17ROCPRIM_400000_NS6detail17trampoline_kernelINS0_14default_configENS1_25partition_config_selectorILNS1_17partition_subalgoE9EjjbEEZZNS1_14partition_implILS5_9ELb0ES3_jN6thrust23THRUST_200600_302600_NS6detail15normal_iteratorINS9_10device_ptrIjEEEESE_PNS0_10empty_typeENS0_5tupleIJSE_SF_EEENSH_IJSE_SG_EEENS0_18inequality_wrapperI22is_equal_div_10_uniqueIjEEEPmJSF_EEE10hipError_tPvRmT3_T4_T5_T6_T7_T9_mT8_P12ihipStream_tbDpT10_ENKUlT_T0_E_clISt17integral_constantIbLb1EES17_IbLb0EEEEDaS13_S14_EUlS13_E_NS1_11comp_targetILNS1_3genE9ELNS1_11target_archE1100ELNS1_3gpuE3ELNS1_3repE0EEENS1_30default_config_static_selectorELNS0_4arch9wavefront6targetE0EEEvT1_
; %bb.0:
	s_clause 0x4
	s_load_b128 s[4:7], s[0:1], 0x8
	s_load_b32 s14, s[0:1], 0x68
	s_load_b128 s[16:19], s[0:1], 0x40
	s_load_b64 s[2:3], s[0:1], 0x50
	s_load_b64 s[8:9], s[0:1], 0x18
	s_mov_b32 s21, 0
	s_mul_i32 s20, s15, 0xc00
	v_lshrrev_b32_e32 v18, 3, v0
	v_add_nc_u32_e32 v23, 0x180, v0
	v_add_nc_u32_e32 v22, 0x300, v0
	;; [unrolled: 1-line block ×3, first 2 shown]
	v_or_b32_e32 v24, 0x600, v0
	v_add_nc_u32_e32 v20, 0x780, v0
	v_add_nc_u32_e32 v17, 0x900, v0
	;; [unrolled: 1-line block ×3, first 2 shown]
	s_waitcnt lgkmcnt(0)
	s_lshl_b64 s[12:13], s[6:7], 2
	s_mul_i32 s22, s14, 0xc00
	s_add_u32 s23, s4, s12
	s_addc_u32 s24, s5, s13
	s_add_i32 s4, s22, s6
	s_load_b64 s[10:11], s[18:19], 0x0
	s_sub_i32 s19, s2, s4
	s_add_i32 s14, s14, -1
	s_addk_i32 s19, 0xc00
	s_add_u32 s4, s6, s22
	s_addc_u32 s5, s7, 0
	s_cmp_eq_u32 s15, s14
	v_cmp_ge_u64_e64 s2, s[4:5], s[2:3]
	s_cselect_b32 s14, -1, 0
	s_lshl_b64 s[4:5], s[20:21], 2
	s_mov_b32 s22, -1
	s_delay_alu instid0(VALU_DEP_1) | instskip(NEXT) | instid1(SALU_CYCLE_1)
	s_and_b32 s3, s14, s2
	s_xor_b32 s18, s3, -1
	s_add_u32 s21, s23, s4
	s_addc_u32 s20, s24, s5
	s_and_b32 vcc_lo, exec_lo, s18
	s_cbranch_vccz .LBB264_2
; %bb.1:
	v_lshlrev_b32_e32 v7, 2, v0
	v_lshrrev_b32_e32 v11, 3, v23
	v_lshrrev_b32_e32 v12, 3, v22
	;; [unrolled: 1-line block ×4, first 2 shown]
	v_add_co_u32 v1, s2, s21, v7
	s_delay_alu instid0(VALU_DEP_1) | instskip(SKIP_1) | instid1(VALU_DEP_3)
	v_add_co_ci_u32_e64 v2, null, s20, 0, s2
	v_lshrrev_b32_e32 v15, 3, v20
	v_add_co_u32 v3, vcc_lo, 0x1000, v1
	s_delay_alu instid0(VALU_DEP_3)
	v_add_co_ci_u32_e32 v4, vcc_lo, 0, v2, vcc_lo
	v_add_co_u32 v5, vcc_lo, 0x2000, v1
	v_add_co_ci_u32_e32 v6, vcc_lo, 0, v2, vcc_lo
	s_clause 0x7
	flat_load_b32 v8, v[1:2]
	flat_load_b32 v9, v[1:2] offset:1536
	flat_load_b32 v1, v[1:2] offset:3072
	;; [unrolled: 1-line block ×7, first 2 shown]
	v_and_b32_e32 v6, 60, v18
	v_lshrrev_b32_e32 v16, 3, v17
	v_lshrrev_b32_e32 v19, 3, v21
	v_and_b32_e32 v11, 0x7c, v11
	v_and_b32_e32 v12, 0xfc, v12
	;; [unrolled: 1-line block ×4, first 2 shown]
	v_add_nc_u32_e32 v6, v6, v7
	v_and_b32_e32 v15, 0x1fc, v15
	v_and_b32_e32 v16, 0x17c, v16
	;; [unrolled: 1-line block ×3, first 2 shown]
	v_add_nc_u32_e32 v11, v11, v7
	v_add_nc_u32_e32 v12, v12, v7
	;; [unrolled: 1-line block ×4, first 2 shown]
	s_mov_b32 s22, 0
	v_add_nc_u32_e32 v15, v15, v7
	v_add_nc_u32_e32 v16, v16, v7
	;; [unrolled: 1-line block ×3, first 2 shown]
	s_waitcnt vmcnt(7) lgkmcnt(0)
	ds_store_b32 v6, v8
	s_waitcnt vmcnt(6)
	ds_store_b32 v11, v9 offset:1536
	s_waitcnt vmcnt(5)
	ds_store_b32 v12, v1 offset:3072
	;; [unrolled: 2-line block ×7, first 2 shown]
	s_waitcnt lgkmcnt(0)
	s_barrier
.LBB264_2:
	v_cmp_gt_u32_e64 s2, s19, v0
	s_and_not1_b32 vcc_lo, exec_lo, s22
	s_cbranch_vccnz .LBB264_20
; %bb.3:
                                        ; implicit-def: $vgpr1_vgpr2_vgpr3_vgpr4_vgpr5_vgpr6_vgpr7_vgpr8
	s_delay_alu instid0(VALU_DEP_1)
	s_and_saveexec_b32 s22, s2
	s_cbranch_execz .LBB264_11
; %bb.4:
	v_lshlrev_b32_e32 v1, 2, v0
	s_delay_alu instid0(VALU_DEP_1) | instskip(NEXT) | instid1(VALU_DEP_1)
	v_add_co_u32 v1, s2, s21, v1
	v_add_co_ci_u32_e64 v2, null, s20, 0, s2
	flat_load_b32 v1, v[1:2]
	s_or_b32 exec_lo, exec_lo, s22
	s_delay_alu instid0(SALU_CYCLE_1)
	s_mov_b32 s2, exec_lo
	v_cmpx_gt_u32_e64 s19, v23
	s_cbranch_execnz .LBB264_12
.LBB264_5:
	s_or_b32 exec_lo, exec_lo, s2
	s_delay_alu instid0(SALU_CYCLE_1)
	s_mov_b32 s2, exec_lo
	v_cmpx_gt_u32_e64 s19, v22
	s_cbranch_execz .LBB264_13
.LBB264_6:
	v_lshlrev_b32_e32 v3, 2, v0
	s_delay_alu instid0(VALU_DEP_1) | instskip(NEXT) | instid1(VALU_DEP_1)
	v_add_co_u32 v9, s22, s21, v3
	v_add_co_ci_u32_e64 v10, null, s20, 0, s22
	flat_load_b32 v3, v[9:10] offset:3072
	s_or_b32 exec_lo, exec_lo, s2
	s_delay_alu instid0(SALU_CYCLE_1)
	s_mov_b32 s2, exec_lo
	v_cmpx_gt_u32_e64 s19, v25
	s_cbranch_execnz .LBB264_14
.LBB264_7:
	s_or_b32 exec_lo, exec_lo, s2
	s_delay_alu instid0(SALU_CYCLE_1)
	s_mov_b32 s2, exec_lo
	v_cmpx_gt_u32_e64 s19, v24
	s_cbranch_execz .LBB264_15
.LBB264_8:
	v_lshlrev_b32_e32 v5, 2, v24
	s_delay_alu instid0(VALU_DEP_1) | instskip(NEXT) | instid1(VALU_DEP_1)
	v_add_co_u32 v9, s22, s21, v5
	v_add_co_ci_u32_e64 v10, null, s20, 0, s22
	flat_load_b32 v5, v[9:10]
	s_or_b32 exec_lo, exec_lo, s2
	s_delay_alu instid0(SALU_CYCLE_1)
	s_mov_b32 s2, exec_lo
	v_cmpx_gt_u32_e64 s19, v20
	s_cbranch_execnz .LBB264_16
.LBB264_9:
	s_or_b32 exec_lo, exec_lo, s2
	s_delay_alu instid0(SALU_CYCLE_1)
	s_mov_b32 s2, exec_lo
	v_cmpx_gt_u32_e64 s19, v17
	s_cbranch_execz .LBB264_17
.LBB264_10:
	v_lshlrev_b32_e32 v7, 2, v17
	s_delay_alu instid0(VALU_DEP_1) | instskip(NEXT) | instid1(VALU_DEP_1)
	v_add_co_u32 v9, s22, s21, v7
	v_add_co_ci_u32_e64 v10, null, s20, 0, s22
	flat_load_b32 v7, v[9:10]
	s_or_b32 exec_lo, exec_lo, s2
	s_delay_alu instid0(SALU_CYCLE_1)
	s_mov_b32 s2, exec_lo
	v_cmpx_gt_u32_e64 s19, v21
	s_cbranch_execnz .LBB264_18
	s_branch .LBB264_19
.LBB264_11:
	s_or_b32 exec_lo, exec_lo, s22
	s_delay_alu instid0(SALU_CYCLE_1)
	s_mov_b32 s2, exec_lo
	v_cmpx_gt_u32_e64 s19, v23
	s_cbranch_execz .LBB264_5
.LBB264_12:
	v_lshlrev_b32_e32 v2, 2, v0
	s_delay_alu instid0(VALU_DEP_1) | instskip(NEXT) | instid1(VALU_DEP_1)
	v_add_co_u32 v9, s22, s21, v2
	v_add_co_ci_u32_e64 v10, null, s20, 0, s22
	flat_load_b32 v2, v[9:10] offset:1536
	s_or_b32 exec_lo, exec_lo, s2
	s_delay_alu instid0(SALU_CYCLE_1)
	s_mov_b32 s2, exec_lo
	v_cmpx_gt_u32_e64 s19, v22
	s_cbranch_execnz .LBB264_6
.LBB264_13:
	s_or_b32 exec_lo, exec_lo, s2
	s_delay_alu instid0(SALU_CYCLE_1)
	s_mov_b32 s2, exec_lo
	v_cmpx_gt_u32_e64 s19, v25
	s_cbranch_execz .LBB264_7
.LBB264_14:
	v_lshlrev_b32_e32 v4, 2, v25
	s_delay_alu instid0(VALU_DEP_1) | instskip(NEXT) | instid1(VALU_DEP_1)
	v_add_co_u32 v9, s22, s21, v4
	v_add_co_ci_u32_e64 v10, null, s20, 0, s22
	flat_load_b32 v4, v[9:10]
	s_or_b32 exec_lo, exec_lo, s2
	s_delay_alu instid0(SALU_CYCLE_1)
	s_mov_b32 s2, exec_lo
	v_cmpx_gt_u32_e64 s19, v24
	s_cbranch_execnz .LBB264_8
.LBB264_15:
	s_or_b32 exec_lo, exec_lo, s2
	s_delay_alu instid0(SALU_CYCLE_1)
	s_mov_b32 s2, exec_lo
	v_cmpx_gt_u32_e64 s19, v20
	s_cbranch_execz .LBB264_9
.LBB264_16:
	v_lshlrev_b32_e32 v6, 2, v20
	s_delay_alu instid0(VALU_DEP_1) | instskip(NEXT) | instid1(VALU_DEP_1)
	v_add_co_u32 v9, s22, s21, v6
	v_add_co_ci_u32_e64 v10, null, s20, 0, s22
	flat_load_b32 v6, v[9:10]
	s_or_b32 exec_lo, exec_lo, s2
	s_delay_alu instid0(SALU_CYCLE_1)
	s_mov_b32 s2, exec_lo
	v_cmpx_gt_u32_e64 s19, v17
	s_cbranch_execnz .LBB264_10
.LBB264_17:
	s_or_b32 exec_lo, exec_lo, s2
	s_delay_alu instid0(SALU_CYCLE_1)
	s_mov_b32 s2, exec_lo
	v_cmpx_gt_u32_e64 s19, v21
	s_cbranch_execz .LBB264_19
.LBB264_18:
	v_lshlrev_b32_e32 v8, 2, v21
	s_delay_alu instid0(VALU_DEP_1) | instskip(NEXT) | instid1(VALU_DEP_1)
	v_add_co_u32 v8, s22, s21, v8
	v_add_co_ci_u32_e64 v9, null, s20, 0, s22
	flat_load_b32 v8, v[8:9]
.LBB264_19:
	s_or_b32 exec_lo, exec_lo, s2
	v_lshrrev_b32_e32 v9, 3, v23
	v_lshrrev_b32_e32 v10, 3, v22
	;; [unrolled: 1-line block ×4, first 2 shown]
	v_and_b32_e32 v11, 60, v18
	v_lshlrev_b32_e32 v12, 2, v0
	v_lshrrev_b32_e32 v15, 3, v20
	v_lshrrev_b32_e32 v16, 3, v17
	;; [unrolled: 1-line block ×3, first 2 shown]
	v_and_b32_e32 v9, 0x7c, v9
	v_and_b32_e32 v10, 0xfc, v10
	;; [unrolled: 1-line block ×4, first 2 shown]
	v_add_nc_u32_e32 v11, v11, v12
	v_and_b32_e32 v15, 0x1fc, v15
	v_and_b32_e32 v16, 0x1fc, v16
	v_and_b32_e32 v19, 0x1fc, v19
	v_add_nc_u32_e32 v9, v9, v12
	v_add_nc_u32_e32 v10, v10, v12
	v_add_nc_u32_e32 v13, v13, v12
	v_add_nc_u32_e32 v14, v14, v12
	v_add_nc_u32_e32 v15, v15, v12
	v_add_nc_u32_e32 v16, v16, v12
	v_add_nc_u32_e32 v12, v19, v12
	s_waitcnt vmcnt(0) lgkmcnt(0)
	ds_store_b32 v11, v1
	ds_store_b32 v9, v2 offset:1536
	ds_store_b32 v10, v3 offset:3072
	;; [unrolled: 1-line block ×7, first 2 shown]
	s_waitcnt lgkmcnt(0)
	s_barrier
.LBB264_20:
	v_lshlrev_b32_e32 v19, 3, v0
	v_lshrrev_b32_e32 v1, 2, v0
	s_waitcnt lgkmcnt(0)
	buffer_gl0_inv
	s_add_u32 s2, s8, s12
	s_addc_u32 s8, s9, s13
	s_add_u32 s2, s2, s4
	v_add_lshl_u32 v1, v1, v19, 2
	s_addc_u32 s4, s8, s5
	s_and_b32 vcc_lo, exec_lo, s18
	s_mov_b32 s5, -1
	ds_load_2addr_b32 v[15:16], v1 offset1:1
	ds_load_2addr_b32 v[13:14], v1 offset0:2 offset1:3
	ds_load_2addr_b32 v[11:12], v1 offset0:4 offset1:5
	;; [unrolled: 1-line block ×3, first 2 shown]
	s_waitcnt lgkmcnt(0)
	s_barrier
	buffer_gl0_inv
	s_cbranch_vccz .LBB264_22
; %bb.21:
	v_lshlrev_b32_e32 v8, 2, v0
	v_lshrrev_b32_e32 v29, 3, v23
	v_lshrrev_b32_e32 v30, 3, v22
	;; [unrolled: 1-line block ×4, first 2 shown]
	v_add_co_u32 v2, s5, s2, v8
	s_delay_alu instid0(VALU_DEP_1) | instskip(SKIP_1) | instid1(VALU_DEP_3)
	v_add_co_ci_u32_e64 v3, null, s4, 0, s5
	v_lshrrev_b32_e32 v33, 3, v20
	v_add_co_u32 v4, vcc_lo, 0x1000, v2
	s_delay_alu instid0(VALU_DEP_3)
	v_add_co_ci_u32_e32 v5, vcc_lo, 0, v3, vcc_lo
	v_add_co_u32 v6, vcc_lo, 0x2000, v2
	v_add_co_ci_u32_e32 v7, vcc_lo, 0, v3, vcc_lo
	s_clause 0x7
	flat_load_b32 v26, v[2:3]
	flat_load_b32 v27, v[2:3] offset:1536
	flat_load_b32 v2, v[2:3] offset:3072
	;; [unrolled: 1-line block ×7, first 2 shown]
	v_and_b32_e32 v7, 60, v18
	v_lshrrev_b32_e32 v34, 3, v17
	v_lshrrev_b32_e32 v35, 3, v21
	v_and_b32_e32 v29, 0x7c, v29
	v_and_b32_e32 v30, 0xfc, v30
	v_and_b32_e32 v31, 0xfc, v31
	v_and_b32_e32 v32, 0xfc, v32
	v_add_nc_u32_e32 v7, v7, v8
	v_and_b32_e32 v33, 0x1fc, v33
	v_and_b32_e32 v34, 0x17c, v34
	;; [unrolled: 1-line block ×3, first 2 shown]
	v_add_nc_u32_e32 v29, v29, v8
	v_add_nc_u32_e32 v30, v30, v8
	;; [unrolled: 1-line block ×4, first 2 shown]
	s_mov_b32 s5, 0
	v_add_nc_u32_e32 v33, v33, v8
	v_add_nc_u32_e32 v34, v34, v8
	;; [unrolled: 1-line block ×3, first 2 shown]
	s_waitcnt vmcnt(7) lgkmcnt(7)
	ds_store_b32 v7, v26
	s_waitcnt vmcnt(6) lgkmcnt(7)
	ds_store_b32 v29, v27 offset:1536
	s_waitcnt vmcnt(5) lgkmcnt(7)
	ds_store_b32 v30, v2 offset:3072
	;; [unrolled: 2-line block ×7, first 2 shown]
	s_waitcnt lgkmcnt(0)
	s_barrier
.LBB264_22:
	s_and_not1_b32 vcc_lo, exec_lo, s5
	s_cbranch_vccnz .LBB264_40
; %bb.23:
	s_mov_b32 s5, exec_lo
                                        ; implicit-def: $vgpr2
	v_cmpx_gt_u32_e64 s19, v0
	s_cbranch_execz .LBB264_25
; %bb.24:
	v_lshlrev_b32_e32 v2, 2, v0
	s_delay_alu instid0(VALU_DEP_1) | instskip(NEXT) | instid1(VALU_DEP_1)
	v_add_co_u32 v2, s8, s2, v2
	v_add_co_ci_u32_e64 v3, null, s4, 0, s8
	flat_load_b32 v2, v[2:3]
.LBB264_25:
	s_or_b32 exec_lo, exec_lo, s5
	s_delay_alu instid0(SALU_CYCLE_1)
	s_mov_b32 s5, exec_lo
                                        ; implicit-def: $vgpr3
	v_cmpx_gt_u32_e64 s19, v23
	s_cbranch_execz .LBB264_27
; %bb.26:
	v_lshlrev_b32_e32 v3, 2, v0
	s_delay_alu instid0(VALU_DEP_1) | instskip(NEXT) | instid1(VALU_DEP_1)
	v_add_co_u32 v3, s8, s2, v3
	v_add_co_ci_u32_e64 v4, null, s4, 0, s8
	flat_load_b32 v3, v[3:4] offset:1536
.LBB264_27:
	s_or_b32 exec_lo, exec_lo, s5
	s_delay_alu instid0(SALU_CYCLE_1)
	s_mov_b32 s5, exec_lo
                                        ; implicit-def: $vgpr4
	v_cmpx_gt_u32_e64 s19, v22
	s_cbranch_execz .LBB264_29
; %bb.28:
	v_lshlrev_b32_e32 v4, 2, v0
	s_delay_alu instid0(VALU_DEP_1) | instskip(NEXT) | instid1(VALU_DEP_1)
	v_add_co_u32 v4, s8, s2, v4
	v_add_co_ci_u32_e64 v5, null, s4, 0, s8
	flat_load_b32 v4, v[4:5] offset:3072
.LBB264_29:
	s_or_b32 exec_lo, exec_lo, s5
	s_delay_alu instid0(SALU_CYCLE_1)
	s_mov_b32 s5, exec_lo
                                        ; implicit-def: $vgpr5
	v_cmpx_gt_u32_e64 s19, v25
	s_cbranch_execz .LBB264_31
; %bb.30:
	v_lshlrev_b32_e32 v5, 2, v25
	s_delay_alu instid0(VALU_DEP_1) | instskip(NEXT) | instid1(VALU_DEP_1)
	v_add_co_u32 v5, s8, s2, v5
	v_add_co_ci_u32_e64 v6, null, s4, 0, s8
	flat_load_b32 v5, v[5:6]
.LBB264_31:
	s_or_b32 exec_lo, exec_lo, s5
	s_delay_alu instid0(SALU_CYCLE_1)
	s_mov_b32 s5, exec_lo
                                        ; implicit-def: $vgpr6
	v_cmpx_gt_u32_e64 s19, v24
	s_cbranch_execz .LBB264_33
; %bb.32:
	v_lshlrev_b32_e32 v6, 2, v24
	s_delay_alu instid0(VALU_DEP_1) | instskip(NEXT) | instid1(VALU_DEP_1)
	v_add_co_u32 v6, s8, s2, v6
	v_add_co_ci_u32_e64 v7, null, s4, 0, s8
	flat_load_b32 v6, v[6:7]
.LBB264_33:
	s_or_b32 exec_lo, exec_lo, s5
	s_delay_alu instid0(SALU_CYCLE_1)
	s_mov_b32 s5, exec_lo
                                        ; implicit-def: $vgpr7
	v_cmpx_gt_u32_e64 s19, v20
	s_cbranch_execz .LBB264_35
; %bb.34:
	v_lshlrev_b32_e32 v7, 2, v20
	s_delay_alu instid0(VALU_DEP_1) | instskip(NEXT) | instid1(VALU_DEP_1)
	v_add_co_u32 v7, s8, s2, v7
	v_add_co_ci_u32_e64 v8, null, s4, 0, s8
	flat_load_b32 v7, v[7:8]
.LBB264_35:
	s_or_b32 exec_lo, exec_lo, s5
	s_delay_alu instid0(SALU_CYCLE_1)
	s_mov_b32 s5, exec_lo
                                        ; implicit-def: $vgpr8
	v_cmpx_gt_u32_e64 s19, v17
	s_cbranch_execz .LBB264_37
; %bb.36:
	v_lshlrev_b32_e32 v8, 2, v17
	s_delay_alu instid0(VALU_DEP_1) | instskip(NEXT) | instid1(VALU_DEP_1)
	v_add_co_u32 v26, s8, s2, v8
	v_add_co_ci_u32_e64 v27, null, s4, 0, s8
	flat_load_b32 v8, v[26:27]
.LBB264_37:
	s_or_b32 exec_lo, exec_lo, s5
	s_delay_alu instid0(SALU_CYCLE_1)
	s_mov_b32 s5, exec_lo
                                        ; implicit-def: $vgpr26
	v_cmpx_gt_u32_e64 s19, v21
	s_cbranch_execz .LBB264_39
; %bb.38:
	v_lshlrev_b32_e32 v26, 2, v21
	s_delay_alu instid0(VALU_DEP_1) | instskip(NEXT) | instid1(VALU_DEP_1)
	v_add_co_u32 v26, s2, s2, v26
	v_add_co_ci_u32_e64 v27, null, s4, 0, s2
	flat_load_b32 v26, v[26:27]
.LBB264_39:
	s_or_b32 exec_lo, exec_lo, s5
	v_lshrrev_b32_e32 v23, 3, v23
	v_lshrrev_b32_e32 v22, 3, v22
	;; [unrolled: 1-line block ×4, first 2 shown]
	v_and_b32_e32 v18, 60, v18
	v_lshlrev_b32_e32 v27, 2, v0
	v_lshrrev_b32_e32 v20, 3, v20
	v_lshrrev_b32_e32 v17, 3, v17
	;; [unrolled: 1-line block ×3, first 2 shown]
	v_and_b32_e32 v23, 0x7c, v23
	v_and_b32_e32 v22, 0xfc, v22
	;; [unrolled: 1-line block ×4, first 2 shown]
	v_add_nc_u32_e32 v18, v18, v27
	v_and_b32_e32 v20, 0x1fc, v20
	v_and_b32_e32 v17, 0x1fc, v17
	;; [unrolled: 1-line block ×3, first 2 shown]
	v_add_nc_u32_e32 v23, v23, v27
	v_add_nc_u32_e32 v22, v22, v27
	;; [unrolled: 1-line block ×7, first 2 shown]
	s_waitcnt vmcnt(0) lgkmcnt(0)
	ds_store_b32 v18, v2
	ds_store_b32 v23, v3 offset:1536
	ds_store_b32 v22, v4 offset:3072
	;; [unrolled: 1-line block ×7, first 2 shown]
	s_waitcnt lgkmcnt(0)
	s_barrier
.LBB264_40:
	buffer_gl0_inv
	ds_load_2addr_b32 v[7:8], v1 offset1:1
	ds_load_2addr_b32 v[5:6], v1 offset0:2 offset1:3
	ds_load_2addr_b32 v[3:4], v1 offset0:4 offset1:5
	;; [unrolled: 1-line block ×3, first 2 shown]
	s_cmp_lg_u32 s15, 0
	s_waitcnt lgkmcnt(0)
	s_cselect_b32 s8, -1, 0
	s_cmp_lg_u64 s[6:7], 0
	s_barrier
	s_cselect_b32 s2, -1, 0
	buffer_gl0_inv
	s_or_b32 s2, s8, s2
	s_delay_alu instid0(SALU_CYCLE_1)
	s_and_b32 vcc_lo, exec_lo, s2
	s_mov_b32 s2, 0
	s_cbranch_vccz .LBB264_45
; %bb.41:
	v_add_co_u32 v17, s2, -4, s21
	s_delay_alu instid0(VALU_DEP_1)
	v_add_co_ci_u32_e64 v18, null, -1, s20, s2
	v_lshlrev_b32_e32 v21, 2, v0
	s_mov_b32 s2, -1
	s_and_b32 vcc_lo, exec_lo, s18
	flat_load_b32 v20, v[17:18]
	ds_store_b32 v21, v10
	s_cbranch_vccz .LBB264_46
; %bb.42:
	s_waitcnt vmcnt(0) lgkmcnt(1)
	v_mov_b32_e32 v17, v20
	s_mov_b32 s2, 0
	s_mov_b32 s4, exec_lo
	s_waitcnt lgkmcnt(0)
	s_barrier
	buffer_gl0_inv
	v_cmpx_ne_u32_e32 0, v0
	s_cbranch_execz .LBB264_44
; %bb.43:
	v_add_nc_u32_e32 v17, -4, v21
	ds_load_b32 v17, v17
.LBB264_44:
	s_or_b32 exec_lo, exec_lo, s4
	v_mul_hi_i32 v18, 0x66666667, v9
	v_mul_hi_i32 v22, 0x66666667, v10
	;; [unrolled: 1-line block ×5, first 2 shown]
	s_waitcnt lgkmcnt(0)
	v_mul_hi_i32 v17, 0x66666667, v17
	v_lshrrev_b32_e32 v26, 31, v18
	v_ashrrev_i32_e32 v18, 2, v18
	v_lshrrev_b32_e32 v27, 31, v22
	v_ashrrev_i32_e32 v22, 2, v22
	;; [unrolled: 2-line block ×3, first 2 shown]
	v_add_nc_u32_e32 v18, v18, v26
	v_lshrrev_b32_e32 v29, 31, v24
	v_add_nc_u32_e32 v22, v22, v27
	v_ashrrev_i32_e32 v24, 2, v24
	v_add_nc_u32_e32 v23, v23, v28
	v_mul_hi_i32 v27, 0x66666667, v13
	v_lshrrev_b32_e32 v26, 31, v25
	v_cmp_ne_u32_e32 vcc_lo, v18, v22
	v_add_nc_u32_e32 v24, v24, v29
	v_ashrrev_i32_e32 v25, 2, v25
	v_mul_hi_i32 v28, 0x66666667, v16
	v_mul_hi_i32 v29, 0x66666667, v15
	v_cndmask_b32_e64 v22, 0, 1, vcc_lo
	v_cmp_ne_u32_e32 vcc_lo, v23, v18
	v_add_nc_u32_e32 v25, v25, v26
	v_lshrrev_b32_e32 v26, 31, v27
	v_ashrrev_i32_e32 v27, 2, v27
	v_lshlrev_b16 v22, 8, v22
	v_cndmask_b32_e64 v18, 0, 1, vcc_lo
	v_cmp_ne_u32_e32 vcc_lo, v24, v23
	v_lshrrev_b32_e32 v30, 31, v28
	v_ashrrev_i32_e32 v28, 2, v28
	v_add_nc_u32_e32 v26, v27, v26
	v_lshrrev_b32_e32 v31, 31, v29
	v_cndmask_b32_e64 v23, 0, 1, vcc_lo
	v_cmp_ne_u32_e32 vcc_lo, v25, v24
	v_ashrrev_i32_e32 v29, 2, v29
	v_add_nc_u32_e32 v27, v28, v30
	v_or_b32_e32 v18, v18, v22
	v_lshlrev_b16 v23, 8, v23
	v_cndmask_b32_e64 v24, 0, 1, vcc_lo
	v_cmp_ne_u32_e32 vcc_lo, v26, v25
	v_add_nc_u32_e32 v28, v29, v31
	v_lshrrev_b32_e32 v29, 31, v17
	v_ashrrev_i32_e32 v17, 2, v17
	v_or_b32_e32 v23, v24, v23
	v_cndmask_b32_e64 v25, 0, 1, vcc_lo
	v_cmp_ne_u32_e32 vcc_lo, v27, v26
	v_lshlrev_b32_e32 v18, 16, v18
	v_add_nc_u32_e32 v17, v17, v29
	v_and_b32_e32 v23, 0xffff, v23
	v_lshlrev_b16 v25, 8, v25
	v_cndmask_b32_e64 v26, 0, 1, vcc_lo
	v_cmp_ne_u32_e32 vcc_lo, v28, v27
	v_cmp_ne_u32_e64 s4, v17, v28
	v_or_b32_e32 v18, v23, v18
	s_delay_alu instid0(VALU_DEP_4) | instskip(SKIP_1) | instid1(VALU_DEP_2)
	v_or_b32_e32 v25, v26, v25
	v_cndmask_b32_e64 v27, 0, 1, vcc_lo
	v_lshlrev_b32_e32 v22, 16, v25
	s_delay_alu instid0(VALU_DEP_2) | instskip(NEXT) | instid1(VALU_DEP_1)
	v_lshlrev_b16 v26, 8, v27
	v_and_b32_e32 v24, 0xffff, v26
	s_delay_alu instid0(VALU_DEP_1)
	v_or_b32_e32 v17, v24, v22
	s_and_b32 vcc_lo, exec_lo, s2
	s_cbranch_vccnz .LBB264_47
	s_branch .LBB264_66
.LBB264_45:
                                        ; implicit-def: $sgpr4
                                        ; implicit-def: $vgpr18
	s_branch .LBB264_67
.LBB264_46:
                                        ; implicit-def: $sgpr4
                                        ; implicit-def: $vgpr18
	s_and_b32 vcc_lo, exec_lo, s2
	s_cbranch_vccz .LBB264_66
.LBB264_47:
	v_or_b32_e32 v17, 7, v19
	s_mov_b32 s2, 0
	s_mov_b32 s4, 0
	s_mov_b32 s5, exec_lo
	s_delay_alu instid0(VALU_DEP_1)
	v_cmpx_gt_u32_e64 s19, v17
; %bb.48:
	v_mul_hi_i32 v17, 0x66666667, v9
	v_mul_hi_i32 v18, 0x66666667, v10
	s_delay_alu instid0(VALU_DEP_2) | instskip(SKIP_1) | instid1(VALU_DEP_3)
	v_lshrrev_b32_e32 v22, 31, v17
	v_ashrrev_i32_e32 v17, 2, v17
	v_lshrrev_b32_e32 v23, 31, v18
	v_ashrrev_i32_e32 v18, 2, v18
	s_delay_alu instid0(VALU_DEP_3) | instskip(NEXT) | instid1(VALU_DEP_2)
	v_add_nc_u32_e32 v17, v17, v22
	v_add_nc_u32_e32 v18, v18, v23
	s_delay_alu instid0(VALU_DEP_1)
	v_cmp_ne_u32_e32 vcc_lo, v17, v18
	s_and_b32 s4, vcc_lo, exec_lo
; %bb.49:
	s_or_b32 exec_lo, exec_lo, s5
	v_or_b32_e32 v17, 6, v19
	s_mov_b32 s5, exec_lo
	s_delay_alu instid0(VALU_DEP_1)
	v_cmpx_gt_u32_e64 s19, v17
; %bb.50:
	v_mul_hi_i32 v17, 0x66666667, v12
	v_mul_hi_i32 v18, 0x66666667, v9
	s_delay_alu instid0(VALU_DEP_2) | instskip(SKIP_1) | instid1(VALU_DEP_3)
	v_lshrrev_b32_e32 v22, 31, v17
	v_ashrrev_i32_e32 v17, 2, v17
	v_lshrrev_b32_e32 v23, 31, v18
	v_ashrrev_i32_e32 v18, 2, v18
	s_delay_alu instid0(VALU_DEP_3) | instskip(NEXT) | instid1(VALU_DEP_2)
	v_add_nc_u32_e32 v17, v17, v22
	v_add_nc_u32_e32 v18, v18, v23
	s_delay_alu instid0(VALU_DEP_1)
	v_cmp_ne_u32_e32 vcc_lo, v17, v18
	s_and_b32 s2, vcc_lo, exec_lo
; %bb.51:
	s_or_b32 exec_lo, exec_lo, s5
	v_or_b32_e32 v17, 5, v19
	s_mov_b32 s6, 0
	s_mov_b32 s5, 0
	s_mov_b32 s7, exec_lo
	s_delay_alu instid0(VALU_DEP_1)
	v_cmpx_gt_u32_e64 s19, v17
; %bb.52:
	v_mul_hi_i32 v17, 0x66666667, v11
	v_mul_hi_i32 v18, 0x66666667, v12
	s_delay_alu instid0(VALU_DEP_2) | instskip(SKIP_1) | instid1(VALU_DEP_3)
	v_lshrrev_b32_e32 v22, 31, v17
	v_ashrrev_i32_e32 v17, 2, v17
	v_lshrrev_b32_e32 v23, 31, v18
	v_ashrrev_i32_e32 v18, 2, v18
	s_delay_alu instid0(VALU_DEP_3) | instskip(NEXT) | instid1(VALU_DEP_2)
	v_add_nc_u32_e32 v17, v17, v22
	v_add_nc_u32_e32 v18, v18, v23
	s_delay_alu instid0(VALU_DEP_1)
	v_cmp_ne_u32_e32 vcc_lo, v17, v18
	s_and_b32 s5, vcc_lo, exec_lo
; %bb.53:
	s_or_b32 exec_lo, exec_lo, s7
	v_or_b32_e32 v17, 4, v19
	s_mov_b32 s7, exec_lo
	s_delay_alu instid0(VALU_DEP_1)
	v_cmpx_gt_u32_e64 s19, v17
; %bb.54:
	v_mul_hi_i32 v17, 0x66666667, v14
	v_mul_hi_i32 v18, 0x66666667, v11
	s_delay_alu instid0(VALU_DEP_2) | instskip(SKIP_1) | instid1(VALU_DEP_3)
	v_lshrrev_b32_e32 v22, 31, v17
	v_ashrrev_i32_e32 v17, 2, v17
	v_lshrrev_b32_e32 v23, 31, v18
	v_ashrrev_i32_e32 v18, 2, v18
	s_delay_alu instid0(VALU_DEP_3) | instskip(NEXT) | instid1(VALU_DEP_2)
	v_add_nc_u32_e32 v17, v17, v22
	v_add_nc_u32_e32 v18, v18, v23
	s_delay_alu instid0(VALU_DEP_1)
	v_cmp_ne_u32_e32 vcc_lo, v17, v18
	s_and_b32 s6, vcc_lo, exec_lo
; %bb.55:
	s_or_b32 exec_lo, exec_lo, s7
	;; [unrolled: 42-line block ×3, first 2 shown]
	v_or_b32_e32 v17, 1, v19
	s_mov_b32 s12, 0
	s_mov_b32 s13, exec_lo
	s_delay_alu instid0(VALU_DEP_1)
	v_cmpx_gt_u32_e64 s19, v17
; %bb.60:
	v_mul_hi_i32 v17, 0x66666667, v15
	v_mul_hi_i32 v18, 0x66666667, v16
	s_delay_alu instid0(VALU_DEP_2) | instskip(SKIP_1) | instid1(VALU_DEP_3)
	v_lshrrev_b32_e32 v22, 31, v17
	v_ashrrev_i32_e32 v17, 2, v17
	v_lshrrev_b32_e32 v23, 31, v18
	v_ashrrev_i32_e32 v18, 2, v18
	s_delay_alu instid0(VALU_DEP_3) | instskip(NEXT) | instid1(VALU_DEP_2)
	v_add_nc_u32_e32 v17, v17, v22
	v_add_nc_u32_e32 v18, v18, v23
	s_delay_alu instid0(VALU_DEP_1)
	v_cmp_ne_u32_e32 vcc_lo, v17, v18
	s_and_b32 s12, vcc_lo, exec_lo
; %bb.61:
	s_or_b32 exec_lo, exec_lo, s13
	s_delay_alu instid0(SALU_CYCLE_1)
	s_mov_b32 s13, exec_lo
	s_waitcnt vmcnt(0) lgkmcnt(0)
	s_barrier
	buffer_gl0_inv
	v_cmpx_ne_u32_e32 0, v0
	s_cbranch_execz .LBB264_63
; %bb.62:
	v_add_nc_u32_e32 v17, -4, v21
	ds_load_b32 v20, v17
.LBB264_63:
	s_or_b32 exec_lo, exec_lo, s13
	v_cndmask_b32_e64 v18, 0, 1, s7
	v_cndmask_b32_e64 v22, 0, 1, s5
	;; [unrolled: 1-line block ×7, first 2 shown]
	v_lshlrev_b16 v18, 8, v18
	v_lshlrev_b16 v22, 8, v22
	;; [unrolled: 1-line block ×3, first 2 shown]
	s_mov_b32 s4, 0
	v_lshlrev_b16 v25, 8, v25
	v_or_b32_e32 v18, v17, v18
	v_or_b32_e32 v21, v21, v22
	;; [unrolled: 1-line block ×3, first 2 shown]
	s_mov_b32 s2, exec_lo
	v_and_b32_e32 v17, 0xffff, v25
	v_lshlrev_b32_e32 v18, 16, v18
	v_and_b32_e32 v21, 0xffff, v21
	v_lshlrev_b32_e32 v22, 16, v22
	v_cmpx_gt_u32_e64 s19, v19
	s_cbranch_execz .LBB264_65
; %bb.64:
	s_waitcnt lgkmcnt(0)
	v_mul_hi_i32 v20, 0x66666667, v20
	v_mul_hi_i32 v23, 0x66666667, v15
	s_delay_alu instid0(VALU_DEP_2) | instskip(SKIP_1) | instid1(VALU_DEP_3)
	v_lshrrev_b32_e32 v24, 31, v20
	v_ashrrev_i32_e32 v20, 2, v20
	v_lshrrev_b32_e32 v25, 31, v23
	v_ashrrev_i32_e32 v23, 2, v23
	s_delay_alu instid0(VALU_DEP_3) | instskip(NEXT) | instid1(VALU_DEP_2)
	v_add_nc_u32_e32 v20, v20, v24
	v_add_nc_u32_e32 v23, v23, v25
	s_delay_alu instid0(VALU_DEP_1)
	v_cmp_ne_u32_e32 vcc_lo, v20, v23
	s_and_b32 s4, vcc_lo, exec_lo
.LBB264_65:
	s_or_b32 exec_lo, exec_lo, s2
	v_or_b32_e32 v17, v17, v18
	v_or_b32_e32 v18, v21, v22
.LBB264_66:
	s_mov_b32 s2, -1
	s_cbranch_execnz .LBB264_91
.LBB264_67:
	v_mul_hi_i32 v26, 0x66666667, v9
	v_mul_hi_i32 v25, 0x66666667, v12
	;; [unrolled: 1-line block ×6, first 2 shown]
	s_waitcnt vmcnt(0) lgkmcnt(0)
	v_lshlrev_b32_e32 v20, 2, v0
	s_and_b32 vcc_lo, exec_lo, s18
	ds_store_b32 v20, v10
	s_cbranch_vccz .LBB264_71
; %bb.68:
	v_mul_hi_i32 v17, 0x66666667, v10
	v_lshrrev_b32_e32 v18, 31, v26
	v_ashrrev_i32_e32 v27, 2, v26
	v_lshrrev_b32_e32 v28, 31, v25
	v_ashrrev_i32_e32 v29, 2, v25
	;; [unrolled: 2-line block ×3, first 2 shown]
	v_add_nc_u32_e32 v18, v27, v18
	v_lshrrev_b32_e32 v31, 31, v17
	v_ashrrev_i32_e32 v17, 2, v17
	v_add_nc_u32_e32 v27, v29, v28
	v_lshrrev_b32_e32 v28, 31, v23
	v_ashrrev_i32_e32 v29, 2, v23
	v_ashrrev_i32_e32 v34, 2, v21
	v_add_nc_u32_e32 v17, v17, v31
	v_cmp_ne_u32_e32 vcc_lo, v27, v18
	v_mul_hi_i32 v31, 0x66666667, v15
	v_add_nc_u32_e32 v28, v29, v28
	v_lshrrev_b32_e32 v29, 31, v22
	s_mov_b32 s5, 0
	v_cndmask_b32_e64 v33, 0, 1, vcc_lo
	v_cmp_ne_u32_e32 vcc_lo, v18, v17
	v_add_nc_u32_e32 v18, v32, v30
	v_ashrrev_i32_e32 v30, 2, v22
	v_lshrrev_b32_e32 v32, 31, v21
	v_lshrrev_b32_e32 v35, 31, v31
	v_cndmask_b32_e64 v17, 0, 1, vcc_lo
	v_cmp_ne_u32_e32 vcc_lo, v18, v27
	v_ashrrev_i32_e32 v31, 2, v31
	v_add_nc_u32_e32 v29, v30, v29
	v_add_nc_u32_e32 v30, v34, v32
	v_lshlrev_b16 v17, 8, v17
	v_cndmask_b32_e64 v36, 0, 1, vcc_lo
	v_cmp_ne_u32_e32 vcc_lo, v28, v18
	v_add_nc_u32_e32 v27, v31, v35
	s_mov_b32 s6, exec_lo
	v_or_b32_e32 v17, v33, v17
	s_waitcnt lgkmcnt(0)
	v_cndmask_b32_e64 v18, 0, 1, vcc_lo
	v_cmp_ne_u32_e32 vcc_lo, v29, v28
	s_barrier
	v_lshlrev_b32_e32 v17, 16, v17
	buffer_gl0_inv
                                        ; implicit-def: $sgpr4
	v_cndmask_b32_e64 v28, 0, 1, vcc_lo
	v_cmp_ne_u32_e32 vcc_lo, v27, v30
	s_delay_alu instid0(VALU_DEP_2) | instskip(SKIP_3) | instid1(VALU_DEP_3)
	v_lshlrev_b16 v28, 8, v28
	v_cndmask_b32_e64 v31, 0, 1, vcc_lo
	v_cmp_ne_u32_e32 vcc_lo, v30, v29
	v_lshlrev_b16 v30, 8, v36
	v_lshlrev_b16 v31, 8, v31
	v_cndmask_b32_e64 v29, 0, 1, vcc_lo
	s_delay_alu instid0(VALU_DEP_3) | instskip(NEXT) | instid1(VALU_DEP_2)
	v_or_b32_e32 v18, v18, v30
	v_or_b32_e32 v28, v29, v28
	s_delay_alu instid0(VALU_DEP_4) | instskip(NEXT) | instid1(VALU_DEP_3)
	v_or_b32_e32 v29, 1, v31
	v_and_b32_e32 v18, 0xffff, v18
	s_delay_alu instid0(VALU_DEP_3) | instskip(NEXT) | instid1(VALU_DEP_3)
	v_lshlrev_b32_e32 v28, 16, v28
	v_and_b32_e32 v29, 0xffff, v29
	s_delay_alu instid0(VALU_DEP_3) | instskip(NEXT) | instid1(VALU_DEP_2)
	v_or_b32_e32 v18, v18, v17
	v_or_b32_e32 v17, v29, v28
	v_cmpx_ne_u32_e32 0, v0
	s_xor_b32 s6, exec_lo, s6
	s_cbranch_execz .LBB264_70
; %bb.69:
	v_add_nc_u32_e32 v28, -4, v20
	s_or_b32 s2, s2, exec_lo
	ds_load_b32 v28, v28
	s_waitcnt lgkmcnt(0)
	v_mul_hi_i32 v28, 0x66666667, v28
	s_delay_alu instid0(VALU_DEP_1) | instskip(SKIP_1) | instid1(VALU_DEP_1)
	v_lshrrev_b32_e32 v29, 31, v28
	v_ashrrev_i32_e32 v28, 2, v28
	v_add_nc_u32_e32 v28, v28, v29
	s_delay_alu instid0(VALU_DEP_1)
	v_cmp_ne_u32_e32 vcc_lo, v28, v27
	s_and_b32 s4, vcc_lo, exec_lo
.LBB264_70:
	s_or_b32 exec_lo, exec_lo, s6
	s_delay_alu instid0(SALU_CYCLE_1)
	s_and_b32 vcc_lo, exec_lo, s5
	s_cbranch_vccnz .LBB264_72
	s_branch .LBB264_91
.LBB264_71:
                                        ; implicit-def: $sgpr4
                                        ; implicit-def: $vgpr18
	s_cbranch_execz .LBB264_91
.LBB264_72:
	v_or_b32_e32 v17, 7, v19
	s_mov_b32 s4, 0
	s_mov_b32 s5, 0
	s_mov_b32 s6, exec_lo
	s_delay_alu instid0(VALU_DEP_1)
	v_cmpx_gt_u32_e64 s19, v17
; %bb.73:
	v_mul_hi_i32 v17, 0x66666667, v10
	v_lshrrev_b32_e32 v18, 31, v26
	v_ashrrev_i32_e32 v27, 2, v26
	s_delay_alu instid0(VALU_DEP_1) | instskip(NEXT) | instid1(VALU_DEP_4)
	v_add_nc_u32_e32 v18, v27, v18
	v_lshrrev_b32_e32 v28, 31, v17
	v_ashrrev_i32_e32 v17, 2, v17
	s_delay_alu instid0(VALU_DEP_1) | instskip(NEXT) | instid1(VALU_DEP_1)
	v_add_nc_u32_e32 v17, v17, v28
	v_cmp_ne_u32_e32 vcc_lo, v18, v17
	s_and_b32 s5, vcc_lo, exec_lo
; %bb.74:
	s_or_b32 exec_lo, exec_lo, s6
	v_or_b32_e32 v17, 6, v19
	s_mov_b32 s6, exec_lo
	s_delay_alu instid0(VALU_DEP_1)
	v_cmpx_gt_u32_e64 s19, v17
; %bb.75:
	v_lshrrev_b32_e32 v17, 31, v25
	v_ashrrev_i32_e32 v18, 2, v25
	v_lshrrev_b32_e32 v27, 31, v26
	v_ashrrev_i32_e32 v26, 2, v26
	s_delay_alu instid0(VALU_DEP_3) | instskip(NEXT) | instid1(VALU_DEP_2)
	v_add_nc_u32_e32 v17, v18, v17
	v_add_nc_u32_e32 v18, v26, v27
	s_delay_alu instid0(VALU_DEP_1)
	v_cmp_ne_u32_e32 vcc_lo, v17, v18
	s_and_b32 s4, vcc_lo, exec_lo
; %bb.76:
	s_or_b32 exec_lo, exec_lo, s6
	v_or_b32_e32 v17, 5, v19
	s_mov_b32 s6, 0
	s_mov_b32 s7, 0
	s_mov_b32 s9, exec_lo
	s_delay_alu instid0(VALU_DEP_1)
	v_cmpx_gt_u32_e64 s19, v17
; %bb.77:
	v_lshrrev_b32_e32 v17, 31, v24
	v_ashrrev_i32_e32 v18, 2, v24
	v_lshrrev_b32_e32 v26, 31, v25
	v_ashrrev_i32_e32 v25, 2, v25
	s_delay_alu instid0(VALU_DEP_3) | instskip(NEXT) | instid1(VALU_DEP_2)
	v_add_nc_u32_e32 v17, v18, v17
	v_add_nc_u32_e32 v18, v25, v26
	s_delay_alu instid0(VALU_DEP_1)
	v_cmp_ne_u32_e32 vcc_lo, v17, v18
	s_and_b32 s7, vcc_lo, exec_lo
; %bb.78:
	s_or_b32 exec_lo, exec_lo, s9
	v_or_b32_e32 v17, 4, v19
	s_mov_b32 s9, exec_lo
	s_delay_alu instid0(VALU_DEP_1)
	v_cmpx_gt_u32_e64 s19, v17
; %bb.79:
	v_lshrrev_b32_e32 v17, 31, v23
	v_ashrrev_i32_e32 v18, 2, v23
	v_lshrrev_b32_e32 v25, 31, v24
	v_ashrrev_i32_e32 v24, 2, v24
	s_delay_alu instid0(VALU_DEP_3) | instskip(NEXT) | instid1(VALU_DEP_2)
	v_add_nc_u32_e32 v17, v18, v17
	v_add_nc_u32_e32 v18, v24, v25
	s_delay_alu instid0(VALU_DEP_1)
	v_cmp_ne_u32_e32 vcc_lo, v17, v18
	s_and_b32 s6, vcc_lo, exec_lo
; %bb.80:
	s_or_b32 exec_lo, exec_lo, s9
	v_or_b32_e32 v17, 3, v19
	s_mov_b32 s12, 0
	s_mov_b32 s9, 0
	s_mov_b32 s13, exec_lo
	s_delay_alu instid0(VALU_DEP_1)
	v_cmpx_gt_u32_e64 s19, v17
; %bb.81:
	v_lshrrev_b32_e32 v17, 31, v22
	v_ashrrev_i32_e32 v18, 2, v22
	v_lshrrev_b32_e32 v24, 31, v23
	v_ashrrev_i32_e32 v23, 2, v23
	s_delay_alu instid0(VALU_DEP_3) | instskip(NEXT) | instid1(VALU_DEP_2)
	v_add_nc_u32_e32 v17, v18, v17
	v_add_nc_u32_e32 v18, v23, v24
	s_delay_alu instid0(VALU_DEP_1)
	v_cmp_ne_u32_e32 vcc_lo, v17, v18
	s_and_b32 s9, vcc_lo, exec_lo
; %bb.82:
	s_or_b32 exec_lo, exec_lo, s13
	v_or_b32_e32 v17, 2, v19
	s_mov_b32 s13, exec_lo
	s_delay_alu instid0(VALU_DEP_1)
	v_cmpx_gt_u32_e64 s19, v17
; %bb.83:
	v_lshrrev_b32_e32 v17, 31, v21
	v_ashrrev_i32_e32 v18, 2, v21
	v_lshrrev_b32_e32 v23, 31, v22
	v_ashrrev_i32_e32 v22, 2, v22
	s_delay_alu instid0(VALU_DEP_3) | instskip(NEXT) | instid1(VALU_DEP_2)
	v_add_nc_u32_e32 v17, v18, v17
	v_add_nc_u32_e32 v18, v22, v23
	s_delay_alu instid0(VALU_DEP_1)
	v_cmp_ne_u32_e32 vcc_lo, v17, v18
	s_and_b32 s12, vcc_lo, exec_lo
; %bb.84:
	s_or_b32 exec_lo, exec_lo, s13
	v_or_b32_e32 v17, 1, v19
	s_mov_b32 s20, 0
	s_mov_b32 s13, exec_lo
	s_delay_alu instid0(VALU_DEP_1)
	v_cmpx_gt_u32_e64 s19, v17
; %bb.85:
	v_mul_hi_i32 v17, 0x66666667, v15
	v_lshrrev_b32_e32 v18, 31, v21
	v_ashrrev_i32_e32 v21, 2, v21
	s_delay_alu instid0(VALU_DEP_1) | instskip(NEXT) | instid1(VALU_DEP_4)
	v_add_nc_u32_e32 v18, v21, v18
	v_lshrrev_b32_e32 v22, 31, v17
	v_ashrrev_i32_e32 v17, 2, v17
	s_delay_alu instid0(VALU_DEP_1) | instskip(NEXT) | instid1(VALU_DEP_1)
	v_add_nc_u32_e32 v17, v17, v22
	v_cmp_ne_u32_e32 vcc_lo, v17, v18
	s_and_b32 s20, vcc_lo, exec_lo
; %bb.86:
	s_or_b32 exec_lo, exec_lo, s13
	v_cndmask_b32_e64 v18, 0, 1, s9
	v_cndmask_b32_e64 v21, 0, 1, s7
	;; [unrolled: 1-line block ×7, first 2 shown]
	v_lshlrev_b16 v21, 8, v21
	v_lshlrev_b16 v22, 8, v22
	;; [unrolled: 1-line block ×4, first 2 shown]
	s_mov_b32 s5, exec_lo
	v_or_b32_e32 v21, v24, v21
	v_or_b32_e32 v22, v25, v22
	;; [unrolled: 1-line block ×4, first 2 shown]
	s_waitcnt lgkmcnt(0)
	v_and_b32_e32 v18, 0xffff, v21
	v_lshlrev_b32_e32 v21, 16, v22
	v_and_b32_e32 v22, 0xffff, v23
	v_lshlrev_b32_e32 v17, 16, v17
	s_barrier
	buffer_gl0_inv
	v_or_b32_e32 v18, v18, v21
                                        ; implicit-def: $sgpr4
	v_or_b32_e32 v17, v22, v17
	v_cmpx_ne_u32_e32 0, v0
	s_cbranch_execz .LBB264_90
; %bb.87:
	s_mov_b32 s6, 0
	s_mov_b32 s4, exec_lo
	v_cmpx_gt_u32_e64 s19, v19
	s_cbranch_execz .LBB264_89
; %bb.88:
	v_add_nc_u32_e32 v20, -4, v20
	v_mul_hi_i32 v21, 0x66666667, v15
	ds_load_b32 v20, v20
	v_lshrrev_b32_e32 v22, 31, v21
	v_ashrrev_i32_e32 v21, 2, v21
	s_delay_alu instid0(VALU_DEP_1) | instskip(SKIP_2) | instid1(VALU_DEP_1)
	v_add_nc_u32_e32 v21, v21, v22
	s_waitcnt lgkmcnt(0)
	v_mul_hi_i32 v20, 0x66666667, v20
	v_lshrrev_b32_e32 v23, 31, v20
	v_ashrrev_i32_e32 v20, 2, v20
	s_delay_alu instid0(VALU_DEP_1) | instskip(NEXT) | instid1(VALU_DEP_1)
	v_add_nc_u32_e32 v20, v20, v23
	v_cmp_ne_u32_e32 vcc_lo, v20, v21
	s_and_b32 s6, vcc_lo, exec_lo
.LBB264_89:
	s_or_b32 exec_lo, exec_lo, s4
	s_delay_alu instid0(SALU_CYCLE_1)
	s_and_b32 s4, s6, exec_lo
	s_or_b32 s2, s2, exec_lo
.LBB264_90:
	s_or_b32 exec_lo, exec_lo, s5
.LBB264_91:
	s_and_saveexec_b32 s5, s2
	s_cbranch_execz .LBB264_93
; %bb.92:
	s_waitcnt vmcnt(0) lgkmcnt(0)
	v_and_b32_e32 v20, 0xffffff00, v17
	v_cndmask_b32_e64 v21, 0, 1, s4
	s_delay_alu instid0(VALU_DEP_1) | instskip(NEXT) | instid1(VALU_DEP_1)
	v_or_b32_e32 v20, v21, v20
	v_and_b32_e32 v20, 0xffff, v20
	s_delay_alu instid0(VALU_DEP_1)
	v_and_or_b32 v17, 0xffff0000, v17, v20
.LBB264_93:
	s_or_b32 exec_lo, exec_lo, s5
	s_load_b64 s[12:13], s[0:1], 0x60
	s_and_not1_b32 vcc_lo, exec_lo, s3
	s_cbranch_vccnz .LBB264_95
; %bb.94:
	v_cmp_gt_u32_e32 vcc_lo, s19, v19
	v_or_b32_e32 v21, 1, v19
	v_and_b32_e32 v22, 0xffffff00, v18
	v_or_b32_e32 v23, 2, v19
	s_waitcnt vmcnt(0) lgkmcnt(0)
	v_cndmask_b32_e32 v20, 0, v17, vcc_lo
	v_cmp_gt_u32_e32 vcc_lo, s19, v21
	v_or_b32_e32 v21, 4, v19
	v_cmp_gt_u32_e64 s2, s19, v23
	v_or_b32_e32 v23, 3, v19
	v_and_b32_e32 v20, 0xff, v20
	s_delay_alu instid0(VALU_DEP_2) | instskip(NEXT) | instid1(VALU_DEP_2)
	v_cmp_gt_u32_e64 s3, s19, v23
	v_cndmask_b32_e32 v20, v20, v17, vcc_lo
	v_cmp_gt_u32_e32 vcc_lo, s19, v21
	s_delay_alu instid0(VALU_DEP_2) | instskip(SKIP_1) | instid1(VALU_DEP_2)
	v_dual_cndmask_b32 v21, v22, v18 :: v_dual_and_b32 v20, 0xffff, v20
	v_or_b32_e32 v22, 5, v19
	v_cndmask_b32_e64 v20, v20, v17, s2
	s_delay_alu instid0(VALU_DEP_3) | instskip(NEXT) | instid1(VALU_DEP_3)
	v_and_b32_e32 v21, 0xffff00ff, v21
	v_cmp_gt_u32_e64 s2, s19, v22
	v_or_b32_e32 v22, 6, v19
	v_or_b32_e32 v19, 7, v19
	v_and_b32_e32 v20, 0xffffff, v20
	s_delay_alu instid0(VALU_DEP_4) | instskip(NEXT) | instid1(VALU_DEP_2)
	v_cndmask_b32_e64 v21, v21, v18, s2
	v_cndmask_b32_e64 v20, v20, v17, s3
	s_delay_alu instid0(VALU_DEP_2) | instskip(NEXT) | instid1(VALU_DEP_2)
	v_and_b32_e32 v21, 0xff00ffff, v21
	v_cndmask_b32_e32 v20, v20, v17, vcc_lo
	v_cmp_gt_u32_e32 vcc_lo, s19, v22
	s_delay_alu instid0(VALU_DEP_2) | instskip(NEXT) | instid1(VALU_DEP_1)
	v_cndmask_b32_e64 v20, v20, v17, s2
	v_dual_cndmask_b32 v21, v21, v18 :: v_dual_cndmask_b32 v20, v20, v17
	s_delay_alu instid0(VALU_DEP_1) | instskip(SKIP_1) | instid1(VALU_DEP_2)
	v_and_b32_e32 v21, 0xffffff, v21
	v_cmp_gt_u32_e32 vcc_lo, s19, v19
	v_dual_cndmask_b32 v18, v21, v18 :: v_dual_cndmask_b32 v17, v20, v17
.LBB264_95:
	s_delay_alu instid0(VALU_DEP_1) | instskip(NEXT) | instid1(VALU_DEP_2)
	v_and_b32_e32 v28, 0xff, v17
	v_alignbit_b32 v19, v18, v17, 24
	v_bfe_u32 v30, v17, 8, 8
	v_bfe_u32 v32, v17, 16, 8
	v_and_b32_e32 v36, 0xff, v18
	v_bfe_u32 v38, v18, 8, 8
	v_and_b32_e32 v34, 0xff, v19
	v_add_nc_u32_e32 v19, v30, v28
	s_waitcnt vmcnt(0) lgkmcnt(0)
	v_and_b32_e32 v20, 0x1e0, v0
	v_mbcnt_lo_u32_b32 v41, -1, 0
	v_bfe_u32 v40, v18, 16, 8
	v_lshrrev_b32_e32 v39, 24, v18
	v_add3_u32 v19, v19, v32, v34
	v_min_u32_e32 v20, 0x160, v20
	v_and_b32_e32 v21, 15, v41
	v_lshrrev_b32_e32 v42, 5, v0
	s_and_b32 vcc_lo, exec_lo, s8
	v_add3_u32 v19, v19, v36, v38
	v_or_b32_e32 v20, 31, v20
	v_cmp_eq_u32_e64 s4, 0, v21
	v_cmp_lt_u32_e64 s5, 1, v21
	v_cmp_lt_u32_e64 s3, 3, v21
	v_add3_u32 v43, v19, v40, v39
	v_and_b32_e32 v19, 16, v41
	v_cmp_lt_u32_e64 s2, 7, v21
	v_cmp_eq_u32_e64 s6, v20, v0
	s_mov_b32 s8, -1
	s_delay_alu instid0(VALU_DEP_3)
	v_cmp_eq_u32_e64 s7, 0, v19
	s_barrier
	buffer_gl0_inv
	s_cbranch_vccz .LBB264_126
; %bb.96:
	v_mov_b32_dpp v19, v43 row_shr:1 row_mask:0xf bank_mask:0xf
	s_delay_alu instid0(VALU_DEP_1) | instskip(NEXT) | instid1(VALU_DEP_1)
	v_cndmask_b32_e64 v19, v19, 0, s4
	v_add_nc_u32_e32 v19, v19, v43
	s_delay_alu instid0(VALU_DEP_1) | instskip(NEXT) | instid1(VALU_DEP_1)
	v_mov_b32_dpp v20, v19 row_shr:2 row_mask:0xf bank_mask:0xf
	v_cndmask_b32_e64 v20, 0, v20, s5
	s_delay_alu instid0(VALU_DEP_1) | instskip(NEXT) | instid1(VALU_DEP_1)
	v_add_nc_u32_e32 v19, v19, v20
	v_mov_b32_dpp v20, v19 row_shr:4 row_mask:0xf bank_mask:0xf
	s_delay_alu instid0(VALU_DEP_1) | instskip(NEXT) | instid1(VALU_DEP_1)
	v_cndmask_b32_e64 v20, 0, v20, s3
	v_add_nc_u32_e32 v19, v19, v20
	s_delay_alu instid0(VALU_DEP_1) | instskip(NEXT) | instid1(VALU_DEP_1)
	v_mov_b32_dpp v20, v19 row_shr:8 row_mask:0xf bank_mask:0xf
	v_cndmask_b32_e64 v20, 0, v20, s2
	s_delay_alu instid0(VALU_DEP_1) | instskip(SKIP_3) | instid1(VALU_DEP_1)
	v_add_nc_u32_e32 v19, v19, v20
	ds_swizzle_b32 v20, v19 offset:swizzle(BROADCAST,32,15)
	s_waitcnt lgkmcnt(0)
	v_cndmask_b32_e64 v20, v20, 0, s7
	v_add_nc_u32_e32 v19, v19, v20
	s_and_saveexec_b32 s8, s6
	s_cbranch_execz .LBB264_98
; %bb.97:
	v_lshlrev_b32_e32 v20, 2, v42
	ds_store_b32 v20, v19
.LBB264_98:
	s_or_b32 exec_lo, exec_lo, s8
	s_delay_alu instid0(SALU_CYCLE_1)
	s_mov_b32 s8, exec_lo
	s_waitcnt lgkmcnt(0)
	s_barrier
	buffer_gl0_inv
	v_cmpx_gt_u32_e32 12, v0
	s_cbranch_execz .LBB264_100
; %bb.99:
	v_lshlrev_b32_e32 v20, 2, v0
	ds_load_b32 v21, v20
	s_waitcnt lgkmcnt(0)
	v_mov_b32_dpp v22, v21 row_shr:1 row_mask:0xf bank_mask:0xf
	s_delay_alu instid0(VALU_DEP_1) | instskip(NEXT) | instid1(VALU_DEP_1)
	v_cndmask_b32_e64 v22, v22, 0, s4
	v_add_nc_u32_e32 v21, v22, v21
	s_delay_alu instid0(VALU_DEP_1) | instskip(NEXT) | instid1(VALU_DEP_1)
	v_mov_b32_dpp v22, v21 row_shr:2 row_mask:0xf bank_mask:0xf
	v_cndmask_b32_e64 v22, 0, v22, s5
	s_delay_alu instid0(VALU_DEP_1) | instskip(NEXT) | instid1(VALU_DEP_1)
	v_add_nc_u32_e32 v21, v21, v22
	v_mov_b32_dpp v22, v21 row_shr:4 row_mask:0xf bank_mask:0xf
	s_delay_alu instid0(VALU_DEP_1) | instskip(NEXT) | instid1(VALU_DEP_1)
	v_cndmask_b32_e64 v22, 0, v22, s3
	v_add_nc_u32_e32 v21, v21, v22
	s_delay_alu instid0(VALU_DEP_1) | instskip(NEXT) | instid1(VALU_DEP_1)
	v_mov_b32_dpp v22, v21 row_shr:8 row_mask:0xf bank_mask:0xf
	v_cndmask_b32_e64 v22, 0, v22, s2
	s_delay_alu instid0(VALU_DEP_1)
	v_add_nc_u32_e32 v21, v21, v22
	ds_store_b32 v20, v21
.LBB264_100:
	s_or_b32 exec_lo, exec_lo, s8
	v_cmp_gt_u32_e32 vcc_lo, 32, v0
	s_mov_b32 s9, exec_lo
	s_waitcnt lgkmcnt(0)
	s_barrier
	buffer_gl0_inv
                                        ; implicit-def: $vgpr27
	v_cmpx_lt_u32_e32 31, v0
	s_cbranch_execz .LBB264_102
; %bb.101:
	v_lshl_add_u32 v20, v42, 2, -4
	ds_load_b32 v27, v20
	s_waitcnt lgkmcnt(0)
	v_add_nc_u32_e32 v19, v27, v19
.LBB264_102:
	s_or_b32 exec_lo, exec_lo, s9
	v_add_nc_u32_e32 v20, -1, v41
	s_delay_alu instid0(VALU_DEP_1) | instskip(NEXT) | instid1(VALU_DEP_1)
	v_cmp_gt_i32_e64 s8, 0, v20
	v_cndmask_b32_e64 v20, v20, v41, s8
	v_cmp_eq_u32_e64 s8, 0, v41
	s_delay_alu instid0(VALU_DEP_2)
	v_lshlrev_b32_e32 v20, 2, v20
	ds_bpermute_b32 v29, v20, v19
	s_and_saveexec_b32 s9, vcc_lo
	s_cbranch_execz .LBB264_125
; %bb.103:
	v_mov_b32_e32 v23, 0
	ds_load_b32 v19, v23 offset:44
	s_and_saveexec_b32 s19, s8
	s_cbranch_execz .LBB264_105
; %bb.104:
	s_add_i32 s20, s15, 32
	s_mov_b32 s21, 0
	v_mov_b32_e32 v20, 1
	s_lshl_b64 s[20:21], s[20:21], 3
	s_delay_alu instid0(SALU_CYCLE_1)
	s_add_u32 s20, s12, s20
	s_addc_u32 s21, s13, s21
	s_waitcnt lgkmcnt(0)
	global_store_b64 v23, v[19:20], s[20:21]
.LBB264_105:
	s_or_b32 exec_lo, exec_lo, s19
	v_xad_u32 v21, v41, -1, s15
	s_mov_b32 s20, 0
	s_mov_b32 s19, exec_lo
	s_delay_alu instid0(VALU_DEP_1) | instskip(NEXT) | instid1(VALU_DEP_1)
	v_add_nc_u32_e32 v22, 32, v21
	v_lshlrev_b64 v[22:23], 3, v[22:23]
	s_delay_alu instid0(VALU_DEP_1) | instskip(NEXT) | instid1(VALU_DEP_2)
	v_add_co_u32 v25, vcc_lo, s12, v22
	v_add_co_ci_u32_e32 v26, vcc_lo, s13, v23, vcc_lo
	global_load_b64 v[23:24], v[25:26], off glc
	s_waitcnt vmcnt(0)
	v_and_b32_e32 v20, 0xff, v24
	s_delay_alu instid0(VALU_DEP_1)
	v_cmpx_eq_u16_e32 0, v20
	s_cbranch_execz .LBB264_111
; %bb.106:
	s_mov_b32 s21, 1
	.p2align	6
.LBB264_107:                            ; =>This Loop Header: Depth=1
                                        ;     Child Loop BB264_108 Depth 2
	s_delay_alu instid0(SALU_CYCLE_1)
	s_max_u32 s22, s21, 1
.LBB264_108:                            ;   Parent Loop BB264_107 Depth=1
                                        ; =>  This Inner Loop Header: Depth=2
	s_delay_alu instid0(SALU_CYCLE_1)
	s_add_i32 s22, s22, -1
	s_sleep 1
	s_cmp_eq_u32 s22, 0
	s_cbranch_scc0 .LBB264_108
; %bb.109:                              ;   in Loop: Header=BB264_107 Depth=1
	global_load_b64 v[23:24], v[25:26], off glc
	s_cmp_lt_u32 s21, 32
	s_cselect_b32 s22, -1, 0
	s_delay_alu instid0(SALU_CYCLE_1) | instskip(SKIP_3) | instid1(VALU_DEP_1)
	s_cmp_lg_u32 s22, 0
	s_addc_u32 s21, s21, 0
	s_waitcnt vmcnt(0)
	v_and_b32_e32 v20, 0xff, v24
	v_cmp_ne_u16_e32 vcc_lo, 0, v20
	s_or_b32 s20, vcc_lo, s20
	s_delay_alu instid0(SALU_CYCLE_1)
	s_and_not1_b32 exec_lo, exec_lo, s20
	s_cbranch_execnz .LBB264_107
; %bb.110:
	s_or_b32 exec_lo, exec_lo, s20
.LBB264_111:
	s_delay_alu instid0(SALU_CYCLE_1)
	s_or_b32 exec_lo, exec_lo, s19
	v_cmp_ne_u32_e32 vcc_lo, 31, v41
	v_lshlrev_b32_e64 v33, v41, -1
	v_add_nc_u32_e32 v37, 2, v41
	v_add_nc_u32_e32 v45, 4, v41
	;; [unrolled: 1-line block ×3, first 2 shown]
	v_add_co_ci_u32_e32 v20, vcc_lo, 0, v41, vcc_lo
	v_add_nc_u32_e32 v49, 16, v41
	s_delay_alu instid0(VALU_DEP_2)
	v_lshlrev_b32_e32 v31, 2, v20
	v_and_b32_e32 v20, 0xff, v24
	ds_bpermute_b32 v22, v31, v23
	v_cmp_eq_u16_e32 vcc_lo, 2, v20
	v_and_or_b32 v20, vcc_lo, v33, 0x80000000
	v_cmp_gt_u32_e32 vcc_lo, 30, v41
	s_delay_alu instid0(VALU_DEP_2) | instskip(SKIP_1) | instid1(VALU_DEP_2)
	v_ctz_i32_b32_e32 v20, v20
	v_cndmask_b32_e64 v25, 0, 1, vcc_lo
	v_cmp_lt_u32_e32 vcc_lo, v41, v20
	s_waitcnt lgkmcnt(0)
	s_delay_alu instid0(VALU_DEP_2) | instskip(NEXT) | instid1(VALU_DEP_1)
	v_dual_cndmask_b32 v22, 0, v22 :: v_dual_lshlrev_b32 v25, 1, v25
	v_add_lshl_u32 v35, v25, v41, 2
	v_cmp_gt_u32_e32 vcc_lo, 28, v41
	s_delay_alu instid0(VALU_DEP_3) | instskip(SKIP_4) | instid1(VALU_DEP_1)
	v_add_nc_u32_e32 v22, v22, v23
	v_cndmask_b32_e64 v25, 0, 1, vcc_lo
	v_cmp_le_u32_e32 vcc_lo, v37, v20
	ds_bpermute_b32 v23, v35, v22
	v_lshlrev_b32_e32 v25, 2, v25
	v_add_lshl_u32 v44, v25, v41, 2
	s_waitcnt lgkmcnt(0)
	v_cndmask_b32_e32 v23, 0, v23, vcc_lo
	v_cmp_gt_u32_e32 vcc_lo, 24, v41
	s_delay_alu instid0(VALU_DEP_2) | instskip(SKIP_4) | instid1(VALU_DEP_1)
	v_add_nc_u32_e32 v22, v22, v23
	v_cndmask_b32_e64 v25, 0, 1, vcc_lo
	v_cmp_le_u32_e32 vcc_lo, v45, v20
	ds_bpermute_b32 v23, v44, v22
	v_lshlrev_b32_e32 v25, 3, v25
	v_add_lshl_u32 v46, v25, v41, 2
	s_waitcnt lgkmcnt(0)
	v_cndmask_b32_e32 v23, 0, v23, vcc_lo
	v_cmp_gt_u32_e32 vcc_lo, 16, v41
	s_delay_alu instid0(VALU_DEP_2) | instskip(SKIP_4) | instid1(VALU_DEP_1)
	v_add_nc_u32_e32 v22, v22, v23
	v_cndmask_b32_e64 v25, 0, 1, vcc_lo
	v_cmp_le_u32_e32 vcc_lo, v47, v20
	ds_bpermute_b32 v23, v46, v22
	v_lshlrev_b32_e32 v25, 4, v25
	v_add_lshl_u32 v48, v25, v41, 2
	s_waitcnt lgkmcnt(0)
	v_cndmask_b32_e32 v23, 0, v23, vcc_lo
	v_cmp_le_u32_e32 vcc_lo, v49, v20
	s_delay_alu instid0(VALU_DEP_2) | instskip(SKIP_3) | instid1(VALU_DEP_1)
	v_add_nc_u32_e32 v22, v22, v23
	ds_bpermute_b32 v23, v48, v22
	s_waitcnt lgkmcnt(0)
	v_cndmask_b32_e32 v20, 0, v23, vcc_lo
	v_dual_mov_b32 v22, 0 :: v_dual_add_nc_u32 v23, v22, v20
	s_branch .LBB264_113
.LBB264_112:                            ;   in Loop: Header=BB264_113 Depth=1
	s_or_b32 exec_lo, exec_lo, s19
	ds_bpermute_b32 v26, v31, v23
	v_and_b32_e32 v25, 0xff, v24
	v_subrev_nc_u32_e32 v21, 32, v21
	s_delay_alu instid0(VALU_DEP_2) | instskip(SKIP_1) | instid1(VALU_DEP_1)
	v_cmp_eq_u16_e32 vcc_lo, 2, v25
	v_and_or_b32 v25, vcc_lo, v33, 0x80000000
	v_ctz_i32_b32_e32 v25, v25
	s_delay_alu instid0(VALU_DEP_1) | instskip(SKIP_3) | instid1(VALU_DEP_2)
	v_cmp_lt_u32_e32 vcc_lo, v41, v25
	s_waitcnt lgkmcnt(0)
	v_cndmask_b32_e32 v26, 0, v26, vcc_lo
	v_cmp_le_u32_e32 vcc_lo, v37, v25
	v_add_nc_u32_e32 v23, v26, v23
	ds_bpermute_b32 v26, v35, v23
	s_waitcnt lgkmcnt(0)
	v_cndmask_b32_e32 v26, 0, v26, vcc_lo
	v_cmp_le_u32_e32 vcc_lo, v45, v25
	s_delay_alu instid0(VALU_DEP_2) | instskip(SKIP_4) | instid1(VALU_DEP_2)
	v_add_nc_u32_e32 v23, v23, v26
	ds_bpermute_b32 v26, v44, v23
	s_waitcnt lgkmcnt(0)
	v_cndmask_b32_e32 v26, 0, v26, vcc_lo
	v_cmp_le_u32_e32 vcc_lo, v47, v25
	v_add_nc_u32_e32 v23, v23, v26
	ds_bpermute_b32 v26, v46, v23
	s_waitcnt lgkmcnt(0)
	v_cndmask_b32_e32 v26, 0, v26, vcc_lo
	v_cmp_le_u32_e32 vcc_lo, v49, v25
	s_delay_alu instid0(VALU_DEP_2) | instskip(SKIP_3) | instid1(VALU_DEP_1)
	v_add_nc_u32_e32 v23, v23, v26
	ds_bpermute_b32 v26, v48, v23
	s_waitcnt lgkmcnt(0)
	v_cndmask_b32_e32 v25, 0, v26, vcc_lo
	v_add3_u32 v23, v25, v20, v23
.LBB264_113:                            ; =>This Loop Header: Depth=1
                                        ;     Child Loop BB264_116 Depth 2
                                        ;       Child Loop BB264_117 Depth 3
	v_and_b32_e32 v20, 0xff, v24
	s_delay_alu instid0(VALU_DEP_1) | instskip(SKIP_2) | instid1(VALU_DEP_1)
	v_cmp_ne_u16_e32 vcc_lo, 2, v20
	v_cndmask_b32_e64 v20, 0, 1, vcc_lo
	;;#ASMSTART
	;;#ASMEND
	v_cmp_ne_u32_e32 vcc_lo, 0, v20
	v_mov_b32_e32 v20, v23
	s_cmp_lg_u32 vcc_lo, exec_lo
	s_cbranch_scc1 .LBB264_120
; %bb.114:                              ;   in Loop: Header=BB264_113 Depth=1
	v_lshlrev_b64 v[23:24], 3, v[21:22]
	s_mov_b32 s19, exec_lo
	s_delay_alu instid0(VALU_DEP_1) | instskip(NEXT) | instid1(VALU_DEP_2)
	v_add_co_u32 v25, vcc_lo, s12, v23
	v_add_co_ci_u32_e32 v26, vcc_lo, s13, v24, vcc_lo
	global_load_b64 v[23:24], v[25:26], off glc
	s_waitcnt vmcnt(0)
	v_and_b32_e32 v50, 0xff, v24
	s_delay_alu instid0(VALU_DEP_1)
	v_cmpx_eq_u16_e32 0, v50
	s_cbranch_execz .LBB264_112
; %bb.115:                              ;   in Loop: Header=BB264_113 Depth=1
	s_mov_b32 s21, 1
	s_mov_b32 s20, 0
	.p2align	6
.LBB264_116:                            ;   Parent Loop BB264_113 Depth=1
                                        ; =>  This Loop Header: Depth=2
                                        ;       Child Loop BB264_117 Depth 3
	s_max_u32 s22, s21, 1
.LBB264_117:                            ;   Parent Loop BB264_113 Depth=1
                                        ;     Parent Loop BB264_116 Depth=2
                                        ; =>    This Inner Loop Header: Depth=3
	s_delay_alu instid0(SALU_CYCLE_1)
	s_add_i32 s22, s22, -1
	s_sleep 1
	s_cmp_eq_u32 s22, 0
	s_cbranch_scc0 .LBB264_117
; %bb.118:                              ;   in Loop: Header=BB264_116 Depth=2
	global_load_b64 v[23:24], v[25:26], off glc
	s_cmp_lt_u32 s21, 32
	s_cselect_b32 s22, -1, 0
	s_delay_alu instid0(SALU_CYCLE_1) | instskip(SKIP_3) | instid1(VALU_DEP_1)
	s_cmp_lg_u32 s22, 0
	s_addc_u32 s21, s21, 0
	s_waitcnt vmcnt(0)
	v_and_b32_e32 v50, 0xff, v24
	v_cmp_ne_u16_e32 vcc_lo, 0, v50
	s_or_b32 s20, vcc_lo, s20
	s_delay_alu instid0(SALU_CYCLE_1)
	s_and_not1_b32 exec_lo, exec_lo, s20
	s_cbranch_execnz .LBB264_116
; %bb.119:                              ;   in Loop: Header=BB264_113 Depth=1
	s_or_b32 exec_lo, exec_lo, s20
	s_branch .LBB264_112
.LBB264_120:                            ;   in Loop: Header=BB264_113 Depth=1
                                        ; implicit-def: $vgpr23
                                        ; implicit-def: $vgpr24
	s_cbranch_execz .LBB264_113
; %bb.121:
	s_and_saveexec_b32 s19, s8
	s_cbranch_execz .LBB264_123
; %bb.122:
	s_add_i32 s20, s15, 32
	s_mov_b32 s21, 0
	v_dual_mov_b32 v22, 2 :: v_dual_add_nc_u32 v21, v20, v19
	s_lshl_b64 s[20:21], s[20:21], 3
	v_mov_b32_e32 v23, 0
	s_add_u32 s20, s12, s20
	s_addc_u32 s21, s13, s21
	global_store_b64 v23, v[21:22], s[20:21]
	ds_store_b64 v23, v[19:20] offset:12672
.LBB264_123:
	s_or_b32 exec_lo, exec_lo, s19
	v_cmp_eq_u32_e32 vcc_lo, 0, v0
	s_and_b32 exec_lo, exec_lo, vcc_lo
	s_cbranch_execz .LBB264_125
; %bb.124:
	v_mov_b32_e32 v19, 0
	ds_store_b32 v19, v20 offset:44
.LBB264_125:
	s_or_b32 exec_lo, exec_lo, s9
	v_mov_b32_e32 v19, 0
	s_waitcnt lgkmcnt(0)
	s_waitcnt_vscnt null, 0x0
	s_barrier
	buffer_gl0_inv
	v_cndmask_b32_e64 v21, v29, v27, s8
	ds_load_b32 v20, v19 offset:44
	v_cmp_ne_u32_e32 vcc_lo, 0, v0
	s_waitcnt lgkmcnt(0)
	s_barrier
	buffer_gl0_inv
	v_cndmask_b32_e32 v21, 0, v21, vcc_lo
	s_delay_alu instid0(VALU_DEP_1) | instskip(SKIP_2) | instid1(VALU_DEP_1)
	v_add_nc_u32_e32 v37, v20, v21
	ds_load_b64 v[19:20], v19 offset:12672
	v_add_nc_u32_e32 v35, v37, v28
	v_add_nc_u32_e32 v33, v35, v30
	s_delay_alu instid0(VALU_DEP_1) | instskip(NEXT) | instid1(VALU_DEP_1)
	v_add_nc_u32_e32 v31, v33, v32
	v_add_nc_u32_e32 v29, v31, v34
	s_delay_alu instid0(VALU_DEP_1) | instskip(NEXT) | instid1(VALU_DEP_1)
	v_add_nc_u32_e32 v27, v29, v36
	v_add_nc_u32_e32 v25, v27, v38
	s_delay_alu instid0(VALU_DEP_1)
	v_add_nc_u32_e32 v23, v25, v40
	v_lshrrev_b64 v[21:22], 24, v[17:18]
	s_branch .LBB264_136
.LBB264_126:
                                        ; implicit-def: $vgpr23
                                        ; implicit-def: $vgpr25
                                        ; implicit-def: $vgpr27
                                        ; implicit-def: $vgpr29
                                        ; implicit-def: $vgpr31
                                        ; implicit-def: $vgpr33
                                        ; implicit-def: $vgpr35
                                        ; implicit-def: $vgpr37
                                        ; implicit-def: $vgpr20
	v_lshrrev_b64 v[21:22], 24, v[17:18]
	s_and_b32 vcc_lo, exec_lo, s8
	s_cbranch_vccz .LBB264_136
; %bb.127:
	s_waitcnt lgkmcnt(0)
	v_mov_b32_dpp v19, v43 row_shr:1 row_mask:0xf bank_mask:0xf
	s_delay_alu instid0(VALU_DEP_1) | instskip(NEXT) | instid1(VALU_DEP_1)
	v_cndmask_b32_e64 v19, v19, 0, s4
	v_add_nc_u32_e32 v19, v19, v43
	s_delay_alu instid0(VALU_DEP_1) | instskip(NEXT) | instid1(VALU_DEP_1)
	v_mov_b32_dpp v20, v19 row_shr:2 row_mask:0xf bank_mask:0xf
	v_cndmask_b32_e64 v20, 0, v20, s5
	s_delay_alu instid0(VALU_DEP_1) | instskip(NEXT) | instid1(VALU_DEP_1)
	v_add_nc_u32_e32 v19, v19, v20
	v_mov_b32_dpp v20, v19 row_shr:4 row_mask:0xf bank_mask:0xf
	s_delay_alu instid0(VALU_DEP_1) | instskip(NEXT) | instid1(VALU_DEP_1)
	v_cndmask_b32_e64 v20, 0, v20, s3
	v_add_nc_u32_e32 v19, v19, v20
	s_delay_alu instid0(VALU_DEP_1) | instskip(NEXT) | instid1(VALU_DEP_1)
	v_mov_b32_dpp v20, v19 row_shr:8 row_mask:0xf bank_mask:0xf
	v_cndmask_b32_e64 v20, 0, v20, s2
	s_delay_alu instid0(VALU_DEP_1) | instskip(SKIP_3) | instid1(VALU_DEP_1)
	v_add_nc_u32_e32 v19, v19, v20
	ds_swizzle_b32 v20, v19 offset:swizzle(BROADCAST,32,15)
	s_waitcnt lgkmcnt(0)
	v_cndmask_b32_e64 v20, v20, 0, s7
	v_add_nc_u32_e32 v19, v19, v20
	s_and_saveexec_b32 s7, s6
	s_cbranch_execz .LBB264_129
; %bb.128:
	v_lshlrev_b32_e32 v20, 2, v42
	ds_store_b32 v20, v19
.LBB264_129:
	s_or_b32 exec_lo, exec_lo, s7
	s_delay_alu instid0(SALU_CYCLE_1)
	s_mov_b32 s6, exec_lo
	s_waitcnt lgkmcnt(0)
	s_barrier
	buffer_gl0_inv
	v_cmpx_gt_u32_e32 12, v0
	s_cbranch_execz .LBB264_131
; %bb.130:
	v_lshlrev_b32_e32 v20, 2, v0
	ds_load_b32 v22, v20
	s_waitcnt lgkmcnt(0)
	v_mov_b32_dpp v23, v22 row_shr:1 row_mask:0xf bank_mask:0xf
	s_delay_alu instid0(VALU_DEP_1) | instskip(NEXT) | instid1(VALU_DEP_1)
	v_cndmask_b32_e64 v23, v23, 0, s4
	v_add_nc_u32_e32 v22, v23, v22
	s_delay_alu instid0(VALU_DEP_1) | instskip(NEXT) | instid1(VALU_DEP_1)
	v_mov_b32_dpp v23, v22 row_shr:2 row_mask:0xf bank_mask:0xf
	v_cndmask_b32_e64 v23, 0, v23, s5
	s_delay_alu instid0(VALU_DEP_1) | instskip(NEXT) | instid1(VALU_DEP_1)
	v_add_nc_u32_e32 v22, v22, v23
	v_mov_b32_dpp v23, v22 row_shr:4 row_mask:0xf bank_mask:0xf
	s_delay_alu instid0(VALU_DEP_1) | instskip(NEXT) | instid1(VALU_DEP_1)
	v_cndmask_b32_e64 v23, 0, v23, s3
	v_add_nc_u32_e32 v22, v22, v23
	s_delay_alu instid0(VALU_DEP_1) | instskip(NEXT) | instid1(VALU_DEP_1)
	v_mov_b32_dpp v23, v22 row_shr:8 row_mask:0xf bank_mask:0xf
	v_cndmask_b32_e64 v23, 0, v23, s2
	s_delay_alu instid0(VALU_DEP_1)
	v_add_nc_u32_e32 v22, v22, v23
	ds_store_b32 v20, v22
.LBB264_131:
	s_or_b32 exec_lo, exec_lo, s6
	v_mov_b32_e32 v20, 0
	v_mov_b32_e32 v22, 0
	s_mov_b32 s2, exec_lo
	s_waitcnt lgkmcnt(0)
	s_barrier
	buffer_gl0_inv
	v_cmpx_lt_u32_e32 31, v0
	s_cbranch_execz .LBB264_133
; %bb.132:
	v_lshl_add_u32 v22, v42, 2, -4
	ds_load_b32 v22, v22
.LBB264_133:
	s_or_b32 exec_lo, exec_lo, s2
	v_add_nc_u32_e32 v23, -1, v41
	s_waitcnt lgkmcnt(0)
	v_add_nc_u32_e32 v19, v22, v19
	s_delay_alu instid0(VALU_DEP_2) | instskip(SKIP_2) | instid1(VALU_DEP_2)
	v_cmp_gt_i32_e32 vcc_lo, 0, v23
	v_cndmask_b32_e32 v23, v23, v41, vcc_lo
	v_cmp_eq_u32_e32 vcc_lo, 0, v0
	v_lshlrev_b32_e32 v23, 2, v23
	ds_bpermute_b32 v23, v23, v19
	ds_load_b32 v19, v20 offset:44
	s_and_saveexec_b32 s2, vcc_lo
	s_cbranch_execz .LBB264_135
; %bb.134:
	v_mov_b32_e32 v24, 0
	v_mov_b32_e32 v20, 2
	s_waitcnt lgkmcnt(0)
	global_store_b64 v24, v[19:20], s[12:13] offset:256
.LBB264_135:
	s_or_b32 exec_lo, exec_lo, s2
	v_cmp_eq_u32_e64 s2, 0, v41
	s_waitcnt lgkmcnt(0)
	s_waitcnt_vscnt null, 0x0
	s_barrier
	buffer_gl0_inv
	v_cndmask_b32_e64 v20, v23, v22, s2
	s_delay_alu instid0(VALU_DEP_1) | instskip(NEXT) | instid1(VALU_DEP_1)
	v_cndmask_b32_e64 v37, v20, 0, vcc_lo
	v_dual_mov_b32 v20, 0 :: v_dual_add_nc_u32 v35, v37, v28
	s_delay_alu instid0(VALU_DEP_1) | instskip(NEXT) | instid1(VALU_DEP_1)
	v_add_nc_u32_e32 v33, v35, v30
	v_add_nc_u32_e32 v31, v33, v32
	s_delay_alu instid0(VALU_DEP_1) | instskip(NEXT) | instid1(VALU_DEP_1)
	v_add_nc_u32_e32 v29, v31, v34
	v_add_nc_u32_e32 v27, v29, v36
	;; [unrolled: 3-line block ×3, first 2 shown]
.LBB264_136:
	s_load_b128 s[4:7], s[0:1], 0x28
	s_waitcnt lgkmcnt(0)
	v_add_nc_u32_e32 v43, v20, v19
	v_cmp_gt_u32_e64 s0, 0x181, v19
	v_lshrrev_b32_e32 v42, 8, v17
	v_lshrrev_b32_e32 v41, 16, v17
	;; [unrolled: 1-line block ×4, first 2 shown]
	v_cmp_lt_u32_e64 s1, v37, v43
	s_and_b32 vcc_lo, exec_lo, s0
	s_mov_b32 s2, -1
	s_cbranch_vccz .LBB264_162
; %bb.137:
	s_lshl_b64 s[2:3], s[10:11], 2
	s_delay_alu instid0(SALU_CYCLE_1) | instskip(SKIP_2) | instid1(SALU_CYCLE_1)
	s_add_u32 s2, s4, s2
	s_addc_u32 s3, s5, s3
	s_or_b32 s8, s18, s1
	s_and_saveexec_b32 s1, s8
	s_cbranch_execz .LBB264_140
; %bb.138:
	v_and_b32_e32 v24, 1, v17
	s_delay_alu instid0(VALU_DEP_1)
	v_cmp_eq_u32_e32 vcc_lo, 1, v24
	s_and_b32 exec_lo, exec_lo, vcc_lo
	s_cbranch_execz .LBB264_140
; %bb.139:
	v_mov_b32_e32 v38, 0
	s_delay_alu instid0(VALU_DEP_1) | instskip(NEXT) | instid1(VALU_DEP_1)
	v_lshlrev_b64 v[44:45], 2, v[37:38]
	v_add_co_u32 v44, vcc_lo, s2, v44
	s_delay_alu instid0(VALU_DEP_2)
	v_add_co_ci_u32_e32 v45, vcc_lo, s3, v45, vcc_lo
	global_store_b32 v[44:45], v15, off
.LBB264_140:
	s_or_b32 exec_lo, exec_lo, s1
	v_cmp_lt_u32_e32 vcc_lo, v35, v43
	s_or_b32 s8, s18, vcc_lo
	s_delay_alu instid0(SALU_CYCLE_1)
	s_and_saveexec_b32 s1, s8
	s_cbranch_execz .LBB264_143
; %bb.141:
	v_and_b32_e32 v24, 1, v42
	s_delay_alu instid0(VALU_DEP_1)
	v_cmp_eq_u32_e32 vcc_lo, 1, v24
	s_and_b32 exec_lo, exec_lo, vcc_lo
	s_cbranch_execz .LBB264_143
; %bb.142:
	v_mov_b32_e32 v36, 0
	s_delay_alu instid0(VALU_DEP_1) | instskip(NEXT) | instid1(VALU_DEP_1)
	v_lshlrev_b64 v[44:45], 2, v[35:36]
	v_add_co_u32 v44, vcc_lo, s2, v44
	s_delay_alu instid0(VALU_DEP_2)
	v_add_co_ci_u32_e32 v45, vcc_lo, s3, v45, vcc_lo
	global_store_b32 v[44:45], v16, off
.LBB264_143:
	s_or_b32 exec_lo, exec_lo, s1
	v_cmp_lt_u32_e32 vcc_lo, v33, v43
	s_or_b32 s8, s18, vcc_lo
	s_delay_alu instid0(SALU_CYCLE_1)
	;; [unrolled: 21-line block ×7, first 2 shown]
	s_and_saveexec_b32 s1, s8
	s_cbranch_execz .LBB264_161
; %bb.159:
	v_and_b32_e32 v24, 1, v39
	s_delay_alu instid0(VALU_DEP_1)
	v_cmp_eq_u32_e32 vcc_lo, 1, v24
	s_and_b32 exec_lo, exec_lo, vcc_lo
	s_cbranch_execz .LBB264_161
; %bb.160:
	v_mov_b32_e32 v24, 0
	s_delay_alu instid0(VALU_DEP_1) | instskip(NEXT) | instid1(VALU_DEP_1)
	v_lshlrev_b64 v[44:45], 2, v[23:24]
	v_add_co_u32 v44, vcc_lo, s2, v44
	s_delay_alu instid0(VALU_DEP_2)
	v_add_co_ci_u32_e32 v45, vcc_lo, s3, v45, vcc_lo
	global_store_b32 v[44:45], v10, off
.LBB264_161:
	s_or_b32 exec_lo, exec_lo, s1
	s_mov_b32 s2, 0
.LBB264_162:
	v_and_b32_e32 v17, 1, v17
	s_and_b32 vcc_lo, exec_lo, s2
	s_delay_alu instid0(VALU_DEP_1)
	v_cmp_eq_u32_e64 s1, 1, v17
	s_cbranch_vccz .LBB264_183
; %bb.163:
	s_delay_alu instid0(VALU_DEP_1)
	s_and_saveexec_b32 s2, s1
	s_cbranch_execz .LBB264_165
; %bb.164:
	v_sub_nc_u32_e32 v24, v37, v20
	s_delay_alu instid0(VALU_DEP_1)
	v_lshlrev_b32_e32 v24, 2, v24
	ds_store_b32 v24, v15
.LBB264_165:
	s_or_b32 exec_lo, exec_lo, s2
	v_and_b32_e32 v15, 1, v42
	s_mov_b32 s1, exec_lo
	s_delay_alu instid0(VALU_DEP_1)
	v_cmpx_eq_u32_e32 1, v15
	s_cbranch_execz .LBB264_167
; %bb.166:
	v_sub_nc_u32_e32 v15, v35, v20
	s_delay_alu instid0(VALU_DEP_1)
	v_lshlrev_b32_e32 v15, 2, v15
	ds_store_b32 v15, v16
.LBB264_167:
	s_or_b32 exec_lo, exec_lo, s1
	v_and_b32_e32 v15, 1, v41
	s_mov_b32 s1, exec_lo
	s_delay_alu instid0(VALU_DEP_1)
	v_cmpx_eq_u32_e32 1, v15
	;; [unrolled: 12-line block ×7, first 2 shown]
	s_cbranch_execz .LBB264_179
; %bb.178:
	v_sub_nc_u32_e32 v9, v23, v20
	s_delay_alu instid0(VALU_DEP_1)
	v_lshlrev_b32_e32 v9, 2, v9
	ds_store_b32 v9, v10
.LBB264_179:
	s_or_b32 exec_lo, exec_lo, s1
	s_delay_alu instid0(SALU_CYCLE_1)
	s_mov_b32 s2, exec_lo
	s_waitcnt lgkmcnt(0)
	s_waitcnt_vscnt null, 0x0
	s_barrier
	buffer_gl0_inv
	v_cmpx_lt_u32_e64 v0, v19
	s_cbranch_execz .LBB264_182
; %bb.180:
	v_dual_mov_b32 v10, 0 :: v_dual_mov_b32 v9, v20
	s_lshl_b64 s[8:9], s[10:11], 2
	v_lshlrev_b32_e32 v11, 2, v0
	s_add_u32 s1, s4, s8
	s_addc_u32 s3, s5, s9
	v_lshlrev_b64 v[12:13], 2, v[9:10]
	v_mov_b32_e32 v9, v0
	s_delay_alu instid0(VALU_DEP_2) | instskip(NEXT) | instid1(VALU_DEP_3)
	v_add_co_u32 v12, vcc_lo, s1, v12
	v_add_co_ci_u32_e32 v13, vcc_lo, s3, v13, vcc_lo
	s_mov_b32 s3, 0
	.p2align	6
.LBB264_181:                            ; =>This Inner Loop Header: Depth=1
	ds_load_b32 v16, v11
	v_lshlrev_b64 v[14:15], 2, v[9:10]
	v_add_nc_u32_e32 v9, 0x180, v9
	v_add_nc_u32_e32 v11, 0x600, v11
	s_delay_alu instid0(VALU_DEP_2) | instskip(NEXT) | instid1(VALU_DEP_4)
	v_cmp_ge_u32_e32 vcc_lo, v9, v19
	v_add_co_u32 v14, s1, v12, v14
	s_delay_alu instid0(VALU_DEP_1)
	v_add_co_ci_u32_e64 v15, s1, v13, v15, s1
	s_or_b32 s3, vcc_lo, s3
	s_waitcnt lgkmcnt(0)
	global_store_b32 v[14:15], v16, off
	s_and_not1_b32 exec_lo, exec_lo, s3
	s_cbranch_execnz .LBB264_181
.LBB264_182:
	s_or_b32 exec_lo, exec_lo, s2
.LBB264_183:
	s_delay_alu instid0(SALU_CYCLE_1)
	s_and_b32 vcc_lo, exec_lo, s0
	s_mov_b32 s0, -1
	s_waitcnt_vscnt null, 0x0
	s_barrier
	buffer_gl0_inv
	s_cbranch_vccz .LBB264_211
; %bb.184:
	v_cmp_lt_u32_e32 vcc_lo, v37, v43
	s_lshl_b64 s[0:1], s[10:11], 2
	s_delay_alu instid0(SALU_CYCLE_1) | instskip(SKIP_2) | instid1(SALU_CYCLE_1)
	s_add_u32 s0, s6, s0
	s_addc_u32 s1, s7, s1
	s_or_b32 s3, s18, vcc_lo
	s_and_saveexec_b32 s2, s3
	s_cbranch_execz .LBB264_187
; %bb.185:
	v_cmp_eq_u32_e32 vcc_lo, 1, v17
	s_and_b32 exec_lo, exec_lo, vcc_lo
	s_cbranch_execz .LBB264_187
; %bb.186:
	v_mov_b32_e32 v38, 0
	s_delay_alu instid0(VALU_DEP_1) | instskip(NEXT) | instid1(VALU_DEP_1)
	v_lshlrev_b64 v[9:10], 2, v[37:38]
	v_add_co_u32 v9, vcc_lo, s0, v9
	s_delay_alu instid0(VALU_DEP_2)
	v_add_co_ci_u32_e32 v10, vcc_lo, s1, v10, vcc_lo
	global_store_b32 v[9:10], v7, off
.LBB264_187:
	s_or_b32 exec_lo, exec_lo, s2
	v_cmp_lt_u32_e32 vcc_lo, v35, v43
	s_or_b32 s3, s18, vcc_lo
	s_delay_alu instid0(SALU_CYCLE_1)
	s_and_saveexec_b32 s2, s3
	s_cbranch_execz .LBB264_190
; %bb.188:
	v_and_b32_e32 v9, 1, v42
	s_delay_alu instid0(VALU_DEP_1)
	v_cmp_eq_u32_e32 vcc_lo, 1, v9
	s_and_b32 exec_lo, exec_lo, vcc_lo
	s_cbranch_execz .LBB264_190
; %bb.189:
	v_mov_b32_e32 v36, 0
	s_delay_alu instid0(VALU_DEP_1) | instskip(NEXT) | instid1(VALU_DEP_1)
	v_lshlrev_b64 v[9:10], 2, v[35:36]
	v_add_co_u32 v9, vcc_lo, s0, v9
	s_delay_alu instid0(VALU_DEP_2)
	v_add_co_ci_u32_e32 v10, vcc_lo, s1, v10, vcc_lo
	global_store_b32 v[9:10], v8, off
.LBB264_190:
	s_or_b32 exec_lo, exec_lo, s2
	v_cmp_lt_u32_e32 vcc_lo, v33, v43
	s_or_b32 s3, s18, vcc_lo
	s_delay_alu instid0(SALU_CYCLE_1)
	s_and_saveexec_b32 s2, s3
	s_cbranch_execz .LBB264_193
; %bb.191:
	v_and_b32_e32 v9, 1, v41
	s_delay_alu instid0(VALU_DEP_1)
	v_cmp_eq_u32_e32 vcc_lo, 1, v9
	s_and_b32 exec_lo, exec_lo, vcc_lo
	s_cbranch_execz .LBB264_193
; %bb.192:
	v_mov_b32_e32 v34, 0
	s_delay_alu instid0(VALU_DEP_1) | instskip(NEXT) | instid1(VALU_DEP_1)
	v_lshlrev_b64 v[9:10], 2, v[33:34]
	v_add_co_u32 v9, vcc_lo, s0, v9
	s_delay_alu instid0(VALU_DEP_2)
	v_add_co_ci_u32_e32 v10, vcc_lo, s1, v10, vcc_lo
	global_store_b32 v[9:10], v5, off
.LBB264_193:
	;; [unrolled: 21-line block ×7, first 2 shown]
	s_or_b32 exec_lo, exec_lo, s2
.LBB264_209:
	v_cmp_eq_u32_e32 vcc_lo, 0, v0
	s_and_b32 s0, vcc_lo, s14
	s_delay_alu instid0(SALU_CYCLE_1)
	s_and_saveexec_b32 s1, s0
	s_cbranch_execz .LBB264_232
.LBB264_210:
	v_add_co_u32 v0, s0, s10, v19
	s_delay_alu instid0(VALU_DEP_1) | instskip(SKIP_1) | instid1(VALU_DEP_3)
	v_add_co_ci_u32_e64 v1, null, s11, 0, s0
	v_mov_b32_e32 v2, 0
	v_add_co_u32 v0, vcc_lo, v0, v20
	s_delay_alu instid0(VALU_DEP_3)
	v_add_co_ci_u32_e32 v1, vcc_lo, 0, v1, vcc_lo
	global_store_b64 v2, v[0:1], s[16:17]
	s_nop 0
	s_sendmsg sendmsg(MSG_DEALLOC_VGPRS)
	s_endpgm
.LBB264_211:
	s_and_b32 vcc_lo, exec_lo, s0
	s_cbranch_vccz .LBB264_209
; %bb.212:
	s_mov_b32 s0, exec_lo
	v_cmpx_eq_u32_e32 1, v17
	s_cbranch_execz .LBB264_214
; %bb.213:
	v_sub_nc_u32_e32 v9, v37, v20
	s_delay_alu instid0(VALU_DEP_1)
	v_lshlrev_b32_e32 v9, 2, v9
	ds_store_b32 v9, v7
.LBB264_214:
	s_or_b32 exec_lo, exec_lo, s0
	v_and_b32_e32 v7, 1, v42
	s_mov_b32 s0, exec_lo
	s_delay_alu instid0(VALU_DEP_1)
	v_cmpx_eq_u32_e32 1, v7
	s_cbranch_execz .LBB264_216
; %bb.215:
	v_sub_nc_u32_e32 v7, v35, v20
	s_delay_alu instid0(VALU_DEP_1)
	v_lshlrev_b32_e32 v7, 2, v7
	ds_store_b32 v7, v8
.LBB264_216:
	s_or_b32 exec_lo, exec_lo, s0
	v_and_b32_e32 v7, 1, v41
	s_mov_b32 s0, exec_lo
	s_delay_alu instid0(VALU_DEP_1)
	;; [unrolled: 12-line block ×7, first 2 shown]
	v_cmpx_eq_u32_e32 1, v1
	s_cbranch_execz .LBB264_228
; %bb.227:
	v_sub_nc_u32_e32 v1, v23, v20
	s_delay_alu instid0(VALU_DEP_1)
	v_lshlrev_b32_e32 v1, 2, v1
	ds_store_b32 v1, v2
.LBB264_228:
	s_or_b32 exec_lo, exec_lo, s0
	s_delay_alu instid0(SALU_CYCLE_1)
	s_mov_b32 s1, exec_lo
	s_waitcnt lgkmcnt(0)
	s_waitcnt_vscnt null, 0x0
	s_barrier
	buffer_gl0_inv
	v_cmpx_lt_u32_e64 v0, v19
	s_cbranch_execz .LBB264_231
; %bb.229:
	v_dual_mov_b32 v2, 0 :: v_dual_mov_b32 v1, v20
	s_lshl_b64 s[2:3], s[10:11], 2
	v_lshlrev_b32_e32 v3, 2, v0
	s_add_u32 s0, s6, s2
	s_addc_u32 s2, s7, s3
	v_lshlrev_b64 v[4:5], 2, v[1:2]
	v_mov_b32_e32 v1, v0
	s_delay_alu instid0(VALU_DEP_2) | instskip(NEXT) | instid1(VALU_DEP_3)
	v_add_co_u32 v4, vcc_lo, s0, v4
	v_add_co_ci_u32_e32 v5, vcc_lo, s2, v5, vcc_lo
	s_mov_b32 s2, 0
	.p2align	6
.LBB264_230:                            ; =>This Inner Loop Header: Depth=1
	ds_load_b32 v8, v3
	v_lshlrev_b64 v[6:7], 2, v[1:2]
	v_add_nc_u32_e32 v1, 0x180, v1
	v_add_nc_u32_e32 v3, 0x600, v3
	s_delay_alu instid0(VALU_DEP_2) | instskip(NEXT) | instid1(VALU_DEP_4)
	v_cmp_ge_u32_e32 vcc_lo, v1, v19
	v_add_co_u32 v6, s0, v4, v6
	s_delay_alu instid0(VALU_DEP_1)
	v_add_co_ci_u32_e64 v7, s0, v5, v7, s0
	s_or_b32 s2, vcc_lo, s2
	s_waitcnt lgkmcnt(0)
	global_store_b32 v[6:7], v8, off
	s_and_not1_b32 exec_lo, exec_lo, s2
	s_cbranch_execnz .LBB264_230
.LBB264_231:
	s_or_b32 exec_lo, exec_lo, s1
	v_cmp_eq_u32_e32 vcc_lo, 0, v0
	s_and_b32 s0, vcc_lo, s14
	s_delay_alu instid0(SALU_CYCLE_1)
	s_and_saveexec_b32 s1, s0
	s_cbranch_execnz .LBB264_210
.LBB264_232:
	s_nop 0
	s_sendmsg sendmsg(MSG_DEALLOC_VGPRS)
	s_endpgm
	.section	.rodata,"a",@progbits
	.p2align	6, 0x0
	.amdhsa_kernel _ZN7rocprim17ROCPRIM_400000_NS6detail17trampoline_kernelINS0_14default_configENS1_25partition_config_selectorILNS1_17partition_subalgoE9EjjbEEZZNS1_14partition_implILS5_9ELb0ES3_jN6thrust23THRUST_200600_302600_NS6detail15normal_iteratorINS9_10device_ptrIjEEEESE_PNS0_10empty_typeENS0_5tupleIJSE_SF_EEENSH_IJSE_SG_EEENS0_18inequality_wrapperI22is_equal_div_10_uniqueIjEEEPmJSF_EEE10hipError_tPvRmT3_T4_T5_T6_T7_T9_mT8_P12ihipStream_tbDpT10_ENKUlT_T0_E_clISt17integral_constantIbLb1EES17_IbLb0EEEEDaS13_S14_EUlS13_E_NS1_11comp_targetILNS1_3genE9ELNS1_11target_archE1100ELNS1_3gpuE3ELNS1_3repE0EEENS1_30default_config_static_selectorELNS0_4arch9wavefront6targetE0EEEvT1_
		.amdhsa_group_segment_fixed_size 12680
		.amdhsa_private_segment_fixed_size 0
		.amdhsa_kernarg_size 112
		.amdhsa_user_sgpr_count 15
		.amdhsa_user_sgpr_dispatch_ptr 0
		.amdhsa_user_sgpr_queue_ptr 0
		.amdhsa_user_sgpr_kernarg_segment_ptr 1
		.amdhsa_user_sgpr_dispatch_id 0
		.amdhsa_user_sgpr_private_segment_size 0
		.amdhsa_wavefront_size32 1
		.amdhsa_uses_dynamic_stack 0
		.amdhsa_enable_private_segment 0
		.amdhsa_system_sgpr_workgroup_id_x 1
		.amdhsa_system_sgpr_workgroup_id_y 0
		.amdhsa_system_sgpr_workgroup_id_z 0
		.amdhsa_system_sgpr_workgroup_info 0
		.amdhsa_system_vgpr_workitem_id 0
		.amdhsa_next_free_vgpr 51
		.amdhsa_next_free_sgpr 25
		.amdhsa_reserve_vcc 1
		.amdhsa_float_round_mode_32 0
		.amdhsa_float_round_mode_16_64 0
		.amdhsa_float_denorm_mode_32 3
		.amdhsa_float_denorm_mode_16_64 3
		.amdhsa_dx10_clamp 1
		.amdhsa_ieee_mode 1
		.amdhsa_fp16_overflow 0
		.amdhsa_workgroup_processor_mode 1
		.amdhsa_memory_ordered 1
		.amdhsa_forward_progress 0
		.amdhsa_shared_vgpr_count 0
		.amdhsa_exception_fp_ieee_invalid_op 0
		.amdhsa_exception_fp_denorm_src 0
		.amdhsa_exception_fp_ieee_div_zero 0
		.amdhsa_exception_fp_ieee_overflow 0
		.amdhsa_exception_fp_ieee_underflow 0
		.amdhsa_exception_fp_ieee_inexact 0
		.amdhsa_exception_int_div_zero 0
	.end_amdhsa_kernel
	.section	.text._ZN7rocprim17ROCPRIM_400000_NS6detail17trampoline_kernelINS0_14default_configENS1_25partition_config_selectorILNS1_17partition_subalgoE9EjjbEEZZNS1_14partition_implILS5_9ELb0ES3_jN6thrust23THRUST_200600_302600_NS6detail15normal_iteratorINS9_10device_ptrIjEEEESE_PNS0_10empty_typeENS0_5tupleIJSE_SF_EEENSH_IJSE_SG_EEENS0_18inequality_wrapperI22is_equal_div_10_uniqueIjEEEPmJSF_EEE10hipError_tPvRmT3_T4_T5_T6_T7_T9_mT8_P12ihipStream_tbDpT10_ENKUlT_T0_E_clISt17integral_constantIbLb1EES17_IbLb0EEEEDaS13_S14_EUlS13_E_NS1_11comp_targetILNS1_3genE9ELNS1_11target_archE1100ELNS1_3gpuE3ELNS1_3repE0EEENS1_30default_config_static_selectorELNS0_4arch9wavefront6targetE0EEEvT1_,"axG",@progbits,_ZN7rocprim17ROCPRIM_400000_NS6detail17trampoline_kernelINS0_14default_configENS1_25partition_config_selectorILNS1_17partition_subalgoE9EjjbEEZZNS1_14partition_implILS5_9ELb0ES3_jN6thrust23THRUST_200600_302600_NS6detail15normal_iteratorINS9_10device_ptrIjEEEESE_PNS0_10empty_typeENS0_5tupleIJSE_SF_EEENSH_IJSE_SG_EEENS0_18inequality_wrapperI22is_equal_div_10_uniqueIjEEEPmJSF_EEE10hipError_tPvRmT3_T4_T5_T6_T7_T9_mT8_P12ihipStream_tbDpT10_ENKUlT_T0_E_clISt17integral_constantIbLb1EES17_IbLb0EEEEDaS13_S14_EUlS13_E_NS1_11comp_targetILNS1_3genE9ELNS1_11target_archE1100ELNS1_3gpuE3ELNS1_3repE0EEENS1_30default_config_static_selectorELNS0_4arch9wavefront6targetE0EEEvT1_,comdat
.Lfunc_end264:
	.size	_ZN7rocprim17ROCPRIM_400000_NS6detail17trampoline_kernelINS0_14default_configENS1_25partition_config_selectorILNS1_17partition_subalgoE9EjjbEEZZNS1_14partition_implILS5_9ELb0ES3_jN6thrust23THRUST_200600_302600_NS6detail15normal_iteratorINS9_10device_ptrIjEEEESE_PNS0_10empty_typeENS0_5tupleIJSE_SF_EEENSH_IJSE_SG_EEENS0_18inequality_wrapperI22is_equal_div_10_uniqueIjEEEPmJSF_EEE10hipError_tPvRmT3_T4_T5_T6_T7_T9_mT8_P12ihipStream_tbDpT10_ENKUlT_T0_E_clISt17integral_constantIbLb1EES17_IbLb0EEEEDaS13_S14_EUlS13_E_NS1_11comp_targetILNS1_3genE9ELNS1_11target_archE1100ELNS1_3gpuE3ELNS1_3repE0EEENS1_30default_config_static_selectorELNS0_4arch9wavefront6targetE0EEEvT1_, .Lfunc_end264-_ZN7rocprim17ROCPRIM_400000_NS6detail17trampoline_kernelINS0_14default_configENS1_25partition_config_selectorILNS1_17partition_subalgoE9EjjbEEZZNS1_14partition_implILS5_9ELb0ES3_jN6thrust23THRUST_200600_302600_NS6detail15normal_iteratorINS9_10device_ptrIjEEEESE_PNS0_10empty_typeENS0_5tupleIJSE_SF_EEENSH_IJSE_SG_EEENS0_18inequality_wrapperI22is_equal_div_10_uniqueIjEEEPmJSF_EEE10hipError_tPvRmT3_T4_T5_T6_T7_T9_mT8_P12ihipStream_tbDpT10_ENKUlT_T0_E_clISt17integral_constantIbLb1EES17_IbLb0EEEEDaS13_S14_EUlS13_E_NS1_11comp_targetILNS1_3genE9ELNS1_11target_archE1100ELNS1_3gpuE3ELNS1_3repE0EEENS1_30default_config_static_selectorELNS0_4arch9wavefront6targetE0EEEvT1_
                                        ; -- End function
	.section	.AMDGPU.csdata,"",@progbits
; Kernel info:
; codeLenInByte = 10744
; NumSgprs: 27
; NumVgprs: 51
; ScratchSize: 0
; MemoryBound: 0
; FloatMode: 240
; IeeeMode: 1
; LDSByteSize: 12680 bytes/workgroup (compile time only)
; SGPRBlocks: 3
; VGPRBlocks: 6
; NumSGPRsForWavesPerEU: 27
; NumVGPRsForWavesPerEU: 51
; Occupancy: 15
; WaveLimiterHint : 1
; COMPUTE_PGM_RSRC2:SCRATCH_EN: 0
; COMPUTE_PGM_RSRC2:USER_SGPR: 15
; COMPUTE_PGM_RSRC2:TRAP_HANDLER: 0
; COMPUTE_PGM_RSRC2:TGID_X_EN: 1
; COMPUTE_PGM_RSRC2:TGID_Y_EN: 0
; COMPUTE_PGM_RSRC2:TGID_Z_EN: 0
; COMPUTE_PGM_RSRC2:TIDIG_COMP_CNT: 0
	.section	.text._ZN7rocprim17ROCPRIM_400000_NS6detail17trampoline_kernelINS0_14default_configENS1_25partition_config_selectorILNS1_17partition_subalgoE9EjjbEEZZNS1_14partition_implILS5_9ELb0ES3_jN6thrust23THRUST_200600_302600_NS6detail15normal_iteratorINS9_10device_ptrIjEEEESE_PNS0_10empty_typeENS0_5tupleIJSE_SF_EEENSH_IJSE_SG_EEENS0_18inequality_wrapperI22is_equal_div_10_uniqueIjEEEPmJSF_EEE10hipError_tPvRmT3_T4_T5_T6_T7_T9_mT8_P12ihipStream_tbDpT10_ENKUlT_T0_E_clISt17integral_constantIbLb1EES17_IbLb0EEEEDaS13_S14_EUlS13_E_NS1_11comp_targetILNS1_3genE8ELNS1_11target_archE1030ELNS1_3gpuE2ELNS1_3repE0EEENS1_30default_config_static_selectorELNS0_4arch9wavefront6targetE0EEEvT1_,"axG",@progbits,_ZN7rocprim17ROCPRIM_400000_NS6detail17trampoline_kernelINS0_14default_configENS1_25partition_config_selectorILNS1_17partition_subalgoE9EjjbEEZZNS1_14partition_implILS5_9ELb0ES3_jN6thrust23THRUST_200600_302600_NS6detail15normal_iteratorINS9_10device_ptrIjEEEESE_PNS0_10empty_typeENS0_5tupleIJSE_SF_EEENSH_IJSE_SG_EEENS0_18inequality_wrapperI22is_equal_div_10_uniqueIjEEEPmJSF_EEE10hipError_tPvRmT3_T4_T5_T6_T7_T9_mT8_P12ihipStream_tbDpT10_ENKUlT_T0_E_clISt17integral_constantIbLb1EES17_IbLb0EEEEDaS13_S14_EUlS13_E_NS1_11comp_targetILNS1_3genE8ELNS1_11target_archE1030ELNS1_3gpuE2ELNS1_3repE0EEENS1_30default_config_static_selectorELNS0_4arch9wavefront6targetE0EEEvT1_,comdat
	.protected	_ZN7rocprim17ROCPRIM_400000_NS6detail17trampoline_kernelINS0_14default_configENS1_25partition_config_selectorILNS1_17partition_subalgoE9EjjbEEZZNS1_14partition_implILS5_9ELb0ES3_jN6thrust23THRUST_200600_302600_NS6detail15normal_iteratorINS9_10device_ptrIjEEEESE_PNS0_10empty_typeENS0_5tupleIJSE_SF_EEENSH_IJSE_SG_EEENS0_18inequality_wrapperI22is_equal_div_10_uniqueIjEEEPmJSF_EEE10hipError_tPvRmT3_T4_T5_T6_T7_T9_mT8_P12ihipStream_tbDpT10_ENKUlT_T0_E_clISt17integral_constantIbLb1EES17_IbLb0EEEEDaS13_S14_EUlS13_E_NS1_11comp_targetILNS1_3genE8ELNS1_11target_archE1030ELNS1_3gpuE2ELNS1_3repE0EEENS1_30default_config_static_selectorELNS0_4arch9wavefront6targetE0EEEvT1_ ; -- Begin function _ZN7rocprim17ROCPRIM_400000_NS6detail17trampoline_kernelINS0_14default_configENS1_25partition_config_selectorILNS1_17partition_subalgoE9EjjbEEZZNS1_14partition_implILS5_9ELb0ES3_jN6thrust23THRUST_200600_302600_NS6detail15normal_iteratorINS9_10device_ptrIjEEEESE_PNS0_10empty_typeENS0_5tupleIJSE_SF_EEENSH_IJSE_SG_EEENS0_18inequality_wrapperI22is_equal_div_10_uniqueIjEEEPmJSF_EEE10hipError_tPvRmT3_T4_T5_T6_T7_T9_mT8_P12ihipStream_tbDpT10_ENKUlT_T0_E_clISt17integral_constantIbLb1EES17_IbLb0EEEEDaS13_S14_EUlS13_E_NS1_11comp_targetILNS1_3genE8ELNS1_11target_archE1030ELNS1_3gpuE2ELNS1_3repE0EEENS1_30default_config_static_selectorELNS0_4arch9wavefront6targetE0EEEvT1_
	.globl	_ZN7rocprim17ROCPRIM_400000_NS6detail17trampoline_kernelINS0_14default_configENS1_25partition_config_selectorILNS1_17partition_subalgoE9EjjbEEZZNS1_14partition_implILS5_9ELb0ES3_jN6thrust23THRUST_200600_302600_NS6detail15normal_iteratorINS9_10device_ptrIjEEEESE_PNS0_10empty_typeENS0_5tupleIJSE_SF_EEENSH_IJSE_SG_EEENS0_18inequality_wrapperI22is_equal_div_10_uniqueIjEEEPmJSF_EEE10hipError_tPvRmT3_T4_T5_T6_T7_T9_mT8_P12ihipStream_tbDpT10_ENKUlT_T0_E_clISt17integral_constantIbLb1EES17_IbLb0EEEEDaS13_S14_EUlS13_E_NS1_11comp_targetILNS1_3genE8ELNS1_11target_archE1030ELNS1_3gpuE2ELNS1_3repE0EEENS1_30default_config_static_selectorELNS0_4arch9wavefront6targetE0EEEvT1_
	.p2align	8
	.type	_ZN7rocprim17ROCPRIM_400000_NS6detail17trampoline_kernelINS0_14default_configENS1_25partition_config_selectorILNS1_17partition_subalgoE9EjjbEEZZNS1_14partition_implILS5_9ELb0ES3_jN6thrust23THRUST_200600_302600_NS6detail15normal_iteratorINS9_10device_ptrIjEEEESE_PNS0_10empty_typeENS0_5tupleIJSE_SF_EEENSH_IJSE_SG_EEENS0_18inequality_wrapperI22is_equal_div_10_uniqueIjEEEPmJSF_EEE10hipError_tPvRmT3_T4_T5_T6_T7_T9_mT8_P12ihipStream_tbDpT10_ENKUlT_T0_E_clISt17integral_constantIbLb1EES17_IbLb0EEEEDaS13_S14_EUlS13_E_NS1_11comp_targetILNS1_3genE8ELNS1_11target_archE1030ELNS1_3gpuE2ELNS1_3repE0EEENS1_30default_config_static_selectorELNS0_4arch9wavefront6targetE0EEEvT1_,@function
_ZN7rocprim17ROCPRIM_400000_NS6detail17trampoline_kernelINS0_14default_configENS1_25partition_config_selectorILNS1_17partition_subalgoE9EjjbEEZZNS1_14partition_implILS5_9ELb0ES3_jN6thrust23THRUST_200600_302600_NS6detail15normal_iteratorINS9_10device_ptrIjEEEESE_PNS0_10empty_typeENS0_5tupleIJSE_SF_EEENSH_IJSE_SG_EEENS0_18inequality_wrapperI22is_equal_div_10_uniqueIjEEEPmJSF_EEE10hipError_tPvRmT3_T4_T5_T6_T7_T9_mT8_P12ihipStream_tbDpT10_ENKUlT_T0_E_clISt17integral_constantIbLb1EES17_IbLb0EEEEDaS13_S14_EUlS13_E_NS1_11comp_targetILNS1_3genE8ELNS1_11target_archE1030ELNS1_3gpuE2ELNS1_3repE0EEENS1_30default_config_static_selectorELNS0_4arch9wavefront6targetE0EEEvT1_: ; @_ZN7rocprim17ROCPRIM_400000_NS6detail17trampoline_kernelINS0_14default_configENS1_25partition_config_selectorILNS1_17partition_subalgoE9EjjbEEZZNS1_14partition_implILS5_9ELb0ES3_jN6thrust23THRUST_200600_302600_NS6detail15normal_iteratorINS9_10device_ptrIjEEEESE_PNS0_10empty_typeENS0_5tupleIJSE_SF_EEENSH_IJSE_SG_EEENS0_18inequality_wrapperI22is_equal_div_10_uniqueIjEEEPmJSF_EEE10hipError_tPvRmT3_T4_T5_T6_T7_T9_mT8_P12ihipStream_tbDpT10_ENKUlT_T0_E_clISt17integral_constantIbLb1EES17_IbLb0EEEEDaS13_S14_EUlS13_E_NS1_11comp_targetILNS1_3genE8ELNS1_11target_archE1030ELNS1_3gpuE2ELNS1_3repE0EEENS1_30default_config_static_selectorELNS0_4arch9wavefront6targetE0EEEvT1_
; %bb.0:
	.section	.rodata,"a",@progbits
	.p2align	6, 0x0
	.amdhsa_kernel _ZN7rocprim17ROCPRIM_400000_NS6detail17trampoline_kernelINS0_14default_configENS1_25partition_config_selectorILNS1_17partition_subalgoE9EjjbEEZZNS1_14partition_implILS5_9ELb0ES3_jN6thrust23THRUST_200600_302600_NS6detail15normal_iteratorINS9_10device_ptrIjEEEESE_PNS0_10empty_typeENS0_5tupleIJSE_SF_EEENSH_IJSE_SG_EEENS0_18inequality_wrapperI22is_equal_div_10_uniqueIjEEEPmJSF_EEE10hipError_tPvRmT3_T4_T5_T6_T7_T9_mT8_P12ihipStream_tbDpT10_ENKUlT_T0_E_clISt17integral_constantIbLb1EES17_IbLb0EEEEDaS13_S14_EUlS13_E_NS1_11comp_targetILNS1_3genE8ELNS1_11target_archE1030ELNS1_3gpuE2ELNS1_3repE0EEENS1_30default_config_static_selectorELNS0_4arch9wavefront6targetE0EEEvT1_
		.amdhsa_group_segment_fixed_size 0
		.amdhsa_private_segment_fixed_size 0
		.amdhsa_kernarg_size 112
		.amdhsa_user_sgpr_count 15
		.amdhsa_user_sgpr_dispatch_ptr 0
		.amdhsa_user_sgpr_queue_ptr 0
		.amdhsa_user_sgpr_kernarg_segment_ptr 1
		.amdhsa_user_sgpr_dispatch_id 0
		.amdhsa_user_sgpr_private_segment_size 0
		.amdhsa_wavefront_size32 1
		.amdhsa_uses_dynamic_stack 0
		.amdhsa_enable_private_segment 0
		.amdhsa_system_sgpr_workgroup_id_x 1
		.amdhsa_system_sgpr_workgroup_id_y 0
		.amdhsa_system_sgpr_workgroup_id_z 0
		.amdhsa_system_sgpr_workgroup_info 0
		.amdhsa_system_vgpr_workitem_id 0
		.amdhsa_next_free_vgpr 1
		.amdhsa_next_free_sgpr 1
		.amdhsa_reserve_vcc 0
		.amdhsa_float_round_mode_32 0
		.amdhsa_float_round_mode_16_64 0
		.amdhsa_float_denorm_mode_32 3
		.amdhsa_float_denorm_mode_16_64 3
		.amdhsa_dx10_clamp 1
		.amdhsa_ieee_mode 1
		.amdhsa_fp16_overflow 0
		.amdhsa_workgroup_processor_mode 1
		.amdhsa_memory_ordered 1
		.amdhsa_forward_progress 0
		.amdhsa_shared_vgpr_count 0
		.amdhsa_exception_fp_ieee_invalid_op 0
		.amdhsa_exception_fp_denorm_src 0
		.amdhsa_exception_fp_ieee_div_zero 0
		.amdhsa_exception_fp_ieee_overflow 0
		.amdhsa_exception_fp_ieee_underflow 0
		.amdhsa_exception_fp_ieee_inexact 0
		.amdhsa_exception_int_div_zero 0
	.end_amdhsa_kernel
	.section	.text._ZN7rocprim17ROCPRIM_400000_NS6detail17trampoline_kernelINS0_14default_configENS1_25partition_config_selectorILNS1_17partition_subalgoE9EjjbEEZZNS1_14partition_implILS5_9ELb0ES3_jN6thrust23THRUST_200600_302600_NS6detail15normal_iteratorINS9_10device_ptrIjEEEESE_PNS0_10empty_typeENS0_5tupleIJSE_SF_EEENSH_IJSE_SG_EEENS0_18inequality_wrapperI22is_equal_div_10_uniqueIjEEEPmJSF_EEE10hipError_tPvRmT3_T4_T5_T6_T7_T9_mT8_P12ihipStream_tbDpT10_ENKUlT_T0_E_clISt17integral_constantIbLb1EES17_IbLb0EEEEDaS13_S14_EUlS13_E_NS1_11comp_targetILNS1_3genE8ELNS1_11target_archE1030ELNS1_3gpuE2ELNS1_3repE0EEENS1_30default_config_static_selectorELNS0_4arch9wavefront6targetE0EEEvT1_,"axG",@progbits,_ZN7rocprim17ROCPRIM_400000_NS6detail17trampoline_kernelINS0_14default_configENS1_25partition_config_selectorILNS1_17partition_subalgoE9EjjbEEZZNS1_14partition_implILS5_9ELb0ES3_jN6thrust23THRUST_200600_302600_NS6detail15normal_iteratorINS9_10device_ptrIjEEEESE_PNS0_10empty_typeENS0_5tupleIJSE_SF_EEENSH_IJSE_SG_EEENS0_18inequality_wrapperI22is_equal_div_10_uniqueIjEEEPmJSF_EEE10hipError_tPvRmT3_T4_T5_T6_T7_T9_mT8_P12ihipStream_tbDpT10_ENKUlT_T0_E_clISt17integral_constantIbLb1EES17_IbLb0EEEEDaS13_S14_EUlS13_E_NS1_11comp_targetILNS1_3genE8ELNS1_11target_archE1030ELNS1_3gpuE2ELNS1_3repE0EEENS1_30default_config_static_selectorELNS0_4arch9wavefront6targetE0EEEvT1_,comdat
.Lfunc_end265:
	.size	_ZN7rocprim17ROCPRIM_400000_NS6detail17trampoline_kernelINS0_14default_configENS1_25partition_config_selectorILNS1_17partition_subalgoE9EjjbEEZZNS1_14partition_implILS5_9ELb0ES3_jN6thrust23THRUST_200600_302600_NS6detail15normal_iteratorINS9_10device_ptrIjEEEESE_PNS0_10empty_typeENS0_5tupleIJSE_SF_EEENSH_IJSE_SG_EEENS0_18inequality_wrapperI22is_equal_div_10_uniqueIjEEEPmJSF_EEE10hipError_tPvRmT3_T4_T5_T6_T7_T9_mT8_P12ihipStream_tbDpT10_ENKUlT_T0_E_clISt17integral_constantIbLb1EES17_IbLb0EEEEDaS13_S14_EUlS13_E_NS1_11comp_targetILNS1_3genE8ELNS1_11target_archE1030ELNS1_3gpuE2ELNS1_3repE0EEENS1_30default_config_static_selectorELNS0_4arch9wavefront6targetE0EEEvT1_, .Lfunc_end265-_ZN7rocprim17ROCPRIM_400000_NS6detail17trampoline_kernelINS0_14default_configENS1_25partition_config_selectorILNS1_17partition_subalgoE9EjjbEEZZNS1_14partition_implILS5_9ELb0ES3_jN6thrust23THRUST_200600_302600_NS6detail15normal_iteratorINS9_10device_ptrIjEEEESE_PNS0_10empty_typeENS0_5tupleIJSE_SF_EEENSH_IJSE_SG_EEENS0_18inequality_wrapperI22is_equal_div_10_uniqueIjEEEPmJSF_EEE10hipError_tPvRmT3_T4_T5_T6_T7_T9_mT8_P12ihipStream_tbDpT10_ENKUlT_T0_E_clISt17integral_constantIbLb1EES17_IbLb0EEEEDaS13_S14_EUlS13_E_NS1_11comp_targetILNS1_3genE8ELNS1_11target_archE1030ELNS1_3gpuE2ELNS1_3repE0EEENS1_30default_config_static_selectorELNS0_4arch9wavefront6targetE0EEEvT1_
                                        ; -- End function
	.section	.AMDGPU.csdata,"",@progbits
; Kernel info:
; codeLenInByte = 0
; NumSgprs: 0
; NumVgprs: 0
; ScratchSize: 0
; MemoryBound: 0
; FloatMode: 240
; IeeeMode: 1
; LDSByteSize: 0 bytes/workgroup (compile time only)
; SGPRBlocks: 0
; VGPRBlocks: 0
; NumSGPRsForWavesPerEU: 1
; NumVGPRsForWavesPerEU: 1
; Occupancy: 16
; WaveLimiterHint : 0
; COMPUTE_PGM_RSRC2:SCRATCH_EN: 0
; COMPUTE_PGM_RSRC2:USER_SGPR: 15
; COMPUTE_PGM_RSRC2:TRAP_HANDLER: 0
; COMPUTE_PGM_RSRC2:TGID_X_EN: 1
; COMPUTE_PGM_RSRC2:TGID_Y_EN: 0
; COMPUTE_PGM_RSRC2:TGID_Z_EN: 0
; COMPUTE_PGM_RSRC2:TIDIG_COMP_CNT: 0
	.section	.text._ZN7rocprim17ROCPRIM_400000_NS6detail17trampoline_kernelINS0_14default_configENS1_25partition_config_selectorILNS1_17partition_subalgoE9EjjbEEZZNS1_14partition_implILS5_9ELb0ES3_jN6thrust23THRUST_200600_302600_NS6detail15normal_iteratorINS9_10device_ptrIjEEEESE_PNS0_10empty_typeENS0_5tupleIJSE_SF_EEENSH_IJSE_SG_EEENS0_18inequality_wrapperI22is_equal_div_10_uniqueIjEEEPmJSF_EEE10hipError_tPvRmT3_T4_T5_T6_T7_T9_mT8_P12ihipStream_tbDpT10_ENKUlT_T0_E_clISt17integral_constantIbLb0EES17_IbLb1EEEEDaS13_S14_EUlS13_E_NS1_11comp_targetILNS1_3genE0ELNS1_11target_archE4294967295ELNS1_3gpuE0ELNS1_3repE0EEENS1_30default_config_static_selectorELNS0_4arch9wavefront6targetE0EEEvT1_,"axG",@progbits,_ZN7rocprim17ROCPRIM_400000_NS6detail17trampoline_kernelINS0_14default_configENS1_25partition_config_selectorILNS1_17partition_subalgoE9EjjbEEZZNS1_14partition_implILS5_9ELb0ES3_jN6thrust23THRUST_200600_302600_NS6detail15normal_iteratorINS9_10device_ptrIjEEEESE_PNS0_10empty_typeENS0_5tupleIJSE_SF_EEENSH_IJSE_SG_EEENS0_18inequality_wrapperI22is_equal_div_10_uniqueIjEEEPmJSF_EEE10hipError_tPvRmT3_T4_T5_T6_T7_T9_mT8_P12ihipStream_tbDpT10_ENKUlT_T0_E_clISt17integral_constantIbLb0EES17_IbLb1EEEEDaS13_S14_EUlS13_E_NS1_11comp_targetILNS1_3genE0ELNS1_11target_archE4294967295ELNS1_3gpuE0ELNS1_3repE0EEENS1_30default_config_static_selectorELNS0_4arch9wavefront6targetE0EEEvT1_,comdat
	.protected	_ZN7rocprim17ROCPRIM_400000_NS6detail17trampoline_kernelINS0_14default_configENS1_25partition_config_selectorILNS1_17partition_subalgoE9EjjbEEZZNS1_14partition_implILS5_9ELb0ES3_jN6thrust23THRUST_200600_302600_NS6detail15normal_iteratorINS9_10device_ptrIjEEEESE_PNS0_10empty_typeENS0_5tupleIJSE_SF_EEENSH_IJSE_SG_EEENS0_18inequality_wrapperI22is_equal_div_10_uniqueIjEEEPmJSF_EEE10hipError_tPvRmT3_T4_T5_T6_T7_T9_mT8_P12ihipStream_tbDpT10_ENKUlT_T0_E_clISt17integral_constantIbLb0EES17_IbLb1EEEEDaS13_S14_EUlS13_E_NS1_11comp_targetILNS1_3genE0ELNS1_11target_archE4294967295ELNS1_3gpuE0ELNS1_3repE0EEENS1_30default_config_static_selectorELNS0_4arch9wavefront6targetE0EEEvT1_ ; -- Begin function _ZN7rocprim17ROCPRIM_400000_NS6detail17trampoline_kernelINS0_14default_configENS1_25partition_config_selectorILNS1_17partition_subalgoE9EjjbEEZZNS1_14partition_implILS5_9ELb0ES3_jN6thrust23THRUST_200600_302600_NS6detail15normal_iteratorINS9_10device_ptrIjEEEESE_PNS0_10empty_typeENS0_5tupleIJSE_SF_EEENSH_IJSE_SG_EEENS0_18inequality_wrapperI22is_equal_div_10_uniqueIjEEEPmJSF_EEE10hipError_tPvRmT3_T4_T5_T6_T7_T9_mT8_P12ihipStream_tbDpT10_ENKUlT_T0_E_clISt17integral_constantIbLb0EES17_IbLb1EEEEDaS13_S14_EUlS13_E_NS1_11comp_targetILNS1_3genE0ELNS1_11target_archE4294967295ELNS1_3gpuE0ELNS1_3repE0EEENS1_30default_config_static_selectorELNS0_4arch9wavefront6targetE0EEEvT1_
	.globl	_ZN7rocprim17ROCPRIM_400000_NS6detail17trampoline_kernelINS0_14default_configENS1_25partition_config_selectorILNS1_17partition_subalgoE9EjjbEEZZNS1_14partition_implILS5_9ELb0ES3_jN6thrust23THRUST_200600_302600_NS6detail15normal_iteratorINS9_10device_ptrIjEEEESE_PNS0_10empty_typeENS0_5tupleIJSE_SF_EEENSH_IJSE_SG_EEENS0_18inequality_wrapperI22is_equal_div_10_uniqueIjEEEPmJSF_EEE10hipError_tPvRmT3_T4_T5_T6_T7_T9_mT8_P12ihipStream_tbDpT10_ENKUlT_T0_E_clISt17integral_constantIbLb0EES17_IbLb1EEEEDaS13_S14_EUlS13_E_NS1_11comp_targetILNS1_3genE0ELNS1_11target_archE4294967295ELNS1_3gpuE0ELNS1_3repE0EEENS1_30default_config_static_selectorELNS0_4arch9wavefront6targetE0EEEvT1_
	.p2align	8
	.type	_ZN7rocprim17ROCPRIM_400000_NS6detail17trampoline_kernelINS0_14default_configENS1_25partition_config_selectorILNS1_17partition_subalgoE9EjjbEEZZNS1_14partition_implILS5_9ELb0ES3_jN6thrust23THRUST_200600_302600_NS6detail15normal_iteratorINS9_10device_ptrIjEEEESE_PNS0_10empty_typeENS0_5tupleIJSE_SF_EEENSH_IJSE_SG_EEENS0_18inequality_wrapperI22is_equal_div_10_uniqueIjEEEPmJSF_EEE10hipError_tPvRmT3_T4_T5_T6_T7_T9_mT8_P12ihipStream_tbDpT10_ENKUlT_T0_E_clISt17integral_constantIbLb0EES17_IbLb1EEEEDaS13_S14_EUlS13_E_NS1_11comp_targetILNS1_3genE0ELNS1_11target_archE4294967295ELNS1_3gpuE0ELNS1_3repE0EEENS1_30default_config_static_selectorELNS0_4arch9wavefront6targetE0EEEvT1_,@function
_ZN7rocprim17ROCPRIM_400000_NS6detail17trampoline_kernelINS0_14default_configENS1_25partition_config_selectorILNS1_17partition_subalgoE9EjjbEEZZNS1_14partition_implILS5_9ELb0ES3_jN6thrust23THRUST_200600_302600_NS6detail15normal_iteratorINS9_10device_ptrIjEEEESE_PNS0_10empty_typeENS0_5tupleIJSE_SF_EEENSH_IJSE_SG_EEENS0_18inequality_wrapperI22is_equal_div_10_uniqueIjEEEPmJSF_EEE10hipError_tPvRmT3_T4_T5_T6_T7_T9_mT8_P12ihipStream_tbDpT10_ENKUlT_T0_E_clISt17integral_constantIbLb0EES17_IbLb1EEEEDaS13_S14_EUlS13_E_NS1_11comp_targetILNS1_3genE0ELNS1_11target_archE4294967295ELNS1_3gpuE0ELNS1_3repE0EEENS1_30default_config_static_selectorELNS0_4arch9wavefront6targetE0EEEvT1_: ; @_ZN7rocprim17ROCPRIM_400000_NS6detail17trampoline_kernelINS0_14default_configENS1_25partition_config_selectorILNS1_17partition_subalgoE9EjjbEEZZNS1_14partition_implILS5_9ELb0ES3_jN6thrust23THRUST_200600_302600_NS6detail15normal_iteratorINS9_10device_ptrIjEEEESE_PNS0_10empty_typeENS0_5tupleIJSE_SF_EEENSH_IJSE_SG_EEENS0_18inequality_wrapperI22is_equal_div_10_uniqueIjEEEPmJSF_EEE10hipError_tPvRmT3_T4_T5_T6_T7_T9_mT8_P12ihipStream_tbDpT10_ENKUlT_T0_E_clISt17integral_constantIbLb0EES17_IbLb1EEEEDaS13_S14_EUlS13_E_NS1_11comp_targetILNS1_3genE0ELNS1_11target_archE4294967295ELNS1_3gpuE0ELNS1_3repE0EEENS1_30default_config_static_selectorELNS0_4arch9wavefront6targetE0EEEvT1_
; %bb.0:
	.section	.rodata,"a",@progbits
	.p2align	6, 0x0
	.amdhsa_kernel _ZN7rocprim17ROCPRIM_400000_NS6detail17trampoline_kernelINS0_14default_configENS1_25partition_config_selectorILNS1_17partition_subalgoE9EjjbEEZZNS1_14partition_implILS5_9ELb0ES3_jN6thrust23THRUST_200600_302600_NS6detail15normal_iteratorINS9_10device_ptrIjEEEESE_PNS0_10empty_typeENS0_5tupleIJSE_SF_EEENSH_IJSE_SG_EEENS0_18inequality_wrapperI22is_equal_div_10_uniqueIjEEEPmJSF_EEE10hipError_tPvRmT3_T4_T5_T6_T7_T9_mT8_P12ihipStream_tbDpT10_ENKUlT_T0_E_clISt17integral_constantIbLb0EES17_IbLb1EEEEDaS13_S14_EUlS13_E_NS1_11comp_targetILNS1_3genE0ELNS1_11target_archE4294967295ELNS1_3gpuE0ELNS1_3repE0EEENS1_30default_config_static_selectorELNS0_4arch9wavefront6targetE0EEEvT1_
		.amdhsa_group_segment_fixed_size 0
		.amdhsa_private_segment_fixed_size 0
		.amdhsa_kernarg_size 128
		.amdhsa_user_sgpr_count 15
		.amdhsa_user_sgpr_dispatch_ptr 0
		.amdhsa_user_sgpr_queue_ptr 0
		.amdhsa_user_sgpr_kernarg_segment_ptr 1
		.amdhsa_user_sgpr_dispatch_id 0
		.amdhsa_user_sgpr_private_segment_size 0
		.amdhsa_wavefront_size32 1
		.amdhsa_uses_dynamic_stack 0
		.amdhsa_enable_private_segment 0
		.amdhsa_system_sgpr_workgroup_id_x 1
		.amdhsa_system_sgpr_workgroup_id_y 0
		.amdhsa_system_sgpr_workgroup_id_z 0
		.amdhsa_system_sgpr_workgroup_info 0
		.amdhsa_system_vgpr_workitem_id 0
		.amdhsa_next_free_vgpr 1
		.amdhsa_next_free_sgpr 1
		.amdhsa_reserve_vcc 0
		.amdhsa_float_round_mode_32 0
		.amdhsa_float_round_mode_16_64 0
		.amdhsa_float_denorm_mode_32 3
		.amdhsa_float_denorm_mode_16_64 3
		.amdhsa_dx10_clamp 1
		.amdhsa_ieee_mode 1
		.amdhsa_fp16_overflow 0
		.amdhsa_workgroup_processor_mode 1
		.amdhsa_memory_ordered 1
		.amdhsa_forward_progress 0
		.amdhsa_shared_vgpr_count 0
		.amdhsa_exception_fp_ieee_invalid_op 0
		.amdhsa_exception_fp_denorm_src 0
		.amdhsa_exception_fp_ieee_div_zero 0
		.amdhsa_exception_fp_ieee_overflow 0
		.amdhsa_exception_fp_ieee_underflow 0
		.amdhsa_exception_fp_ieee_inexact 0
		.amdhsa_exception_int_div_zero 0
	.end_amdhsa_kernel
	.section	.text._ZN7rocprim17ROCPRIM_400000_NS6detail17trampoline_kernelINS0_14default_configENS1_25partition_config_selectorILNS1_17partition_subalgoE9EjjbEEZZNS1_14partition_implILS5_9ELb0ES3_jN6thrust23THRUST_200600_302600_NS6detail15normal_iteratorINS9_10device_ptrIjEEEESE_PNS0_10empty_typeENS0_5tupleIJSE_SF_EEENSH_IJSE_SG_EEENS0_18inequality_wrapperI22is_equal_div_10_uniqueIjEEEPmJSF_EEE10hipError_tPvRmT3_T4_T5_T6_T7_T9_mT8_P12ihipStream_tbDpT10_ENKUlT_T0_E_clISt17integral_constantIbLb0EES17_IbLb1EEEEDaS13_S14_EUlS13_E_NS1_11comp_targetILNS1_3genE0ELNS1_11target_archE4294967295ELNS1_3gpuE0ELNS1_3repE0EEENS1_30default_config_static_selectorELNS0_4arch9wavefront6targetE0EEEvT1_,"axG",@progbits,_ZN7rocprim17ROCPRIM_400000_NS6detail17trampoline_kernelINS0_14default_configENS1_25partition_config_selectorILNS1_17partition_subalgoE9EjjbEEZZNS1_14partition_implILS5_9ELb0ES3_jN6thrust23THRUST_200600_302600_NS6detail15normal_iteratorINS9_10device_ptrIjEEEESE_PNS0_10empty_typeENS0_5tupleIJSE_SF_EEENSH_IJSE_SG_EEENS0_18inequality_wrapperI22is_equal_div_10_uniqueIjEEEPmJSF_EEE10hipError_tPvRmT3_T4_T5_T6_T7_T9_mT8_P12ihipStream_tbDpT10_ENKUlT_T0_E_clISt17integral_constantIbLb0EES17_IbLb1EEEEDaS13_S14_EUlS13_E_NS1_11comp_targetILNS1_3genE0ELNS1_11target_archE4294967295ELNS1_3gpuE0ELNS1_3repE0EEENS1_30default_config_static_selectorELNS0_4arch9wavefront6targetE0EEEvT1_,comdat
.Lfunc_end266:
	.size	_ZN7rocprim17ROCPRIM_400000_NS6detail17trampoline_kernelINS0_14default_configENS1_25partition_config_selectorILNS1_17partition_subalgoE9EjjbEEZZNS1_14partition_implILS5_9ELb0ES3_jN6thrust23THRUST_200600_302600_NS6detail15normal_iteratorINS9_10device_ptrIjEEEESE_PNS0_10empty_typeENS0_5tupleIJSE_SF_EEENSH_IJSE_SG_EEENS0_18inequality_wrapperI22is_equal_div_10_uniqueIjEEEPmJSF_EEE10hipError_tPvRmT3_T4_T5_T6_T7_T9_mT8_P12ihipStream_tbDpT10_ENKUlT_T0_E_clISt17integral_constantIbLb0EES17_IbLb1EEEEDaS13_S14_EUlS13_E_NS1_11comp_targetILNS1_3genE0ELNS1_11target_archE4294967295ELNS1_3gpuE0ELNS1_3repE0EEENS1_30default_config_static_selectorELNS0_4arch9wavefront6targetE0EEEvT1_, .Lfunc_end266-_ZN7rocprim17ROCPRIM_400000_NS6detail17trampoline_kernelINS0_14default_configENS1_25partition_config_selectorILNS1_17partition_subalgoE9EjjbEEZZNS1_14partition_implILS5_9ELb0ES3_jN6thrust23THRUST_200600_302600_NS6detail15normal_iteratorINS9_10device_ptrIjEEEESE_PNS0_10empty_typeENS0_5tupleIJSE_SF_EEENSH_IJSE_SG_EEENS0_18inequality_wrapperI22is_equal_div_10_uniqueIjEEEPmJSF_EEE10hipError_tPvRmT3_T4_T5_T6_T7_T9_mT8_P12ihipStream_tbDpT10_ENKUlT_T0_E_clISt17integral_constantIbLb0EES17_IbLb1EEEEDaS13_S14_EUlS13_E_NS1_11comp_targetILNS1_3genE0ELNS1_11target_archE4294967295ELNS1_3gpuE0ELNS1_3repE0EEENS1_30default_config_static_selectorELNS0_4arch9wavefront6targetE0EEEvT1_
                                        ; -- End function
	.section	.AMDGPU.csdata,"",@progbits
; Kernel info:
; codeLenInByte = 0
; NumSgprs: 0
; NumVgprs: 0
; ScratchSize: 0
; MemoryBound: 0
; FloatMode: 240
; IeeeMode: 1
; LDSByteSize: 0 bytes/workgroup (compile time only)
; SGPRBlocks: 0
; VGPRBlocks: 0
; NumSGPRsForWavesPerEU: 1
; NumVGPRsForWavesPerEU: 1
; Occupancy: 16
; WaveLimiterHint : 0
; COMPUTE_PGM_RSRC2:SCRATCH_EN: 0
; COMPUTE_PGM_RSRC2:USER_SGPR: 15
; COMPUTE_PGM_RSRC2:TRAP_HANDLER: 0
; COMPUTE_PGM_RSRC2:TGID_X_EN: 1
; COMPUTE_PGM_RSRC2:TGID_Y_EN: 0
; COMPUTE_PGM_RSRC2:TGID_Z_EN: 0
; COMPUTE_PGM_RSRC2:TIDIG_COMP_CNT: 0
	.section	.text._ZN7rocprim17ROCPRIM_400000_NS6detail17trampoline_kernelINS0_14default_configENS1_25partition_config_selectorILNS1_17partition_subalgoE9EjjbEEZZNS1_14partition_implILS5_9ELb0ES3_jN6thrust23THRUST_200600_302600_NS6detail15normal_iteratorINS9_10device_ptrIjEEEESE_PNS0_10empty_typeENS0_5tupleIJSE_SF_EEENSH_IJSE_SG_EEENS0_18inequality_wrapperI22is_equal_div_10_uniqueIjEEEPmJSF_EEE10hipError_tPvRmT3_T4_T5_T6_T7_T9_mT8_P12ihipStream_tbDpT10_ENKUlT_T0_E_clISt17integral_constantIbLb0EES17_IbLb1EEEEDaS13_S14_EUlS13_E_NS1_11comp_targetILNS1_3genE5ELNS1_11target_archE942ELNS1_3gpuE9ELNS1_3repE0EEENS1_30default_config_static_selectorELNS0_4arch9wavefront6targetE0EEEvT1_,"axG",@progbits,_ZN7rocprim17ROCPRIM_400000_NS6detail17trampoline_kernelINS0_14default_configENS1_25partition_config_selectorILNS1_17partition_subalgoE9EjjbEEZZNS1_14partition_implILS5_9ELb0ES3_jN6thrust23THRUST_200600_302600_NS6detail15normal_iteratorINS9_10device_ptrIjEEEESE_PNS0_10empty_typeENS0_5tupleIJSE_SF_EEENSH_IJSE_SG_EEENS0_18inequality_wrapperI22is_equal_div_10_uniqueIjEEEPmJSF_EEE10hipError_tPvRmT3_T4_T5_T6_T7_T9_mT8_P12ihipStream_tbDpT10_ENKUlT_T0_E_clISt17integral_constantIbLb0EES17_IbLb1EEEEDaS13_S14_EUlS13_E_NS1_11comp_targetILNS1_3genE5ELNS1_11target_archE942ELNS1_3gpuE9ELNS1_3repE0EEENS1_30default_config_static_selectorELNS0_4arch9wavefront6targetE0EEEvT1_,comdat
	.protected	_ZN7rocprim17ROCPRIM_400000_NS6detail17trampoline_kernelINS0_14default_configENS1_25partition_config_selectorILNS1_17partition_subalgoE9EjjbEEZZNS1_14partition_implILS5_9ELb0ES3_jN6thrust23THRUST_200600_302600_NS6detail15normal_iteratorINS9_10device_ptrIjEEEESE_PNS0_10empty_typeENS0_5tupleIJSE_SF_EEENSH_IJSE_SG_EEENS0_18inequality_wrapperI22is_equal_div_10_uniqueIjEEEPmJSF_EEE10hipError_tPvRmT3_T4_T5_T6_T7_T9_mT8_P12ihipStream_tbDpT10_ENKUlT_T0_E_clISt17integral_constantIbLb0EES17_IbLb1EEEEDaS13_S14_EUlS13_E_NS1_11comp_targetILNS1_3genE5ELNS1_11target_archE942ELNS1_3gpuE9ELNS1_3repE0EEENS1_30default_config_static_selectorELNS0_4arch9wavefront6targetE0EEEvT1_ ; -- Begin function _ZN7rocprim17ROCPRIM_400000_NS6detail17trampoline_kernelINS0_14default_configENS1_25partition_config_selectorILNS1_17partition_subalgoE9EjjbEEZZNS1_14partition_implILS5_9ELb0ES3_jN6thrust23THRUST_200600_302600_NS6detail15normal_iteratorINS9_10device_ptrIjEEEESE_PNS0_10empty_typeENS0_5tupleIJSE_SF_EEENSH_IJSE_SG_EEENS0_18inequality_wrapperI22is_equal_div_10_uniqueIjEEEPmJSF_EEE10hipError_tPvRmT3_T4_T5_T6_T7_T9_mT8_P12ihipStream_tbDpT10_ENKUlT_T0_E_clISt17integral_constantIbLb0EES17_IbLb1EEEEDaS13_S14_EUlS13_E_NS1_11comp_targetILNS1_3genE5ELNS1_11target_archE942ELNS1_3gpuE9ELNS1_3repE0EEENS1_30default_config_static_selectorELNS0_4arch9wavefront6targetE0EEEvT1_
	.globl	_ZN7rocprim17ROCPRIM_400000_NS6detail17trampoline_kernelINS0_14default_configENS1_25partition_config_selectorILNS1_17partition_subalgoE9EjjbEEZZNS1_14partition_implILS5_9ELb0ES3_jN6thrust23THRUST_200600_302600_NS6detail15normal_iteratorINS9_10device_ptrIjEEEESE_PNS0_10empty_typeENS0_5tupleIJSE_SF_EEENSH_IJSE_SG_EEENS0_18inequality_wrapperI22is_equal_div_10_uniqueIjEEEPmJSF_EEE10hipError_tPvRmT3_T4_T5_T6_T7_T9_mT8_P12ihipStream_tbDpT10_ENKUlT_T0_E_clISt17integral_constantIbLb0EES17_IbLb1EEEEDaS13_S14_EUlS13_E_NS1_11comp_targetILNS1_3genE5ELNS1_11target_archE942ELNS1_3gpuE9ELNS1_3repE0EEENS1_30default_config_static_selectorELNS0_4arch9wavefront6targetE0EEEvT1_
	.p2align	8
	.type	_ZN7rocprim17ROCPRIM_400000_NS6detail17trampoline_kernelINS0_14default_configENS1_25partition_config_selectorILNS1_17partition_subalgoE9EjjbEEZZNS1_14partition_implILS5_9ELb0ES3_jN6thrust23THRUST_200600_302600_NS6detail15normal_iteratorINS9_10device_ptrIjEEEESE_PNS0_10empty_typeENS0_5tupleIJSE_SF_EEENSH_IJSE_SG_EEENS0_18inequality_wrapperI22is_equal_div_10_uniqueIjEEEPmJSF_EEE10hipError_tPvRmT3_T4_T5_T6_T7_T9_mT8_P12ihipStream_tbDpT10_ENKUlT_T0_E_clISt17integral_constantIbLb0EES17_IbLb1EEEEDaS13_S14_EUlS13_E_NS1_11comp_targetILNS1_3genE5ELNS1_11target_archE942ELNS1_3gpuE9ELNS1_3repE0EEENS1_30default_config_static_selectorELNS0_4arch9wavefront6targetE0EEEvT1_,@function
_ZN7rocprim17ROCPRIM_400000_NS6detail17trampoline_kernelINS0_14default_configENS1_25partition_config_selectorILNS1_17partition_subalgoE9EjjbEEZZNS1_14partition_implILS5_9ELb0ES3_jN6thrust23THRUST_200600_302600_NS6detail15normal_iteratorINS9_10device_ptrIjEEEESE_PNS0_10empty_typeENS0_5tupleIJSE_SF_EEENSH_IJSE_SG_EEENS0_18inequality_wrapperI22is_equal_div_10_uniqueIjEEEPmJSF_EEE10hipError_tPvRmT3_T4_T5_T6_T7_T9_mT8_P12ihipStream_tbDpT10_ENKUlT_T0_E_clISt17integral_constantIbLb0EES17_IbLb1EEEEDaS13_S14_EUlS13_E_NS1_11comp_targetILNS1_3genE5ELNS1_11target_archE942ELNS1_3gpuE9ELNS1_3repE0EEENS1_30default_config_static_selectorELNS0_4arch9wavefront6targetE0EEEvT1_: ; @_ZN7rocprim17ROCPRIM_400000_NS6detail17trampoline_kernelINS0_14default_configENS1_25partition_config_selectorILNS1_17partition_subalgoE9EjjbEEZZNS1_14partition_implILS5_9ELb0ES3_jN6thrust23THRUST_200600_302600_NS6detail15normal_iteratorINS9_10device_ptrIjEEEESE_PNS0_10empty_typeENS0_5tupleIJSE_SF_EEENSH_IJSE_SG_EEENS0_18inequality_wrapperI22is_equal_div_10_uniqueIjEEEPmJSF_EEE10hipError_tPvRmT3_T4_T5_T6_T7_T9_mT8_P12ihipStream_tbDpT10_ENKUlT_T0_E_clISt17integral_constantIbLb0EES17_IbLb1EEEEDaS13_S14_EUlS13_E_NS1_11comp_targetILNS1_3genE5ELNS1_11target_archE942ELNS1_3gpuE9ELNS1_3repE0EEENS1_30default_config_static_selectorELNS0_4arch9wavefront6targetE0EEEvT1_
; %bb.0:
	.section	.rodata,"a",@progbits
	.p2align	6, 0x0
	.amdhsa_kernel _ZN7rocprim17ROCPRIM_400000_NS6detail17trampoline_kernelINS0_14default_configENS1_25partition_config_selectorILNS1_17partition_subalgoE9EjjbEEZZNS1_14partition_implILS5_9ELb0ES3_jN6thrust23THRUST_200600_302600_NS6detail15normal_iteratorINS9_10device_ptrIjEEEESE_PNS0_10empty_typeENS0_5tupleIJSE_SF_EEENSH_IJSE_SG_EEENS0_18inequality_wrapperI22is_equal_div_10_uniqueIjEEEPmJSF_EEE10hipError_tPvRmT3_T4_T5_T6_T7_T9_mT8_P12ihipStream_tbDpT10_ENKUlT_T0_E_clISt17integral_constantIbLb0EES17_IbLb1EEEEDaS13_S14_EUlS13_E_NS1_11comp_targetILNS1_3genE5ELNS1_11target_archE942ELNS1_3gpuE9ELNS1_3repE0EEENS1_30default_config_static_selectorELNS0_4arch9wavefront6targetE0EEEvT1_
		.amdhsa_group_segment_fixed_size 0
		.amdhsa_private_segment_fixed_size 0
		.amdhsa_kernarg_size 128
		.amdhsa_user_sgpr_count 15
		.amdhsa_user_sgpr_dispatch_ptr 0
		.amdhsa_user_sgpr_queue_ptr 0
		.amdhsa_user_sgpr_kernarg_segment_ptr 1
		.amdhsa_user_sgpr_dispatch_id 0
		.amdhsa_user_sgpr_private_segment_size 0
		.amdhsa_wavefront_size32 1
		.amdhsa_uses_dynamic_stack 0
		.amdhsa_enable_private_segment 0
		.amdhsa_system_sgpr_workgroup_id_x 1
		.amdhsa_system_sgpr_workgroup_id_y 0
		.amdhsa_system_sgpr_workgroup_id_z 0
		.amdhsa_system_sgpr_workgroup_info 0
		.amdhsa_system_vgpr_workitem_id 0
		.amdhsa_next_free_vgpr 1
		.amdhsa_next_free_sgpr 1
		.amdhsa_reserve_vcc 0
		.amdhsa_float_round_mode_32 0
		.amdhsa_float_round_mode_16_64 0
		.amdhsa_float_denorm_mode_32 3
		.amdhsa_float_denorm_mode_16_64 3
		.amdhsa_dx10_clamp 1
		.amdhsa_ieee_mode 1
		.amdhsa_fp16_overflow 0
		.amdhsa_workgroup_processor_mode 1
		.amdhsa_memory_ordered 1
		.amdhsa_forward_progress 0
		.amdhsa_shared_vgpr_count 0
		.amdhsa_exception_fp_ieee_invalid_op 0
		.amdhsa_exception_fp_denorm_src 0
		.amdhsa_exception_fp_ieee_div_zero 0
		.amdhsa_exception_fp_ieee_overflow 0
		.amdhsa_exception_fp_ieee_underflow 0
		.amdhsa_exception_fp_ieee_inexact 0
		.amdhsa_exception_int_div_zero 0
	.end_amdhsa_kernel
	.section	.text._ZN7rocprim17ROCPRIM_400000_NS6detail17trampoline_kernelINS0_14default_configENS1_25partition_config_selectorILNS1_17partition_subalgoE9EjjbEEZZNS1_14partition_implILS5_9ELb0ES3_jN6thrust23THRUST_200600_302600_NS6detail15normal_iteratorINS9_10device_ptrIjEEEESE_PNS0_10empty_typeENS0_5tupleIJSE_SF_EEENSH_IJSE_SG_EEENS0_18inequality_wrapperI22is_equal_div_10_uniqueIjEEEPmJSF_EEE10hipError_tPvRmT3_T4_T5_T6_T7_T9_mT8_P12ihipStream_tbDpT10_ENKUlT_T0_E_clISt17integral_constantIbLb0EES17_IbLb1EEEEDaS13_S14_EUlS13_E_NS1_11comp_targetILNS1_3genE5ELNS1_11target_archE942ELNS1_3gpuE9ELNS1_3repE0EEENS1_30default_config_static_selectorELNS0_4arch9wavefront6targetE0EEEvT1_,"axG",@progbits,_ZN7rocprim17ROCPRIM_400000_NS6detail17trampoline_kernelINS0_14default_configENS1_25partition_config_selectorILNS1_17partition_subalgoE9EjjbEEZZNS1_14partition_implILS5_9ELb0ES3_jN6thrust23THRUST_200600_302600_NS6detail15normal_iteratorINS9_10device_ptrIjEEEESE_PNS0_10empty_typeENS0_5tupleIJSE_SF_EEENSH_IJSE_SG_EEENS0_18inequality_wrapperI22is_equal_div_10_uniqueIjEEEPmJSF_EEE10hipError_tPvRmT3_T4_T5_T6_T7_T9_mT8_P12ihipStream_tbDpT10_ENKUlT_T0_E_clISt17integral_constantIbLb0EES17_IbLb1EEEEDaS13_S14_EUlS13_E_NS1_11comp_targetILNS1_3genE5ELNS1_11target_archE942ELNS1_3gpuE9ELNS1_3repE0EEENS1_30default_config_static_selectorELNS0_4arch9wavefront6targetE0EEEvT1_,comdat
.Lfunc_end267:
	.size	_ZN7rocprim17ROCPRIM_400000_NS6detail17trampoline_kernelINS0_14default_configENS1_25partition_config_selectorILNS1_17partition_subalgoE9EjjbEEZZNS1_14partition_implILS5_9ELb0ES3_jN6thrust23THRUST_200600_302600_NS6detail15normal_iteratorINS9_10device_ptrIjEEEESE_PNS0_10empty_typeENS0_5tupleIJSE_SF_EEENSH_IJSE_SG_EEENS0_18inequality_wrapperI22is_equal_div_10_uniqueIjEEEPmJSF_EEE10hipError_tPvRmT3_T4_T5_T6_T7_T9_mT8_P12ihipStream_tbDpT10_ENKUlT_T0_E_clISt17integral_constantIbLb0EES17_IbLb1EEEEDaS13_S14_EUlS13_E_NS1_11comp_targetILNS1_3genE5ELNS1_11target_archE942ELNS1_3gpuE9ELNS1_3repE0EEENS1_30default_config_static_selectorELNS0_4arch9wavefront6targetE0EEEvT1_, .Lfunc_end267-_ZN7rocprim17ROCPRIM_400000_NS6detail17trampoline_kernelINS0_14default_configENS1_25partition_config_selectorILNS1_17partition_subalgoE9EjjbEEZZNS1_14partition_implILS5_9ELb0ES3_jN6thrust23THRUST_200600_302600_NS6detail15normal_iteratorINS9_10device_ptrIjEEEESE_PNS0_10empty_typeENS0_5tupleIJSE_SF_EEENSH_IJSE_SG_EEENS0_18inequality_wrapperI22is_equal_div_10_uniqueIjEEEPmJSF_EEE10hipError_tPvRmT3_T4_T5_T6_T7_T9_mT8_P12ihipStream_tbDpT10_ENKUlT_T0_E_clISt17integral_constantIbLb0EES17_IbLb1EEEEDaS13_S14_EUlS13_E_NS1_11comp_targetILNS1_3genE5ELNS1_11target_archE942ELNS1_3gpuE9ELNS1_3repE0EEENS1_30default_config_static_selectorELNS0_4arch9wavefront6targetE0EEEvT1_
                                        ; -- End function
	.section	.AMDGPU.csdata,"",@progbits
; Kernel info:
; codeLenInByte = 0
; NumSgprs: 0
; NumVgprs: 0
; ScratchSize: 0
; MemoryBound: 0
; FloatMode: 240
; IeeeMode: 1
; LDSByteSize: 0 bytes/workgroup (compile time only)
; SGPRBlocks: 0
; VGPRBlocks: 0
; NumSGPRsForWavesPerEU: 1
; NumVGPRsForWavesPerEU: 1
; Occupancy: 16
; WaveLimiterHint : 0
; COMPUTE_PGM_RSRC2:SCRATCH_EN: 0
; COMPUTE_PGM_RSRC2:USER_SGPR: 15
; COMPUTE_PGM_RSRC2:TRAP_HANDLER: 0
; COMPUTE_PGM_RSRC2:TGID_X_EN: 1
; COMPUTE_PGM_RSRC2:TGID_Y_EN: 0
; COMPUTE_PGM_RSRC2:TGID_Z_EN: 0
; COMPUTE_PGM_RSRC2:TIDIG_COMP_CNT: 0
	.section	.text._ZN7rocprim17ROCPRIM_400000_NS6detail17trampoline_kernelINS0_14default_configENS1_25partition_config_selectorILNS1_17partition_subalgoE9EjjbEEZZNS1_14partition_implILS5_9ELb0ES3_jN6thrust23THRUST_200600_302600_NS6detail15normal_iteratorINS9_10device_ptrIjEEEESE_PNS0_10empty_typeENS0_5tupleIJSE_SF_EEENSH_IJSE_SG_EEENS0_18inequality_wrapperI22is_equal_div_10_uniqueIjEEEPmJSF_EEE10hipError_tPvRmT3_T4_T5_T6_T7_T9_mT8_P12ihipStream_tbDpT10_ENKUlT_T0_E_clISt17integral_constantIbLb0EES17_IbLb1EEEEDaS13_S14_EUlS13_E_NS1_11comp_targetILNS1_3genE4ELNS1_11target_archE910ELNS1_3gpuE8ELNS1_3repE0EEENS1_30default_config_static_selectorELNS0_4arch9wavefront6targetE0EEEvT1_,"axG",@progbits,_ZN7rocprim17ROCPRIM_400000_NS6detail17trampoline_kernelINS0_14default_configENS1_25partition_config_selectorILNS1_17partition_subalgoE9EjjbEEZZNS1_14partition_implILS5_9ELb0ES3_jN6thrust23THRUST_200600_302600_NS6detail15normal_iteratorINS9_10device_ptrIjEEEESE_PNS0_10empty_typeENS0_5tupleIJSE_SF_EEENSH_IJSE_SG_EEENS0_18inequality_wrapperI22is_equal_div_10_uniqueIjEEEPmJSF_EEE10hipError_tPvRmT3_T4_T5_T6_T7_T9_mT8_P12ihipStream_tbDpT10_ENKUlT_T0_E_clISt17integral_constantIbLb0EES17_IbLb1EEEEDaS13_S14_EUlS13_E_NS1_11comp_targetILNS1_3genE4ELNS1_11target_archE910ELNS1_3gpuE8ELNS1_3repE0EEENS1_30default_config_static_selectorELNS0_4arch9wavefront6targetE0EEEvT1_,comdat
	.protected	_ZN7rocprim17ROCPRIM_400000_NS6detail17trampoline_kernelINS0_14default_configENS1_25partition_config_selectorILNS1_17partition_subalgoE9EjjbEEZZNS1_14partition_implILS5_9ELb0ES3_jN6thrust23THRUST_200600_302600_NS6detail15normal_iteratorINS9_10device_ptrIjEEEESE_PNS0_10empty_typeENS0_5tupleIJSE_SF_EEENSH_IJSE_SG_EEENS0_18inequality_wrapperI22is_equal_div_10_uniqueIjEEEPmJSF_EEE10hipError_tPvRmT3_T4_T5_T6_T7_T9_mT8_P12ihipStream_tbDpT10_ENKUlT_T0_E_clISt17integral_constantIbLb0EES17_IbLb1EEEEDaS13_S14_EUlS13_E_NS1_11comp_targetILNS1_3genE4ELNS1_11target_archE910ELNS1_3gpuE8ELNS1_3repE0EEENS1_30default_config_static_selectorELNS0_4arch9wavefront6targetE0EEEvT1_ ; -- Begin function _ZN7rocprim17ROCPRIM_400000_NS6detail17trampoline_kernelINS0_14default_configENS1_25partition_config_selectorILNS1_17partition_subalgoE9EjjbEEZZNS1_14partition_implILS5_9ELb0ES3_jN6thrust23THRUST_200600_302600_NS6detail15normal_iteratorINS9_10device_ptrIjEEEESE_PNS0_10empty_typeENS0_5tupleIJSE_SF_EEENSH_IJSE_SG_EEENS0_18inequality_wrapperI22is_equal_div_10_uniqueIjEEEPmJSF_EEE10hipError_tPvRmT3_T4_T5_T6_T7_T9_mT8_P12ihipStream_tbDpT10_ENKUlT_T0_E_clISt17integral_constantIbLb0EES17_IbLb1EEEEDaS13_S14_EUlS13_E_NS1_11comp_targetILNS1_3genE4ELNS1_11target_archE910ELNS1_3gpuE8ELNS1_3repE0EEENS1_30default_config_static_selectorELNS0_4arch9wavefront6targetE0EEEvT1_
	.globl	_ZN7rocprim17ROCPRIM_400000_NS6detail17trampoline_kernelINS0_14default_configENS1_25partition_config_selectorILNS1_17partition_subalgoE9EjjbEEZZNS1_14partition_implILS5_9ELb0ES3_jN6thrust23THRUST_200600_302600_NS6detail15normal_iteratorINS9_10device_ptrIjEEEESE_PNS0_10empty_typeENS0_5tupleIJSE_SF_EEENSH_IJSE_SG_EEENS0_18inequality_wrapperI22is_equal_div_10_uniqueIjEEEPmJSF_EEE10hipError_tPvRmT3_T4_T5_T6_T7_T9_mT8_P12ihipStream_tbDpT10_ENKUlT_T0_E_clISt17integral_constantIbLb0EES17_IbLb1EEEEDaS13_S14_EUlS13_E_NS1_11comp_targetILNS1_3genE4ELNS1_11target_archE910ELNS1_3gpuE8ELNS1_3repE0EEENS1_30default_config_static_selectorELNS0_4arch9wavefront6targetE0EEEvT1_
	.p2align	8
	.type	_ZN7rocprim17ROCPRIM_400000_NS6detail17trampoline_kernelINS0_14default_configENS1_25partition_config_selectorILNS1_17partition_subalgoE9EjjbEEZZNS1_14partition_implILS5_9ELb0ES3_jN6thrust23THRUST_200600_302600_NS6detail15normal_iteratorINS9_10device_ptrIjEEEESE_PNS0_10empty_typeENS0_5tupleIJSE_SF_EEENSH_IJSE_SG_EEENS0_18inequality_wrapperI22is_equal_div_10_uniqueIjEEEPmJSF_EEE10hipError_tPvRmT3_T4_T5_T6_T7_T9_mT8_P12ihipStream_tbDpT10_ENKUlT_T0_E_clISt17integral_constantIbLb0EES17_IbLb1EEEEDaS13_S14_EUlS13_E_NS1_11comp_targetILNS1_3genE4ELNS1_11target_archE910ELNS1_3gpuE8ELNS1_3repE0EEENS1_30default_config_static_selectorELNS0_4arch9wavefront6targetE0EEEvT1_,@function
_ZN7rocprim17ROCPRIM_400000_NS6detail17trampoline_kernelINS0_14default_configENS1_25partition_config_selectorILNS1_17partition_subalgoE9EjjbEEZZNS1_14partition_implILS5_9ELb0ES3_jN6thrust23THRUST_200600_302600_NS6detail15normal_iteratorINS9_10device_ptrIjEEEESE_PNS0_10empty_typeENS0_5tupleIJSE_SF_EEENSH_IJSE_SG_EEENS0_18inequality_wrapperI22is_equal_div_10_uniqueIjEEEPmJSF_EEE10hipError_tPvRmT3_T4_T5_T6_T7_T9_mT8_P12ihipStream_tbDpT10_ENKUlT_T0_E_clISt17integral_constantIbLb0EES17_IbLb1EEEEDaS13_S14_EUlS13_E_NS1_11comp_targetILNS1_3genE4ELNS1_11target_archE910ELNS1_3gpuE8ELNS1_3repE0EEENS1_30default_config_static_selectorELNS0_4arch9wavefront6targetE0EEEvT1_: ; @_ZN7rocprim17ROCPRIM_400000_NS6detail17trampoline_kernelINS0_14default_configENS1_25partition_config_selectorILNS1_17partition_subalgoE9EjjbEEZZNS1_14partition_implILS5_9ELb0ES3_jN6thrust23THRUST_200600_302600_NS6detail15normal_iteratorINS9_10device_ptrIjEEEESE_PNS0_10empty_typeENS0_5tupleIJSE_SF_EEENSH_IJSE_SG_EEENS0_18inequality_wrapperI22is_equal_div_10_uniqueIjEEEPmJSF_EEE10hipError_tPvRmT3_T4_T5_T6_T7_T9_mT8_P12ihipStream_tbDpT10_ENKUlT_T0_E_clISt17integral_constantIbLb0EES17_IbLb1EEEEDaS13_S14_EUlS13_E_NS1_11comp_targetILNS1_3genE4ELNS1_11target_archE910ELNS1_3gpuE8ELNS1_3repE0EEENS1_30default_config_static_selectorELNS0_4arch9wavefront6targetE0EEEvT1_
; %bb.0:
	.section	.rodata,"a",@progbits
	.p2align	6, 0x0
	.amdhsa_kernel _ZN7rocprim17ROCPRIM_400000_NS6detail17trampoline_kernelINS0_14default_configENS1_25partition_config_selectorILNS1_17partition_subalgoE9EjjbEEZZNS1_14partition_implILS5_9ELb0ES3_jN6thrust23THRUST_200600_302600_NS6detail15normal_iteratorINS9_10device_ptrIjEEEESE_PNS0_10empty_typeENS0_5tupleIJSE_SF_EEENSH_IJSE_SG_EEENS0_18inequality_wrapperI22is_equal_div_10_uniqueIjEEEPmJSF_EEE10hipError_tPvRmT3_T4_T5_T6_T7_T9_mT8_P12ihipStream_tbDpT10_ENKUlT_T0_E_clISt17integral_constantIbLb0EES17_IbLb1EEEEDaS13_S14_EUlS13_E_NS1_11comp_targetILNS1_3genE4ELNS1_11target_archE910ELNS1_3gpuE8ELNS1_3repE0EEENS1_30default_config_static_selectorELNS0_4arch9wavefront6targetE0EEEvT1_
		.amdhsa_group_segment_fixed_size 0
		.amdhsa_private_segment_fixed_size 0
		.amdhsa_kernarg_size 128
		.amdhsa_user_sgpr_count 15
		.amdhsa_user_sgpr_dispatch_ptr 0
		.amdhsa_user_sgpr_queue_ptr 0
		.amdhsa_user_sgpr_kernarg_segment_ptr 1
		.amdhsa_user_sgpr_dispatch_id 0
		.amdhsa_user_sgpr_private_segment_size 0
		.amdhsa_wavefront_size32 1
		.amdhsa_uses_dynamic_stack 0
		.amdhsa_enable_private_segment 0
		.amdhsa_system_sgpr_workgroup_id_x 1
		.amdhsa_system_sgpr_workgroup_id_y 0
		.amdhsa_system_sgpr_workgroup_id_z 0
		.amdhsa_system_sgpr_workgroup_info 0
		.amdhsa_system_vgpr_workitem_id 0
		.amdhsa_next_free_vgpr 1
		.amdhsa_next_free_sgpr 1
		.amdhsa_reserve_vcc 0
		.amdhsa_float_round_mode_32 0
		.amdhsa_float_round_mode_16_64 0
		.amdhsa_float_denorm_mode_32 3
		.amdhsa_float_denorm_mode_16_64 3
		.amdhsa_dx10_clamp 1
		.amdhsa_ieee_mode 1
		.amdhsa_fp16_overflow 0
		.amdhsa_workgroup_processor_mode 1
		.amdhsa_memory_ordered 1
		.amdhsa_forward_progress 0
		.amdhsa_shared_vgpr_count 0
		.amdhsa_exception_fp_ieee_invalid_op 0
		.amdhsa_exception_fp_denorm_src 0
		.amdhsa_exception_fp_ieee_div_zero 0
		.amdhsa_exception_fp_ieee_overflow 0
		.amdhsa_exception_fp_ieee_underflow 0
		.amdhsa_exception_fp_ieee_inexact 0
		.amdhsa_exception_int_div_zero 0
	.end_amdhsa_kernel
	.section	.text._ZN7rocprim17ROCPRIM_400000_NS6detail17trampoline_kernelINS0_14default_configENS1_25partition_config_selectorILNS1_17partition_subalgoE9EjjbEEZZNS1_14partition_implILS5_9ELb0ES3_jN6thrust23THRUST_200600_302600_NS6detail15normal_iteratorINS9_10device_ptrIjEEEESE_PNS0_10empty_typeENS0_5tupleIJSE_SF_EEENSH_IJSE_SG_EEENS0_18inequality_wrapperI22is_equal_div_10_uniqueIjEEEPmJSF_EEE10hipError_tPvRmT3_T4_T5_T6_T7_T9_mT8_P12ihipStream_tbDpT10_ENKUlT_T0_E_clISt17integral_constantIbLb0EES17_IbLb1EEEEDaS13_S14_EUlS13_E_NS1_11comp_targetILNS1_3genE4ELNS1_11target_archE910ELNS1_3gpuE8ELNS1_3repE0EEENS1_30default_config_static_selectorELNS0_4arch9wavefront6targetE0EEEvT1_,"axG",@progbits,_ZN7rocprim17ROCPRIM_400000_NS6detail17trampoline_kernelINS0_14default_configENS1_25partition_config_selectorILNS1_17partition_subalgoE9EjjbEEZZNS1_14partition_implILS5_9ELb0ES3_jN6thrust23THRUST_200600_302600_NS6detail15normal_iteratorINS9_10device_ptrIjEEEESE_PNS0_10empty_typeENS0_5tupleIJSE_SF_EEENSH_IJSE_SG_EEENS0_18inequality_wrapperI22is_equal_div_10_uniqueIjEEEPmJSF_EEE10hipError_tPvRmT3_T4_T5_T6_T7_T9_mT8_P12ihipStream_tbDpT10_ENKUlT_T0_E_clISt17integral_constantIbLb0EES17_IbLb1EEEEDaS13_S14_EUlS13_E_NS1_11comp_targetILNS1_3genE4ELNS1_11target_archE910ELNS1_3gpuE8ELNS1_3repE0EEENS1_30default_config_static_selectorELNS0_4arch9wavefront6targetE0EEEvT1_,comdat
.Lfunc_end268:
	.size	_ZN7rocprim17ROCPRIM_400000_NS6detail17trampoline_kernelINS0_14default_configENS1_25partition_config_selectorILNS1_17partition_subalgoE9EjjbEEZZNS1_14partition_implILS5_9ELb0ES3_jN6thrust23THRUST_200600_302600_NS6detail15normal_iteratorINS9_10device_ptrIjEEEESE_PNS0_10empty_typeENS0_5tupleIJSE_SF_EEENSH_IJSE_SG_EEENS0_18inequality_wrapperI22is_equal_div_10_uniqueIjEEEPmJSF_EEE10hipError_tPvRmT3_T4_T5_T6_T7_T9_mT8_P12ihipStream_tbDpT10_ENKUlT_T0_E_clISt17integral_constantIbLb0EES17_IbLb1EEEEDaS13_S14_EUlS13_E_NS1_11comp_targetILNS1_3genE4ELNS1_11target_archE910ELNS1_3gpuE8ELNS1_3repE0EEENS1_30default_config_static_selectorELNS0_4arch9wavefront6targetE0EEEvT1_, .Lfunc_end268-_ZN7rocprim17ROCPRIM_400000_NS6detail17trampoline_kernelINS0_14default_configENS1_25partition_config_selectorILNS1_17partition_subalgoE9EjjbEEZZNS1_14partition_implILS5_9ELb0ES3_jN6thrust23THRUST_200600_302600_NS6detail15normal_iteratorINS9_10device_ptrIjEEEESE_PNS0_10empty_typeENS0_5tupleIJSE_SF_EEENSH_IJSE_SG_EEENS0_18inequality_wrapperI22is_equal_div_10_uniqueIjEEEPmJSF_EEE10hipError_tPvRmT3_T4_T5_T6_T7_T9_mT8_P12ihipStream_tbDpT10_ENKUlT_T0_E_clISt17integral_constantIbLb0EES17_IbLb1EEEEDaS13_S14_EUlS13_E_NS1_11comp_targetILNS1_3genE4ELNS1_11target_archE910ELNS1_3gpuE8ELNS1_3repE0EEENS1_30default_config_static_selectorELNS0_4arch9wavefront6targetE0EEEvT1_
                                        ; -- End function
	.section	.AMDGPU.csdata,"",@progbits
; Kernel info:
; codeLenInByte = 0
; NumSgprs: 0
; NumVgprs: 0
; ScratchSize: 0
; MemoryBound: 0
; FloatMode: 240
; IeeeMode: 1
; LDSByteSize: 0 bytes/workgroup (compile time only)
; SGPRBlocks: 0
; VGPRBlocks: 0
; NumSGPRsForWavesPerEU: 1
; NumVGPRsForWavesPerEU: 1
; Occupancy: 15
; WaveLimiterHint : 0
; COMPUTE_PGM_RSRC2:SCRATCH_EN: 0
; COMPUTE_PGM_RSRC2:USER_SGPR: 15
; COMPUTE_PGM_RSRC2:TRAP_HANDLER: 0
; COMPUTE_PGM_RSRC2:TGID_X_EN: 1
; COMPUTE_PGM_RSRC2:TGID_Y_EN: 0
; COMPUTE_PGM_RSRC2:TGID_Z_EN: 0
; COMPUTE_PGM_RSRC2:TIDIG_COMP_CNT: 0
	.section	.text._ZN7rocprim17ROCPRIM_400000_NS6detail17trampoline_kernelINS0_14default_configENS1_25partition_config_selectorILNS1_17partition_subalgoE9EjjbEEZZNS1_14partition_implILS5_9ELb0ES3_jN6thrust23THRUST_200600_302600_NS6detail15normal_iteratorINS9_10device_ptrIjEEEESE_PNS0_10empty_typeENS0_5tupleIJSE_SF_EEENSH_IJSE_SG_EEENS0_18inequality_wrapperI22is_equal_div_10_uniqueIjEEEPmJSF_EEE10hipError_tPvRmT3_T4_T5_T6_T7_T9_mT8_P12ihipStream_tbDpT10_ENKUlT_T0_E_clISt17integral_constantIbLb0EES17_IbLb1EEEEDaS13_S14_EUlS13_E_NS1_11comp_targetILNS1_3genE3ELNS1_11target_archE908ELNS1_3gpuE7ELNS1_3repE0EEENS1_30default_config_static_selectorELNS0_4arch9wavefront6targetE0EEEvT1_,"axG",@progbits,_ZN7rocprim17ROCPRIM_400000_NS6detail17trampoline_kernelINS0_14default_configENS1_25partition_config_selectorILNS1_17partition_subalgoE9EjjbEEZZNS1_14partition_implILS5_9ELb0ES3_jN6thrust23THRUST_200600_302600_NS6detail15normal_iteratorINS9_10device_ptrIjEEEESE_PNS0_10empty_typeENS0_5tupleIJSE_SF_EEENSH_IJSE_SG_EEENS0_18inequality_wrapperI22is_equal_div_10_uniqueIjEEEPmJSF_EEE10hipError_tPvRmT3_T4_T5_T6_T7_T9_mT8_P12ihipStream_tbDpT10_ENKUlT_T0_E_clISt17integral_constantIbLb0EES17_IbLb1EEEEDaS13_S14_EUlS13_E_NS1_11comp_targetILNS1_3genE3ELNS1_11target_archE908ELNS1_3gpuE7ELNS1_3repE0EEENS1_30default_config_static_selectorELNS0_4arch9wavefront6targetE0EEEvT1_,comdat
	.protected	_ZN7rocprim17ROCPRIM_400000_NS6detail17trampoline_kernelINS0_14default_configENS1_25partition_config_selectorILNS1_17partition_subalgoE9EjjbEEZZNS1_14partition_implILS5_9ELb0ES3_jN6thrust23THRUST_200600_302600_NS6detail15normal_iteratorINS9_10device_ptrIjEEEESE_PNS0_10empty_typeENS0_5tupleIJSE_SF_EEENSH_IJSE_SG_EEENS0_18inequality_wrapperI22is_equal_div_10_uniqueIjEEEPmJSF_EEE10hipError_tPvRmT3_T4_T5_T6_T7_T9_mT8_P12ihipStream_tbDpT10_ENKUlT_T0_E_clISt17integral_constantIbLb0EES17_IbLb1EEEEDaS13_S14_EUlS13_E_NS1_11comp_targetILNS1_3genE3ELNS1_11target_archE908ELNS1_3gpuE7ELNS1_3repE0EEENS1_30default_config_static_selectorELNS0_4arch9wavefront6targetE0EEEvT1_ ; -- Begin function _ZN7rocprim17ROCPRIM_400000_NS6detail17trampoline_kernelINS0_14default_configENS1_25partition_config_selectorILNS1_17partition_subalgoE9EjjbEEZZNS1_14partition_implILS5_9ELb0ES3_jN6thrust23THRUST_200600_302600_NS6detail15normal_iteratorINS9_10device_ptrIjEEEESE_PNS0_10empty_typeENS0_5tupleIJSE_SF_EEENSH_IJSE_SG_EEENS0_18inequality_wrapperI22is_equal_div_10_uniqueIjEEEPmJSF_EEE10hipError_tPvRmT3_T4_T5_T6_T7_T9_mT8_P12ihipStream_tbDpT10_ENKUlT_T0_E_clISt17integral_constantIbLb0EES17_IbLb1EEEEDaS13_S14_EUlS13_E_NS1_11comp_targetILNS1_3genE3ELNS1_11target_archE908ELNS1_3gpuE7ELNS1_3repE0EEENS1_30default_config_static_selectorELNS0_4arch9wavefront6targetE0EEEvT1_
	.globl	_ZN7rocprim17ROCPRIM_400000_NS6detail17trampoline_kernelINS0_14default_configENS1_25partition_config_selectorILNS1_17partition_subalgoE9EjjbEEZZNS1_14partition_implILS5_9ELb0ES3_jN6thrust23THRUST_200600_302600_NS6detail15normal_iteratorINS9_10device_ptrIjEEEESE_PNS0_10empty_typeENS0_5tupleIJSE_SF_EEENSH_IJSE_SG_EEENS0_18inequality_wrapperI22is_equal_div_10_uniqueIjEEEPmJSF_EEE10hipError_tPvRmT3_T4_T5_T6_T7_T9_mT8_P12ihipStream_tbDpT10_ENKUlT_T0_E_clISt17integral_constantIbLb0EES17_IbLb1EEEEDaS13_S14_EUlS13_E_NS1_11comp_targetILNS1_3genE3ELNS1_11target_archE908ELNS1_3gpuE7ELNS1_3repE0EEENS1_30default_config_static_selectorELNS0_4arch9wavefront6targetE0EEEvT1_
	.p2align	8
	.type	_ZN7rocprim17ROCPRIM_400000_NS6detail17trampoline_kernelINS0_14default_configENS1_25partition_config_selectorILNS1_17partition_subalgoE9EjjbEEZZNS1_14partition_implILS5_9ELb0ES3_jN6thrust23THRUST_200600_302600_NS6detail15normal_iteratorINS9_10device_ptrIjEEEESE_PNS0_10empty_typeENS0_5tupleIJSE_SF_EEENSH_IJSE_SG_EEENS0_18inequality_wrapperI22is_equal_div_10_uniqueIjEEEPmJSF_EEE10hipError_tPvRmT3_T4_T5_T6_T7_T9_mT8_P12ihipStream_tbDpT10_ENKUlT_T0_E_clISt17integral_constantIbLb0EES17_IbLb1EEEEDaS13_S14_EUlS13_E_NS1_11comp_targetILNS1_3genE3ELNS1_11target_archE908ELNS1_3gpuE7ELNS1_3repE0EEENS1_30default_config_static_selectorELNS0_4arch9wavefront6targetE0EEEvT1_,@function
_ZN7rocprim17ROCPRIM_400000_NS6detail17trampoline_kernelINS0_14default_configENS1_25partition_config_selectorILNS1_17partition_subalgoE9EjjbEEZZNS1_14partition_implILS5_9ELb0ES3_jN6thrust23THRUST_200600_302600_NS6detail15normal_iteratorINS9_10device_ptrIjEEEESE_PNS0_10empty_typeENS0_5tupleIJSE_SF_EEENSH_IJSE_SG_EEENS0_18inequality_wrapperI22is_equal_div_10_uniqueIjEEEPmJSF_EEE10hipError_tPvRmT3_T4_T5_T6_T7_T9_mT8_P12ihipStream_tbDpT10_ENKUlT_T0_E_clISt17integral_constantIbLb0EES17_IbLb1EEEEDaS13_S14_EUlS13_E_NS1_11comp_targetILNS1_3genE3ELNS1_11target_archE908ELNS1_3gpuE7ELNS1_3repE0EEENS1_30default_config_static_selectorELNS0_4arch9wavefront6targetE0EEEvT1_: ; @_ZN7rocprim17ROCPRIM_400000_NS6detail17trampoline_kernelINS0_14default_configENS1_25partition_config_selectorILNS1_17partition_subalgoE9EjjbEEZZNS1_14partition_implILS5_9ELb0ES3_jN6thrust23THRUST_200600_302600_NS6detail15normal_iteratorINS9_10device_ptrIjEEEESE_PNS0_10empty_typeENS0_5tupleIJSE_SF_EEENSH_IJSE_SG_EEENS0_18inequality_wrapperI22is_equal_div_10_uniqueIjEEEPmJSF_EEE10hipError_tPvRmT3_T4_T5_T6_T7_T9_mT8_P12ihipStream_tbDpT10_ENKUlT_T0_E_clISt17integral_constantIbLb0EES17_IbLb1EEEEDaS13_S14_EUlS13_E_NS1_11comp_targetILNS1_3genE3ELNS1_11target_archE908ELNS1_3gpuE7ELNS1_3repE0EEENS1_30default_config_static_selectorELNS0_4arch9wavefront6targetE0EEEvT1_
; %bb.0:
	.section	.rodata,"a",@progbits
	.p2align	6, 0x0
	.amdhsa_kernel _ZN7rocprim17ROCPRIM_400000_NS6detail17trampoline_kernelINS0_14default_configENS1_25partition_config_selectorILNS1_17partition_subalgoE9EjjbEEZZNS1_14partition_implILS5_9ELb0ES3_jN6thrust23THRUST_200600_302600_NS6detail15normal_iteratorINS9_10device_ptrIjEEEESE_PNS0_10empty_typeENS0_5tupleIJSE_SF_EEENSH_IJSE_SG_EEENS0_18inequality_wrapperI22is_equal_div_10_uniqueIjEEEPmJSF_EEE10hipError_tPvRmT3_T4_T5_T6_T7_T9_mT8_P12ihipStream_tbDpT10_ENKUlT_T0_E_clISt17integral_constantIbLb0EES17_IbLb1EEEEDaS13_S14_EUlS13_E_NS1_11comp_targetILNS1_3genE3ELNS1_11target_archE908ELNS1_3gpuE7ELNS1_3repE0EEENS1_30default_config_static_selectorELNS0_4arch9wavefront6targetE0EEEvT1_
		.amdhsa_group_segment_fixed_size 0
		.amdhsa_private_segment_fixed_size 0
		.amdhsa_kernarg_size 128
		.amdhsa_user_sgpr_count 15
		.amdhsa_user_sgpr_dispatch_ptr 0
		.amdhsa_user_sgpr_queue_ptr 0
		.amdhsa_user_sgpr_kernarg_segment_ptr 1
		.amdhsa_user_sgpr_dispatch_id 0
		.amdhsa_user_sgpr_private_segment_size 0
		.amdhsa_wavefront_size32 1
		.amdhsa_uses_dynamic_stack 0
		.amdhsa_enable_private_segment 0
		.amdhsa_system_sgpr_workgroup_id_x 1
		.amdhsa_system_sgpr_workgroup_id_y 0
		.amdhsa_system_sgpr_workgroup_id_z 0
		.amdhsa_system_sgpr_workgroup_info 0
		.amdhsa_system_vgpr_workitem_id 0
		.amdhsa_next_free_vgpr 1
		.amdhsa_next_free_sgpr 1
		.amdhsa_reserve_vcc 0
		.amdhsa_float_round_mode_32 0
		.amdhsa_float_round_mode_16_64 0
		.amdhsa_float_denorm_mode_32 3
		.amdhsa_float_denorm_mode_16_64 3
		.amdhsa_dx10_clamp 1
		.amdhsa_ieee_mode 1
		.amdhsa_fp16_overflow 0
		.amdhsa_workgroup_processor_mode 1
		.amdhsa_memory_ordered 1
		.amdhsa_forward_progress 0
		.amdhsa_shared_vgpr_count 0
		.amdhsa_exception_fp_ieee_invalid_op 0
		.amdhsa_exception_fp_denorm_src 0
		.amdhsa_exception_fp_ieee_div_zero 0
		.amdhsa_exception_fp_ieee_overflow 0
		.amdhsa_exception_fp_ieee_underflow 0
		.amdhsa_exception_fp_ieee_inexact 0
		.amdhsa_exception_int_div_zero 0
	.end_amdhsa_kernel
	.section	.text._ZN7rocprim17ROCPRIM_400000_NS6detail17trampoline_kernelINS0_14default_configENS1_25partition_config_selectorILNS1_17partition_subalgoE9EjjbEEZZNS1_14partition_implILS5_9ELb0ES3_jN6thrust23THRUST_200600_302600_NS6detail15normal_iteratorINS9_10device_ptrIjEEEESE_PNS0_10empty_typeENS0_5tupleIJSE_SF_EEENSH_IJSE_SG_EEENS0_18inequality_wrapperI22is_equal_div_10_uniqueIjEEEPmJSF_EEE10hipError_tPvRmT3_T4_T5_T6_T7_T9_mT8_P12ihipStream_tbDpT10_ENKUlT_T0_E_clISt17integral_constantIbLb0EES17_IbLb1EEEEDaS13_S14_EUlS13_E_NS1_11comp_targetILNS1_3genE3ELNS1_11target_archE908ELNS1_3gpuE7ELNS1_3repE0EEENS1_30default_config_static_selectorELNS0_4arch9wavefront6targetE0EEEvT1_,"axG",@progbits,_ZN7rocprim17ROCPRIM_400000_NS6detail17trampoline_kernelINS0_14default_configENS1_25partition_config_selectorILNS1_17partition_subalgoE9EjjbEEZZNS1_14partition_implILS5_9ELb0ES3_jN6thrust23THRUST_200600_302600_NS6detail15normal_iteratorINS9_10device_ptrIjEEEESE_PNS0_10empty_typeENS0_5tupleIJSE_SF_EEENSH_IJSE_SG_EEENS0_18inequality_wrapperI22is_equal_div_10_uniqueIjEEEPmJSF_EEE10hipError_tPvRmT3_T4_T5_T6_T7_T9_mT8_P12ihipStream_tbDpT10_ENKUlT_T0_E_clISt17integral_constantIbLb0EES17_IbLb1EEEEDaS13_S14_EUlS13_E_NS1_11comp_targetILNS1_3genE3ELNS1_11target_archE908ELNS1_3gpuE7ELNS1_3repE0EEENS1_30default_config_static_selectorELNS0_4arch9wavefront6targetE0EEEvT1_,comdat
.Lfunc_end269:
	.size	_ZN7rocprim17ROCPRIM_400000_NS6detail17trampoline_kernelINS0_14default_configENS1_25partition_config_selectorILNS1_17partition_subalgoE9EjjbEEZZNS1_14partition_implILS5_9ELb0ES3_jN6thrust23THRUST_200600_302600_NS6detail15normal_iteratorINS9_10device_ptrIjEEEESE_PNS0_10empty_typeENS0_5tupleIJSE_SF_EEENSH_IJSE_SG_EEENS0_18inequality_wrapperI22is_equal_div_10_uniqueIjEEEPmJSF_EEE10hipError_tPvRmT3_T4_T5_T6_T7_T9_mT8_P12ihipStream_tbDpT10_ENKUlT_T0_E_clISt17integral_constantIbLb0EES17_IbLb1EEEEDaS13_S14_EUlS13_E_NS1_11comp_targetILNS1_3genE3ELNS1_11target_archE908ELNS1_3gpuE7ELNS1_3repE0EEENS1_30default_config_static_selectorELNS0_4arch9wavefront6targetE0EEEvT1_, .Lfunc_end269-_ZN7rocprim17ROCPRIM_400000_NS6detail17trampoline_kernelINS0_14default_configENS1_25partition_config_selectorILNS1_17partition_subalgoE9EjjbEEZZNS1_14partition_implILS5_9ELb0ES3_jN6thrust23THRUST_200600_302600_NS6detail15normal_iteratorINS9_10device_ptrIjEEEESE_PNS0_10empty_typeENS0_5tupleIJSE_SF_EEENSH_IJSE_SG_EEENS0_18inequality_wrapperI22is_equal_div_10_uniqueIjEEEPmJSF_EEE10hipError_tPvRmT3_T4_T5_T6_T7_T9_mT8_P12ihipStream_tbDpT10_ENKUlT_T0_E_clISt17integral_constantIbLb0EES17_IbLb1EEEEDaS13_S14_EUlS13_E_NS1_11comp_targetILNS1_3genE3ELNS1_11target_archE908ELNS1_3gpuE7ELNS1_3repE0EEENS1_30default_config_static_selectorELNS0_4arch9wavefront6targetE0EEEvT1_
                                        ; -- End function
	.section	.AMDGPU.csdata,"",@progbits
; Kernel info:
; codeLenInByte = 0
; NumSgprs: 0
; NumVgprs: 0
; ScratchSize: 0
; MemoryBound: 0
; FloatMode: 240
; IeeeMode: 1
; LDSByteSize: 0 bytes/workgroup (compile time only)
; SGPRBlocks: 0
; VGPRBlocks: 0
; NumSGPRsForWavesPerEU: 1
; NumVGPRsForWavesPerEU: 1
; Occupancy: 16
; WaveLimiterHint : 0
; COMPUTE_PGM_RSRC2:SCRATCH_EN: 0
; COMPUTE_PGM_RSRC2:USER_SGPR: 15
; COMPUTE_PGM_RSRC2:TRAP_HANDLER: 0
; COMPUTE_PGM_RSRC2:TGID_X_EN: 1
; COMPUTE_PGM_RSRC2:TGID_Y_EN: 0
; COMPUTE_PGM_RSRC2:TGID_Z_EN: 0
; COMPUTE_PGM_RSRC2:TIDIG_COMP_CNT: 0
	.section	.text._ZN7rocprim17ROCPRIM_400000_NS6detail17trampoline_kernelINS0_14default_configENS1_25partition_config_selectorILNS1_17partition_subalgoE9EjjbEEZZNS1_14partition_implILS5_9ELb0ES3_jN6thrust23THRUST_200600_302600_NS6detail15normal_iteratorINS9_10device_ptrIjEEEESE_PNS0_10empty_typeENS0_5tupleIJSE_SF_EEENSH_IJSE_SG_EEENS0_18inequality_wrapperI22is_equal_div_10_uniqueIjEEEPmJSF_EEE10hipError_tPvRmT3_T4_T5_T6_T7_T9_mT8_P12ihipStream_tbDpT10_ENKUlT_T0_E_clISt17integral_constantIbLb0EES17_IbLb1EEEEDaS13_S14_EUlS13_E_NS1_11comp_targetILNS1_3genE2ELNS1_11target_archE906ELNS1_3gpuE6ELNS1_3repE0EEENS1_30default_config_static_selectorELNS0_4arch9wavefront6targetE0EEEvT1_,"axG",@progbits,_ZN7rocprim17ROCPRIM_400000_NS6detail17trampoline_kernelINS0_14default_configENS1_25partition_config_selectorILNS1_17partition_subalgoE9EjjbEEZZNS1_14partition_implILS5_9ELb0ES3_jN6thrust23THRUST_200600_302600_NS6detail15normal_iteratorINS9_10device_ptrIjEEEESE_PNS0_10empty_typeENS0_5tupleIJSE_SF_EEENSH_IJSE_SG_EEENS0_18inequality_wrapperI22is_equal_div_10_uniqueIjEEEPmJSF_EEE10hipError_tPvRmT3_T4_T5_T6_T7_T9_mT8_P12ihipStream_tbDpT10_ENKUlT_T0_E_clISt17integral_constantIbLb0EES17_IbLb1EEEEDaS13_S14_EUlS13_E_NS1_11comp_targetILNS1_3genE2ELNS1_11target_archE906ELNS1_3gpuE6ELNS1_3repE0EEENS1_30default_config_static_selectorELNS0_4arch9wavefront6targetE0EEEvT1_,comdat
	.protected	_ZN7rocprim17ROCPRIM_400000_NS6detail17trampoline_kernelINS0_14default_configENS1_25partition_config_selectorILNS1_17partition_subalgoE9EjjbEEZZNS1_14partition_implILS5_9ELb0ES3_jN6thrust23THRUST_200600_302600_NS6detail15normal_iteratorINS9_10device_ptrIjEEEESE_PNS0_10empty_typeENS0_5tupleIJSE_SF_EEENSH_IJSE_SG_EEENS0_18inequality_wrapperI22is_equal_div_10_uniqueIjEEEPmJSF_EEE10hipError_tPvRmT3_T4_T5_T6_T7_T9_mT8_P12ihipStream_tbDpT10_ENKUlT_T0_E_clISt17integral_constantIbLb0EES17_IbLb1EEEEDaS13_S14_EUlS13_E_NS1_11comp_targetILNS1_3genE2ELNS1_11target_archE906ELNS1_3gpuE6ELNS1_3repE0EEENS1_30default_config_static_selectorELNS0_4arch9wavefront6targetE0EEEvT1_ ; -- Begin function _ZN7rocprim17ROCPRIM_400000_NS6detail17trampoline_kernelINS0_14default_configENS1_25partition_config_selectorILNS1_17partition_subalgoE9EjjbEEZZNS1_14partition_implILS5_9ELb0ES3_jN6thrust23THRUST_200600_302600_NS6detail15normal_iteratorINS9_10device_ptrIjEEEESE_PNS0_10empty_typeENS0_5tupleIJSE_SF_EEENSH_IJSE_SG_EEENS0_18inequality_wrapperI22is_equal_div_10_uniqueIjEEEPmJSF_EEE10hipError_tPvRmT3_T4_T5_T6_T7_T9_mT8_P12ihipStream_tbDpT10_ENKUlT_T0_E_clISt17integral_constantIbLb0EES17_IbLb1EEEEDaS13_S14_EUlS13_E_NS1_11comp_targetILNS1_3genE2ELNS1_11target_archE906ELNS1_3gpuE6ELNS1_3repE0EEENS1_30default_config_static_selectorELNS0_4arch9wavefront6targetE0EEEvT1_
	.globl	_ZN7rocprim17ROCPRIM_400000_NS6detail17trampoline_kernelINS0_14default_configENS1_25partition_config_selectorILNS1_17partition_subalgoE9EjjbEEZZNS1_14partition_implILS5_9ELb0ES3_jN6thrust23THRUST_200600_302600_NS6detail15normal_iteratorINS9_10device_ptrIjEEEESE_PNS0_10empty_typeENS0_5tupleIJSE_SF_EEENSH_IJSE_SG_EEENS0_18inequality_wrapperI22is_equal_div_10_uniqueIjEEEPmJSF_EEE10hipError_tPvRmT3_T4_T5_T6_T7_T9_mT8_P12ihipStream_tbDpT10_ENKUlT_T0_E_clISt17integral_constantIbLb0EES17_IbLb1EEEEDaS13_S14_EUlS13_E_NS1_11comp_targetILNS1_3genE2ELNS1_11target_archE906ELNS1_3gpuE6ELNS1_3repE0EEENS1_30default_config_static_selectorELNS0_4arch9wavefront6targetE0EEEvT1_
	.p2align	8
	.type	_ZN7rocprim17ROCPRIM_400000_NS6detail17trampoline_kernelINS0_14default_configENS1_25partition_config_selectorILNS1_17partition_subalgoE9EjjbEEZZNS1_14partition_implILS5_9ELb0ES3_jN6thrust23THRUST_200600_302600_NS6detail15normal_iteratorINS9_10device_ptrIjEEEESE_PNS0_10empty_typeENS0_5tupleIJSE_SF_EEENSH_IJSE_SG_EEENS0_18inequality_wrapperI22is_equal_div_10_uniqueIjEEEPmJSF_EEE10hipError_tPvRmT3_T4_T5_T6_T7_T9_mT8_P12ihipStream_tbDpT10_ENKUlT_T0_E_clISt17integral_constantIbLb0EES17_IbLb1EEEEDaS13_S14_EUlS13_E_NS1_11comp_targetILNS1_3genE2ELNS1_11target_archE906ELNS1_3gpuE6ELNS1_3repE0EEENS1_30default_config_static_selectorELNS0_4arch9wavefront6targetE0EEEvT1_,@function
_ZN7rocprim17ROCPRIM_400000_NS6detail17trampoline_kernelINS0_14default_configENS1_25partition_config_selectorILNS1_17partition_subalgoE9EjjbEEZZNS1_14partition_implILS5_9ELb0ES3_jN6thrust23THRUST_200600_302600_NS6detail15normal_iteratorINS9_10device_ptrIjEEEESE_PNS0_10empty_typeENS0_5tupleIJSE_SF_EEENSH_IJSE_SG_EEENS0_18inequality_wrapperI22is_equal_div_10_uniqueIjEEEPmJSF_EEE10hipError_tPvRmT3_T4_T5_T6_T7_T9_mT8_P12ihipStream_tbDpT10_ENKUlT_T0_E_clISt17integral_constantIbLb0EES17_IbLb1EEEEDaS13_S14_EUlS13_E_NS1_11comp_targetILNS1_3genE2ELNS1_11target_archE906ELNS1_3gpuE6ELNS1_3repE0EEENS1_30default_config_static_selectorELNS0_4arch9wavefront6targetE0EEEvT1_: ; @_ZN7rocprim17ROCPRIM_400000_NS6detail17trampoline_kernelINS0_14default_configENS1_25partition_config_selectorILNS1_17partition_subalgoE9EjjbEEZZNS1_14partition_implILS5_9ELb0ES3_jN6thrust23THRUST_200600_302600_NS6detail15normal_iteratorINS9_10device_ptrIjEEEESE_PNS0_10empty_typeENS0_5tupleIJSE_SF_EEENSH_IJSE_SG_EEENS0_18inequality_wrapperI22is_equal_div_10_uniqueIjEEEPmJSF_EEE10hipError_tPvRmT3_T4_T5_T6_T7_T9_mT8_P12ihipStream_tbDpT10_ENKUlT_T0_E_clISt17integral_constantIbLb0EES17_IbLb1EEEEDaS13_S14_EUlS13_E_NS1_11comp_targetILNS1_3genE2ELNS1_11target_archE906ELNS1_3gpuE6ELNS1_3repE0EEENS1_30default_config_static_selectorELNS0_4arch9wavefront6targetE0EEEvT1_
; %bb.0:
	.section	.rodata,"a",@progbits
	.p2align	6, 0x0
	.amdhsa_kernel _ZN7rocprim17ROCPRIM_400000_NS6detail17trampoline_kernelINS0_14default_configENS1_25partition_config_selectorILNS1_17partition_subalgoE9EjjbEEZZNS1_14partition_implILS5_9ELb0ES3_jN6thrust23THRUST_200600_302600_NS6detail15normal_iteratorINS9_10device_ptrIjEEEESE_PNS0_10empty_typeENS0_5tupleIJSE_SF_EEENSH_IJSE_SG_EEENS0_18inequality_wrapperI22is_equal_div_10_uniqueIjEEEPmJSF_EEE10hipError_tPvRmT3_T4_T5_T6_T7_T9_mT8_P12ihipStream_tbDpT10_ENKUlT_T0_E_clISt17integral_constantIbLb0EES17_IbLb1EEEEDaS13_S14_EUlS13_E_NS1_11comp_targetILNS1_3genE2ELNS1_11target_archE906ELNS1_3gpuE6ELNS1_3repE0EEENS1_30default_config_static_selectorELNS0_4arch9wavefront6targetE0EEEvT1_
		.amdhsa_group_segment_fixed_size 0
		.amdhsa_private_segment_fixed_size 0
		.amdhsa_kernarg_size 128
		.amdhsa_user_sgpr_count 15
		.amdhsa_user_sgpr_dispatch_ptr 0
		.amdhsa_user_sgpr_queue_ptr 0
		.amdhsa_user_sgpr_kernarg_segment_ptr 1
		.amdhsa_user_sgpr_dispatch_id 0
		.amdhsa_user_sgpr_private_segment_size 0
		.amdhsa_wavefront_size32 1
		.amdhsa_uses_dynamic_stack 0
		.amdhsa_enable_private_segment 0
		.amdhsa_system_sgpr_workgroup_id_x 1
		.amdhsa_system_sgpr_workgroup_id_y 0
		.amdhsa_system_sgpr_workgroup_id_z 0
		.amdhsa_system_sgpr_workgroup_info 0
		.amdhsa_system_vgpr_workitem_id 0
		.amdhsa_next_free_vgpr 1
		.amdhsa_next_free_sgpr 1
		.amdhsa_reserve_vcc 0
		.amdhsa_float_round_mode_32 0
		.amdhsa_float_round_mode_16_64 0
		.amdhsa_float_denorm_mode_32 3
		.amdhsa_float_denorm_mode_16_64 3
		.amdhsa_dx10_clamp 1
		.amdhsa_ieee_mode 1
		.amdhsa_fp16_overflow 0
		.amdhsa_workgroup_processor_mode 1
		.amdhsa_memory_ordered 1
		.amdhsa_forward_progress 0
		.amdhsa_shared_vgpr_count 0
		.amdhsa_exception_fp_ieee_invalid_op 0
		.amdhsa_exception_fp_denorm_src 0
		.amdhsa_exception_fp_ieee_div_zero 0
		.amdhsa_exception_fp_ieee_overflow 0
		.amdhsa_exception_fp_ieee_underflow 0
		.amdhsa_exception_fp_ieee_inexact 0
		.amdhsa_exception_int_div_zero 0
	.end_amdhsa_kernel
	.section	.text._ZN7rocprim17ROCPRIM_400000_NS6detail17trampoline_kernelINS0_14default_configENS1_25partition_config_selectorILNS1_17partition_subalgoE9EjjbEEZZNS1_14partition_implILS5_9ELb0ES3_jN6thrust23THRUST_200600_302600_NS6detail15normal_iteratorINS9_10device_ptrIjEEEESE_PNS0_10empty_typeENS0_5tupleIJSE_SF_EEENSH_IJSE_SG_EEENS0_18inequality_wrapperI22is_equal_div_10_uniqueIjEEEPmJSF_EEE10hipError_tPvRmT3_T4_T5_T6_T7_T9_mT8_P12ihipStream_tbDpT10_ENKUlT_T0_E_clISt17integral_constantIbLb0EES17_IbLb1EEEEDaS13_S14_EUlS13_E_NS1_11comp_targetILNS1_3genE2ELNS1_11target_archE906ELNS1_3gpuE6ELNS1_3repE0EEENS1_30default_config_static_selectorELNS0_4arch9wavefront6targetE0EEEvT1_,"axG",@progbits,_ZN7rocprim17ROCPRIM_400000_NS6detail17trampoline_kernelINS0_14default_configENS1_25partition_config_selectorILNS1_17partition_subalgoE9EjjbEEZZNS1_14partition_implILS5_9ELb0ES3_jN6thrust23THRUST_200600_302600_NS6detail15normal_iteratorINS9_10device_ptrIjEEEESE_PNS0_10empty_typeENS0_5tupleIJSE_SF_EEENSH_IJSE_SG_EEENS0_18inequality_wrapperI22is_equal_div_10_uniqueIjEEEPmJSF_EEE10hipError_tPvRmT3_T4_T5_T6_T7_T9_mT8_P12ihipStream_tbDpT10_ENKUlT_T0_E_clISt17integral_constantIbLb0EES17_IbLb1EEEEDaS13_S14_EUlS13_E_NS1_11comp_targetILNS1_3genE2ELNS1_11target_archE906ELNS1_3gpuE6ELNS1_3repE0EEENS1_30default_config_static_selectorELNS0_4arch9wavefront6targetE0EEEvT1_,comdat
.Lfunc_end270:
	.size	_ZN7rocprim17ROCPRIM_400000_NS6detail17trampoline_kernelINS0_14default_configENS1_25partition_config_selectorILNS1_17partition_subalgoE9EjjbEEZZNS1_14partition_implILS5_9ELb0ES3_jN6thrust23THRUST_200600_302600_NS6detail15normal_iteratorINS9_10device_ptrIjEEEESE_PNS0_10empty_typeENS0_5tupleIJSE_SF_EEENSH_IJSE_SG_EEENS0_18inequality_wrapperI22is_equal_div_10_uniqueIjEEEPmJSF_EEE10hipError_tPvRmT3_T4_T5_T6_T7_T9_mT8_P12ihipStream_tbDpT10_ENKUlT_T0_E_clISt17integral_constantIbLb0EES17_IbLb1EEEEDaS13_S14_EUlS13_E_NS1_11comp_targetILNS1_3genE2ELNS1_11target_archE906ELNS1_3gpuE6ELNS1_3repE0EEENS1_30default_config_static_selectorELNS0_4arch9wavefront6targetE0EEEvT1_, .Lfunc_end270-_ZN7rocprim17ROCPRIM_400000_NS6detail17trampoline_kernelINS0_14default_configENS1_25partition_config_selectorILNS1_17partition_subalgoE9EjjbEEZZNS1_14partition_implILS5_9ELb0ES3_jN6thrust23THRUST_200600_302600_NS6detail15normal_iteratorINS9_10device_ptrIjEEEESE_PNS0_10empty_typeENS0_5tupleIJSE_SF_EEENSH_IJSE_SG_EEENS0_18inequality_wrapperI22is_equal_div_10_uniqueIjEEEPmJSF_EEE10hipError_tPvRmT3_T4_T5_T6_T7_T9_mT8_P12ihipStream_tbDpT10_ENKUlT_T0_E_clISt17integral_constantIbLb0EES17_IbLb1EEEEDaS13_S14_EUlS13_E_NS1_11comp_targetILNS1_3genE2ELNS1_11target_archE906ELNS1_3gpuE6ELNS1_3repE0EEENS1_30default_config_static_selectorELNS0_4arch9wavefront6targetE0EEEvT1_
                                        ; -- End function
	.section	.AMDGPU.csdata,"",@progbits
; Kernel info:
; codeLenInByte = 0
; NumSgprs: 0
; NumVgprs: 0
; ScratchSize: 0
; MemoryBound: 0
; FloatMode: 240
; IeeeMode: 1
; LDSByteSize: 0 bytes/workgroup (compile time only)
; SGPRBlocks: 0
; VGPRBlocks: 0
; NumSGPRsForWavesPerEU: 1
; NumVGPRsForWavesPerEU: 1
; Occupancy: 16
; WaveLimiterHint : 0
; COMPUTE_PGM_RSRC2:SCRATCH_EN: 0
; COMPUTE_PGM_RSRC2:USER_SGPR: 15
; COMPUTE_PGM_RSRC2:TRAP_HANDLER: 0
; COMPUTE_PGM_RSRC2:TGID_X_EN: 1
; COMPUTE_PGM_RSRC2:TGID_Y_EN: 0
; COMPUTE_PGM_RSRC2:TGID_Z_EN: 0
; COMPUTE_PGM_RSRC2:TIDIG_COMP_CNT: 0
	.section	.text._ZN7rocprim17ROCPRIM_400000_NS6detail17trampoline_kernelINS0_14default_configENS1_25partition_config_selectorILNS1_17partition_subalgoE9EjjbEEZZNS1_14partition_implILS5_9ELb0ES3_jN6thrust23THRUST_200600_302600_NS6detail15normal_iteratorINS9_10device_ptrIjEEEESE_PNS0_10empty_typeENS0_5tupleIJSE_SF_EEENSH_IJSE_SG_EEENS0_18inequality_wrapperI22is_equal_div_10_uniqueIjEEEPmJSF_EEE10hipError_tPvRmT3_T4_T5_T6_T7_T9_mT8_P12ihipStream_tbDpT10_ENKUlT_T0_E_clISt17integral_constantIbLb0EES17_IbLb1EEEEDaS13_S14_EUlS13_E_NS1_11comp_targetILNS1_3genE10ELNS1_11target_archE1200ELNS1_3gpuE4ELNS1_3repE0EEENS1_30default_config_static_selectorELNS0_4arch9wavefront6targetE0EEEvT1_,"axG",@progbits,_ZN7rocprim17ROCPRIM_400000_NS6detail17trampoline_kernelINS0_14default_configENS1_25partition_config_selectorILNS1_17partition_subalgoE9EjjbEEZZNS1_14partition_implILS5_9ELb0ES3_jN6thrust23THRUST_200600_302600_NS6detail15normal_iteratorINS9_10device_ptrIjEEEESE_PNS0_10empty_typeENS0_5tupleIJSE_SF_EEENSH_IJSE_SG_EEENS0_18inequality_wrapperI22is_equal_div_10_uniqueIjEEEPmJSF_EEE10hipError_tPvRmT3_T4_T5_T6_T7_T9_mT8_P12ihipStream_tbDpT10_ENKUlT_T0_E_clISt17integral_constantIbLb0EES17_IbLb1EEEEDaS13_S14_EUlS13_E_NS1_11comp_targetILNS1_3genE10ELNS1_11target_archE1200ELNS1_3gpuE4ELNS1_3repE0EEENS1_30default_config_static_selectorELNS0_4arch9wavefront6targetE0EEEvT1_,comdat
	.protected	_ZN7rocprim17ROCPRIM_400000_NS6detail17trampoline_kernelINS0_14default_configENS1_25partition_config_selectorILNS1_17partition_subalgoE9EjjbEEZZNS1_14partition_implILS5_9ELb0ES3_jN6thrust23THRUST_200600_302600_NS6detail15normal_iteratorINS9_10device_ptrIjEEEESE_PNS0_10empty_typeENS0_5tupleIJSE_SF_EEENSH_IJSE_SG_EEENS0_18inequality_wrapperI22is_equal_div_10_uniqueIjEEEPmJSF_EEE10hipError_tPvRmT3_T4_T5_T6_T7_T9_mT8_P12ihipStream_tbDpT10_ENKUlT_T0_E_clISt17integral_constantIbLb0EES17_IbLb1EEEEDaS13_S14_EUlS13_E_NS1_11comp_targetILNS1_3genE10ELNS1_11target_archE1200ELNS1_3gpuE4ELNS1_3repE0EEENS1_30default_config_static_selectorELNS0_4arch9wavefront6targetE0EEEvT1_ ; -- Begin function _ZN7rocprim17ROCPRIM_400000_NS6detail17trampoline_kernelINS0_14default_configENS1_25partition_config_selectorILNS1_17partition_subalgoE9EjjbEEZZNS1_14partition_implILS5_9ELb0ES3_jN6thrust23THRUST_200600_302600_NS6detail15normal_iteratorINS9_10device_ptrIjEEEESE_PNS0_10empty_typeENS0_5tupleIJSE_SF_EEENSH_IJSE_SG_EEENS0_18inequality_wrapperI22is_equal_div_10_uniqueIjEEEPmJSF_EEE10hipError_tPvRmT3_T4_T5_T6_T7_T9_mT8_P12ihipStream_tbDpT10_ENKUlT_T0_E_clISt17integral_constantIbLb0EES17_IbLb1EEEEDaS13_S14_EUlS13_E_NS1_11comp_targetILNS1_3genE10ELNS1_11target_archE1200ELNS1_3gpuE4ELNS1_3repE0EEENS1_30default_config_static_selectorELNS0_4arch9wavefront6targetE0EEEvT1_
	.globl	_ZN7rocprim17ROCPRIM_400000_NS6detail17trampoline_kernelINS0_14default_configENS1_25partition_config_selectorILNS1_17partition_subalgoE9EjjbEEZZNS1_14partition_implILS5_9ELb0ES3_jN6thrust23THRUST_200600_302600_NS6detail15normal_iteratorINS9_10device_ptrIjEEEESE_PNS0_10empty_typeENS0_5tupleIJSE_SF_EEENSH_IJSE_SG_EEENS0_18inequality_wrapperI22is_equal_div_10_uniqueIjEEEPmJSF_EEE10hipError_tPvRmT3_T4_T5_T6_T7_T9_mT8_P12ihipStream_tbDpT10_ENKUlT_T0_E_clISt17integral_constantIbLb0EES17_IbLb1EEEEDaS13_S14_EUlS13_E_NS1_11comp_targetILNS1_3genE10ELNS1_11target_archE1200ELNS1_3gpuE4ELNS1_3repE0EEENS1_30default_config_static_selectorELNS0_4arch9wavefront6targetE0EEEvT1_
	.p2align	8
	.type	_ZN7rocprim17ROCPRIM_400000_NS6detail17trampoline_kernelINS0_14default_configENS1_25partition_config_selectorILNS1_17partition_subalgoE9EjjbEEZZNS1_14partition_implILS5_9ELb0ES3_jN6thrust23THRUST_200600_302600_NS6detail15normal_iteratorINS9_10device_ptrIjEEEESE_PNS0_10empty_typeENS0_5tupleIJSE_SF_EEENSH_IJSE_SG_EEENS0_18inequality_wrapperI22is_equal_div_10_uniqueIjEEEPmJSF_EEE10hipError_tPvRmT3_T4_T5_T6_T7_T9_mT8_P12ihipStream_tbDpT10_ENKUlT_T0_E_clISt17integral_constantIbLb0EES17_IbLb1EEEEDaS13_S14_EUlS13_E_NS1_11comp_targetILNS1_3genE10ELNS1_11target_archE1200ELNS1_3gpuE4ELNS1_3repE0EEENS1_30default_config_static_selectorELNS0_4arch9wavefront6targetE0EEEvT1_,@function
_ZN7rocprim17ROCPRIM_400000_NS6detail17trampoline_kernelINS0_14default_configENS1_25partition_config_selectorILNS1_17partition_subalgoE9EjjbEEZZNS1_14partition_implILS5_9ELb0ES3_jN6thrust23THRUST_200600_302600_NS6detail15normal_iteratorINS9_10device_ptrIjEEEESE_PNS0_10empty_typeENS0_5tupleIJSE_SF_EEENSH_IJSE_SG_EEENS0_18inequality_wrapperI22is_equal_div_10_uniqueIjEEEPmJSF_EEE10hipError_tPvRmT3_T4_T5_T6_T7_T9_mT8_P12ihipStream_tbDpT10_ENKUlT_T0_E_clISt17integral_constantIbLb0EES17_IbLb1EEEEDaS13_S14_EUlS13_E_NS1_11comp_targetILNS1_3genE10ELNS1_11target_archE1200ELNS1_3gpuE4ELNS1_3repE0EEENS1_30default_config_static_selectorELNS0_4arch9wavefront6targetE0EEEvT1_: ; @_ZN7rocprim17ROCPRIM_400000_NS6detail17trampoline_kernelINS0_14default_configENS1_25partition_config_selectorILNS1_17partition_subalgoE9EjjbEEZZNS1_14partition_implILS5_9ELb0ES3_jN6thrust23THRUST_200600_302600_NS6detail15normal_iteratorINS9_10device_ptrIjEEEESE_PNS0_10empty_typeENS0_5tupleIJSE_SF_EEENSH_IJSE_SG_EEENS0_18inequality_wrapperI22is_equal_div_10_uniqueIjEEEPmJSF_EEE10hipError_tPvRmT3_T4_T5_T6_T7_T9_mT8_P12ihipStream_tbDpT10_ENKUlT_T0_E_clISt17integral_constantIbLb0EES17_IbLb1EEEEDaS13_S14_EUlS13_E_NS1_11comp_targetILNS1_3genE10ELNS1_11target_archE1200ELNS1_3gpuE4ELNS1_3repE0EEENS1_30default_config_static_selectorELNS0_4arch9wavefront6targetE0EEEvT1_
; %bb.0:
	.section	.rodata,"a",@progbits
	.p2align	6, 0x0
	.amdhsa_kernel _ZN7rocprim17ROCPRIM_400000_NS6detail17trampoline_kernelINS0_14default_configENS1_25partition_config_selectorILNS1_17partition_subalgoE9EjjbEEZZNS1_14partition_implILS5_9ELb0ES3_jN6thrust23THRUST_200600_302600_NS6detail15normal_iteratorINS9_10device_ptrIjEEEESE_PNS0_10empty_typeENS0_5tupleIJSE_SF_EEENSH_IJSE_SG_EEENS0_18inequality_wrapperI22is_equal_div_10_uniqueIjEEEPmJSF_EEE10hipError_tPvRmT3_T4_T5_T6_T7_T9_mT8_P12ihipStream_tbDpT10_ENKUlT_T0_E_clISt17integral_constantIbLb0EES17_IbLb1EEEEDaS13_S14_EUlS13_E_NS1_11comp_targetILNS1_3genE10ELNS1_11target_archE1200ELNS1_3gpuE4ELNS1_3repE0EEENS1_30default_config_static_selectorELNS0_4arch9wavefront6targetE0EEEvT1_
		.amdhsa_group_segment_fixed_size 0
		.amdhsa_private_segment_fixed_size 0
		.amdhsa_kernarg_size 128
		.amdhsa_user_sgpr_count 15
		.amdhsa_user_sgpr_dispatch_ptr 0
		.amdhsa_user_sgpr_queue_ptr 0
		.amdhsa_user_sgpr_kernarg_segment_ptr 1
		.amdhsa_user_sgpr_dispatch_id 0
		.amdhsa_user_sgpr_private_segment_size 0
		.amdhsa_wavefront_size32 1
		.amdhsa_uses_dynamic_stack 0
		.amdhsa_enable_private_segment 0
		.amdhsa_system_sgpr_workgroup_id_x 1
		.amdhsa_system_sgpr_workgroup_id_y 0
		.amdhsa_system_sgpr_workgroup_id_z 0
		.amdhsa_system_sgpr_workgroup_info 0
		.amdhsa_system_vgpr_workitem_id 0
		.amdhsa_next_free_vgpr 1
		.amdhsa_next_free_sgpr 1
		.amdhsa_reserve_vcc 0
		.amdhsa_float_round_mode_32 0
		.amdhsa_float_round_mode_16_64 0
		.amdhsa_float_denorm_mode_32 3
		.amdhsa_float_denorm_mode_16_64 3
		.amdhsa_dx10_clamp 1
		.amdhsa_ieee_mode 1
		.amdhsa_fp16_overflow 0
		.amdhsa_workgroup_processor_mode 1
		.amdhsa_memory_ordered 1
		.amdhsa_forward_progress 0
		.amdhsa_shared_vgpr_count 0
		.amdhsa_exception_fp_ieee_invalid_op 0
		.amdhsa_exception_fp_denorm_src 0
		.amdhsa_exception_fp_ieee_div_zero 0
		.amdhsa_exception_fp_ieee_overflow 0
		.amdhsa_exception_fp_ieee_underflow 0
		.amdhsa_exception_fp_ieee_inexact 0
		.amdhsa_exception_int_div_zero 0
	.end_amdhsa_kernel
	.section	.text._ZN7rocprim17ROCPRIM_400000_NS6detail17trampoline_kernelINS0_14default_configENS1_25partition_config_selectorILNS1_17partition_subalgoE9EjjbEEZZNS1_14partition_implILS5_9ELb0ES3_jN6thrust23THRUST_200600_302600_NS6detail15normal_iteratorINS9_10device_ptrIjEEEESE_PNS0_10empty_typeENS0_5tupleIJSE_SF_EEENSH_IJSE_SG_EEENS0_18inequality_wrapperI22is_equal_div_10_uniqueIjEEEPmJSF_EEE10hipError_tPvRmT3_T4_T5_T6_T7_T9_mT8_P12ihipStream_tbDpT10_ENKUlT_T0_E_clISt17integral_constantIbLb0EES17_IbLb1EEEEDaS13_S14_EUlS13_E_NS1_11comp_targetILNS1_3genE10ELNS1_11target_archE1200ELNS1_3gpuE4ELNS1_3repE0EEENS1_30default_config_static_selectorELNS0_4arch9wavefront6targetE0EEEvT1_,"axG",@progbits,_ZN7rocprim17ROCPRIM_400000_NS6detail17trampoline_kernelINS0_14default_configENS1_25partition_config_selectorILNS1_17partition_subalgoE9EjjbEEZZNS1_14partition_implILS5_9ELb0ES3_jN6thrust23THRUST_200600_302600_NS6detail15normal_iteratorINS9_10device_ptrIjEEEESE_PNS0_10empty_typeENS0_5tupleIJSE_SF_EEENSH_IJSE_SG_EEENS0_18inequality_wrapperI22is_equal_div_10_uniqueIjEEEPmJSF_EEE10hipError_tPvRmT3_T4_T5_T6_T7_T9_mT8_P12ihipStream_tbDpT10_ENKUlT_T0_E_clISt17integral_constantIbLb0EES17_IbLb1EEEEDaS13_S14_EUlS13_E_NS1_11comp_targetILNS1_3genE10ELNS1_11target_archE1200ELNS1_3gpuE4ELNS1_3repE0EEENS1_30default_config_static_selectorELNS0_4arch9wavefront6targetE0EEEvT1_,comdat
.Lfunc_end271:
	.size	_ZN7rocprim17ROCPRIM_400000_NS6detail17trampoline_kernelINS0_14default_configENS1_25partition_config_selectorILNS1_17partition_subalgoE9EjjbEEZZNS1_14partition_implILS5_9ELb0ES3_jN6thrust23THRUST_200600_302600_NS6detail15normal_iteratorINS9_10device_ptrIjEEEESE_PNS0_10empty_typeENS0_5tupleIJSE_SF_EEENSH_IJSE_SG_EEENS0_18inequality_wrapperI22is_equal_div_10_uniqueIjEEEPmJSF_EEE10hipError_tPvRmT3_T4_T5_T6_T7_T9_mT8_P12ihipStream_tbDpT10_ENKUlT_T0_E_clISt17integral_constantIbLb0EES17_IbLb1EEEEDaS13_S14_EUlS13_E_NS1_11comp_targetILNS1_3genE10ELNS1_11target_archE1200ELNS1_3gpuE4ELNS1_3repE0EEENS1_30default_config_static_selectorELNS0_4arch9wavefront6targetE0EEEvT1_, .Lfunc_end271-_ZN7rocprim17ROCPRIM_400000_NS6detail17trampoline_kernelINS0_14default_configENS1_25partition_config_selectorILNS1_17partition_subalgoE9EjjbEEZZNS1_14partition_implILS5_9ELb0ES3_jN6thrust23THRUST_200600_302600_NS6detail15normal_iteratorINS9_10device_ptrIjEEEESE_PNS0_10empty_typeENS0_5tupleIJSE_SF_EEENSH_IJSE_SG_EEENS0_18inequality_wrapperI22is_equal_div_10_uniqueIjEEEPmJSF_EEE10hipError_tPvRmT3_T4_T5_T6_T7_T9_mT8_P12ihipStream_tbDpT10_ENKUlT_T0_E_clISt17integral_constantIbLb0EES17_IbLb1EEEEDaS13_S14_EUlS13_E_NS1_11comp_targetILNS1_3genE10ELNS1_11target_archE1200ELNS1_3gpuE4ELNS1_3repE0EEENS1_30default_config_static_selectorELNS0_4arch9wavefront6targetE0EEEvT1_
                                        ; -- End function
	.section	.AMDGPU.csdata,"",@progbits
; Kernel info:
; codeLenInByte = 0
; NumSgprs: 0
; NumVgprs: 0
; ScratchSize: 0
; MemoryBound: 0
; FloatMode: 240
; IeeeMode: 1
; LDSByteSize: 0 bytes/workgroup (compile time only)
; SGPRBlocks: 0
; VGPRBlocks: 0
; NumSGPRsForWavesPerEU: 1
; NumVGPRsForWavesPerEU: 1
; Occupancy: 15
; WaveLimiterHint : 0
; COMPUTE_PGM_RSRC2:SCRATCH_EN: 0
; COMPUTE_PGM_RSRC2:USER_SGPR: 15
; COMPUTE_PGM_RSRC2:TRAP_HANDLER: 0
; COMPUTE_PGM_RSRC2:TGID_X_EN: 1
; COMPUTE_PGM_RSRC2:TGID_Y_EN: 0
; COMPUTE_PGM_RSRC2:TGID_Z_EN: 0
; COMPUTE_PGM_RSRC2:TIDIG_COMP_CNT: 0
	.section	.text._ZN7rocprim17ROCPRIM_400000_NS6detail17trampoline_kernelINS0_14default_configENS1_25partition_config_selectorILNS1_17partition_subalgoE9EjjbEEZZNS1_14partition_implILS5_9ELb0ES3_jN6thrust23THRUST_200600_302600_NS6detail15normal_iteratorINS9_10device_ptrIjEEEESE_PNS0_10empty_typeENS0_5tupleIJSE_SF_EEENSH_IJSE_SG_EEENS0_18inequality_wrapperI22is_equal_div_10_uniqueIjEEEPmJSF_EEE10hipError_tPvRmT3_T4_T5_T6_T7_T9_mT8_P12ihipStream_tbDpT10_ENKUlT_T0_E_clISt17integral_constantIbLb0EES17_IbLb1EEEEDaS13_S14_EUlS13_E_NS1_11comp_targetILNS1_3genE9ELNS1_11target_archE1100ELNS1_3gpuE3ELNS1_3repE0EEENS1_30default_config_static_selectorELNS0_4arch9wavefront6targetE0EEEvT1_,"axG",@progbits,_ZN7rocprim17ROCPRIM_400000_NS6detail17trampoline_kernelINS0_14default_configENS1_25partition_config_selectorILNS1_17partition_subalgoE9EjjbEEZZNS1_14partition_implILS5_9ELb0ES3_jN6thrust23THRUST_200600_302600_NS6detail15normal_iteratorINS9_10device_ptrIjEEEESE_PNS0_10empty_typeENS0_5tupleIJSE_SF_EEENSH_IJSE_SG_EEENS0_18inequality_wrapperI22is_equal_div_10_uniqueIjEEEPmJSF_EEE10hipError_tPvRmT3_T4_T5_T6_T7_T9_mT8_P12ihipStream_tbDpT10_ENKUlT_T0_E_clISt17integral_constantIbLb0EES17_IbLb1EEEEDaS13_S14_EUlS13_E_NS1_11comp_targetILNS1_3genE9ELNS1_11target_archE1100ELNS1_3gpuE3ELNS1_3repE0EEENS1_30default_config_static_selectorELNS0_4arch9wavefront6targetE0EEEvT1_,comdat
	.protected	_ZN7rocprim17ROCPRIM_400000_NS6detail17trampoline_kernelINS0_14default_configENS1_25partition_config_selectorILNS1_17partition_subalgoE9EjjbEEZZNS1_14partition_implILS5_9ELb0ES3_jN6thrust23THRUST_200600_302600_NS6detail15normal_iteratorINS9_10device_ptrIjEEEESE_PNS0_10empty_typeENS0_5tupleIJSE_SF_EEENSH_IJSE_SG_EEENS0_18inequality_wrapperI22is_equal_div_10_uniqueIjEEEPmJSF_EEE10hipError_tPvRmT3_T4_T5_T6_T7_T9_mT8_P12ihipStream_tbDpT10_ENKUlT_T0_E_clISt17integral_constantIbLb0EES17_IbLb1EEEEDaS13_S14_EUlS13_E_NS1_11comp_targetILNS1_3genE9ELNS1_11target_archE1100ELNS1_3gpuE3ELNS1_3repE0EEENS1_30default_config_static_selectorELNS0_4arch9wavefront6targetE0EEEvT1_ ; -- Begin function _ZN7rocprim17ROCPRIM_400000_NS6detail17trampoline_kernelINS0_14default_configENS1_25partition_config_selectorILNS1_17partition_subalgoE9EjjbEEZZNS1_14partition_implILS5_9ELb0ES3_jN6thrust23THRUST_200600_302600_NS6detail15normal_iteratorINS9_10device_ptrIjEEEESE_PNS0_10empty_typeENS0_5tupleIJSE_SF_EEENSH_IJSE_SG_EEENS0_18inequality_wrapperI22is_equal_div_10_uniqueIjEEEPmJSF_EEE10hipError_tPvRmT3_T4_T5_T6_T7_T9_mT8_P12ihipStream_tbDpT10_ENKUlT_T0_E_clISt17integral_constantIbLb0EES17_IbLb1EEEEDaS13_S14_EUlS13_E_NS1_11comp_targetILNS1_3genE9ELNS1_11target_archE1100ELNS1_3gpuE3ELNS1_3repE0EEENS1_30default_config_static_selectorELNS0_4arch9wavefront6targetE0EEEvT1_
	.globl	_ZN7rocprim17ROCPRIM_400000_NS6detail17trampoline_kernelINS0_14default_configENS1_25partition_config_selectorILNS1_17partition_subalgoE9EjjbEEZZNS1_14partition_implILS5_9ELb0ES3_jN6thrust23THRUST_200600_302600_NS6detail15normal_iteratorINS9_10device_ptrIjEEEESE_PNS0_10empty_typeENS0_5tupleIJSE_SF_EEENSH_IJSE_SG_EEENS0_18inequality_wrapperI22is_equal_div_10_uniqueIjEEEPmJSF_EEE10hipError_tPvRmT3_T4_T5_T6_T7_T9_mT8_P12ihipStream_tbDpT10_ENKUlT_T0_E_clISt17integral_constantIbLb0EES17_IbLb1EEEEDaS13_S14_EUlS13_E_NS1_11comp_targetILNS1_3genE9ELNS1_11target_archE1100ELNS1_3gpuE3ELNS1_3repE0EEENS1_30default_config_static_selectorELNS0_4arch9wavefront6targetE0EEEvT1_
	.p2align	8
	.type	_ZN7rocprim17ROCPRIM_400000_NS6detail17trampoline_kernelINS0_14default_configENS1_25partition_config_selectorILNS1_17partition_subalgoE9EjjbEEZZNS1_14partition_implILS5_9ELb0ES3_jN6thrust23THRUST_200600_302600_NS6detail15normal_iteratorINS9_10device_ptrIjEEEESE_PNS0_10empty_typeENS0_5tupleIJSE_SF_EEENSH_IJSE_SG_EEENS0_18inequality_wrapperI22is_equal_div_10_uniqueIjEEEPmJSF_EEE10hipError_tPvRmT3_T4_T5_T6_T7_T9_mT8_P12ihipStream_tbDpT10_ENKUlT_T0_E_clISt17integral_constantIbLb0EES17_IbLb1EEEEDaS13_S14_EUlS13_E_NS1_11comp_targetILNS1_3genE9ELNS1_11target_archE1100ELNS1_3gpuE3ELNS1_3repE0EEENS1_30default_config_static_selectorELNS0_4arch9wavefront6targetE0EEEvT1_,@function
_ZN7rocprim17ROCPRIM_400000_NS6detail17trampoline_kernelINS0_14default_configENS1_25partition_config_selectorILNS1_17partition_subalgoE9EjjbEEZZNS1_14partition_implILS5_9ELb0ES3_jN6thrust23THRUST_200600_302600_NS6detail15normal_iteratorINS9_10device_ptrIjEEEESE_PNS0_10empty_typeENS0_5tupleIJSE_SF_EEENSH_IJSE_SG_EEENS0_18inequality_wrapperI22is_equal_div_10_uniqueIjEEEPmJSF_EEE10hipError_tPvRmT3_T4_T5_T6_T7_T9_mT8_P12ihipStream_tbDpT10_ENKUlT_T0_E_clISt17integral_constantIbLb0EES17_IbLb1EEEEDaS13_S14_EUlS13_E_NS1_11comp_targetILNS1_3genE9ELNS1_11target_archE1100ELNS1_3gpuE3ELNS1_3repE0EEENS1_30default_config_static_selectorELNS0_4arch9wavefront6targetE0EEEvT1_: ; @_ZN7rocprim17ROCPRIM_400000_NS6detail17trampoline_kernelINS0_14default_configENS1_25partition_config_selectorILNS1_17partition_subalgoE9EjjbEEZZNS1_14partition_implILS5_9ELb0ES3_jN6thrust23THRUST_200600_302600_NS6detail15normal_iteratorINS9_10device_ptrIjEEEESE_PNS0_10empty_typeENS0_5tupleIJSE_SF_EEENSH_IJSE_SG_EEENS0_18inequality_wrapperI22is_equal_div_10_uniqueIjEEEPmJSF_EEE10hipError_tPvRmT3_T4_T5_T6_T7_T9_mT8_P12ihipStream_tbDpT10_ENKUlT_T0_E_clISt17integral_constantIbLb0EES17_IbLb1EEEEDaS13_S14_EUlS13_E_NS1_11comp_targetILNS1_3genE9ELNS1_11target_archE1100ELNS1_3gpuE3ELNS1_3repE0EEENS1_30default_config_static_selectorELNS0_4arch9wavefront6targetE0EEEvT1_
; %bb.0:
	s_clause 0x4
	s_load_b128 s[4:7], s[0:1], 0x8
	s_load_b64 s[18:19], s[0:1], 0x18
	s_load_b128 s[8:11], s[0:1], 0x40
	s_load_b64 s[22:23], s[0:1], 0x50
	s_load_b64 s[16:17], s[0:1], 0x60
	v_cmp_ne_u32_e64 s3, 0, v0
	v_cmp_eq_u32_e64 s2, 0, v0
	s_delay_alu instid0(VALU_DEP_1)
	s_and_saveexec_b32 s12, s2
	s_cbranch_execz .LBB272_4
; %bb.1:
	s_mov_b32 s14, exec_lo
	s_mov_b32 s13, exec_lo
	v_mbcnt_lo_u32_b32 v1, s14, 0
                                        ; implicit-def: $vgpr2
	s_delay_alu instid0(VALU_DEP_1)
	v_cmpx_eq_u32_e32 0, v1
	s_cbranch_execz .LBB272_3
; %bb.2:
	s_load_b64 s[20:21], s[0:1], 0x70
	s_bcnt1_i32_b32 s14, s14
	s_delay_alu instid0(SALU_CYCLE_1)
	v_dual_mov_b32 v2, 0 :: v_dual_mov_b32 v3, s14
	s_waitcnt lgkmcnt(0)
	global_atomic_add_u32 v2, v2, v3, s[20:21] glc
.LBB272_3:
	s_or_b32 exec_lo, exec_lo, s13
	s_waitcnt vmcnt(0)
	v_readfirstlane_b32 s13, v2
	s_delay_alu instid0(VALU_DEP_1)
	v_dual_mov_b32 v2, 0 :: v_dual_add_nc_u32 v1, s13, v1
	ds_store_b32 v2, v1
.LBB272_4:
	s_or_b32 exec_lo, exec_lo, s12
	v_dual_mov_b32 v1, 0 :: v_dual_add_nc_u32 v22, 0x300, v0
	s_clause 0x1
	s_load_b128 s[12:15], s[0:1], 0x28
	s_load_b32 s0, s[0:1], 0x68
	s_waitcnt lgkmcnt(0)
	s_barrier
	buffer_gl0_inv
	ds_load_b32 v3, v1
	s_waitcnt lgkmcnt(0)
	s_barrier
	buffer_gl0_inv
	global_load_b64 v[1:2], v1, s[10:11]
	s_lshl_b64 s[20:21], s[6:7], 2
	s_mov_b32 s11, 0
	s_add_u32 s26, s4, s20
	s_addc_u32 s28, s5, s21
	v_lshrrev_b32_e32 v20, 3, v0
	v_add_nc_u32_e32 v25, 0x180, v0
	v_add_nc_u32_e32 v21, 0x480, v0
	v_or_b32_e32 v23, 0x600, v0
	v_add_nc_u32_e32 v18, 0x780, v0
	v_add_nc_u32_e32 v17, 0x900, v0
	;; [unrolled: 1-line block ×3, first 2 shown]
	s_mul_i32 s1, s0, 0xc00
	s_delay_alu instid0(SALU_CYCLE_1) | instskip(NEXT) | instid1(SALU_CYCLE_1)
	s_add_i32 s4, s1, s6
	s_sub_i32 s25, s22, s4
	s_add_i32 s4, s0, -1
	s_addk_i32 s25, 0xc00
	s_add_u32 s0, s6, s1
	v_readfirstlane_b32 s24, v3
	s_addc_u32 s1, s7, 0
	s_delay_alu instid0(SALU_CYCLE_1) | instskip(NEXT) | instid1(VALU_DEP_2)
	v_cmp_ge_u64_e64 s0, s[0:1], s[22:23]
	s_cmp_eq_u32 s24, s4
	s_mul_i32 s10, s24, 0xc00
	s_cselect_b32 s22, -1, 0
	s_lshl_b64 s[4:5], s[10:11], 2
	s_delay_alu instid0(VALU_DEP_1) | instskip(NEXT) | instid1(SALU_CYCLE_1)
	s_and_b32 s1, s0, s22
	s_xor_b32 s23, s1, -1
	s_add_u32 s27, s26, s4
	s_addc_u32 s26, s28, s5
	s_and_b32 vcc_lo, exec_lo, s23
	s_mov_b32 s28, -1
	s_waitcnt vmcnt(0)
	v_readfirstlane_b32 s10, v1
	v_readfirstlane_b32 s11, v2
	s_cbranch_vccz .LBB272_6
; %bb.5:
	v_lshlrev_b32_e32 v7, 2, v0
	v_lshrrev_b32_e32 v11, 3, v25
	v_lshrrev_b32_e32 v12, 3, v22
	;; [unrolled: 1-line block ×4, first 2 shown]
	v_add_co_u32 v1, s0, s27, v7
	s_delay_alu instid0(VALU_DEP_1) | instskip(SKIP_1) | instid1(VALU_DEP_3)
	v_add_co_ci_u32_e64 v2, null, s26, 0, s0
	v_lshrrev_b32_e32 v15, 3, v18
	v_add_co_u32 v3, vcc_lo, 0x1000, v1
	s_delay_alu instid0(VALU_DEP_3)
	v_add_co_ci_u32_e32 v4, vcc_lo, 0, v2, vcc_lo
	v_add_co_u32 v5, vcc_lo, 0x2000, v1
	v_add_co_ci_u32_e32 v6, vcc_lo, 0, v2, vcc_lo
	s_clause 0x7
	flat_load_b32 v8, v[1:2]
	flat_load_b32 v9, v[1:2] offset:1536
	flat_load_b32 v1, v[1:2] offset:3072
	;; [unrolled: 1-line block ×7, first 2 shown]
	v_and_b32_e32 v6, 60, v20
	v_lshrrev_b32_e32 v16, 3, v17
	v_lshrrev_b32_e32 v19, 3, v24
	v_and_b32_e32 v11, 0x7c, v11
	v_and_b32_e32 v12, 0xfc, v12
	;; [unrolled: 1-line block ×4, first 2 shown]
	v_add_nc_u32_e32 v6, v6, v7
	v_and_b32_e32 v15, 0x1fc, v15
	v_and_b32_e32 v16, 0x17c, v16
	v_and_b32_e32 v19, 0x1fc, v19
	v_add_nc_u32_e32 v11, v11, v7
	v_add_nc_u32_e32 v12, v12, v7
	;; [unrolled: 1-line block ×4, first 2 shown]
	s_mov_b32 s28, 0
	v_add_nc_u32_e32 v15, v15, v7
	v_add_nc_u32_e32 v16, v16, v7
	;; [unrolled: 1-line block ×3, first 2 shown]
	s_waitcnt vmcnt(7) lgkmcnt(7)
	ds_store_b32 v6, v8
	s_waitcnt vmcnt(6) lgkmcnt(7)
	ds_store_b32 v11, v9 offset:1536
	s_waitcnt vmcnt(5) lgkmcnt(7)
	ds_store_b32 v12, v1 offset:3072
	;; [unrolled: 2-line block ×7, first 2 shown]
	s_waitcnt lgkmcnt(0)
	s_barrier
.LBB272_6:
	v_cmp_gt_u32_e64 s0, s25, v0
	s_and_not1_b32 vcc_lo, exec_lo, s28
	s_cbranch_vccnz .LBB272_24
; %bb.7:
                                        ; implicit-def: $vgpr1_vgpr2_vgpr3_vgpr4_vgpr5_vgpr6_vgpr7_vgpr8
	s_delay_alu instid0(VALU_DEP_1)
	s_and_saveexec_b32 s28, s0
	s_cbranch_execz .LBB272_15
; %bb.8:
	v_lshlrev_b32_e32 v1, 2, v0
	s_delay_alu instid0(VALU_DEP_1) | instskip(NEXT) | instid1(VALU_DEP_1)
	v_add_co_u32 v1, s0, s27, v1
	v_add_co_ci_u32_e64 v2, null, s26, 0, s0
	flat_load_b32 v1, v[1:2]
	s_or_b32 exec_lo, exec_lo, s28
	s_delay_alu instid0(SALU_CYCLE_1)
	s_mov_b32 s0, exec_lo
	v_cmpx_gt_u32_e64 s25, v25
	s_cbranch_execnz .LBB272_16
.LBB272_9:
	s_or_b32 exec_lo, exec_lo, s0
	s_delay_alu instid0(SALU_CYCLE_1)
	s_mov_b32 s0, exec_lo
	v_cmpx_gt_u32_e64 s25, v22
	s_cbranch_execz .LBB272_17
.LBB272_10:
	v_lshlrev_b32_e32 v3, 2, v0
	s_delay_alu instid0(VALU_DEP_1) | instskip(NEXT) | instid1(VALU_DEP_1)
	v_add_co_u32 v9, s28, s27, v3
	v_add_co_ci_u32_e64 v10, null, s26, 0, s28
	flat_load_b32 v3, v[9:10] offset:3072
	s_or_b32 exec_lo, exec_lo, s0
	s_delay_alu instid0(SALU_CYCLE_1)
	s_mov_b32 s0, exec_lo
	v_cmpx_gt_u32_e64 s25, v21
	s_cbranch_execnz .LBB272_18
.LBB272_11:
	s_or_b32 exec_lo, exec_lo, s0
	s_delay_alu instid0(SALU_CYCLE_1)
	s_mov_b32 s0, exec_lo
	v_cmpx_gt_u32_e64 s25, v23
	s_cbranch_execz .LBB272_19
.LBB272_12:
	v_lshlrev_b32_e32 v5, 2, v23
	s_delay_alu instid0(VALU_DEP_1) | instskip(NEXT) | instid1(VALU_DEP_1)
	v_add_co_u32 v9, s28, s27, v5
	v_add_co_ci_u32_e64 v10, null, s26, 0, s28
	flat_load_b32 v5, v[9:10]
	s_or_b32 exec_lo, exec_lo, s0
	s_delay_alu instid0(SALU_CYCLE_1)
	s_mov_b32 s0, exec_lo
	v_cmpx_gt_u32_e64 s25, v18
	s_cbranch_execnz .LBB272_20
.LBB272_13:
	s_or_b32 exec_lo, exec_lo, s0
	s_delay_alu instid0(SALU_CYCLE_1)
	s_mov_b32 s0, exec_lo
	v_cmpx_gt_u32_e64 s25, v17
	s_cbranch_execz .LBB272_21
.LBB272_14:
	v_lshlrev_b32_e32 v7, 2, v17
	s_delay_alu instid0(VALU_DEP_1) | instskip(NEXT) | instid1(VALU_DEP_1)
	v_add_co_u32 v9, s28, s27, v7
	v_add_co_ci_u32_e64 v10, null, s26, 0, s28
	flat_load_b32 v7, v[9:10]
	s_or_b32 exec_lo, exec_lo, s0
	s_delay_alu instid0(SALU_CYCLE_1)
	s_mov_b32 s0, exec_lo
	v_cmpx_gt_u32_e64 s25, v24
	s_cbranch_execnz .LBB272_22
	s_branch .LBB272_23
.LBB272_15:
	s_or_b32 exec_lo, exec_lo, s28
	s_delay_alu instid0(SALU_CYCLE_1)
	s_mov_b32 s0, exec_lo
	v_cmpx_gt_u32_e64 s25, v25
	s_cbranch_execz .LBB272_9
.LBB272_16:
	v_lshlrev_b32_e32 v2, 2, v0
	s_delay_alu instid0(VALU_DEP_1) | instskip(NEXT) | instid1(VALU_DEP_1)
	v_add_co_u32 v9, s28, s27, v2
	v_add_co_ci_u32_e64 v10, null, s26, 0, s28
	flat_load_b32 v2, v[9:10] offset:1536
	s_or_b32 exec_lo, exec_lo, s0
	s_delay_alu instid0(SALU_CYCLE_1)
	s_mov_b32 s0, exec_lo
	v_cmpx_gt_u32_e64 s25, v22
	s_cbranch_execnz .LBB272_10
.LBB272_17:
	s_or_b32 exec_lo, exec_lo, s0
	s_delay_alu instid0(SALU_CYCLE_1)
	s_mov_b32 s0, exec_lo
	v_cmpx_gt_u32_e64 s25, v21
	s_cbranch_execz .LBB272_11
.LBB272_18:
	v_lshlrev_b32_e32 v4, 2, v21
	s_delay_alu instid0(VALU_DEP_1) | instskip(NEXT) | instid1(VALU_DEP_1)
	v_add_co_u32 v9, s28, s27, v4
	v_add_co_ci_u32_e64 v10, null, s26, 0, s28
	flat_load_b32 v4, v[9:10]
	s_or_b32 exec_lo, exec_lo, s0
	s_delay_alu instid0(SALU_CYCLE_1)
	s_mov_b32 s0, exec_lo
	v_cmpx_gt_u32_e64 s25, v23
	s_cbranch_execnz .LBB272_12
.LBB272_19:
	s_or_b32 exec_lo, exec_lo, s0
	s_delay_alu instid0(SALU_CYCLE_1)
	s_mov_b32 s0, exec_lo
	v_cmpx_gt_u32_e64 s25, v18
	s_cbranch_execz .LBB272_13
.LBB272_20:
	v_lshlrev_b32_e32 v6, 2, v18
	s_delay_alu instid0(VALU_DEP_1) | instskip(NEXT) | instid1(VALU_DEP_1)
	v_add_co_u32 v9, s28, s27, v6
	v_add_co_ci_u32_e64 v10, null, s26, 0, s28
	flat_load_b32 v6, v[9:10]
	s_or_b32 exec_lo, exec_lo, s0
	s_delay_alu instid0(SALU_CYCLE_1)
	s_mov_b32 s0, exec_lo
	v_cmpx_gt_u32_e64 s25, v17
	s_cbranch_execnz .LBB272_14
.LBB272_21:
	s_or_b32 exec_lo, exec_lo, s0
	s_delay_alu instid0(SALU_CYCLE_1)
	s_mov_b32 s0, exec_lo
	v_cmpx_gt_u32_e64 s25, v24
	s_cbranch_execz .LBB272_23
.LBB272_22:
	v_lshlrev_b32_e32 v8, 2, v24
	s_delay_alu instid0(VALU_DEP_1) | instskip(NEXT) | instid1(VALU_DEP_1)
	v_add_co_u32 v8, s28, s27, v8
	v_add_co_ci_u32_e64 v9, null, s26, 0, s28
	flat_load_b32 v8, v[8:9]
.LBB272_23:
	s_or_b32 exec_lo, exec_lo, s0
	v_lshrrev_b32_e32 v9, 3, v25
	v_lshrrev_b32_e32 v10, 3, v22
	;; [unrolled: 1-line block ×4, first 2 shown]
	v_and_b32_e32 v11, 60, v20
	v_lshlrev_b32_e32 v12, 2, v0
	v_lshrrev_b32_e32 v15, 3, v18
	v_lshrrev_b32_e32 v16, 3, v17
	;; [unrolled: 1-line block ×3, first 2 shown]
	v_and_b32_e32 v9, 0x7c, v9
	v_and_b32_e32 v10, 0xfc, v10
	;; [unrolled: 1-line block ×4, first 2 shown]
	v_add_nc_u32_e32 v11, v11, v12
	v_and_b32_e32 v15, 0x1fc, v15
	v_and_b32_e32 v16, 0x1fc, v16
	;; [unrolled: 1-line block ×3, first 2 shown]
	v_add_nc_u32_e32 v9, v9, v12
	v_add_nc_u32_e32 v10, v10, v12
	;; [unrolled: 1-line block ×7, first 2 shown]
	s_waitcnt vmcnt(0) lgkmcnt(0)
	ds_store_b32 v11, v1
	ds_store_b32 v9, v2 offset:1536
	ds_store_b32 v10, v3 offset:3072
	;; [unrolled: 1-line block ×7, first 2 shown]
	s_waitcnt lgkmcnt(0)
	s_barrier
.LBB272_24:
	v_lshlrev_b32_e32 v19, 3, v0
	v_lshrrev_b32_e32 v1, 2, v0
	buffer_gl0_inv
	s_add_u32 s0, s18, s20
	s_addc_u32 s18, s19, s21
	s_add_u32 s0, s0, s4
	v_add_lshl_u32 v1, v1, v19, 2
	s_addc_u32 s4, s18, s5
	s_and_b32 vcc_lo, exec_lo, s23
	s_mov_b32 s5, -1
	ds_load_2addr_b32 v[15:16], v1 offset1:1
	ds_load_2addr_b32 v[13:14], v1 offset0:2 offset1:3
	ds_load_2addr_b32 v[11:12], v1 offset0:4 offset1:5
	ds_load_2addr_b32 v[9:10], v1 offset0:6 offset1:7
	s_waitcnt lgkmcnt(0)
	s_barrier
	buffer_gl0_inv
	s_cbranch_vccz .LBB272_26
; %bb.25:
	v_lshlrev_b32_e32 v8, 2, v0
	v_lshrrev_b32_e32 v29, 3, v25
	v_lshrrev_b32_e32 v30, 3, v22
	;; [unrolled: 1-line block ×4, first 2 shown]
	v_add_co_u32 v2, s5, s0, v8
	s_delay_alu instid0(VALU_DEP_1) | instskip(SKIP_1) | instid1(VALU_DEP_3)
	v_add_co_ci_u32_e64 v3, null, s4, 0, s5
	v_lshrrev_b32_e32 v33, 3, v18
	v_add_co_u32 v4, vcc_lo, 0x1000, v2
	s_delay_alu instid0(VALU_DEP_3)
	v_add_co_ci_u32_e32 v5, vcc_lo, 0, v3, vcc_lo
	v_add_co_u32 v6, vcc_lo, 0x2000, v2
	v_add_co_ci_u32_e32 v7, vcc_lo, 0, v3, vcc_lo
	s_clause 0x7
	flat_load_b32 v26, v[2:3]
	flat_load_b32 v27, v[2:3] offset:1536
	flat_load_b32 v2, v[2:3] offset:3072
	;; [unrolled: 1-line block ×7, first 2 shown]
	v_and_b32_e32 v7, 60, v20
	v_lshrrev_b32_e32 v34, 3, v17
	v_lshrrev_b32_e32 v35, 3, v24
	v_and_b32_e32 v29, 0x7c, v29
	v_and_b32_e32 v30, 0xfc, v30
	;; [unrolled: 1-line block ×4, first 2 shown]
	v_add_nc_u32_e32 v7, v7, v8
	v_and_b32_e32 v33, 0x1fc, v33
	v_and_b32_e32 v34, 0x17c, v34
	;; [unrolled: 1-line block ×3, first 2 shown]
	v_add_nc_u32_e32 v29, v29, v8
	v_add_nc_u32_e32 v30, v30, v8
	;; [unrolled: 1-line block ×4, first 2 shown]
	s_mov_b32 s5, 0
	v_add_nc_u32_e32 v33, v33, v8
	v_add_nc_u32_e32 v34, v34, v8
	;; [unrolled: 1-line block ×3, first 2 shown]
	s_waitcnt vmcnt(7) lgkmcnt(7)
	ds_store_b32 v7, v26
	s_waitcnt vmcnt(6) lgkmcnt(7)
	ds_store_b32 v29, v27 offset:1536
	s_waitcnt vmcnt(5) lgkmcnt(7)
	ds_store_b32 v30, v2 offset:3072
	;; [unrolled: 2-line block ×7, first 2 shown]
	s_waitcnt lgkmcnt(0)
	s_barrier
.LBB272_26:
	s_and_not1_b32 vcc_lo, exec_lo, s5
	s_cbranch_vccnz .LBB272_44
; %bb.27:
	s_mov_b32 s5, exec_lo
                                        ; implicit-def: $vgpr2
	v_cmpx_gt_u32_e64 s25, v0
	s_cbranch_execz .LBB272_29
; %bb.28:
	v_lshlrev_b32_e32 v2, 2, v0
	s_delay_alu instid0(VALU_DEP_1) | instskip(NEXT) | instid1(VALU_DEP_1)
	v_add_co_u32 v2, s18, s0, v2
	v_add_co_ci_u32_e64 v3, null, s4, 0, s18
	flat_load_b32 v2, v[2:3]
.LBB272_29:
	s_or_b32 exec_lo, exec_lo, s5
	s_delay_alu instid0(SALU_CYCLE_1)
	s_mov_b32 s5, exec_lo
                                        ; implicit-def: $vgpr3
	v_cmpx_gt_u32_e64 s25, v25
	s_cbranch_execz .LBB272_31
; %bb.30:
	v_lshlrev_b32_e32 v3, 2, v0
	s_delay_alu instid0(VALU_DEP_1) | instskip(NEXT) | instid1(VALU_DEP_1)
	v_add_co_u32 v3, s18, s0, v3
	v_add_co_ci_u32_e64 v4, null, s4, 0, s18
	flat_load_b32 v3, v[3:4] offset:1536
.LBB272_31:
	s_or_b32 exec_lo, exec_lo, s5
	s_delay_alu instid0(SALU_CYCLE_1)
	s_mov_b32 s5, exec_lo
                                        ; implicit-def: $vgpr4
	v_cmpx_gt_u32_e64 s25, v22
	s_cbranch_execz .LBB272_33
; %bb.32:
	v_lshlrev_b32_e32 v4, 2, v0
	s_delay_alu instid0(VALU_DEP_1) | instskip(NEXT) | instid1(VALU_DEP_1)
	v_add_co_u32 v4, s18, s0, v4
	v_add_co_ci_u32_e64 v5, null, s4, 0, s18
	flat_load_b32 v4, v[4:5] offset:3072
.LBB272_33:
	s_or_b32 exec_lo, exec_lo, s5
	s_delay_alu instid0(SALU_CYCLE_1)
	s_mov_b32 s5, exec_lo
                                        ; implicit-def: $vgpr5
	v_cmpx_gt_u32_e64 s25, v21
	s_cbranch_execz .LBB272_35
; %bb.34:
	v_lshlrev_b32_e32 v5, 2, v21
	s_delay_alu instid0(VALU_DEP_1) | instskip(NEXT) | instid1(VALU_DEP_1)
	v_add_co_u32 v5, s18, s0, v5
	v_add_co_ci_u32_e64 v6, null, s4, 0, s18
	flat_load_b32 v5, v[5:6]
.LBB272_35:
	s_or_b32 exec_lo, exec_lo, s5
	s_delay_alu instid0(SALU_CYCLE_1)
	s_mov_b32 s5, exec_lo
                                        ; implicit-def: $vgpr6
	v_cmpx_gt_u32_e64 s25, v23
	s_cbranch_execz .LBB272_37
; %bb.36:
	v_lshlrev_b32_e32 v6, 2, v23
	s_delay_alu instid0(VALU_DEP_1) | instskip(NEXT) | instid1(VALU_DEP_1)
	v_add_co_u32 v6, s18, s0, v6
	v_add_co_ci_u32_e64 v7, null, s4, 0, s18
	flat_load_b32 v6, v[6:7]
.LBB272_37:
	s_or_b32 exec_lo, exec_lo, s5
	s_delay_alu instid0(SALU_CYCLE_1)
	s_mov_b32 s5, exec_lo
                                        ; implicit-def: $vgpr7
	v_cmpx_gt_u32_e64 s25, v18
	s_cbranch_execz .LBB272_39
; %bb.38:
	v_lshlrev_b32_e32 v7, 2, v18
	s_delay_alu instid0(VALU_DEP_1) | instskip(NEXT) | instid1(VALU_DEP_1)
	v_add_co_u32 v7, s18, s0, v7
	v_add_co_ci_u32_e64 v8, null, s4, 0, s18
	flat_load_b32 v7, v[7:8]
.LBB272_39:
	s_or_b32 exec_lo, exec_lo, s5
	s_delay_alu instid0(SALU_CYCLE_1)
	s_mov_b32 s5, exec_lo
                                        ; implicit-def: $vgpr8
	v_cmpx_gt_u32_e64 s25, v17
	s_cbranch_execz .LBB272_41
; %bb.40:
	v_lshlrev_b32_e32 v8, 2, v17
	s_delay_alu instid0(VALU_DEP_1) | instskip(NEXT) | instid1(VALU_DEP_1)
	v_add_co_u32 v26, s18, s0, v8
	v_add_co_ci_u32_e64 v27, null, s4, 0, s18
	flat_load_b32 v8, v[26:27]
.LBB272_41:
	s_or_b32 exec_lo, exec_lo, s5
	s_delay_alu instid0(SALU_CYCLE_1)
	s_mov_b32 s5, exec_lo
                                        ; implicit-def: $vgpr26
	v_cmpx_gt_u32_e64 s25, v24
	s_cbranch_execz .LBB272_43
; %bb.42:
	v_lshlrev_b32_e32 v26, 2, v24
	s_delay_alu instid0(VALU_DEP_1) | instskip(NEXT) | instid1(VALU_DEP_1)
	v_add_co_u32 v26, s0, s0, v26
	v_add_co_ci_u32_e64 v27, null, s4, 0, s0
	flat_load_b32 v26, v[26:27]
.LBB272_43:
	s_or_b32 exec_lo, exec_lo, s5
	v_lshrrev_b32_e32 v25, 3, v25
	v_lshrrev_b32_e32 v22, 3, v22
	;; [unrolled: 1-line block ×4, first 2 shown]
	v_and_b32_e32 v20, 60, v20
	v_lshlrev_b32_e32 v27, 2, v0
	v_lshrrev_b32_e32 v18, 3, v18
	v_lshrrev_b32_e32 v17, 3, v17
	;; [unrolled: 1-line block ×3, first 2 shown]
	v_and_b32_e32 v25, 0x7c, v25
	v_and_b32_e32 v22, 0xfc, v22
	;; [unrolled: 1-line block ×4, first 2 shown]
	v_add_nc_u32_e32 v20, v20, v27
	v_and_b32_e32 v18, 0x1fc, v18
	v_and_b32_e32 v17, 0x1fc, v17
	;; [unrolled: 1-line block ×3, first 2 shown]
	v_add_nc_u32_e32 v25, v25, v27
	v_add_nc_u32_e32 v22, v22, v27
	;; [unrolled: 1-line block ×7, first 2 shown]
	s_waitcnt vmcnt(0) lgkmcnt(0)
	ds_store_b32 v20, v2
	ds_store_b32 v25, v3 offset:1536
	ds_store_b32 v22, v4 offset:3072
	;; [unrolled: 1-line block ×7, first 2 shown]
	s_waitcnt lgkmcnt(0)
	s_barrier
.LBB272_44:
	buffer_gl0_inv
	ds_load_2addr_b32 v[7:8], v1 offset1:1
	ds_load_2addr_b32 v[5:6], v1 offset0:2 offset1:3
	ds_load_2addr_b32 v[3:4], v1 offset0:4 offset1:5
	;; [unrolled: 1-line block ×3, first 2 shown]
	s_cmp_lg_u32 s24, 0
	s_waitcnt lgkmcnt(0)
	s_cselect_b32 s18, -1, 0
	s_cmp_lg_u64 s[6:7], 0
	s_barrier
	s_cselect_b32 s0, -1, 0
	buffer_gl0_inv
	s_or_b32 s0, s0, s18
	s_delay_alu instid0(SALU_CYCLE_1)
	s_and_b32 vcc_lo, exec_lo, s0
	s_mov_b32 s0, 0
	s_cbranch_vccz .LBB272_49
; %bb.45:
	v_add_co_u32 v17, s0, -4, s27
	s_delay_alu instid0(VALU_DEP_1)
	v_add_co_ci_u32_e64 v18, null, -1, s26, s0
	v_lshlrev_b32_e32 v21, 2, v0
	s_mov_b32 s0, -1
	s_and_b32 vcc_lo, exec_lo, s23
	flat_load_b32 v20, v[17:18]
	ds_store_b32 v21, v10
	s_cbranch_vccz .LBB272_50
; %bb.46:
	s_waitcnt vmcnt(0) lgkmcnt(1)
	v_mov_b32_e32 v17, v20
	s_waitcnt lgkmcnt(0)
	s_barrier
	buffer_gl0_inv
	s_and_saveexec_b32 s0, s3
	s_cbranch_execz .LBB272_48
; %bb.47:
	v_add_nc_u32_e32 v17, -4, v21
	ds_load_b32 v17, v17
.LBB272_48:
	s_or_b32 exec_lo, exec_lo, s0
	v_mul_hi_i32 v18, 0x66666667, v9
	v_mul_hi_i32 v22, 0x66666667, v10
	;; [unrolled: 1-line block ×5, first 2 shown]
	s_waitcnt lgkmcnt(0)
	v_mul_hi_i32 v17, 0x66666667, v17
	v_lshrrev_b32_e32 v26, 31, v18
	v_ashrrev_i32_e32 v18, 2, v18
	v_lshrrev_b32_e32 v27, 31, v22
	v_ashrrev_i32_e32 v22, 2, v22
	;; [unrolled: 2-line block ×3, first 2 shown]
	v_add_nc_u32_e32 v18, v18, v26
	v_lshrrev_b32_e32 v29, 31, v24
	v_add_nc_u32_e32 v22, v22, v27
	v_ashrrev_i32_e32 v24, 2, v24
	v_add_nc_u32_e32 v23, v23, v28
	v_mul_hi_i32 v27, 0x66666667, v13
	v_lshrrev_b32_e32 v26, 31, v25
	v_cmp_ne_u32_e32 vcc_lo, v18, v22
	v_add_nc_u32_e32 v24, v24, v29
	v_ashrrev_i32_e32 v25, 2, v25
	v_mul_hi_i32 v28, 0x66666667, v16
	v_mul_hi_i32 v29, 0x66666667, v15
	v_cndmask_b32_e64 v22, 0, 1, vcc_lo
	v_cmp_ne_u32_e32 vcc_lo, v23, v18
	v_add_nc_u32_e32 v25, v25, v26
	v_lshrrev_b32_e32 v26, 31, v27
	v_ashrrev_i32_e32 v27, 2, v27
	v_lshlrev_b16 v22, 8, v22
	v_cndmask_b32_e64 v18, 0, 1, vcc_lo
	v_cmp_ne_u32_e32 vcc_lo, v24, v23
	v_lshrrev_b32_e32 v30, 31, v28
	v_ashrrev_i32_e32 v28, 2, v28
	v_add_nc_u32_e32 v26, v27, v26
	v_lshrrev_b32_e32 v31, 31, v29
	v_cndmask_b32_e64 v23, 0, 1, vcc_lo
	v_cmp_ne_u32_e32 vcc_lo, v25, v24
	v_ashrrev_i32_e32 v29, 2, v29
	v_add_nc_u32_e32 v27, v28, v30
	v_or_b32_e32 v18, v18, v22
	v_lshlrev_b16 v23, 8, v23
	v_cndmask_b32_e64 v24, 0, 1, vcc_lo
	v_cmp_ne_u32_e32 vcc_lo, v26, v25
	v_add_nc_u32_e32 v28, v29, v31
	v_lshrrev_b32_e32 v29, 31, v17
	v_ashrrev_i32_e32 v17, 2, v17
	v_or_b32_e32 v23, v24, v23
	v_cndmask_b32_e64 v25, 0, 1, vcc_lo
	v_cmp_ne_u32_e32 vcc_lo, v27, v26
	v_lshlrev_b32_e32 v18, 16, v18
	v_add_nc_u32_e32 v17, v17, v29
	v_and_b32_e32 v23, 0xffff, v23
	v_lshlrev_b16 v25, 8, v25
	v_cndmask_b32_e64 v26, 0, 1, vcc_lo
	v_cmp_ne_u32_e32 vcc_lo, v28, v27
	v_cmp_ne_u32_e64 s4, v17, v28
	v_or_b32_e32 v18, v23, v18
	s_delay_alu instid0(VALU_DEP_4) | instskip(SKIP_1) | instid1(VALU_DEP_2)
	v_or_b32_e32 v25, v26, v25
	v_cndmask_b32_e64 v27, 0, 1, vcc_lo
	v_lshlrev_b32_e32 v22, 16, v25
	s_delay_alu instid0(VALU_DEP_2) | instskip(NEXT) | instid1(VALU_DEP_1)
	v_lshlrev_b16 v26, 8, v27
	v_and_b32_e32 v24, 0xffff, v26
	s_delay_alu instid0(VALU_DEP_1)
	v_or_b32_e32 v17, v24, v22
	s_branch .LBB272_70
.LBB272_49:
                                        ; implicit-def: $sgpr4
                                        ; implicit-def: $vgpr18
	s_branch .LBB272_71
.LBB272_50:
                                        ; implicit-def: $sgpr4
                                        ; implicit-def: $vgpr18
	s_and_b32 vcc_lo, exec_lo, s0
	s_cbranch_vccz .LBB272_70
; %bb.51:
	v_or_b32_e32 v17, 7, v19
	s_mov_b32 s0, 0
	s_mov_b32 s4, 0
	s_mov_b32 s5, exec_lo
	s_delay_alu instid0(VALU_DEP_1)
	v_cmpx_gt_u32_e64 s25, v17
; %bb.52:
	v_mul_hi_i32 v17, 0x66666667, v9
	v_mul_hi_i32 v18, 0x66666667, v10
	s_delay_alu instid0(VALU_DEP_2) | instskip(SKIP_1) | instid1(VALU_DEP_3)
	v_lshrrev_b32_e32 v22, 31, v17
	v_ashrrev_i32_e32 v17, 2, v17
	v_lshrrev_b32_e32 v23, 31, v18
	v_ashrrev_i32_e32 v18, 2, v18
	s_delay_alu instid0(VALU_DEP_3) | instskip(NEXT) | instid1(VALU_DEP_2)
	v_add_nc_u32_e32 v17, v17, v22
	v_add_nc_u32_e32 v18, v18, v23
	s_delay_alu instid0(VALU_DEP_1)
	v_cmp_ne_u32_e32 vcc_lo, v17, v18
	s_and_b32 s4, vcc_lo, exec_lo
; %bb.53:
	s_or_b32 exec_lo, exec_lo, s5
	v_or_b32_e32 v17, 6, v19
	s_mov_b32 s5, exec_lo
	s_delay_alu instid0(VALU_DEP_1)
	v_cmpx_gt_u32_e64 s25, v17
; %bb.54:
	v_mul_hi_i32 v17, 0x66666667, v12
	v_mul_hi_i32 v18, 0x66666667, v9
	s_delay_alu instid0(VALU_DEP_2) | instskip(SKIP_1) | instid1(VALU_DEP_3)
	v_lshrrev_b32_e32 v22, 31, v17
	v_ashrrev_i32_e32 v17, 2, v17
	v_lshrrev_b32_e32 v23, 31, v18
	v_ashrrev_i32_e32 v18, 2, v18
	s_delay_alu instid0(VALU_DEP_3) | instskip(NEXT) | instid1(VALU_DEP_2)
	v_add_nc_u32_e32 v17, v17, v22
	v_add_nc_u32_e32 v18, v18, v23
	s_delay_alu instid0(VALU_DEP_1)
	v_cmp_ne_u32_e32 vcc_lo, v17, v18
	s_and_b32 s0, vcc_lo, exec_lo
; %bb.55:
	s_or_b32 exec_lo, exec_lo, s5
	v_or_b32_e32 v17, 5, v19
	s_mov_b32 s6, 0
	s_mov_b32 s5, 0
	s_mov_b32 s7, exec_lo
	s_delay_alu instid0(VALU_DEP_1)
	v_cmpx_gt_u32_e64 s25, v17
; %bb.56:
	v_mul_hi_i32 v17, 0x66666667, v11
	v_mul_hi_i32 v18, 0x66666667, v12
	s_delay_alu instid0(VALU_DEP_2) | instskip(SKIP_1) | instid1(VALU_DEP_3)
	v_lshrrev_b32_e32 v22, 31, v17
	v_ashrrev_i32_e32 v17, 2, v17
	v_lshrrev_b32_e32 v23, 31, v18
	v_ashrrev_i32_e32 v18, 2, v18
	s_delay_alu instid0(VALU_DEP_3) | instskip(NEXT) | instid1(VALU_DEP_2)
	v_add_nc_u32_e32 v17, v17, v22
	v_add_nc_u32_e32 v18, v18, v23
	s_delay_alu instid0(VALU_DEP_1)
	v_cmp_ne_u32_e32 vcc_lo, v17, v18
	s_and_b32 s5, vcc_lo, exec_lo
; %bb.57:
	s_or_b32 exec_lo, exec_lo, s7
	v_or_b32_e32 v17, 4, v19
	s_mov_b32 s7, exec_lo
	s_delay_alu instid0(VALU_DEP_1)
	v_cmpx_gt_u32_e64 s25, v17
; %bb.58:
	v_mul_hi_i32 v17, 0x66666667, v14
	v_mul_hi_i32 v18, 0x66666667, v11
	s_delay_alu instid0(VALU_DEP_2) | instskip(SKIP_1) | instid1(VALU_DEP_3)
	v_lshrrev_b32_e32 v22, 31, v17
	v_ashrrev_i32_e32 v17, 2, v17
	v_lshrrev_b32_e32 v23, 31, v18
	v_ashrrev_i32_e32 v18, 2, v18
	s_delay_alu instid0(VALU_DEP_3) | instskip(NEXT) | instid1(VALU_DEP_2)
	v_add_nc_u32_e32 v17, v17, v22
	v_add_nc_u32_e32 v18, v18, v23
	s_delay_alu instid0(VALU_DEP_1)
	v_cmp_ne_u32_e32 vcc_lo, v17, v18
	s_and_b32 s6, vcc_lo, exec_lo
; %bb.59:
	s_or_b32 exec_lo, exec_lo, s7
	;; [unrolled: 42-line block ×3, first 2 shown]
	v_or_b32_e32 v17, 1, v19
	s_mov_b32 s20, 0
	s_mov_b32 s21, exec_lo
	s_delay_alu instid0(VALU_DEP_1)
	v_cmpx_gt_u32_e64 s25, v17
; %bb.64:
	v_mul_hi_i32 v17, 0x66666667, v15
	v_mul_hi_i32 v18, 0x66666667, v16
	s_delay_alu instid0(VALU_DEP_2) | instskip(SKIP_1) | instid1(VALU_DEP_3)
	v_lshrrev_b32_e32 v22, 31, v17
	v_ashrrev_i32_e32 v17, 2, v17
	v_lshrrev_b32_e32 v23, 31, v18
	v_ashrrev_i32_e32 v18, 2, v18
	s_delay_alu instid0(VALU_DEP_3) | instskip(NEXT) | instid1(VALU_DEP_2)
	v_add_nc_u32_e32 v17, v17, v22
	v_add_nc_u32_e32 v18, v18, v23
	s_delay_alu instid0(VALU_DEP_1)
	v_cmp_ne_u32_e32 vcc_lo, v17, v18
	s_and_b32 s20, vcc_lo, exec_lo
; %bb.65:
	s_or_b32 exec_lo, exec_lo, s21
	s_waitcnt vmcnt(0) lgkmcnt(0)
	s_barrier
	buffer_gl0_inv
	s_and_saveexec_b32 s21, s3
	s_cbranch_execz .LBB272_67
; %bb.66:
	v_add_nc_u32_e32 v17, -4, v21
	ds_load_b32 v20, v17
.LBB272_67:
	s_or_b32 exec_lo, exec_lo, s21
	v_cndmask_b32_e64 v18, 0, 1, s7
	v_cndmask_b32_e64 v22, 0, 1, s5
	;; [unrolled: 1-line block ×7, first 2 shown]
	v_lshlrev_b16 v18, 8, v18
	v_lshlrev_b16 v22, 8, v22
	;; [unrolled: 1-line block ×3, first 2 shown]
	s_mov_b32 s4, 0
	v_lshlrev_b16 v25, 8, v25
	v_or_b32_e32 v18, v17, v18
	v_or_b32_e32 v21, v21, v22
	;; [unrolled: 1-line block ×3, first 2 shown]
	s_mov_b32 s0, exec_lo
	v_and_b32_e32 v17, 0xffff, v25
	v_lshlrev_b32_e32 v18, 16, v18
	v_and_b32_e32 v21, 0xffff, v21
	v_lshlrev_b32_e32 v22, 16, v22
	v_cmpx_gt_u32_e64 s25, v19
	s_cbranch_execz .LBB272_69
; %bb.68:
	s_waitcnt lgkmcnt(0)
	v_mul_hi_i32 v20, 0x66666667, v20
	v_mul_hi_i32 v23, 0x66666667, v15
	s_delay_alu instid0(VALU_DEP_2) | instskip(SKIP_1) | instid1(VALU_DEP_3)
	v_lshrrev_b32_e32 v24, 31, v20
	v_ashrrev_i32_e32 v20, 2, v20
	v_lshrrev_b32_e32 v25, 31, v23
	v_ashrrev_i32_e32 v23, 2, v23
	s_delay_alu instid0(VALU_DEP_3) | instskip(NEXT) | instid1(VALU_DEP_2)
	v_add_nc_u32_e32 v20, v20, v24
	v_add_nc_u32_e32 v23, v23, v25
	s_delay_alu instid0(VALU_DEP_1)
	v_cmp_ne_u32_e32 vcc_lo, v20, v23
	s_and_b32 s4, vcc_lo, exec_lo
.LBB272_69:
	s_or_b32 exec_lo, exec_lo, s0
	v_or_b32_e32 v17, v17, v18
	v_or_b32_e32 v18, v21, v22
.LBB272_70:
	s_mov_b32 s0, -1
	s_cbranch_execnz .LBB272_95
.LBB272_71:
	v_mul_hi_i32 v26, 0x66666667, v9
	v_mul_hi_i32 v25, 0x66666667, v12
	;; [unrolled: 1-line block ×6, first 2 shown]
	s_waitcnt vmcnt(0) lgkmcnt(0)
	v_lshlrev_b32_e32 v20, 2, v0
	s_and_b32 vcc_lo, exec_lo, s23
	ds_store_b32 v20, v10
	s_cbranch_vccz .LBB272_75
; %bb.72:
	v_mul_hi_i32 v17, 0x66666667, v10
	v_lshrrev_b32_e32 v18, 31, v26
	v_ashrrev_i32_e32 v27, 2, v26
	v_lshrrev_b32_e32 v28, 31, v25
	v_ashrrev_i32_e32 v29, 2, v25
	;; [unrolled: 2-line block ×3, first 2 shown]
	v_add_nc_u32_e32 v18, v27, v18
	v_lshrrev_b32_e32 v31, 31, v17
	v_ashrrev_i32_e32 v17, 2, v17
	v_add_nc_u32_e32 v27, v29, v28
	v_lshrrev_b32_e32 v28, 31, v23
	v_ashrrev_i32_e32 v29, 2, v23
	v_ashrrev_i32_e32 v34, 2, v21
	v_add_nc_u32_e32 v17, v17, v31
	v_cmp_ne_u32_e32 vcc_lo, v27, v18
	v_mul_hi_i32 v31, 0x66666667, v15
	v_add_nc_u32_e32 v28, v29, v28
	v_lshrrev_b32_e32 v29, 31, v22
	s_waitcnt lgkmcnt(0)
	v_cndmask_b32_e64 v33, 0, 1, vcc_lo
	v_cmp_ne_u32_e32 vcc_lo, v18, v17
	v_add_nc_u32_e32 v18, v32, v30
	v_ashrrev_i32_e32 v30, 2, v22
	v_lshrrev_b32_e32 v32, 31, v21
	v_lshrrev_b32_e32 v35, 31, v31
	v_cndmask_b32_e64 v17, 0, 1, vcc_lo
	v_cmp_ne_u32_e32 vcc_lo, v18, v27
	v_ashrrev_i32_e32 v31, 2, v31
	v_add_nc_u32_e32 v29, v30, v29
	v_add_nc_u32_e32 v30, v34, v32
	v_lshlrev_b16 v17, 8, v17
	v_cndmask_b32_e64 v36, 0, 1, vcc_lo
	v_cmp_ne_u32_e32 vcc_lo, v28, v18
	v_add_nc_u32_e32 v27, v31, v35
	s_barrier
	v_or_b32_e32 v17, v33, v17
	buffer_gl0_inv
	v_cndmask_b32_e64 v18, 0, 1, vcc_lo
	v_cmp_ne_u32_e32 vcc_lo, v29, v28
                                        ; implicit-def: $sgpr4
	v_lshlrev_b32_e32 v17, 16, v17
	v_cndmask_b32_e64 v28, 0, 1, vcc_lo
	v_cmp_ne_u32_e32 vcc_lo, v27, v30
	s_delay_alu instid0(VALU_DEP_2) | instskip(SKIP_3) | instid1(VALU_DEP_3)
	v_lshlrev_b16 v28, 8, v28
	v_cndmask_b32_e64 v31, 0, 1, vcc_lo
	v_cmp_ne_u32_e32 vcc_lo, v30, v29
	v_lshlrev_b16 v30, 8, v36
	v_lshlrev_b16 v31, 8, v31
	v_cndmask_b32_e64 v29, 0, 1, vcc_lo
	s_delay_alu instid0(VALU_DEP_3) | instskip(NEXT) | instid1(VALU_DEP_2)
	v_or_b32_e32 v18, v18, v30
	v_or_b32_e32 v28, v29, v28
	s_delay_alu instid0(VALU_DEP_4) | instskip(NEXT) | instid1(VALU_DEP_3)
	v_or_b32_e32 v29, 1, v31
	v_and_b32_e32 v18, 0xffff, v18
	s_delay_alu instid0(VALU_DEP_3) | instskip(NEXT) | instid1(VALU_DEP_3)
	v_lshlrev_b32_e32 v28, 16, v28
	v_and_b32_e32 v29, 0xffff, v29
	s_delay_alu instid0(VALU_DEP_3) | instskip(NEXT) | instid1(VALU_DEP_2)
	v_or_b32_e32 v18, v18, v17
	v_or_b32_e32 v17, v29, v28
	s_and_saveexec_b32 s5, s3
	s_delay_alu instid0(SALU_CYCLE_1)
	s_xor_b32 s5, exec_lo, s5
	s_cbranch_execz .LBB272_74
; %bb.73:
	v_add_nc_u32_e32 v28, -4, v20
	s_or_b32 s0, s0, exec_lo
	ds_load_b32 v28, v28
	s_waitcnt lgkmcnt(0)
	v_mul_hi_i32 v28, 0x66666667, v28
	s_delay_alu instid0(VALU_DEP_1) | instskip(SKIP_1) | instid1(VALU_DEP_1)
	v_lshrrev_b32_e32 v29, 31, v28
	v_ashrrev_i32_e32 v28, 2, v28
	v_add_nc_u32_e32 v28, v28, v29
	s_delay_alu instid0(VALU_DEP_1)
	v_cmp_ne_u32_e32 vcc_lo, v28, v27
	s_and_b32 s4, vcc_lo, exec_lo
.LBB272_74:
	s_or_b32 exec_lo, exec_lo, s5
	s_branch .LBB272_95
.LBB272_75:
                                        ; implicit-def: $sgpr4
                                        ; implicit-def: $vgpr18
	s_cbranch_execz .LBB272_95
; %bb.76:
	v_or_b32_e32 v17, 7, v19
	s_mov_b32 s4, 0
	s_mov_b32 s5, 0
	s_mov_b32 s6, exec_lo
	s_delay_alu instid0(VALU_DEP_1)
	v_cmpx_gt_u32_e64 s25, v17
; %bb.77:
	v_mul_hi_i32 v17, 0x66666667, v10
	v_lshrrev_b32_e32 v18, 31, v26
	v_ashrrev_i32_e32 v27, 2, v26
	s_delay_alu instid0(VALU_DEP_1) | instskip(NEXT) | instid1(VALU_DEP_4)
	v_add_nc_u32_e32 v18, v27, v18
	v_lshrrev_b32_e32 v28, 31, v17
	v_ashrrev_i32_e32 v17, 2, v17
	s_delay_alu instid0(VALU_DEP_1) | instskip(NEXT) | instid1(VALU_DEP_1)
	v_add_nc_u32_e32 v17, v17, v28
	v_cmp_ne_u32_e32 vcc_lo, v18, v17
	s_and_b32 s5, vcc_lo, exec_lo
; %bb.78:
	s_or_b32 exec_lo, exec_lo, s6
	v_or_b32_e32 v17, 6, v19
	s_mov_b32 s6, exec_lo
	s_delay_alu instid0(VALU_DEP_1)
	v_cmpx_gt_u32_e64 s25, v17
; %bb.79:
	v_lshrrev_b32_e32 v17, 31, v25
	v_ashrrev_i32_e32 v18, 2, v25
	v_lshrrev_b32_e32 v27, 31, v26
	v_ashrrev_i32_e32 v26, 2, v26
	s_delay_alu instid0(VALU_DEP_3) | instskip(NEXT) | instid1(VALU_DEP_2)
	v_add_nc_u32_e32 v17, v18, v17
	v_add_nc_u32_e32 v18, v26, v27
	s_delay_alu instid0(VALU_DEP_1)
	v_cmp_ne_u32_e32 vcc_lo, v17, v18
	s_and_b32 s4, vcc_lo, exec_lo
; %bb.80:
	s_or_b32 exec_lo, exec_lo, s6
	v_or_b32_e32 v17, 5, v19
	s_mov_b32 s6, 0
	s_mov_b32 s7, 0
	s_mov_b32 s19, exec_lo
	s_delay_alu instid0(VALU_DEP_1)
	v_cmpx_gt_u32_e64 s25, v17
; %bb.81:
	v_lshrrev_b32_e32 v17, 31, v24
	v_ashrrev_i32_e32 v18, 2, v24
	v_lshrrev_b32_e32 v26, 31, v25
	v_ashrrev_i32_e32 v25, 2, v25
	s_delay_alu instid0(VALU_DEP_3) | instskip(NEXT) | instid1(VALU_DEP_2)
	v_add_nc_u32_e32 v17, v18, v17
	v_add_nc_u32_e32 v18, v25, v26
	s_delay_alu instid0(VALU_DEP_1)
	v_cmp_ne_u32_e32 vcc_lo, v17, v18
	s_and_b32 s7, vcc_lo, exec_lo
; %bb.82:
	s_or_b32 exec_lo, exec_lo, s19
	v_or_b32_e32 v17, 4, v19
	s_mov_b32 s19, exec_lo
	s_delay_alu instid0(VALU_DEP_1)
	v_cmpx_gt_u32_e64 s25, v17
; %bb.83:
	v_lshrrev_b32_e32 v17, 31, v23
	v_ashrrev_i32_e32 v18, 2, v23
	v_lshrrev_b32_e32 v25, 31, v24
	v_ashrrev_i32_e32 v24, 2, v24
	s_delay_alu instid0(VALU_DEP_3) | instskip(NEXT) | instid1(VALU_DEP_2)
	v_add_nc_u32_e32 v17, v18, v17
	v_add_nc_u32_e32 v18, v24, v25
	s_delay_alu instid0(VALU_DEP_1)
	v_cmp_ne_u32_e32 vcc_lo, v17, v18
	s_and_b32 s6, vcc_lo, exec_lo
; %bb.84:
	s_or_b32 exec_lo, exec_lo, s19
	v_or_b32_e32 v17, 3, v19
	s_mov_b32 s20, 0
	s_mov_b32 s19, 0
	s_mov_b32 s21, exec_lo
	s_delay_alu instid0(VALU_DEP_1)
	v_cmpx_gt_u32_e64 s25, v17
; %bb.85:
	v_lshrrev_b32_e32 v17, 31, v22
	v_ashrrev_i32_e32 v18, 2, v22
	v_lshrrev_b32_e32 v24, 31, v23
	v_ashrrev_i32_e32 v23, 2, v23
	s_delay_alu instid0(VALU_DEP_3) | instskip(NEXT) | instid1(VALU_DEP_2)
	v_add_nc_u32_e32 v17, v18, v17
	v_add_nc_u32_e32 v18, v23, v24
	s_delay_alu instid0(VALU_DEP_1)
	v_cmp_ne_u32_e32 vcc_lo, v17, v18
	s_and_b32 s19, vcc_lo, exec_lo
; %bb.86:
	s_or_b32 exec_lo, exec_lo, s21
	v_or_b32_e32 v17, 2, v19
	s_mov_b32 s21, exec_lo
	s_delay_alu instid0(VALU_DEP_1)
	v_cmpx_gt_u32_e64 s25, v17
; %bb.87:
	v_lshrrev_b32_e32 v17, 31, v21
	v_ashrrev_i32_e32 v18, 2, v21
	v_lshrrev_b32_e32 v23, 31, v22
	v_ashrrev_i32_e32 v22, 2, v22
	s_delay_alu instid0(VALU_DEP_3) | instskip(NEXT) | instid1(VALU_DEP_2)
	v_add_nc_u32_e32 v17, v18, v17
	v_add_nc_u32_e32 v18, v22, v23
	s_delay_alu instid0(VALU_DEP_1)
	v_cmp_ne_u32_e32 vcc_lo, v17, v18
	s_and_b32 s20, vcc_lo, exec_lo
; %bb.88:
	s_or_b32 exec_lo, exec_lo, s21
	v_or_b32_e32 v17, 1, v19
	s_mov_b32 s26, 0
	s_mov_b32 s21, exec_lo
	s_delay_alu instid0(VALU_DEP_1)
	v_cmpx_gt_u32_e64 s25, v17
; %bb.89:
	v_mul_hi_i32 v17, 0x66666667, v15
	v_lshrrev_b32_e32 v18, 31, v21
	v_ashrrev_i32_e32 v21, 2, v21
	s_delay_alu instid0(VALU_DEP_1) | instskip(NEXT) | instid1(VALU_DEP_4)
	v_add_nc_u32_e32 v18, v21, v18
	v_lshrrev_b32_e32 v22, 31, v17
	v_ashrrev_i32_e32 v17, 2, v17
	s_delay_alu instid0(VALU_DEP_1) | instskip(NEXT) | instid1(VALU_DEP_1)
	v_add_nc_u32_e32 v17, v17, v22
	v_cmp_ne_u32_e32 vcc_lo, v17, v18
	s_and_b32 s26, vcc_lo, exec_lo
; %bb.90:
	s_or_b32 exec_lo, exec_lo, s21
	v_cndmask_b32_e64 v18, 0, 1, s19
	v_cndmask_b32_e64 v21, 0, 1, s7
	;; [unrolled: 1-line block ×7, first 2 shown]
	v_lshlrev_b16 v21, 8, v21
	v_lshlrev_b16 v22, 8, v22
	;; [unrolled: 1-line block ×4, first 2 shown]
	s_waitcnt lgkmcnt(0)
	v_or_b32_e32 v21, v24, v21
	v_or_b32_e32 v22, v25, v22
	;; [unrolled: 1-line block ×4, first 2 shown]
	s_barrier
	v_and_b32_e32 v18, 0xffff, v21
	v_lshlrev_b32_e32 v21, 16, v22
	v_and_b32_e32 v22, 0xffff, v23
	v_lshlrev_b32_e32 v17, 16, v17
	buffer_gl0_inv
                                        ; implicit-def: $sgpr4
	v_or_b32_e32 v18, v18, v21
	v_or_b32_e32 v17, v22, v17
	s_and_saveexec_b32 s5, s3
	s_cbranch_execz .LBB272_94
; %bb.91:
	s_mov_b32 s4, 0
	s_mov_b32 s3, exec_lo
	v_cmpx_gt_u32_e64 s25, v19
	s_cbranch_execz .LBB272_93
; %bb.92:
	v_add_nc_u32_e32 v20, -4, v20
	v_mul_hi_i32 v21, 0x66666667, v15
	ds_load_b32 v20, v20
	v_lshrrev_b32_e32 v22, 31, v21
	v_ashrrev_i32_e32 v21, 2, v21
	s_delay_alu instid0(VALU_DEP_1) | instskip(SKIP_2) | instid1(VALU_DEP_1)
	v_add_nc_u32_e32 v21, v21, v22
	s_waitcnt lgkmcnt(0)
	v_mul_hi_i32 v20, 0x66666667, v20
	v_lshrrev_b32_e32 v23, 31, v20
	v_ashrrev_i32_e32 v20, 2, v20
	s_delay_alu instid0(VALU_DEP_1) | instskip(NEXT) | instid1(VALU_DEP_1)
	v_add_nc_u32_e32 v20, v20, v23
	v_cmp_ne_u32_e32 vcc_lo, v20, v21
	s_and_b32 s4, vcc_lo, exec_lo
.LBB272_93:
	s_or_b32 exec_lo, exec_lo, s3
	s_delay_alu instid0(SALU_CYCLE_1)
	s_and_b32 s4, s4, exec_lo
	s_or_b32 s0, s0, exec_lo
.LBB272_94:
	s_or_b32 exec_lo, exec_lo, s5
.LBB272_95:
	s_and_saveexec_b32 s3, s0
	s_cbranch_execz .LBB272_97
; %bb.96:
	s_waitcnt vmcnt(0) lgkmcnt(0)
	v_and_b32_e32 v20, 0xffffff00, v17
	v_cndmask_b32_e64 v21, 0, 1, s4
	s_delay_alu instid0(VALU_DEP_1) | instskip(NEXT) | instid1(VALU_DEP_1)
	v_or_b32_e32 v20, v21, v20
	v_and_b32_e32 v20, 0xffff, v20
	s_delay_alu instid0(VALU_DEP_1)
	v_and_or_b32 v17, 0xffff0000, v17, v20
.LBB272_97:
	s_or_b32 exec_lo, exec_lo, s3
	s_delay_alu instid0(SALU_CYCLE_1)
	s_and_not1_b32 vcc_lo, exec_lo, s1
	s_cbranch_vccnz .LBB272_99
; %bb.98:
	v_cmp_gt_u32_e32 vcc_lo, s25, v19
	v_or_b32_e32 v21, 1, v19
	v_and_b32_e32 v22, 0xffffff00, v18
	v_or_b32_e32 v23, 2, v19
	s_waitcnt vmcnt(0) lgkmcnt(0)
	v_cndmask_b32_e32 v20, 0, v17, vcc_lo
	v_cmp_gt_u32_e32 vcc_lo, s25, v21
	v_or_b32_e32 v21, 4, v19
	v_cmp_gt_u32_e64 s0, s25, v23
	v_or_b32_e32 v23, 3, v19
	v_and_b32_e32 v20, 0xff, v20
	s_delay_alu instid0(VALU_DEP_2) | instskip(NEXT) | instid1(VALU_DEP_2)
	v_cmp_gt_u32_e64 s1, s25, v23
	v_cndmask_b32_e32 v20, v20, v17, vcc_lo
	v_cmp_gt_u32_e32 vcc_lo, s25, v21
	s_delay_alu instid0(VALU_DEP_2) | instskip(SKIP_1) | instid1(VALU_DEP_2)
	v_dual_cndmask_b32 v21, v22, v18 :: v_dual_and_b32 v20, 0xffff, v20
	v_or_b32_e32 v22, 5, v19
	v_cndmask_b32_e64 v20, v20, v17, s0
	s_delay_alu instid0(VALU_DEP_3) | instskip(NEXT) | instid1(VALU_DEP_3)
	v_and_b32_e32 v21, 0xffff00ff, v21
	v_cmp_gt_u32_e64 s0, s25, v22
	v_or_b32_e32 v22, 6, v19
	v_or_b32_e32 v19, 7, v19
	v_and_b32_e32 v20, 0xffffff, v20
	s_delay_alu instid0(VALU_DEP_4) | instskip(NEXT) | instid1(VALU_DEP_2)
	v_cndmask_b32_e64 v21, v21, v18, s0
	v_cndmask_b32_e64 v20, v20, v17, s1
	s_delay_alu instid0(VALU_DEP_2) | instskip(NEXT) | instid1(VALU_DEP_2)
	v_and_b32_e32 v21, 0xff00ffff, v21
	v_cndmask_b32_e32 v20, v20, v17, vcc_lo
	v_cmp_gt_u32_e32 vcc_lo, s25, v22
	s_delay_alu instid0(VALU_DEP_2) | instskip(NEXT) | instid1(VALU_DEP_1)
	v_cndmask_b32_e64 v20, v20, v17, s0
	v_dual_cndmask_b32 v21, v21, v18 :: v_dual_cndmask_b32 v20, v20, v17
	s_delay_alu instid0(VALU_DEP_1) | instskip(SKIP_1) | instid1(VALU_DEP_2)
	v_and_b32_e32 v21, 0xffffff, v21
	v_cmp_gt_u32_e32 vcc_lo, s25, v19
	v_dual_cndmask_b32 v18, v21, v18 :: v_dual_cndmask_b32 v17, v20, v17
.LBB272_99:
	s_delay_alu instid0(VALU_DEP_1) | instskip(NEXT) | instid1(VALU_DEP_2)
	v_and_b32_e32 v28, 0xff, v17
	v_alignbit_b32 v19, v18, v17, 24
	v_bfe_u32 v30, v17, 8, 8
	v_bfe_u32 v32, v17, 16, 8
	v_and_b32_e32 v36, 0xff, v18
	v_bfe_u32 v38, v18, 8, 8
	v_and_b32_e32 v34, 0xff, v19
	v_add_nc_u32_e32 v19, v30, v28
	s_waitcnt vmcnt(0) lgkmcnt(0)
	v_and_b32_e32 v20, 0x1e0, v0
	v_mbcnt_lo_u32_b32 v41, -1, 0
	v_bfe_u32 v40, v18, 16, 8
	v_lshrrev_b32_e32 v39, 24, v18
	v_add3_u32 v19, v19, v32, v34
	v_min_u32_e32 v20, 0x160, v20
	v_and_b32_e32 v21, 15, v41
	v_lshrrev_b32_e32 v42, 5, v0
	s_and_b32 vcc_lo, exec_lo, s18
	v_add3_u32 v19, v19, v36, v38
	v_or_b32_e32 v20, 31, v20
	v_cmp_eq_u32_e64 s3, 0, v21
	v_cmp_lt_u32_e64 s4, 1, v21
	v_cmp_lt_u32_e64 s1, 3, v21
	v_add3_u32 v43, v19, v40, v39
	v_and_b32_e32 v19, 16, v41
	v_cmp_lt_u32_e64 s0, 7, v21
	v_cmp_eq_u32_e64 s5, v20, v0
	s_mov_b32 s7, -1
	s_delay_alu instid0(VALU_DEP_3)
	v_cmp_eq_u32_e64 s6, 0, v19
	s_barrier
	buffer_gl0_inv
	s_cbranch_vccz .LBB272_125
; %bb.100:
	v_mov_b32_dpp v19, v43 row_shr:1 row_mask:0xf bank_mask:0xf
	s_delay_alu instid0(VALU_DEP_1) | instskip(NEXT) | instid1(VALU_DEP_1)
	v_cndmask_b32_e64 v19, v19, 0, s3
	v_add_nc_u32_e32 v19, v19, v43
	s_delay_alu instid0(VALU_DEP_1) | instskip(NEXT) | instid1(VALU_DEP_1)
	v_mov_b32_dpp v20, v19 row_shr:2 row_mask:0xf bank_mask:0xf
	v_cndmask_b32_e64 v20, 0, v20, s4
	s_delay_alu instid0(VALU_DEP_1) | instskip(NEXT) | instid1(VALU_DEP_1)
	v_add_nc_u32_e32 v19, v19, v20
	v_mov_b32_dpp v20, v19 row_shr:4 row_mask:0xf bank_mask:0xf
	s_delay_alu instid0(VALU_DEP_1) | instskip(NEXT) | instid1(VALU_DEP_1)
	v_cndmask_b32_e64 v20, 0, v20, s1
	v_add_nc_u32_e32 v19, v19, v20
	s_delay_alu instid0(VALU_DEP_1) | instskip(NEXT) | instid1(VALU_DEP_1)
	v_mov_b32_dpp v20, v19 row_shr:8 row_mask:0xf bank_mask:0xf
	v_cndmask_b32_e64 v20, 0, v20, s0
	s_delay_alu instid0(VALU_DEP_1) | instskip(SKIP_3) | instid1(VALU_DEP_1)
	v_add_nc_u32_e32 v19, v19, v20
	ds_swizzle_b32 v20, v19 offset:swizzle(BROADCAST,32,15)
	s_waitcnt lgkmcnt(0)
	v_cndmask_b32_e64 v20, v20, 0, s6
	v_add_nc_u32_e32 v19, v19, v20
	s_and_saveexec_b32 s7, s5
	s_cbranch_execz .LBB272_102
; %bb.101:
	v_lshlrev_b32_e32 v20, 2, v42
	ds_store_b32 v20, v19
.LBB272_102:
	s_or_b32 exec_lo, exec_lo, s7
	s_delay_alu instid0(SALU_CYCLE_1)
	s_mov_b32 s7, exec_lo
	s_waitcnt lgkmcnt(0)
	s_barrier
	buffer_gl0_inv
	v_cmpx_gt_u32_e32 12, v0
	s_cbranch_execz .LBB272_104
; %bb.103:
	v_lshlrev_b32_e32 v20, 2, v0
	ds_load_b32 v21, v20
	s_waitcnt lgkmcnt(0)
	v_mov_b32_dpp v22, v21 row_shr:1 row_mask:0xf bank_mask:0xf
	s_delay_alu instid0(VALU_DEP_1) | instskip(NEXT) | instid1(VALU_DEP_1)
	v_cndmask_b32_e64 v22, v22, 0, s3
	v_add_nc_u32_e32 v21, v22, v21
	s_delay_alu instid0(VALU_DEP_1) | instskip(NEXT) | instid1(VALU_DEP_1)
	v_mov_b32_dpp v22, v21 row_shr:2 row_mask:0xf bank_mask:0xf
	v_cndmask_b32_e64 v22, 0, v22, s4
	s_delay_alu instid0(VALU_DEP_1) | instskip(NEXT) | instid1(VALU_DEP_1)
	v_add_nc_u32_e32 v21, v21, v22
	v_mov_b32_dpp v22, v21 row_shr:4 row_mask:0xf bank_mask:0xf
	s_delay_alu instid0(VALU_DEP_1) | instskip(NEXT) | instid1(VALU_DEP_1)
	v_cndmask_b32_e64 v22, 0, v22, s1
	v_add_nc_u32_e32 v21, v21, v22
	s_delay_alu instid0(VALU_DEP_1) | instskip(NEXT) | instid1(VALU_DEP_1)
	v_mov_b32_dpp v22, v21 row_shr:8 row_mask:0xf bank_mask:0xf
	v_cndmask_b32_e64 v22, 0, v22, s0
	s_delay_alu instid0(VALU_DEP_1)
	v_add_nc_u32_e32 v21, v21, v22
	ds_store_b32 v20, v21
.LBB272_104:
	s_or_b32 exec_lo, exec_lo, s7
	v_cmp_gt_u32_e32 vcc_lo, 32, v0
	s_mov_b32 s18, exec_lo
	s_waitcnt lgkmcnt(0)
	s_barrier
	buffer_gl0_inv
                                        ; implicit-def: $vgpr27
	v_cmpx_lt_u32_e32 31, v0
	s_cbranch_execz .LBB272_106
; %bb.105:
	v_lshl_add_u32 v20, v42, 2, -4
	ds_load_b32 v27, v20
	s_waitcnt lgkmcnt(0)
	v_add_nc_u32_e32 v19, v27, v19
.LBB272_106:
	s_or_b32 exec_lo, exec_lo, s18
	v_add_nc_u32_e32 v20, -1, v41
	s_delay_alu instid0(VALU_DEP_1) | instskip(NEXT) | instid1(VALU_DEP_1)
	v_cmp_gt_i32_e64 s7, 0, v20
	v_cndmask_b32_e64 v20, v20, v41, s7
	v_cmp_eq_u32_e64 s7, 0, v41
	s_delay_alu instid0(VALU_DEP_2)
	v_lshlrev_b32_e32 v20, 2, v20
	ds_bpermute_b32 v29, v20, v19
	s_and_saveexec_b32 s18, vcc_lo
	s_cbranch_execz .LBB272_124
; %bb.107:
	v_mov_b32_e32 v23, 0
	ds_load_b32 v19, v23 offset:44
	s_and_saveexec_b32 s19, s7
	s_cbranch_execz .LBB272_109
; %bb.108:
	s_add_i32 s20, s24, 32
	s_mov_b32 s21, 0
	v_mov_b32_e32 v20, 1
	s_lshl_b64 s[20:21], s[20:21], 3
	s_delay_alu instid0(SALU_CYCLE_1)
	s_add_u32 s20, s16, s20
	s_addc_u32 s21, s17, s21
	s_waitcnt lgkmcnt(0)
	global_store_b64 v23, v[19:20], s[20:21]
.LBB272_109:
	s_or_b32 exec_lo, exec_lo, s19
	v_xad_u32 v21, v41, -1, s24
	s_mov_b32 s20, 0
	s_mov_b32 s19, exec_lo
	s_delay_alu instid0(VALU_DEP_1) | instskip(NEXT) | instid1(VALU_DEP_1)
	v_add_nc_u32_e32 v22, 32, v21
	v_lshlrev_b64 v[22:23], 3, v[22:23]
	s_delay_alu instid0(VALU_DEP_1) | instskip(NEXT) | instid1(VALU_DEP_2)
	v_add_co_u32 v25, vcc_lo, s16, v22
	v_add_co_ci_u32_e32 v26, vcc_lo, s17, v23, vcc_lo
	global_load_b64 v[23:24], v[25:26], off glc
	s_waitcnt vmcnt(0)
	v_and_b32_e32 v20, 0xff, v24
	s_delay_alu instid0(VALU_DEP_1)
	v_cmpx_eq_u16_e32 0, v20
	s_cbranch_execz .LBB272_112
.LBB272_110:                            ; =>This Inner Loop Header: Depth=1
	global_load_b64 v[23:24], v[25:26], off glc
	s_waitcnt vmcnt(0)
	v_and_b32_e32 v20, 0xff, v24
	s_delay_alu instid0(VALU_DEP_1) | instskip(SKIP_1) | instid1(SALU_CYCLE_1)
	v_cmp_ne_u16_e32 vcc_lo, 0, v20
	s_or_b32 s20, vcc_lo, s20
	s_and_not1_b32 exec_lo, exec_lo, s20
	s_cbranch_execnz .LBB272_110
; %bb.111:
	s_or_b32 exec_lo, exec_lo, s20
.LBB272_112:
	s_delay_alu instid0(SALU_CYCLE_1)
	s_or_b32 exec_lo, exec_lo, s19
	v_cmp_ne_u32_e32 vcc_lo, 31, v41
	v_lshlrev_b32_e64 v33, v41, -1
	v_add_nc_u32_e32 v37, 2, v41
	v_add_nc_u32_e32 v45, 4, v41
	;; [unrolled: 1-line block ×3, first 2 shown]
	v_add_co_ci_u32_e32 v20, vcc_lo, 0, v41, vcc_lo
	v_add_nc_u32_e32 v49, 16, v41
	s_delay_alu instid0(VALU_DEP_2)
	v_lshlrev_b32_e32 v31, 2, v20
	v_and_b32_e32 v20, 0xff, v24
	ds_bpermute_b32 v22, v31, v23
	v_cmp_eq_u16_e32 vcc_lo, 2, v20
	v_and_or_b32 v20, vcc_lo, v33, 0x80000000
	v_cmp_gt_u32_e32 vcc_lo, 30, v41
	s_delay_alu instid0(VALU_DEP_2) | instskip(SKIP_1) | instid1(VALU_DEP_2)
	v_ctz_i32_b32_e32 v20, v20
	v_cndmask_b32_e64 v25, 0, 1, vcc_lo
	v_cmp_lt_u32_e32 vcc_lo, v41, v20
	s_waitcnt lgkmcnt(0)
	s_delay_alu instid0(VALU_DEP_2) | instskip(NEXT) | instid1(VALU_DEP_1)
	v_dual_cndmask_b32 v22, 0, v22 :: v_dual_lshlrev_b32 v25, 1, v25
	v_add_lshl_u32 v35, v25, v41, 2
	v_cmp_gt_u32_e32 vcc_lo, 28, v41
	s_delay_alu instid0(VALU_DEP_3) | instskip(SKIP_4) | instid1(VALU_DEP_1)
	v_add_nc_u32_e32 v22, v22, v23
	v_cndmask_b32_e64 v25, 0, 1, vcc_lo
	v_cmp_le_u32_e32 vcc_lo, v37, v20
	ds_bpermute_b32 v23, v35, v22
	v_lshlrev_b32_e32 v25, 2, v25
	v_add_lshl_u32 v44, v25, v41, 2
	s_waitcnt lgkmcnt(0)
	v_cndmask_b32_e32 v23, 0, v23, vcc_lo
	v_cmp_gt_u32_e32 vcc_lo, 24, v41
	s_delay_alu instid0(VALU_DEP_2) | instskip(SKIP_4) | instid1(VALU_DEP_1)
	v_add_nc_u32_e32 v22, v22, v23
	v_cndmask_b32_e64 v25, 0, 1, vcc_lo
	v_cmp_le_u32_e32 vcc_lo, v45, v20
	ds_bpermute_b32 v23, v44, v22
	v_lshlrev_b32_e32 v25, 3, v25
	v_add_lshl_u32 v46, v25, v41, 2
	s_waitcnt lgkmcnt(0)
	v_cndmask_b32_e32 v23, 0, v23, vcc_lo
	v_cmp_gt_u32_e32 vcc_lo, 16, v41
	s_delay_alu instid0(VALU_DEP_2) | instskip(SKIP_4) | instid1(VALU_DEP_1)
	v_add_nc_u32_e32 v22, v22, v23
	v_cndmask_b32_e64 v25, 0, 1, vcc_lo
	v_cmp_le_u32_e32 vcc_lo, v47, v20
	ds_bpermute_b32 v23, v46, v22
	v_lshlrev_b32_e32 v25, 4, v25
	v_add_lshl_u32 v48, v25, v41, 2
	s_waitcnt lgkmcnt(0)
	v_cndmask_b32_e32 v23, 0, v23, vcc_lo
	v_cmp_le_u32_e32 vcc_lo, v49, v20
	s_delay_alu instid0(VALU_DEP_2) | instskip(SKIP_3) | instid1(VALU_DEP_1)
	v_add_nc_u32_e32 v22, v22, v23
	ds_bpermute_b32 v23, v48, v22
	s_waitcnt lgkmcnt(0)
	v_cndmask_b32_e32 v20, 0, v23, vcc_lo
	v_dual_mov_b32 v22, 0 :: v_dual_add_nc_u32 v23, v22, v20
	s_branch .LBB272_114
.LBB272_113:                            ;   in Loop: Header=BB272_114 Depth=1
	s_or_b32 exec_lo, exec_lo, s19
	ds_bpermute_b32 v26, v31, v23
	v_and_b32_e32 v25, 0xff, v24
	v_subrev_nc_u32_e32 v21, 32, v21
	s_delay_alu instid0(VALU_DEP_2) | instskip(SKIP_1) | instid1(VALU_DEP_1)
	v_cmp_eq_u16_e32 vcc_lo, 2, v25
	v_and_or_b32 v25, vcc_lo, v33, 0x80000000
	v_ctz_i32_b32_e32 v25, v25
	s_delay_alu instid0(VALU_DEP_1) | instskip(SKIP_3) | instid1(VALU_DEP_2)
	v_cmp_lt_u32_e32 vcc_lo, v41, v25
	s_waitcnt lgkmcnt(0)
	v_cndmask_b32_e32 v26, 0, v26, vcc_lo
	v_cmp_le_u32_e32 vcc_lo, v37, v25
	v_add_nc_u32_e32 v23, v26, v23
	ds_bpermute_b32 v26, v35, v23
	s_waitcnt lgkmcnt(0)
	v_cndmask_b32_e32 v26, 0, v26, vcc_lo
	v_cmp_le_u32_e32 vcc_lo, v45, v25
	s_delay_alu instid0(VALU_DEP_2) | instskip(SKIP_4) | instid1(VALU_DEP_2)
	v_add_nc_u32_e32 v23, v23, v26
	ds_bpermute_b32 v26, v44, v23
	s_waitcnt lgkmcnt(0)
	v_cndmask_b32_e32 v26, 0, v26, vcc_lo
	v_cmp_le_u32_e32 vcc_lo, v47, v25
	v_add_nc_u32_e32 v23, v23, v26
	ds_bpermute_b32 v26, v46, v23
	s_waitcnt lgkmcnt(0)
	v_cndmask_b32_e32 v26, 0, v26, vcc_lo
	v_cmp_le_u32_e32 vcc_lo, v49, v25
	s_delay_alu instid0(VALU_DEP_2) | instskip(SKIP_3) | instid1(VALU_DEP_1)
	v_add_nc_u32_e32 v23, v23, v26
	ds_bpermute_b32 v26, v48, v23
	s_waitcnt lgkmcnt(0)
	v_cndmask_b32_e32 v25, 0, v26, vcc_lo
	v_add3_u32 v23, v25, v20, v23
.LBB272_114:                            ; =>This Loop Header: Depth=1
                                        ;     Child Loop BB272_117 Depth 2
	v_and_b32_e32 v20, 0xff, v24
	s_delay_alu instid0(VALU_DEP_1) | instskip(SKIP_2) | instid1(VALU_DEP_1)
	v_cmp_ne_u16_e32 vcc_lo, 2, v20
	v_cndmask_b32_e64 v20, 0, 1, vcc_lo
	;;#ASMSTART
	;;#ASMEND
	v_cmp_ne_u32_e32 vcc_lo, 0, v20
	v_mov_b32_e32 v20, v23
	s_cmp_lg_u32 vcc_lo, exec_lo
	s_cbranch_scc1 .LBB272_119
; %bb.115:                              ;   in Loop: Header=BB272_114 Depth=1
	v_lshlrev_b64 v[23:24], 3, v[21:22]
	s_mov_b32 s19, exec_lo
	s_delay_alu instid0(VALU_DEP_1) | instskip(NEXT) | instid1(VALU_DEP_2)
	v_add_co_u32 v25, vcc_lo, s16, v23
	v_add_co_ci_u32_e32 v26, vcc_lo, s17, v24, vcc_lo
	global_load_b64 v[23:24], v[25:26], off glc
	s_waitcnt vmcnt(0)
	v_and_b32_e32 v50, 0xff, v24
	s_delay_alu instid0(VALU_DEP_1)
	v_cmpx_eq_u16_e32 0, v50
	s_cbranch_execz .LBB272_113
; %bb.116:                              ;   in Loop: Header=BB272_114 Depth=1
	s_mov_b32 s20, 0
.LBB272_117:                            ;   Parent Loop BB272_114 Depth=1
                                        ; =>  This Inner Loop Header: Depth=2
	global_load_b64 v[23:24], v[25:26], off glc
	s_waitcnt vmcnt(0)
	v_and_b32_e32 v50, 0xff, v24
	s_delay_alu instid0(VALU_DEP_1) | instskip(SKIP_1) | instid1(SALU_CYCLE_1)
	v_cmp_ne_u16_e32 vcc_lo, 0, v50
	s_or_b32 s20, vcc_lo, s20
	s_and_not1_b32 exec_lo, exec_lo, s20
	s_cbranch_execnz .LBB272_117
; %bb.118:                              ;   in Loop: Header=BB272_114 Depth=1
	s_or_b32 exec_lo, exec_lo, s20
	s_branch .LBB272_113
.LBB272_119:                            ;   in Loop: Header=BB272_114 Depth=1
                                        ; implicit-def: $vgpr23
                                        ; implicit-def: $vgpr24
	s_cbranch_execz .LBB272_114
; %bb.120:
	s_and_saveexec_b32 s19, s7
	s_cbranch_execz .LBB272_122
; %bb.121:
	s_add_i32 s20, s24, 32
	s_mov_b32 s21, 0
	v_dual_mov_b32 v22, 2 :: v_dual_add_nc_u32 v21, v20, v19
	s_lshl_b64 s[20:21], s[20:21], 3
	v_mov_b32_e32 v23, 0
	s_add_u32 s20, s16, s20
	s_addc_u32 s21, s17, s21
	global_store_b64 v23, v[21:22], s[20:21]
	ds_store_b64 v23, v[19:20] offset:12672
.LBB272_122:
	s_or_b32 exec_lo, exec_lo, s19
	s_delay_alu instid0(SALU_CYCLE_1)
	s_and_b32 exec_lo, exec_lo, s2
	s_cbranch_execz .LBB272_124
; %bb.123:
	v_mov_b32_e32 v19, 0
	ds_store_b32 v19, v20 offset:44
.LBB272_124:
	s_or_b32 exec_lo, exec_lo, s18
	v_mov_b32_e32 v19, 0
	s_waitcnt lgkmcnt(0)
	s_waitcnt_vscnt null, 0x0
	s_barrier
	buffer_gl0_inv
	v_cndmask_b32_e64 v21, v29, v27, s7
	ds_load_b32 v20, v19 offset:44
	s_waitcnt lgkmcnt(0)
	s_barrier
	buffer_gl0_inv
	v_cndmask_b32_e64 v21, v21, 0, s2
	s_delay_alu instid0(VALU_DEP_1) | instskip(SKIP_2) | instid1(VALU_DEP_1)
	v_add_nc_u32_e32 v37, v20, v21
	ds_load_b64 v[19:20], v19 offset:12672
	v_add_nc_u32_e32 v35, v37, v28
	v_add_nc_u32_e32 v33, v35, v30
	s_delay_alu instid0(VALU_DEP_1) | instskip(NEXT) | instid1(VALU_DEP_1)
	v_add_nc_u32_e32 v31, v33, v32
	v_add_nc_u32_e32 v29, v31, v34
	s_delay_alu instid0(VALU_DEP_1) | instskip(NEXT) | instid1(VALU_DEP_1)
	v_add_nc_u32_e32 v27, v29, v36
	v_add_nc_u32_e32 v25, v27, v38
	s_delay_alu instid0(VALU_DEP_1)
	v_add_nc_u32_e32 v23, v25, v40
	v_lshrrev_b64 v[21:22], 24, v[17:18]
	s_branch .LBB272_135
.LBB272_125:
                                        ; implicit-def: $vgpr23
                                        ; implicit-def: $vgpr25
                                        ; implicit-def: $vgpr27
                                        ; implicit-def: $vgpr29
                                        ; implicit-def: $vgpr31
                                        ; implicit-def: $vgpr33
                                        ; implicit-def: $vgpr35
                                        ; implicit-def: $vgpr37
                                        ; implicit-def: $vgpr20
	v_lshrrev_b64 v[21:22], 24, v[17:18]
	s_and_b32 vcc_lo, exec_lo, s7
	s_cbranch_vccz .LBB272_135
; %bb.126:
	s_waitcnt lgkmcnt(0)
	v_mov_b32_dpp v19, v43 row_shr:1 row_mask:0xf bank_mask:0xf
	s_delay_alu instid0(VALU_DEP_1) | instskip(NEXT) | instid1(VALU_DEP_1)
	v_cndmask_b32_e64 v19, v19, 0, s3
	v_add_nc_u32_e32 v19, v19, v43
	s_delay_alu instid0(VALU_DEP_1) | instskip(NEXT) | instid1(VALU_DEP_1)
	v_mov_b32_dpp v20, v19 row_shr:2 row_mask:0xf bank_mask:0xf
	v_cndmask_b32_e64 v20, 0, v20, s4
	s_delay_alu instid0(VALU_DEP_1) | instskip(NEXT) | instid1(VALU_DEP_1)
	v_add_nc_u32_e32 v19, v19, v20
	v_mov_b32_dpp v20, v19 row_shr:4 row_mask:0xf bank_mask:0xf
	s_delay_alu instid0(VALU_DEP_1) | instskip(NEXT) | instid1(VALU_DEP_1)
	v_cndmask_b32_e64 v20, 0, v20, s1
	v_add_nc_u32_e32 v19, v19, v20
	s_delay_alu instid0(VALU_DEP_1) | instskip(NEXT) | instid1(VALU_DEP_1)
	v_mov_b32_dpp v20, v19 row_shr:8 row_mask:0xf bank_mask:0xf
	v_cndmask_b32_e64 v20, 0, v20, s0
	s_delay_alu instid0(VALU_DEP_1) | instskip(SKIP_3) | instid1(VALU_DEP_1)
	v_add_nc_u32_e32 v19, v19, v20
	ds_swizzle_b32 v20, v19 offset:swizzle(BROADCAST,32,15)
	s_waitcnt lgkmcnt(0)
	v_cndmask_b32_e64 v20, v20, 0, s6
	v_add_nc_u32_e32 v19, v19, v20
	s_and_saveexec_b32 s6, s5
	s_cbranch_execz .LBB272_128
; %bb.127:
	v_lshlrev_b32_e32 v20, 2, v42
	ds_store_b32 v20, v19
.LBB272_128:
	s_or_b32 exec_lo, exec_lo, s6
	s_delay_alu instid0(SALU_CYCLE_1)
	s_mov_b32 s5, exec_lo
	s_waitcnt lgkmcnt(0)
	s_barrier
	buffer_gl0_inv
	v_cmpx_gt_u32_e32 12, v0
	s_cbranch_execz .LBB272_130
; %bb.129:
	v_lshlrev_b32_e32 v20, 2, v0
	ds_load_b32 v22, v20
	s_waitcnt lgkmcnt(0)
	v_mov_b32_dpp v23, v22 row_shr:1 row_mask:0xf bank_mask:0xf
	s_delay_alu instid0(VALU_DEP_1) | instskip(NEXT) | instid1(VALU_DEP_1)
	v_cndmask_b32_e64 v23, v23, 0, s3
	v_add_nc_u32_e32 v22, v23, v22
	s_delay_alu instid0(VALU_DEP_1) | instskip(NEXT) | instid1(VALU_DEP_1)
	v_mov_b32_dpp v23, v22 row_shr:2 row_mask:0xf bank_mask:0xf
	v_cndmask_b32_e64 v23, 0, v23, s4
	s_delay_alu instid0(VALU_DEP_1) | instskip(NEXT) | instid1(VALU_DEP_1)
	v_add_nc_u32_e32 v22, v22, v23
	v_mov_b32_dpp v23, v22 row_shr:4 row_mask:0xf bank_mask:0xf
	s_delay_alu instid0(VALU_DEP_1) | instskip(NEXT) | instid1(VALU_DEP_1)
	v_cndmask_b32_e64 v23, 0, v23, s1
	v_add_nc_u32_e32 v22, v22, v23
	s_delay_alu instid0(VALU_DEP_1) | instskip(NEXT) | instid1(VALU_DEP_1)
	v_mov_b32_dpp v23, v22 row_shr:8 row_mask:0xf bank_mask:0xf
	v_cndmask_b32_e64 v23, 0, v23, s0
	s_delay_alu instid0(VALU_DEP_1)
	v_add_nc_u32_e32 v22, v22, v23
	ds_store_b32 v20, v22
.LBB272_130:
	s_or_b32 exec_lo, exec_lo, s5
	v_mov_b32_e32 v20, 0
	v_mov_b32_e32 v22, 0
	s_mov_b32 s0, exec_lo
	s_waitcnt lgkmcnt(0)
	s_barrier
	buffer_gl0_inv
	v_cmpx_lt_u32_e32 31, v0
	s_cbranch_execz .LBB272_132
; %bb.131:
	v_lshl_add_u32 v22, v42, 2, -4
	ds_load_b32 v22, v22
.LBB272_132:
	s_or_b32 exec_lo, exec_lo, s0
	v_add_nc_u32_e32 v23, -1, v41
	s_waitcnt lgkmcnt(0)
	v_add_nc_u32_e32 v19, v22, v19
	s_delay_alu instid0(VALU_DEP_2) | instskip(SKIP_1) | instid1(VALU_DEP_1)
	v_cmp_gt_i32_e32 vcc_lo, 0, v23
	v_cndmask_b32_e32 v23, v23, v41, vcc_lo
	v_lshlrev_b32_e32 v23, 2, v23
	ds_bpermute_b32 v23, v23, v19
	ds_load_b32 v19, v20 offset:44
	s_and_saveexec_b32 s0, s2
	s_cbranch_execz .LBB272_134
; %bb.133:
	v_mov_b32_e32 v24, 0
	v_mov_b32_e32 v20, 2
	s_waitcnt lgkmcnt(0)
	global_store_b64 v24, v[19:20], s[16:17] offset:256
.LBB272_134:
	s_or_b32 exec_lo, exec_lo, s0
	v_cmp_eq_u32_e32 vcc_lo, 0, v41
	s_waitcnt lgkmcnt(0)
	s_waitcnt_vscnt null, 0x0
	s_barrier
	buffer_gl0_inv
	v_cndmask_b32_e32 v20, v23, v22, vcc_lo
	s_delay_alu instid0(VALU_DEP_1) | instskip(NEXT) | instid1(VALU_DEP_1)
	v_cndmask_b32_e64 v37, v20, 0, s2
	v_dual_mov_b32 v20, 0 :: v_dual_add_nc_u32 v35, v37, v28
	s_delay_alu instid0(VALU_DEP_1) | instskip(NEXT) | instid1(VALU_DEP_1)
	v_add_nc_u32_e32 v33, v35, v30
	v_add_nc_u32_e32 v31, v33, v32
	s_delay_alu instid0(VALU_DEP_1) | instskip(NEXT) | instid1(VALU_DEP_1)
	v_add_nc_u32_e32 v29, v31, v34
	v_add_nc_u32_e32 v27, v29, v36
	;; [unrolled: 3-line block ×3, first 2 shown]
.LBB272_135:
	s_waitcnt lgkmcnt(0)
	v_add_nc_u32_e32 v43, v20, v19
	v_cmp_gt_u32_e64 s0, 0x181, v19
	v_lshrrev_b32_e32 v42, 8, v17
	v_lshrrev_b32_e32 v41, 16, v17
	;; [unrolled: 1-line block ×4, first 2 shown]
	v_cmp_lt_u32_e64 s1, v37, v43
	s_and_b32 vcc_lo, exec_lo, s0
	s_mov_b32 s3, -1
	s_cbranch_vccz .LBB272_161
; %bb.136:
	s_lshl_b64 s[4:5], s[10:11], 2
	s_delay_alu instid0(SALU_CYCLE_1) | instskip(SKIP_2) | instid1(SALU_CYCLE_1)
	s_add_u32 s3, s12, s4
	s_addc_u32 s4, s13, s5
	s_or_b32 s5, s23, s1
	s_and_saveexec_b32 s1, s5
	s_cbranch_execz .LBB272_139
; %bb.137:
	v_and_b32_e32 v24, 1, v17
	s_delay_alu instid0(VALU_DEP_1)
	v_cmp_eq_u32_e32 vcc_lo, 1, v24
	s_and_b32 exec_lo, exec_lo, vcc_lo
	s_cbranch_execz .LBB272_139
; %bb.138:
	v_mov_b32_e32 v38, 0
	s_delay_alu instid0(VALU_DEP_1) | instskip(NEXT) | instid1(VALU_DEP_1)
	v_lshlrev_b64 v[44:45], 2, v[37:38]
	v_add_co_u32 v44, vcc_lo, s3, v44
	s_delay_alu instid0(VALU_DEP_2)
	v_add_co_ci_u32_e32 v45, vcc_lo, s4, v45, vcc_lo
	global_store_b32 v[44:45], v15, off
.LBB272_139:
	s_or_b32 exec_lo, exec_lo, s1
	v_cmp_lt_u32_e32 vcc_lo, v35, v43
	s_or_b32 s5, s23, vcc_lo
	s_delay_alu instid0(SALU_CYCLE_1)
	s_and_saveexec_b32 s1, s5
	s_cbranch_execz .LBB272_142
; %bb.140:
	v_and_b32_e32 v24, 1, v42
	s_delay_alu instid0(VALU_DEP_1)
	v_cmp_eq_u32_e32 vcc_lo, 1, v24
	s_and_b32 exec_lo, exec_lo, vcc_lo
	s_cbranch_execz .LBB272_142
; %bb.141:
	v_mov_b32_e32 v36, 0
	s_delay_alu instid0(VALU_DEP_1) | instskip(NEXT) | instid1(VALU_DEP_1)
	v_lshlrev_b64 v[44:45], 2, v[35:36]
	v_add_co_u32 v44, vcc_lo, s3, v44
	s_delay_alu instid0(VALU_DEP_2)
	v_add_co_ci_u32_e32 v45, vcc_lo, s4, v45, vcc_lo
	global_store_b32 v[44:45], v16, off
.LBB272_142:
	s_or_b32 exec_lo, exec_lo, s1
	v_cmp_lt_u32_e32 vcc_lo, v33, v43
	s_or_b32 s5, s23, vcc_lo
	s_delay_alu instid0(SALU_CYCLE_1)
	;; [unrolled: 21-line block ×7, first 2 shown]
	s_and_saveexec_b32 s1, s5
	s_cbranch_execz .LBB272_160
; %bb.158:
	v_and_b32_e32 v24, 1, v39
	s_delay_alu instid0(VALU_DEP_1)
	v_cmp_eq_u32_e32 vcc_lo, 1, v24
	s_and_b32 exec_lo, exec_lo, vcc_lo
	s_cbranch_execz .LBB272_160
; %bb.159:
	v_mov_b32_e32 v24, 0
	s_delay_alu instid0(VALU_DEP_1) | instskip(NEXT) | instid1(VALU_DEP_1)
	v_lshlrev_b64 v[44:45], 2, v[23:24]
	v_add_co_u32 v44, vcc_lo, s3, v44
	s_delay_alu instid0(VALU_DEP_2)
	v_add_co_ci_u32_e32 v45, vcc_lo, s4, v45, vcc_lo
	global_store_b32 v[44:45], v10, off
.LBB272_160:
	s_or_b32 exec_lo, exec_lo, s1
	s_mov_b32 s3, 0
.LBB272_161:
	v_and_b32_e32 v17, 1, v17
	s_and_b32 vcc_lo, exec_lo, s3
	s_delay_alu instid0(VALU_DEP_1)
	v_cmp_eq_u32_e64 s1, 1, v17
	s_cbranch_vccz .LBB272_182
; %bb.162:
	s_delay_alu instid0(VALU_DEP_1)
	s_and_saveexec_b32 s3, s1
	s_cbranch_execz .LBB272_164
; %bb.163:
	v_sub_nc_u32_e32 v24, v37, v20
	s_delay_alu instid0(VALU_DEP_1)
	v_lshlrev_b32_e32 v24, 2, v24
	ds_store_b32 v24, v15
.LBB272_164:
	s_or_b32 exec_lo, exec_lo, s3
	v_and_b32_e32 v15, 1, v42
	s_mov_b32 s1, exec_lo
	s_delay_alu instid0(VALU_DEP_1)
	v_cmpx_eq_u32_e32 1, v15
	s_cbranch_execz .LBB272_166
; %bb.165:
	v_sub_nc_u32_e32 v15, v35, v20
	s_delay_alu instid0(VALU_DEP_1)
	v_lshlrev_b32_e32 v15, 2, v15
	ds_store_b32 v15, v16
.LBB272_166:
	s_or_b32 exec_lo, exec_lo, s1
	v_and_b32_e32 v15, 1, v41
	s_mov_b32 s1, exec_lo
	s_delay_alu instid0(VALU_DEP_1)
	v_cmpx_eq_u32_e32 1, v15
	;; [unrolled: 12-line block ×7, first 2 shown]
	s_cbranch_execz .LBB272_178
; %bb.177:
	v_sub_nc_u32_e32 v9, v23, v20
	s_delay_alu instid0(VALU_DEP_1)
	v_lshlrev_b32_e32 v9, 2, v9
	ds_store_b32 v9, v10
.LBB272_178:
	s_or_b32 exec_lo, exec_lo, s1
	s_delay_alu instid0(SALU_CYCLE_1)
	s_mov_b32 s3, exec_lo
	s_waitcnt lgkmcnt(0)
	s_waitcnt_vscnt null, 0x0
	s_barrier
	buffer_gl0_inv
	v_cmpx_lt_u32_e64 v0, v19
	s_cbranch_execz .LBB272_181
; %bb.179:
	v_dual_mov_b32 v10, 0 :: v_dual_mov_b32 v9, v20
	s_lshl_b64 s[4:5], s[10:11], 2
	v_lshlrev_b32_e32 v11, 2, v0
	s_add_u32 s1, s12, s4
	s_addc_u32 s4, s13, s5
	v_lshlrev_b64 v[12:13], 2, v[9:10]
	v_mov_b32_e32 v9, v0
	s_delay_alu instid0(VALU_DEP_2) | instskip(NEXT) | instid1(VALU_DEP_3)
	v_add_co_u32 v12, vcc_lo, s1, v12
	v_add_co_ci_u32_e32 v13, vcc_lo, s4, v13, vcc_lo
	s_mov_b32 s4, 0
	.p2align	6
.LBB272_180:                            ; =>This Inner Loop Header: Depth=1
	ds_load_b32 v16, v11
	v_lshlrev_b64 v[14:15], 2, v[9:10]
	v_add_nc_u32_e32 v9, 0x180, v9
	v_add_nc_u32_e32 v11, 0x600, v11
	s_delay_alu instid0(VALU_DEP_2) | instskip(NEXT) | instid1(VALU_DEP_4)
	v_cmp_ge_u32_e32 vcc_lo, v9, v19
	v_add_co_u32 v14, s1, v12, v14
	s_delay_alu instid0(VALU_DEP_1)
	v_add_co_ci_u32_e64 v15, s1, v13, v15, s1
	s_or_b32 s4, vcc_lo, s4
	s_waitcnt lgkmcnt(0)
	global_store_b32 v[14:15], v16, off
	s_and_not1_b32 exec_lo, exec_lo, s4
	s_cbranch_execnz .LBB272_180
.LBB272_181:
	s_or_b32 exec_lo, exec_lo, s3
.LBB272_182:
	s_delay_alu instid0(SALU_CYCLE_1)
	s_and_b32 vcc_lo, exec_lo, s0
	s_mov_b32 s0, -1
	s_waitcnt_vscnt null, 0x0
	s_barrier
	buffer_gl0_inv
	s_cbranch_vccz .LBB272_210
; %bb.183:
	v_cmp_lt_u32_e32 vcc_lo, v37, v43
	s_lshl_b64 s[0:1], s[10:11], 2
	s_delay_alu instid0(SALU_CYCLE_1) | instskip(SKIP_2) | instid1(SALU_CYCLE_1)
	s_add_u32 s0, s14, s0
	s_addc_u32 s1, s15, s1
	s_or_b32 s4, s23, vcc_lo
	s_and_saveexec_b32 s3, s4
	s_cbranch_execz .LBB272_186
; %bb.184:
	v_cmp_eq_u32_e32 vcc_lo, 1, v17
	s_and_b32 exec_lo, exec_lo, vcc_lo
	s_cbranch_execz .LBB272_186
; %bb.185:
	v_mov_b32_e32 v38, 0
	s_delay_alu instid0(VALU_DEP_1) | instskip(NEXT) | instid1(VALU_DEP_1)
	v_lshlrev_b64 v[9:10], 2, v[37:38]
	v_add_co_u32 v9, vcc_lo, s0, v9
	s_delay_alu instid0(VALU_DEP_2)
	v_add_co_ci_u32_e32 v10, vcc_lo, s1, v10, vcc_lo
	global_store_b32 v[9:10], v7, off
.LBB272_186:
	s_or_b32 exec_lo, exec_lo, s3
	v_cmp_lt_u32_e32 vcc_lo, v35, v43
	s_or_b32 s4, s23, vcc_lo
	s_delay_alu instid0(SALU_CYCLE_1)
	s_and_saveexec_b32 s3, s4
	s_cbranch_execz .LBB272_189
; %bb.187:
	v_and_b32_e32 v9, 1, v42
	s_delay_alu instid0(VALU_DEP_1)
	v_cmp_eq_u32_e32 vcc_lo, 1, v9
	s_and_b32 exec_lo, exec_lo, vcc_lo
	s_cbranch_execz .LBB272_189
; %bb.188:
	v_mov_b32_e32 v36, 0
	s_delay_alu instid0(VALU_DEP_1) | instskip(NEXT) | instid1(VALU_DEP_1)
	v_lshlrev_b64 v[9:10], 2, v[35:36]
	v_add_co_u32 v9, vcc_lo, s0, v9
	s_delay_alu instid0(VALU_DEP_2)
	v_add_co_ci_u32_e32 v10, vcc_lo, s1, v10, vcc_lo
	global_store_b32 v[9:10], v8, off
.LBB272_189:
	s_or_b32 exec_lo, exec_lo, s3
	v_cmp_lt_u32_e32 vcc_lo, v33, v43
	s_or_b32 s4, s23, vcc_lo
	s_delay_alu instid0(SALU_CYCLE_1)
	s_and_saveexec_b32 s3, s4
	s_cbranch_execz .LBB272_192
; %bb.190:
	v_and_b32_e32 v9, 1, v41
	s_delay_alu instid0(VALU_DEP_1)
	v_cmp_eq_u32_e32 vcc_lo, 1, v9
	s_and_b32 exec_lo, exec_lo, vcc_lo
	s_cbranch_execz .LBB272_192
; %bb.191:
	v_mov_b32_e32 v34, 0
	s_delay_alu instid0(VALU_DEP_1) | instskip(NEXT) | instid1(VALU_DEP_1)
	v_lshlrev_b64 v[9:10], 2, v[33:34]
	v_add_co_u32 v9, vcc_lo, s0, v9
	s_delay_alu instid0(VALU_DEP_2)
	v_add_co_ci_u32_e32 v10, vcc_lo, s1, v10, vcc_lo
	global_store_b32 v[9:10], v5, off
.LBB272_192:
	;; [unrolled: 21-line block ×7, first 2 shown]
	s_or_b32 exec_lo, exec_lo, s3
.LBB272_208:
	s_and_b32 s0, s2, s22
	s_delay_alu instid0(SALU_CYCLE_1)
	s_and_saveexec_b32 s1, s0
	s_cbranch_execz .LBB272_231
.LBB272_209:
	v_add_co_u32 v0, s0, s10, v19
	s_delay_alu instid0(VALU_DEP_1) | instskip(SKIP_1) | instid1(VALU_DEP_3)
	v_add_co_ci_u32_e64 v1, null, s11, 0, s0
	v_mov_b32_e32 v2, 0
	v_add_co_u32 v0, vcc_lo, v0, v20
	s_delay_alu instid0(VALU_DEP_3)
	v_add_co_ci_u32_e32 v1, vcc_lo, 0, v1, vcc_lo
	global_store_b64 v2, v[0:1], s[8:9]
	s_nop 0
	s_sendmsg sendmsg(MSG_DEALLOC_VGPRS)
	s_endpgm
.LBB272_210:
	s_and_b32 vcc_lo, exec_lo, s0
	s_cbranch_vccz .LBB272_208
; %bb.211:
	s_mov_b32 s0, exec_lo
	v_cmpx_eq_u32_e32 1, v17
	s_cbranch_execz .LBB272_213
; %bb.212:
	v_sub_nc_u32_e32 v9, v37, v20
	s_delay_alu instid0(VALU_DEP_1)
	v_lshlrev_b32_e32 v9, 2, v9
	ds_store_b32 v9, v7
.LBB272_213:
	s_or_b32 exec_lo, exec_lo, s0
	v_and_b32_e32 v7, 1, v42
	s_mov_b32 s0, exec_lo
	s_delay_alu instid0(VALU_DEP_1)
	v_cmpx_eq_u32_e32 1, v7
	s_cbranch_execz .LBB272_215
; %bb.214:
	v_sub_nc_u32_e32 v7, v35, v20
	s_delay_alu instid0(VALU_DEP_1)
	v_lshlrev_b32_e32 v7, 2, v7
	ds_store_b32 v7, v8
.LBB272_215:
	s_or_b32 exec_lo, exec_lo, s0
	v_and_b32_e32 v7, 1, v41
	s_mov_b32 s0, exec_lo
	s_delay_alu instid0(VALU_DEP_1)
	;; [unrolled: 12-line block ×7, first 2 shown]
	v_cmpx_eq_u32_e32 1, v1
	s_cbranch_execz .LBB272_227
; %bb.226:
	v_sub_nc_u32_e32 v1, v23, v20
	s_delay_alu instid0(VALU_DEP_1)
	v_lshlrev_b32_e32 v1, 2, v1
	ds_store_b32 v1, v2
.LBB272_227:
	s_or_b32 exec_lo, exec_lo, s0
	s_delay_alu instid0(SALU_CYCLE_1)
	s_mov_b32 s1, exec_lo
	s_waitcnt lgkmcnt(0)
	s_waitcnt_vscnt null, 0x0
	s_barrier
	buffer_gl0_inv
	v_cmpx_lt_u32_e64 v0, v19
	s_cbranch_execz .LBB272_230
; %bb.228:
	v_dual_mov_b32 v1, 0 :: v_dual_mov_b32 v2, v20
	s_lshl_b64 s[4:5], s[10:11], 2
	v_lshlrev_b32_e32 v4, 2, v0
	s_add_u32 s0, s14, s4
	s_delay_alu instid0(VALU_DEP_2) | instskip(SKIP_1) | instid1(VALU_DEP_1)
	v_mov_b32_e32 v3, v1
	s_addc_u32 s3, s15, s5
	v_lshlrev_b64 v[2:3], 2, v[2:3]
	s_delay_alu instid0(VALU_DEP_1) | instskip(NEXT) | instid1(VALU_DEP_2)
	v_add_co_u32 v2, vcc_lo, s0, v2
	v_add_co_ci_u32_e32 v3, vcc_lo, s3, v3, vcc_lo
	s_mov_b32 s3, 0
	.p2align	6
.LBB272_229:                            ; =>This Inner Loop Header: Depth=1
	ds_load_b32 v7, v4
	v_lshlrev_b64 v[5:6], 2, v[0:1]
	v_add_nc_u32_e32 v0, 0x180, v0
	v_add_nc_u32_e32 v4, 0x600, v4
	s_delay_alu instid0(VALU_DEP_2) | instskip(NEXT) | instid1(VALU_DEP_4)
	v_cmp_ge_u32_e32 vcc_lo, v0, v19
	v_add_co_u32 v5, s0, v2, v5
	s_delay_alu instid0(VALU_DEP_1)
	v_add_co_ci_u32_e64 v6, s0, v3, v6, s0
	s_or_b32 s3, vcc_lo, s3
	s_waitcnt lgkmcnt(0)
	global_store_b32 v[5:6], v7, off
	s_and_not1_b32 exec_lo, exec_lo, s3
	s_cbranch_execnz .LBB272_229
.LBB272_230:
	s_or_b32 exec_lo, exec_lo, s1
	s_and_b32 s0, s2, s22
	s_delay_alu instid0(SALU_CYCLE_1)
	s_and_saveexec_b32 s1, s0
	s_cbranch_execnz .LBB272_209
.LBB272_231:
	s_nop 0
	s_sendmsg sendmsg(MSG_DEALLOC_VGPRS)
	s_endpgm
	.section	.rodata,"a",@progbits
	.p2align	6, 0x0
	.amdhsa_kernel _ZN7rocprim17ROCPRIM_400000_NS6detail17trampoline_kernelINS0_14default_configENS1_25partition_config_selectorILNS1_17partition_subalgoE9EjjbEEZZNS1_14partition_implILS5_9ELb0ES3_jN6thrust23THRUST_200600_302600_NS6detail15normal_iteratorINS9_10device_ptrIjEEEESE_PNS0_10empty_typeENS0_5tupleIJSE_SF_EEENSH_IJSE_SG_EEENS0_18inequality_wrapperI22is_equal_div_10_uniqueIjEEEPmJSF_EEE10hipError_tPvRmT3_T4_T5_T6_T7_T9_mT8_P12ihipStream_tbDpT10_ENKUlT_T0_E_clISt17integral_constantIbLb0EES17_IbLb1EEEEDaS13_S14_EUlS13_E_NS1_11comp_targetILNS1_3genE9ELNS1_11target_archE1100ELNS1_3gpuE3ELNS1_3repE0EEENS1_30default_config_static_selectorELNS0_4arch9wavefront6targetE0EEEvT1_
		.amdhsa_group_segment_fixed_size 12680
		.amdhsa_private_segment_fixed_size 0
		.amdhsa_kernarg_size 128
		.amdhsa_user_sgpr_count 15
		.amdhsa_user_sgpr_dispatch_ptr 0
		.amdhsa_user_sgpr_queue_ptr 0
		.amdhsa_user_sgpr_kernarg_segment_ptr 1
		.amdhsa_user_sgpr_dispatch_id 0
		.amdhsa_user_sgpr_private_segment_size 0
		.amdhsa_wavefront_size32 1
		.amdhsa_uses_dynamic_stack 0
		.amdhsa_enable_private_segment 0
		.amdhsa_system_sgpr_workgroup_id_x 1
		.amdhsa_system_sgpr_workgroup_id_y 0
		.amdhsa_system_sgpr_workgroup_id_z 0
		.amdhsa_system_sgpr_workgroup_info 0
		.amdhsa_system_vgpr_workitem_id 0
		.amdhsa_next_free_vgpr 51
		.amdhsa_next_free_sgpr 29
		.amdhsa_reserve_vcc 1
		.amdhsa_float_round_mode_32 0
		.amdhsa_float_round_mode_16_64 0
		.amdhsa_float_denorm_mode_32 3
		.amdhsa_float_denorm_mode_16_64 3
		.amdhsa_dx10_clamp 1
		.amdhsa_ieee_mode 1
		.amdhsa_fp16_overflow 0
		.amdhsa_workgroup_processor_mode 1
		.amdhsa_memory_ordered 1
		.amdhsa_forward_progress 0
		.amdhsa_shared_vgpr_count 0
		.amdhsa_exception_fp_ieee_invalid_op 0
		.amdhsa_exception_fp_denorm_src 0
		.amdhsa_exception_fp_ieee_div_zero 0
		.amdhsa_exception_fp_ieee_overflow 0
		.amdhsa_exception_fp_ieee_underflow 0
		.amdhsa_exception_fp_ieee_inexact 0
		.amdhsa_exception_int_div_zero 0
	.end_amdhsa_kernel
	.section	.text._ZN7rocprim17ROCPRIM_400000_NS6detail17trampoline_kernelINS0_14default_configENS1_25partition_config_selectorILNS1_17partition_subalgoE9EjjbEEZZNS1_14partition_implILS5_9ELb0ES3_jN6thrust23THRUST_200600_302600_NS6detail15normal_iteratorINS9_10device_ptrIjEEEESE_PNS0_10empty_typeENS0_5tupleIJSE_SF_EEENSH_IJSE_SG_EEENS0_18inequality_wrapperI22is_equal_div_10_uniqueIjEEEPmJSF_EEE10hipError_tPvRmT3_T4_T5_T6_T7_T9_mT8_P12ihipStream_tbDpT10_ENKUlT_T0_E_clISt17integral_constantIbLb0EES17_IbLb1EEEEDaS13_S14_EUlS13_E_NS1_11comp_targetILNS1_3genE9ELNS1_11target_archE1100ELNS1_3gpuE3ELNS1_3repE0EEENS1_30default_config_static_selectorELNS0_4arch9wavefront6targetE0EEEvT1_,"axG",@progbits,_ZN7rocprim17ROCPRIM_400000_NS6detail17trampoline_kernelINS0_14default_configENS1_25partition_config_selectorILNS1_17partition_subalgoE9EjjbEEZZNS1_14partition_implILS5_9ELb0ES3_jN6thrust23THRUST_200600_302600_NS6detail15normal_iteratorINS9_10device_ptrIjEEEESE_PNS0_10empty_typeENS0_5tupleIJSE_SF_EEENSH_IJSE_SG_EEENS0_18inequality_wrapperI22is_equal_div_10_uniqueIjEEEPmJSF_EEE10hipError_tPvRmT3_T4_T5_T6_T7_T9_mT8_P12ihipStream_tbDpT10_ENKUlT_T0_E_clISt17integral_constantIbLb0EES17_IbLb1EEEEDaS13_S14_EUlS13_E_NS1_11comp_targetILNS1_3genE9ELNS1_11target_archE1100ELNS1_3gpuE3ELNS1_3repE0EEENS1_30default_config_static_selectorELNS0_4arch9wavefront6targetE0EEEvT1_,comdat
.Lfunc_end272:
	.size	_ZN7rocprim17ROCPRIM_400000_NS6detail17trampoline_kernelINS0_14default_configENS1_25partition_config_selectorILNS1_17partition_subalgoE9EjjbEEZZNS1_14partition_implILS5_9ELb0ES3_jN6thrust23THRUST_200600_302600_NS6detail15normal_iteratorINS9_10device_ptrIjEEEESE_PNS0_10empty_typeENS0_5tupleIJSE_SF_EEENSH_IJSE_SG_EEENS0_18inequality_wrapperI22is_equal_div_10_uniqueIjEEEPmJSF_EEE10hipError_tPvRmT3_T4_T5_T6_T7_T9_mT8_P12ihipStream_tbDpT10_ENKUlT_T0_E_clISt17integral_constantIbLb0EES17_IbLb1EEEEDaS13_S14_EUlS13_E_NS1_11comp_targetILNS1_3genE9ELNS1_11target_archE1100ELNS1_3gpuE3ELNS1_3repE0EEENS1_30default_config_static_selectorELNS0_4arch9wavefront6targetE0EEEvT1_, .Lfunc_end272-_ZN7rocprim17ROCPRIM_400000_NS6detail17trampoline_kernelINS0_14default_configENS1_25partition_config_selectorILNS1_17partition_subalgoE9EjjbEEZZNS1_14partition_implILS5_9ELb0ES3_jN6thrust23THRUST_200600_302600_NS6detail15normal_iteratorINS9_10device_ptrIjEEEESE_PNS0_10empty_typeENS0_5tupleIJSE_SF_EEENSH_IJSE_SG_EEENS0_18inequality_wrapperI22is_equal_div_10_uniqueIjEEEPmJSF_EEE10hipError_tPvRmT3_T4_T5_T6_T7_T9_mT8_P12ihipStream_tbDpT10_ENKUlT_T0_E_clISt17integral_constantIbLb0EES17_IbLb1EEEEDaS13_S14_EUlS13_E_NS1_11comp_targetILNS1_3genE9ELNS1_11target_archE1100ELNS1_3gpuE3ELNS1_3repE0EEENS1_30default_config_static_selectorELNS0_4arch9wavefront6targetE0EEEvT1_
                                        ; -- End function
	.section	.AMDGPU.csdata,"",@progbits
; Kernel info:
; codeLenInByte = 10780
; NumSgprs: 31
; NumVgprs: 51
; ScratchSize: 0
; MemoryBound: 0
; FloatMode: 240
; IeeeMode: 1
; LDSByteSize: 12680 bytes/workgroup (compile time only)
; SGPRBlocks: 3
; VGPRBlocks: 6
; NumSGPRsForWavesPerEU: 31
; NumVGPRsForWavesPerEU: 51
; Occupancy: 15
; WaveLimiterHint : 1
; COMPUTE_PGM_RSRC2:SCRATCH_EN: 0
; COMPUTE_PGM_RSRC2:USER_SGPR: 15
; COMPUTE_PGM_RSRC2:TRAP_HANDLER: 0
; COMPUTE_PGM_RSRC2:TGID_X_EN: 1
; COMPUTE_PGM_RSRC2:TGID_Y_EN: 0
; COMPUTE_PGM_RSRC2:TGID_Z_EN: 0
; COMPUTE_PGM_RSRC2:TIDIG_COMP_CNT: 0
	.section	.text._ZN7rocprim17ROCPRIM_400000_NS6detail17trampoline_kernelINS0_14default_configENS1_25partition_config_selectorILNS1_17partition_subalgoE9EjjbEEZZNS1_14partition_implILS5_9ELb0ES3_jN6thrust23THRUST_200600_302600_NS6detail15normal_iteratorINS9_10device_ptrIjEEEESE_PNS0_10empty_typeENS0_5tupleIJSE_SF_EEENSH_IJSE_SG_EEENS0_18inequality_wrapperI22is_equal_div_10_uniqueIjEEEPmJSF_EEE10hipError_tPvRmT3_T4_T5_T6_T7_T9_mT8_P12ihipStream_tbDpT10_ENKUlT_T0_E_clISt17integral_constantIbLb0EES17_IbLb1EEEEDaS13_S14_EUlS13_E_NS1_11comp_targetILNS1_3genE8ELNS1_11target_archE1030ELNS1_3gpuE2ELNS1_3repE0EEENS1_30default_config_static_selectorELNS0_4arch9wavefront6targetE0EEEvT1_,"axG",@progbits,_ZN7rocprim17ROCPRIM_400000_NS6detail17trampoline_kernelINS0_14default_configENS1_25partition_config_selectorILNS1_17partition_subalgoE9EjjbEEZZNS1_14partition_implILS5_9ELb0ES3_jN6thrust23THRUST_200600_302600_NS6detail15normal_iteratorINS9_10device_ptrIjEEEESE_PNS0_10empty_typeENS0_5tupleIJSE_SF_EEENSH_IJSE_SG_EEENS0_18inequality_wrapperI22is_equal_div_10_uniqueIjEEEPmJSF_EEE10hipError_tPvRmT3_T4_T5_T6_T7_T9_mT8_P12ihipStream_tbDpT10_ENKUlT_T0_E_clISt17integral_constantIbLb0EES17_IbLb1EEEEDaS13_S14_EUlS13_E_NS1_11comp_targetILNS1_3genE8ELNS1_11target_archE1030ELNS1_3gpuE2ELNS1_3repE0EEENS1_30default_config_static_selectorELNS0_4arch9wavefront6targetE0EEEvT1_,comdat
	.protected	_ZN7rocprim17ROCPRIM_400000_NS6detail17trampoline_kernelINS0_14default_configENS1_25partition_config_selectorILNS1_17partition_subalgoE9EjjbEEZZNS1_14partition_implILS5_9ELb0ES3_jN6thrust23THRUST_200600_302600_NS6detail15normal_iteratorINS9_10device_ptrIjEEEESE_PNS0_10empty_typeENS0_5tupleIJSE_SF_EEENSH_IJSE_SG_EEENS0_18inequality_wrapperI22is_equal_div_10_uniqueIjEEEPmJSF_EEE10hipError_tPvRmT3_T4_T5_T6_T7_T9_mT8_P12ihipStream_tbDpT10_ENKUlT_T0_E_clISt17integral_constantIbLb0EES17_IbLb1EEEEDaS13_S14_EUlS13_E_NS1_11comp_targetILNS1_3genE8ELNS1_11target_archE1030ELNS1_3gpuE2ELNS1_3repE0EEENS1_30default_config_static_selectorELNS0_4arch9wavefront6targetE0EEEvT1_ ; -- Begin function _ZN7rocprim17ROCPRIM_400000_NS6detail17trampoline_kernelINS0_14default_configENS1_25partition_config_selectorILNS1_17partition_subalgoE9EjjbEEZZNS1_14partition_implILS5_9ELb0ES3_jN6thrust23THRUST_200600_302600_NS6detail15normal_iteratorINS9_10device_ptrIjEEEESE_PNS0_10empty_typeENS0_5tupleIJSE_SF_EEENSH_IJSE_SG_EEENS0_18inequality_wrapperI22is_equal_div_10_uniqueIjEEEPmJSF_EEE10hipError_tPvRmT3_T4_T5_T6_T7_T9_mT8_P12ihipStream_tbDpT10_ENKUlT_T0_E_clISt17integral_constantIbLb0EES17_IbLb1EEEEDaS13_S14_EUlS13_E_NS1_11comp_targetILNS1_3genE8ELNS1_11target_archE1030ELNS1_3gpuE2ELNS1_3repE0EEENS1_30default_config_static_selectorELNS0_4arch9wavefront6targetE0EEEvT1_
	.globl	_ZN7rocprim17ROCPRIM_400000_NS6detail17trampoline_kernelINS0_14default_configENS1_25partition_config_selectorILNS1_17partition_subalgoE9EjjbEEZZNS1_14partition_implILS5_9ELb0ES3_jN6thrust23THRUST_200600_302600_NS6detail15normal_iteratorINS9_10device_ptrIjEEEESE_PNS0_10empty_typeENS0_5tupleIJSE_SF_EEENSH_IJSE_SG_EEENS0_18inequality_wrapperI22is_equal_div_10_uniqueIjEEEPmJSF_EEE10hipError_tPvRmT3_T4_T5_T6_T7_T9_mT8_P12ihipStream_tbDpT10_ENKUlT_T0_E_clISt17integral_constantIbLb0EES17_IbLb1EEEEDaS13_S14_EUlS13_E_NS1_11comp_targetILNS1_3genE8ELNS1_11target_archE1030ELNS1_3gpuE2ELNS1_3repE0EEENS1_30default_config_static_selectorELNS0_4arch9wavefront6targetE0EEEvT1_
	.p2align	8
	.type	_ZN7rocprim17ROCPRIM_400000_NS6detail17trampoline_kernelINS0_14default_configENS1_25partition_config_selectorILNS1_17partition_subalgoE9EjjbEEZZNS1_14partition_implILS5_9ELb0ES3_jN6thrust23THRUST_200600_302600_NS6detail15normal_iteratorINS9_10device_ptrIjEEEESE_PNS0_10empty_typeENS0_5tupleIJSE_SF_EEENSH_IJSE_SG_EEENS0_18inequality_wrapperI22is_equal_div_10_uniqueIjEEEPmJSF_EEE10hipError_tPvRmT3_T4_T5_T6_T7_T9_mT8_P12ihipStream_tbDpT10_ENKUlT_T0_E_clISt17integral_constantIbLb0EES17_IbLb1EEEEDaS13_S14_EUlS13_E_NS1_11comp_targetILNS1_3genE8ELNS1_11target_archE1030ELNS1_3gpuE2ELNS1_3repE0EEENS1_30default_config_static_selectorELNS0_4arch9wavefront6targetE0EEEvT1_,@function
_ZN7rocprim17ROCPRIM_400000_NS6detail17trampoline_kernelINS0_14default_configENS1_25partition_config_selectorILNS1_17partition_subalgoE9EjjbEEZZNS1_14partition_implILS5_9ELb0ES3_jN6thrust23THRUST_200600_302600_NS6detail15normal_iteratorINS9_10device_ptrIjEEEESE_PNS0_10empty_typeENS0_5tupleIJSE_SF_EEENSH_IJSE_SG_EEENS0_18inequality_wrapperI22is_equal_div_10_uniqueIjEEEPmJSF_EEE10hipError_tPvRmT3_T4_T5_T6_T7_T9_mT8_P12ihipStream_tbDpT10_ENKUlT_T0_E_clISt17integral_constantIbLb0EES17_IbLb1EEEEDaS13_S14_EUlS13_E_NS1_11comp_targetILNS1_3genE8ELNS1_11target_archE1030ELNS1_3gpuE2ELNS1_3repE0EEENS1_30default_config_static_selectorELNS0_4arch9wavefront6targetE0EEEvT1_: ; @_ZN7rocprim17ROCPRIM_400000_NS6detail17trampoline_kernelINS0_14default_configENS1_25partition_config_selectorILNS1_17partition_subalgoE9EjjbEEZZNS1_14partition_implILS5_9ELb0ES3_jN6thrust23THRUST_200600_302600_NS6detail15normal_iteratorINS9_10device_ptrIjEEEESE_PNS0_10empty_typeENS0_5tupleIJSE_SF_EEENSH_IJSE_SG_EEENS0_18inequality_wrapperI22is_equal_div_10_uniqueIjEEEPmJSF_EEE10hipError_tPvRmT3_T4_T5_T6_T7_T9_mT8_P12ihipStream_tbDpT10_ENKUlT_T0_E_clISt17integral_constantIbLb0EES17_IbLb1EEEEDaS13_S14_EUlS13_E_NS1_11comp_targetILNS1_3genE8ELNS1_11target_archE1030ELNS1_3gpuE2ELNS1_3repE0EEENS1_30default_config_static_selectorELNS0_4arch9wavefront6targetE0EEEvT1_
; %bb.0:
	.section	.rodata,"a",@progbits
	.p2align	6, 0x0
	.amdhsa_kernel _ZN7rocprim17ROCPRIM_400000_NS6detail17trampoline_kernelINS0_14default_configENS1_25partition_config_selectorILNS1_17partition_subalgoE9EjjbEEZZNS1_14partition_implILS5_9ELb0ES3_jN6thrust23THRUST_200600_302600_NS6detail15normal_iteratorINS9_10device_ptrIjEEEESE_PNS0_10empty_typeENS0_5tupleIJSE_SF_EEENSH_IJSE_SG_EEENS0_18inequality_wrapperI22is_equal_div_10_uniqueIjEEEPmJSF_EEE10hipError_tPvRmT3_T4_T5_T6_T7_T9_mT8_P12ihipStream_tbDpT10_ENKUlT_T0_E_clISt17integral_constantIbLb0EES17_IbLb1EEEEDaS13_S14_EUlS13_E_NS1_11comp_targetILNS1_3genE8ELNS1_11target_archE1030ELNS1_3gpuE2ELNS1_3repE0EEENS1_30default_config_static_selectorELNS0_4arch9wavefront6targetE0EEEvT1_
		.amdhsa_group_segment_fixed_size 0
		.amdhsa_private_segment_fixed_size 0
		.amdhsa_kernarg_size 128
		.amdhsa_user_sgpr_count 15
		.amdhsa_user_sgpr_dispatch_ptr 0
		.amdhsa_user_sgpr_queue_ptr 0
		.amdhsa_user_sgpr_kernarg_segment_ptr 1
		.amdhsa_user_sgpr_dispatch_id 0
		.amdhsa_user_sgpr_private_segment_size 0
		.amdhsa_wavefront_size32 1
		.amdhsa_uses_dynamic_stack 0
		.amdhsa_enable_private_segment 0
		.amdhsa_system_sgpr_workgroup_id_x 1
		.amdhsa_system_sgpr_workgroup_id_y 0
		.amdhsa_system_sgpr_workgroup_id_z 0
		.amdhsa_system_sgpr_workgroup_info 0
		.amdhsa_system_vgpr_workitem_id 0
		.amdhsa_next_free_vgpr 1
		.amdhsa_next_free_sgpr 1
		.amdhsa_reserve_vcc 0
		.amdhsa_float_round_mode_32 0
		.amdhsa_float_round_mode_16_64 0
		.amdhsa_float_denorm_mode_32 3
		.amdhsa_float_denorm_mode_16_64 3
		.amdhsa_dx10_clamp 1
		.amdhsa_ieee_mode 1
		.amdhsa_fp16_overflow 0
		.amdhsa_workgroup_processor_mode 1
		.amdhsa_memory_ordered 1
		.amdhsa_forward_progress 0
		.amdhsa_shared_vgpr_count 0
		.amdhsa_exception_fp_ieee_invalid_op 0
		.amdhsa_exception_fp_denorm_src 0
		.amdhsa_exception_fp_ieee_div_zero 0
		.amdhsa_exception_fp_ieee_overflow 0
		.amdhsa_exception_fp_ieee_underflow 0
		.amdhsa_exception_fp_ieee_inexact 0
		.amdhsa_exception_int_div_zero 0
	.end_amdhsa_kernel
	.section	.text._ZN7rocprim17ROCPRIM_400000_NS6detail17trampoline_kernelINS0_14default_configENS1_25partition_config_selectorILNS1_17partition_subalgoE9EjjbEEZZNS1_14partition_implILS5_9ELb0ES3_jN6thrust23THRUST_200600_302600_NS6detail15normal_iteratorINS9_10device_ptrIjEEEESE_PNS0_10empty_typeENS0_5tupleIJSE_SF_EEENSH_IJSE_SG_EEENS0_18inequality_wrapperI22is_equal_div_10_uniqueIjEEEPmJSF_EEE10hipError_tPvRmT3_T4_T5_T6_T7_T9_mT8_P12ihipStream_tbDpT10_ENKUlT_T0_E_clISt17integral_constantIbLb0EES17_IbLb1EEEEDaS13_S14_EUlS13_E_NS1_11comp_targetILNS1_3genE8ELNS1_11target_archE1030ELNS1_3gpuE2ELNS1_3repE0EEENS1_30default_config_static_selectorELNS0_4arch9wavefront6targetE0EEEvT1_,"axG",@progbits,_ZN7rocprim17ROCPRIM_400000_NS6detail17trampoline_kernelINS0_14default_configENS1_25partition_config_selectorILNS1_17partition_subalgoE9EjjbEEZZNS1_14partition_implILS5_9ELb0ES3_jN6thrust23THRUST_200600_302600_NS6detail15normal_iteratorINS9_10device_ptrIjEEEESE_PNS0_10empty_typeENS0_5tupleIJSE_SF_EEENSH_IJSE_SG_EEENS0_18inequality_wrapperI22is_equal_div_10_uniqueIjEEEPmJSF_EEE10hipError_tPvRmT3_T4_T5_T6_T7_T9_mT8_P12ihipStream_tbDpT10_ENKUlT_T0_E_clISt17integral_constantIbLb0EES17_IbLb1EEEEDaS13_S14_EUlS13_E_NS1_11comp_targetILNS1_3genE8ELNS1_11target_archE1030ELNS1_3gpuE2ELNS1_3repE0EEENS1_30default_config_static_selectorELNS0_4arch9wavefront6targetE0EEEvT1_,comdat
.Lfunc_end273:
	.size	_ZN7rocprim17ROCPRIM_400000_NS6detail17trampoline_kernelINS0_14default_configENS1_25partition_config_selectorILNS1_17partition_subalgoE9EjjbEEZZNS1_14partition_implILS5_9ELb0ES3_jN6thrust23THRUST_200600_302600_NS6detail15normal_iteratorINS9_10device_ptrIjEEEESE_PNS0_10empty_typeENS0_5tupleIJSE_SF_EEENSH_IJSE_SG_EEENS0_18inequality_wrapperI22is_equal_div_10_uniqueIjEEEPmJSF_EEE10hipError_tPvRmT3_T4_T5_T6_T7_T9_mT8_P12ihipStream_tbDpT10_ENKUlT_T0_E_clISt17integral_constantIbLb0EES17_IbLb1EEEEDaS13_S14_EUlS13_E_NS1_11comp_targetILNS1_3genE8ELNS1_11target_archE1030ELNS1_3gpuE2ELNS1_3repE0EEENS1_30default_config_static_selectorELNS0_4arch9wavefront6targetE0EEEvT1_, .Lfunc_end273-_ZN7rocprim17ROCPRIM_400000_NS6detail17trampoline_kernelINS0_14default_configENS1_25partition_config_selectorILNS1_17partition_subalgoE9EjjbEEZZNS1_14partition_implILS5_9ELb0ES3_jN6thrust23THRUST_200600_302600_NS6detail15normal_iteratorINS9_10device_ptrIjEEEESE_PNS0_10empty_typeENS0_5tupleIJSE_SF_EEENSH_IJSE_SG_EEENS0_18inequality_wrapperI22is_equal_div_10_uniqueIjEEEPmJSF_EEE10hipError_tPvRmT3_T4_T5_T6_T7_T9_mT8_P12ihipStream_tbDpT10_ENKUlT_T0_E_clISt17integral_constantIbLb0EES17_IbLb1EEEEDaS13_S14_EUlS13_E_NS1_11comp_targetILNS1_3genE8ELNS1_11target_archE1030ELNS1_3gpuE2ELNS1_3repE0EEENS1_30default_config_static_selectorELNS0_4arch9wavefront6targetE0EEEvT1_
                                        ; -- End function
	.section	.AMDGPU.csdata,"",@progbits
; Kernel info:
; codeLenInByte = 0
; NumSgprs: 0
; NumVgprs: 0
; ScratchSize: 0
; MemoryBound: 0
; FloatMode: 240
; IeeeMode: 1
; LDSByteSize: 0 bytes/workgroup (compile time only)
; SGPRBlocks: 0
; VGPRBlocks: 0
; NumSGPRsForWavesPerEU: 1
; NumVGPRsForWavesPerEU: 1
; Occupancy: 16
; WaveLimiterHint : 0
; COMPUTE_PGM_RSRC2:SCRATCH_EN: 0
; COMPUTE_PGM_RSRC2:USER_SGPR: 15
; COMPUTE_PGM_RSRC2:TRAP_HANDLER: 0
; COMPUTE_PGM_RSRC2:TGID_X_EN: 1
; COMPUTE_PGM_RSRC2:TGID_Y_EN: 0
; COMPUTE_PGM_RSRC2:TGID_Z_EN: 0
; COMPUTE_PGM_RSRC2:TIDIG_COMP_CNT: 0
	.section	.text._ZN6thrust23THRUST_200600_302600_NS11hip_rocprim14__parallel_for6kernelILj256ENS1_20__uninitialized_fill7functorINS0_10device_ptrItEEtEEmLj1EEEvT0_T1_SA_,"axG",@progbits,_ZN6thrust23THRUST_200600_302600_NS11hip_rocprim14__parallel_for6kernelILj256ENS1_20__uninitialized_fill7functorINS0_10device_ptrItEEtEEmLj1EEEvT0_T1_SA_,comdat
	.protected	_ZN6thrust23THRUST_200600_302600_NS11hip_rocprim14__parallel_for6kernelILj256ENS1_20__uninitialized_fill7functorINS0_10device_ptrItEEtEEmLj1EEEvT0_T1_SA_ ; -- Begin function _ZN6thrust23THRUST_200600_302600_NS11hip_rocprim14__parallel_for6kernelILj256ENS1_20__uninitialized_fill7functorINS0_10device_ptrItEEtEEmLj1EEEvT0_T1_SA_
	.globl	_ZN6thrust23THRUST_200600_302600_NS11hip_rocprim14__parallel_for6kernelILj256ENS1_20__uninitialized_fill7functorINS0_10device_ptrItEEtEEmLj1EEEvT0_T1_SA_
	.p2align	8
	.type	_ZN6thrust23THRUST_200600_302600_NS11hip_rocprim14__parallel_for6kernelILj256ENS1_20__uninitialized_fill7functorINS0_10device_ptrItEEtEEmLj1EEEvT0_T1_SA_,@function
_ZN6thrust23THRUST_200600_302600_NS11hip_rocprim14__parallel_for6kernelILj256ENS1_20__uninitialized_fill7functorINS0_10device_ptrItEEtEEmLj1EEEvT0_T1_SA_: ; @_ZN6thrust23THRUST_200600_302600_NS11hip_rocprim14__parallel_for6kernelILj256ENS1_20__uninitialized_fill7functorINS0_10device_ptrItEEtEEmLj1EEEvT0_T1_SA_
; %bb.0:
	s_load_b128 s[4:7], s[0:1], 0x10
	s_lshl_b32 s2, s15, 8
	s_waitcnt lgkmcnt(0)
	s_add_u32 s2, s2, s6
	s_addc_u32 s3, 0, s7
	s_sub_u32 s4, s4, s2
	s_subb_u32 s5, s5, s3
	s_delay_alu instid0(SALU_CYCLE_1) | instskip(NEXT) | instid1(VALU_DEP_1)
	v_cmp_gt_u64_e64 s5, 0x100, s[4:5]
	s_and_b32 vcc_lo, exec_lo, s5
	s_mov_b32 s5, 0
	s_cbranch_vccz .LBB274_2
; %bb.1:
	v_cmp_gt_u32_e32 vcc_lo, s4, v0
	s_and_b32 s5, vcc_lo, exec_lo
	s_cbranch_execz .LBB274_3
	s_branch .LBB274_4
.LBB274_2:
.LBB274_3:
	s_or_b32 s5, s5, exec_lo
.LBB274_4:
	s_delay_alu instid0(SALU_CYCLE_1)
	s_and_saveexec_b32 s4, s5
	s_cbranch_execnz .LBB274_6
; %bb.5:
	s_endpgm
.LBB274_6:
	s_clause 0x1
	s_load_b64 s[4:5], s[0:1], 0x0
	s_load_b32 s6, s[0:1], 0x8
	v_mov_b32_e32 v1, 0
	s_lshl_b64 s[0:1], s[2:3], 1
	s_waitcnt lgkmcnt(0)
	s_add_u32 s0, s4, s0
	v_mov_b32_e32 v2, s6
	v_lshlrev_b64 v[0:1], 1, v[0:1]
	s_addc_u32 s1, s5, s1
	s_delay_alu instid0(VALU_DEP_1) | instskip(NEXT) | instid1(VALU_DEP_2)
	v_add_co_u32 v0, vcc_lo, s0, v0
	v_add_co_ci_u32_e32 v1, vcc_lo, s1, v1, vcc_lo
	flat_store_b16 v[0:1], v2
	s_endpgm
	.section	.rodata,"a",@progbits
	.p2align	6, 0x0
	.amdhsa_kernel _ZN6thrust23THRUST_200600_302600_NS11hip_rocprim14__parallel_for6kernelILj256ENS1_20__uninitialized_fill7functorINS0_10device_ptrItEEtEEmLj1EEEvT0_T1_SA_
		.amdhsa_group_segment_fixed_size 0
		.amdhsa_private_segment_fixed_size 0
		.amdhsa_kernarg_size 32
		.amdhsa_user_sgpr_count 15
		.amdhsa_user_sgpr_dispatch_ptr 0
		.amdhsa_user_sgpr_queue_ptr 0
		.amdhsa_user_sgpr_kernarg_segment_ptr 1
		.amdhsa_user_sgpr_dispatch_id 0
		.amdhsa_user_sgpr_private_segment_size 0
		.amdhsa_wavefront_size32 1
		.amdhsa_uses_dynamic_stack 0
		.amdhsa_enable_private_segment 0
		.amdhsa_system_sgpr_workgroup_id_x 1
		.amdhsa_system_sgpr_workgroup_id_y 0
		.amdhsa_system_sgpr_workgroup_id_z 0
		.amdhsa_system_sgpr_workgroup_info 0
		.amdhsa_system_vgpr_workitem_id 0
		.amdhsa_next_free_vgpr 3
		.amdhsa_next_free_sgpr 16
		.amdhsa_reserve_vcc 1
		.amdhsa_float_round_mode_32 0
		.amdhsa_float_round_mode_16_64 0
		.amdhsa_float_denorm_mode_32 3
		.amdhsa_float_denorm_mode_16_64 3
		.amdhsa_dx10_clamp 1
		.amdhsa_ieee_mode 1
		.amdhsa_fp16_overflow 0
		.amdhsa_workgroup_processor_mode 1
		.amdhsa_memory_ordered 1
		.amdhsa_forward_progress 0
		.amdhsa_shared_vgpr_count 0
		.amdhsa_exception_fp_ieee_invalid_op 0
		.amdhsa_exception_fp_denorm_src 0
		.amdhsa_exception_fp_ieee_div_zero 0
		.amdhsa_exception_fp_ieee_overflow 0
		.amdhsa_exception_fp_ieee_underflow 0
		.amdhsa_exception_fp_ieee_inexact 0
		.amdhsa_exception_int_div_zero 0
	.end_amdhsa_kernel
	.section	.text._ZN6thrust23THRUST_200600_302600_NS11hip_rocprim14__parallel_for6kernelILj256ENS1_20__uninitialized_fill7functorINS0_10device_ptrItEEtEEmLj1EEEvT0_T1_SA_,"axG",@progbits,_ZN6thrust23THRUST_200600_302600_NS11hip_rocprim14__parallel_for6kernelILj256ENS1_20__uninitialized_fill7functorINS0_10device_ptrItEEtEEmLj1EEEvT0_T1_SA_,comdat
.Lfunc_end274:
	.size	_ZN6thrust23THRUST_200600_302600_NS11hip_rocprim14__parallel_for6kernelILj256ENS1_20__uninitialized_fill7functorINS0_10device_ptrItEEtEEmLj1EEEvT0_T1_SA_, .Lfunc_end274-_ZN6thrust23THRUST_200600_302600_NS11hip_rocprim14__parallel_for6kernelILj256ENS1_20__uninitialized_fill7functorINS0_10device_ptrItEEtEEmLj1EEEvT0_T1_SA_
                                        ; -- End function
	.section	.AMDGPU.csdata,"",@progbits
; Kernel info:
; codeLenInByte = 176
; NumSgprs: 18
; NumVgprs: 3
; ScratchSize: 0
; MemoryBound: 0
; FloatMode: 240
; IeeeMode: 1
; LDSByteSize: 0 bytes/workgroup (compile time only)
; SGPRBlocks: 2
; VGPRBlocks: 0
; NumSGPRsForWavesPerEU: 18
; NumVGPRsForWavesPerEU: 3
; Occupancy: 16
; WaveLimiterHint : 0
; COMPUTE_PGM_RSRC2:SCRATCH_EN: 0
; COMPUTE_PGM_RSRC2:USER_SGPR: 15
; COMPUTE_PGM_RSRC2:TRAP_HANDLER: 0
; COMPUTE_PGM_RSRC2:TGID_X_EN: 1
; COMPUTE_PGM_RSRC2:TGID_Y_EN: 0
; COMPUTE_PGM_RSRC2:TGID_Z_EN: 0
; COMPUTE_PGM_RSRC2:TIDIG_COMP_CNT: 0
	.section	.text._ZN7rocprim17ROCPRIM_400000_NS6detail17trampoline_kernelINS0_14default_configENS1_25partition_config_selectorILNS1_17partition_subalgoE9EttbEEZZNS1_14partition_implILS5_9ELb0ES3_jN6thrust23THRUST_200600_302600_NS6detail15normal_iteratorINS9_10device_ptrItEEEESE_PNS0_10empty_typeENS0_5tupleIJSE_SF_EEENSH_IJSE_SG_EEENS0_18inequality_wrapperINS9_8equal_toItEEEEPmJSF_EEE10hipError_tPvRmT3_T4_T5_T6_T7_T9_mT8_P12ihipStream_tbDpT10_ENKUlT_T0_E_clISt17integral_constantIbLb0EES18_EEDaS13_S14_EUlS13_E_NS1_11comp_targetILNS1_3genE0ELNS1_11target_archE4294967295ELNS1_3gpuE0ELNS1_3repE0EEENS1_30default_config_static_selectorELNS0_4arch9wavefront6targetE0EEEvT1_,"axG",@progbits,_ZN7rocprim17ROCPRIM_400000_NS6detail17trampoline_kernelINS0_14default_configENS1_25partition_config_selectorILNS1_17partition_subalgoE9EttbEEZZNS1_14partition_implILS5_9ELb0ES3_jN6thrust23THRUST_200600_302600_NS6detail15normal_iteratorINS9_10device_ptrItEEEESE_PNS0_10empty_typeENS0_5tupleIJSE_SF_EEENSH_IJSE_SG_EEENS0_18inequality_wrapperINS9_8equal_toItEEEEPmJSF_EEE10hipError_tPvRmT3_T4_T5_T6_T7_T9_mT8_P12ihipStream_tbDpT10_ENKUlT_T0_E_clISt17integral_constantIbLb0EES18_EEDaS13_S14_EUlS13_E_NS1_11comp_targetILNS1_3genE0ELNS1_11target_archE4294967295ELNS1_3gpuE0ELNS1_3repE0EEENS1_30default_config_static_selectorELNS0_4arch9wavefront6targetE0EEEvT1_,comdat
	.protected	_ZN7rocprim17ROCPRIM_400000_NS6detail17trampoline_kernelINS0_14default_configENS1_25partition_config_selectorILNS1_17partition_subalgoE9EttbEEZZNS1_14partition_implILS5_9ELb0ES3_jN6thrust23THRUST_200600_302600_NS6detail15normal_iteratorINS9_10device_ptrItEEEESE_PNS0_10empty_typeENS0_5tupleIJSE_SF_EEENSH_IJSE_SG_EEENS0_18inequality_wrapperINS9_8equal_toItEEEEPmJSF_EEE10hipError_tPvRmT3_T4_T5_T6_T7_T9_mT8_P12ihipStream_tbDpT10_ENKUlT_T0_E_clISt17integral_constantIbLb0EES18_EEDaS13_S14_EUlS13_E_NS1_11comp_targetILNS1_3genE0ELNS1_11target_archE4294967295ELNS1_3gpuE0ELNS1_3repE0EEENS1_30default_config_static_selectorELNS0_4arch9wavefront6targetE0EEEvT1_ ; -- Begin function _ZN7rocprim17ROCPRIM_400000_NS6detail17trampoline_kernelINS0_14default_configENS1_25partition_config_selectorILNS1_17partition_subalgoE9EttbEEZZNS1_14partition_implILS5_9ELb0ES3_jN6thrust23THRUST_200600_302600_NS6detail15normal_iteratorINS9_10device_ptrItEEEESE_PNS0_10empty_typeENS0_5tupleIJSE_SF_EEENSH_IJSE_SG_EEENS0_18inequality_wrapperINS9_8equal_toItEEEEPmJSF_EEE10hipError_tPvRmT3_T4_T5_T6_T7_T9_mT8_P12ihipStream_tbDpT10_ENKUlT_T0_E_clISt17integral_constantIbLb0EES18_EEDaS13_S14_EUlS13_E_NS1_11comp_targetILNS1_3genE0ELNS1_11target_archE4294967295ELNS1_3gpuE0ELNS1_3repE0EEENS1_30default_config_static_selectorELNS0_4arch9wavefront6targetE0EEEvT1_
	.globl	_ZN7rocprim17ROCPRIM_400000_NS6detail17trampoline_kernelINS0_14default_configENS1_25partition_config_selectorILNS1_17partition_subalgoE9EttbEEZZNS1_14partition_implILS5_9ELb0ES3_jN6thrust23THRUST_200600_302600_NS6detail15normal_iteratorINS9_10device_ptrItEEEESE_PNS0_10empty_typeENS0_5tupleIJSE_SF_EEENSH_IJSE_SG_EEENS0_18inequality_wrapperINS9_8equal_toItEEEEPmJSF_EEE10hipError_tPvRmT3_T4_T5_T6_T7_T9_mT8_P12ihipStream_tbDpT10_ENKUlT_T0_E_clISt17integral_constantIbLb0EES18_EEDaS13_S14_EUlS13_E_NS1_11comp_targetILNS1_3genE0ELNS1_11target_archE4294967295ELNS1_3gpuE0ELNS1_3repE0EEENS1_30default_config_static_selectorELNS0_4arch9wavefront6targetE0EEEvT1_
	.p2align	8
	.type	_ZN7rocprim17ROCPRIM_400000_NS6detail17trampoline_kernelINS0_14default_configENS1_25partition_config_selectorILNS1_17partition_subalgoE9EttbEEZZNS1_14partition_implILS5_9ELb0ES3_jN6thrust23THRUST_200600_302600_NS6detail15normal_iteratorINS9_10device_ptrItEEEESE_PNS0_10empty_typeENS0_5tupleIJSE_SF_EEENSH_IJSE_SG_EEENS0_18inequality_wrapperINS9_8equal_toItEEEEPmJSF_EEE10hipError_tPvRmT3_T4_T5_T6_T7_T9_mT8_P12ihipStream_tbDpT10_ENKUlT_T0_E_clISt17integral_constantIbLb0EES18_EEDaS13_S14_EUlS13_E_NS1_11comp_targetILNS1_3genE0ELNS1_11target_archE4294967295ELNS1_3gpuE0ELNS1_3repE0EEENS1_30default_config_static_selectorELNS0_4arch9wavefront6targetE0EEEvT1_,@function
_ZN7rocprim17ROCPRIM_400000_NS6detail17trampoline_kernelINS0_14default_configENS1_25partition_config_selectorILNS1_17partition_subalgoE9EttbEEZZNS1_14partition_implILS5_9ELb0ES3_jN6thrust23THRUST_200600_302600_NS6detail15normal_iteratorINS9_10device_ptrItEEEESE_PNS0_10empty_typeENS0_5tupleIJSE_SF_EEENSH_IJSE_SG_EEENS0_18inequality_wrapperINS9_8equal_toItEEEEPmJSF_EEE10hipError_tPvRmT3_T4_T5_T6_T7_T9_mT8_P12ihipStream_tbDpT10_ENKUlT_T0_E_clISt17integral_constantIbLb0EES18_EEDaS13_S14_EUlS13_E_NS1_11comp_targetILNS1_3genE0ELNS1_11target_archE4294967295ELNS1_3gpuE0ELNS1_3repE0EEENS1_30default_config_static_selectorELNS0_4arch9wavefront6targetE0EEEvT1_: ; @_ZN7rocprim17ROCPRIM_400000_NS6detail17trampoline_kernelINS0_14default_configENS1_25partition_config_selectorILNS1_17partition_subalgoE9EttbEEZZNS1_14partition_implILS5_9ELb0ES3_jN6thrust23THRUST_200600_302600_NS6detail15normal_iteratorINS9_10device_ptrItEEEESE_PNS0_10empty_typeENS0_5tupleIJSE_SF_EEENSH_IJSE_SG_EEENS0_18inequality_wrapperINS9_8equal_toItEEEEPmJSF_EEE10hipError_tPvRmT3_T4_T5_T6_T7_T9_mT8_P12ihipStream_tbDpT10_ENKUlT_T0_E_clISt17integral_constantIbLb0EES18_EEDaS13_S14_EUlS13_E_NS1_11comp_targetILNS1_3genE0ELNS1_11target_archE4294967295ELNS1_3gpuE0ELNS1_3repE0EEENS1_30default_config_static_selectorELNS0_4arch9wavefront6targetE0EEEvT1_
; %bb.0:
	.section	.rodata,"a",@progbits
	.p2align	6, 0x0
	.amdhsa_kernel _ZN7rocprim17ROCPRIM_400000_NS6detail17trampoline_kernelINS0_14default_configENS1_25partition_config_selectorILNS1_17partition_subalgoE9EttbEEZZNS1_14partition_implILS5_9ELb0ES3_jN6thrust23THRUST_200600_302600_NS6detail15normal_iteratorINS9_10device_ptrItEEEESE_PNS0_10empty_typeENS0_5tupleIJSE_SF_EEENSH_IJSE_SG_EEENS0_18inequality_wrapperINS9_8equal_toItEEEEPmJSF_EEE10hipError_tPvRmT3_T4_T5_T6_T7_T9_mT8_P12ihipStream_tbDpT10_ENKUlT_T0_E_clISt17integral_constantIbLb0EES18_EEDaS13_S14_EUlS13_E_NS1_11comp_targetILNS1_3genE0ELNS1_11target_archE4294967295ELNS1_3gpuE0ELNS1_3repE0EEENS1_30default_config_static_selectorELNS0_4arch9wavefront6targetE0EEEvT1_
		.amdhsa_group_segment_fixed_size 0
		.amdhsa_private_segment_fixed_size 0
		.amdhsa_kernarg_size 112
		.amdhsa_user_sgpr_count 15
		.amdhsa_user_sgpr_dispatch_ptr 0
		.amdhsa_user_sgpr_queue_ptr 0
		.amdhsa_user_sgpr_kernarg_segment_ptr 1
		.amdhsa_user_sgpr_dispatch_id 0
		.amdhsa_user_sgpr_private_segment_size 0
		.amdhsa_wavefront_size32 1
		.amdhsa_uses_dynamic_stack 0
		.amdhsa_enable_private_segment 0
		.amdhsa_system_sgpr_workgroup_id_x 1
		.amdhsa_system_sgpr_workgroup_id_y 0
		.amdhsa_system_sgpr_workgroup_id_z 0
		.amdhsa_system_sgpr_workgroup_info 0
		.amdhsa_system_vgpr_workitem_id 0
		.amdhsa_next_free_vgpr 1
		.amdhsa_next_free_sgpr 1
		.amdhsa_reserve_vcc 0
		.amdhsa_float_round_mode_32 0
		.amdhsa_float_round_mode_16_64 0
		.amdhsa_float_denorm_mode_32 3
		.amdhsa_float_denorm_mode_16_64 3
		.amdhsa_dx10_clamp 1
		.amdhsa_ieee_mode 1
		.amdhsa_fp16_overflow 0
		.amdhsa_workgroup_processor_mode 1
		.amdhsa_memory_ordered 1
		.amdhsa_forward_progress 0
		.amdhsa_shared_vgpr_count 0
		.amdhsa_exception_fp_ieee_invalid_op 0
		.amdhsa_exception_fp_denorm_src 0
		.amdhsa_exception_fp_ieee_div_zero 0
		.amdhsa_exception_fp_ieee_overflow 0
		.amdhsa_exception_fp_ieee_underflow 0
		.amdhsa_exception_fp_ieee_inexact 0
		.amdhsa_exception_int_div_zero 0
	.end_amdhsa_kernel
	.section	.text._ZN7rocprim17ROCPRIM_400000_NS6detail17trampoline_kernelINS0_14default_configENS1_25partition_config_selectorILNS1_17partition_subalgoE9EttbEEZZNS1_14partition_implILS5_9ELb0ES3_jN6thrust23THRUST_200600_302600_NS6detail15normal_iteratorINS9_10device_ptrItEEEESE_PNS0_10empty_typeENS0_5tupleIJSE_SF_EEENSH_IJSE_SG_EEENS0_18inequality_wrapperINS9_8equal_toItEEEEPmJSF_EEE10hipError_tPvRmT3_T4_T5_T6_T7_T9_mT8_P12ihipStream_tbDpT10_ENKUlT_T0_E_clISt17integral_constantIbLb0EES18_EEDaS13_S14_EUlS13_E_NS1_11comp_targetILNS1_3genE0ELNS1_11target_archE4294967295ELNS1_3gpuE0ELNS1_3repE0EEENS1_30default_config_static_selectorELNS0_4arch9wavefront6targetE0EEEvT1_,"axG",@progbits,_ZN7rocprim17ROCPRIM_400000_NS6detail17trampoline_kernelINS0_14default_configENS1_25partition_config_selectorILNS1_17partition_subalgoE9EttbEEZZNS1_14partition_implILS5_9ELb0ES3_jN6thrust23THRUST_200600_302600_NS6detail15normal_iteratorINS9_10device_ptrItEEEESE_PNS0_10empty_typeENS0_5tupleIJSE_SF_EEENSH_IJSE_SG_EEENS0_18inequality_wrapperINS9_8equal_toItEEEEPmJSF_EEE10hipError_tPvRmT3_T4_T5_T6_T7_T9_mT8_P12ihipStream_tbDpT10_ENKUlT_T0_E_clISt17integral_constantIbLb0EES18_EEDaS13_S14_EUlS13_E_NS1_11comp_targetILNS1_3genE0ELNS1_11target_archE4294967295ELNS1_3gpuE0ELNS1_3repE0EEENS1_30default_config_static_selectorELNS0_4arch9wavefront6targetE0EEEvT1_,comdat
.Lfunc_end275:
	.size	_ZN7rocprim17ROCPRIM_400000_NS6detail17trampoline_kernelINS0_14default_configENS1_25partition_config_selectorILNS1_17partition_subalgoE9EttbEEZZNS1_14partition_implILS5_9ELb0ES3_jN6thrust23THRUST_200600_302600_NS6detail15normal_iteratorINS9_10device_ptrItEEEESE_PNS0_10empty_typeENS0_5tupleIJSE_SF_EEENSH_IJSE_SG_EEENS0_18inequality_wrapperINS9_8equal_toItEEEEPmJSF_EEE10hipError_tPvRmT3_T4_T5_T6_T7_T9_mT8_P12ihipStream_tbDpT10_ENKUlT_T0_E_clISt17integral_constantIbLb0EES18_EEDaS13_S14_EUlS13_E_NS1_11comp_targetILNS1_3genE0ELNS1_11target_archE4294967295ELNS1_3gpuE0ELNS1_3repE0EEENS1_30default_config_static_selectorELNS0_4arch9wavefront6targetE0EEEvT1_, .Lfunc_end275-_ZN7rocprim17ROCPRIM_400000_NS6detail17trampoline_kernelINS0_14default_configENS1_25partition_config_selectorILNS1_17partition_subalgoE9EttbEEZZNS1_14partition_implILS5_9ELb0ES3_jN6thrust23THRUST_200600_302600_NS6detail15normal_iteratorINS9_10device_ptrItEEEESE_PNS0_10empty_typeENS0_5tupleIJSE_SF_EEENSH_IJSE_SG_EEENS0_18inequality_wrapperINS9_8equal_toItEEEEPmJSF_EEE10hipError_tPvRmT3_T4_T5_T6_T7_T9_mT8_P12ihipStream_tbDpT10_ENKUlT_T0_E_clISt17integral_constantIbLb0EES18_EEDaS13_S14_EUlS13_E_NS1_11comp_targetILNS1_3genE0ELNS1_11target_archE4294967295ELNS1_3gpuE0ELNS1_3repE0EEENS1_30default_config_static_selectorELNS0_4arch9wavefront6targetE0EEEvT1_
                                        ; -- End function
	.section	.AMDGPU.csdata,"",@progbits
; Kernel info:
; codeLenInByte = 0
; NumSgprs: 0
; NumVgprs: 0
; ScratchSize: 0
; MemoryBound: 0
; FloatMode: 240
; IeeeMode: 1
; LDSByteSize: 0 bytes/workgroup (compile time only)
; SGPRBlocks: 0
; VGPRBlocks: 0
; NumSGPRsForWavesPerEU: 1
; NumVGPRsForWavesPerEU: 1
; Occupancy: 16
; WaveLimiterHint : 0
; COMPUTE_PGM_RSRC2:SCRATCH_EN: 0
; COMPUTE_PGM_RSRC2:USER_SGPR: 15
; COMPUTE_PGM_RSRC2:TRAP_HANDLER: 0
; COMPUTE_PGM_RSRC2:TGID_X_EN: 1
; COMPUTE_PGM_RSRC2:TGID_Y_EN: 0
; COMPUTE_PGM_RSRC2:TGID_Z_EN: 0
; COMPUTE_PGM_RSRC2:TIDIG_COMP_CNT: 0
	.section	.text._ZN7rocprim17ROCPRIM_400000_NS6detail17trampoline_kernelINS0_14default_configENS1_25partition_config_selectorILNS1_17partition_subalgoE9EttbEEZZNS1_14partition_implILS5_9ELb0ES3_jN6thrust23THRUST_200600_302600_NS6detail15normal_iteratorINS9_10device_ptrItEEEESE_PNS0_10empty_typeENS0_5tupleIJSE_SF_EEENSH_IJSE_SG_EEENS0_18inequality_wrapperINS9_8equal_toItEEEEPmJSF_EEE10hipError_tPvRmT3_T4_T5_T6_T7_T9_mT8_P12ihipStream_tbDpT10_ENKUlT_T0_E_clISt17integral_constantIbLb0EES18_EEDaS13_S14_EUlS13_E_NS1_11comp_targetILNS1_3genE5ELNS1_11target_archE942ELNS1_3gpuE9ELNS1_3repE0EEENS1_30default_config_static_selectorELNS0_4arch9wavefront6targetE0EEEvT1_,"axG",@progbits,_ZN7rocprim17ROCPRIM_400000_NS6detail17trampoline_kernelINS0_14default_configENS1_25partition_config_selectorILNS1_17partition_subalgoE9EttbEEZZNS1_14partition_implILS5_9ELb0ES3_jN6thrust23THRUST_200600_302600_NS6detail15normal_iteratorINS9_10device_ptrItEEEESE_PNS0_10empty_typeENS0_5tupleIJSE_SF_EEENSH_IJSE_SG_EEENS0_18inequality_wrapperINS9_8equal_toItEEEEPmJSF_EEE10hipError_tPvRmT3_T4_T5_T6_T7_T9_mT8_P12ihipStream_tbDpT10_ENKUlT_T0_E_clISt17integral_constantIbLb0EES18_EEDaS13_S14_EUlS13_E_NS1_11comp_targetILNS1_3genE5ELNS1_11target_archE942ELNS1_3gpuE9ELNS1_3repE0EEENS1_30default_config_static_selectorELNS0_4arch9wavefront6targetE0EEEvT1_,comdat
	.protected	_ZN7rocprim17ROCPRIM_400000_NS6detail17trampoline_kernelINS0_14default_configENS1_25partition_config_selectorILNS1_17partition_subalgoE9EttbEEZZNS1_14partition_implILS5_9ELb0ES3_jN6thrust23THRUST_200600_302600_NS6detail15normal_iteratorINS9_10device_ptrItEEEESE_PNS0_10empty_typeENS0_5tupleIJSE_SF_EEENSH_IJSE_SG_EEENS0_18inequality_wrapperINS9_8equal_toItEEEEPmJSF_EEE10hipError_tPvRmT3_T4_T5_T6_T7_T9_mT8_P12ihipStream_tbDpT10_ENKUlT_T0_E_clISt17integral_constantIbLb0EES18_EEDaS13_S14_EUlS13_E_NS1_11comp_targetILNS1_3genE5ELNS1_11target_archE942ELNS1_3gpuE9ELNS1_3repE0EEENS1_30default_config_static_selectorELNS0_4arch9wavefront6targetE0EEEvT1_ ; -- Begin function _ZN7rocprim17ROCPRIM_400000_NS6detail17trampoline_kernelINS0_14default_configENS1_25partition_config_selectorILNS1_17partition_subalgoE9EttbEEZZNS1_14partition_implILS5_9ELb0ES3_jN6thrust23THRUST_200600_302600_NS6detail15normal_iteratorINS9_10device_ptrItEEEESE_PNS0_10empty_typeENS0_5tupleIJSE_SF_EEENSH_IJSE_SG_EEENS0_18inequality_wrapperINS9_8equal_toItEEEEPmJSF_EEE10hipError_tPvRmT3_T4_T5_T6_T7_T9_mT8_P12ihipStream_tbDpT10_ENKUlT_T0_E_clISt17integral_constantIbLb0EES18_EEDaS13_S14_EUlS13_E_NS1_11comp_targetILNS1_3genE5ELNS1_11target_archE942ELNS1_3gpuE9ELNS1_3repE0EEENS1_30default_config_static_selectorELNS0_4arch9wavefront6targetE0EEEvT1_
	.globl	_ZN7rocprim17ROCPRIM_400000_NS6detail17trampoline_kernelINS0_14default_configENS1_25partition_config_selectorILNS1_17partition_subalgoE9EttbEEZZNS1_14partition_implILS5_9ELb0ES3_jN6thrust23THRUST_200600_302600_NS6detail15normal_iteratorINS9_10device_ptrItEEEESE_PNS0_10empty_typeENS0_5tupleIJSE_SF_EEENSH_IJSE_SG_EEENS0_18inequality_wrapperINS9_8equal_toItEEEEPmJSF_EEE10hipError_tPvRmT3_T4_T5_T6_T7_T9_mT8_P12ihipStream_tbDpT10_ENKUlT_T0_E_clISt17integral_constantIbLb0EES18_EEDaS13_S14_EUlS13_E_NS1_11comp_targetILNS1_3genE5ELNS1_11target_archE942ELNS1_3gpuE9ELNS1_3repE0EEENS1_30default_config_static_selectorELNS0_4arch9wavefront6targetE0EEEvT1_
	.p2align	8
	.type	_ZN7rocprim17ROCPRIM_400000_NS6detail17trampoline_kernelINS0_14default_configENS1_25partition_config_selectorILNS1_17partition_subalgoE9EttbEEZZNS1_14partition_implILS5_9ELb0ES3_jN6thrust23THRUST_200600_302600_NS6detail15normal_iteratorINS9_10device_ptrItEEEESE_PNS0_10empty_typeENS0_5tupleIJSE_SF_EEENSH_IJSE_SG_EEENS0_18inequality_wrapperINS9_8equal_toItEEEEPmJSF_EEE10hipError_tPvRmT3_T4_T5_T6_T7_T9_mT8_P12ihipStream_tbDpT10_ENKUlT_T0_E_clISt17integral_constantIbLb0EES18_EEDaS13_S14_EUlS13_E_NS1_11comp_targetILNS1_3genE5ELNS1_11target_archE942ELNS1_3gpuE9ELNS1_3repE0EEENS1_30default_config_static_selectorELNS0_4arch9wavefront6targetE0EEEvT1_,@function
_ZN7rocprim17ROCPRIM_400000_NS6detail17trampoline_kernelINS0_14default_configENS1_25partition_config_selectorILNS1_17partition_subalgoE9EttbEEZZNS1_14partition_implILS5_9ELb0ES3_jN6thrust23THRUST_200600_302600_NS6detail15normal_iteratorINS9_10device_ptrItEEEESE_PNS0_10empty_typeENS0_5tupleIJSE_SF_EEENSH_IJSE_SG_EEENS0_18inequality_wrapperINS9_8equal_toItEEEEPmJSF_EEE10hipError_tPvRmT3_T4_T5_T6_T7_T9_mT8_P12ihipStream_tbDpT10_ENKUlT_T0_E_clISt17integral_constantIbLb0EES18_EEDaS13_S14_EUlS13_E_NS1_11comp_targetILNS1_3genE5ELNS1_11target_archE942ELNS1_3gpuE9ELNS1_3repE0EEENS1_30default_config_static_selectorELNS0_4arch9wavefront6targetE0EEEvT1_: ; @_ZN7rocprim17ROCPRIM_400000_NS6detail17trampoline_kernelINS0_14default_configENS1_25partition_config_selectorILNS1_17partition_subalgoE9EttbEEZZNS1_14partition_implILS5_9ELb0ES3_jN6thrust23THRUST_200600_302600_NS6detail15normal_iteratorINS9_10device_ptrItEEEESE_PNS0_10empty_typeENS0_5tupleIJSE_SF_EEENSH_IJSE_SG_EEENS0_18inequality_wrapperINS9_8equal_toItEEEEPmJSF_EEE10hipError_tPvRmT3_T4_T5_T6_T7_T9_mT8_P12ihipStream_tbDpT10_ENKUlT_T0_E_clISt17integral_constantIbLb0EES18_EEDaS13_S14_EUlS13_E_NS1_11comp_targetILNS1_3genE5ELNS1_11target_archE942ELNS1_3gpuE9ELNS1_3repE0EEENS1_30default_config_static_selectorELNS0_4arch9wavefront6targetE0EEEvT1_
; %bb.0:
	.section	.rodata,"a",@progbits
	.p2align	6, 0x0
	.amdhsa_kernel _ZN7rocprim17ROCPRIM_400000_NS6detail17trampoline_kernelINS0_14default_configENS1_25partition_config_selectorILNS1_17partition_subalgoE9EttbEEZZNS1_14partition_implILS5_9ELb0ES3_jN6thrust23THRUST_200600_302600_NS6detail15normal_iteratorINS9_10device_ptrItEEEESE_PNS0_10empty_typeENS0_5tupleIJSE_SF_EEENSH_IJSE_SG_EEENS0_18inequality_wrapperINS9_8equal_toItEEEEPmJSF_EEE10hipError_tPvRmT3_T4_T5_T6_T7_T9_mT8_P12ihipStream_tbDpT10_ENKUlT_T0_E_clISt17integral_constantIbLb0EES18_EEDaS13_S14_EUlS13_E_NS1_11comp_targetILNS1_3genE5ELNS1_11target_archE942ELNS1_3gpuE9ELNS1_3repE0EEENS1_30default_config_static_selectorELNS0_4arch9wavefront6targetE0EEEvT1_
		.amdhsa_group_segment_fixed_size 0
		.amdhsa_private_segment_fixed_size 0
		.amdhsa_kernarg_size 112
		.amdhsa_user_sgpr_count 15
		.amdhsa_user_sgpr_dispatch_ptr 0
		.amdhsa_user_sgpr_queue_ptr 0
		.amdhsa_user_sgpr_kernarg_segment_ptr 1
		.amdhsa_user_sgpr_dispatch_id 0
		.amdhsa_user_sgpr_private_segment_size 0
		.amdhsa_wavefront_size32 1
		.amdhsa_uses_dynamic_stack 0
		.amdhsa_enable_private_segment 0
		.amdhsa_system_sgpr_workgroup_id_x 1
		.amdhsa_system_sgpr_workgroup_id_y 0
		.amdhsa_system_sgpr_workgroup_id_z 0
		.amdhsa_system_sgpr_workgroup_info 0
		.amdhsa_system_vgpr_workitem_id 0
		.amdhsa_next_free_vgpr 1
		.amdhsa_next_free_sgpr 1
		.amdhsa_reserve_vcc 0
		.amdhsa_float_round_mode_32 0
		.amdhsa_float_round_mode_16_64 0
		.amdhsa_float_denorm_mode_32 3
		.amdhsa_float_denorm_mode_16_64 3
		.amdhsa_dx10_clamp 1
		.amdhsa_ieee_mode 1
		.amdhsa_fp16_overflow 0
		.amdhsa_workgroup_processor_mode 1
		.amdhsa_memory_ordered 1
		.amdhsa_forward_progress 0
		.amdhsa_shared_vgpr_count 0
		.amdhsa_exception_fp_ieee_invalid_op 0
		.amdhsa_exception_fp_denorm_src 0
		.amdhsa_exception_fp_ieee_div_zero 0
		.amdhsa_exception_fp_ieee_overflow 0
		.amdhsa_exception_fp_ieee_underflow 0
		.amdhsa_exception_fp_ieee_inexact 0
		.amdhsa_exception_int_div_zero 0
	.end_amdhsa_kernel
	.section	.text._ZN7rocprim17ROCPRIM_400000_NS6detail17trampoline_kernelINS0_14default_configENS1_25partition_config_selectorILNS1_17partition_subalgoE9EttbEEZZNS1_14partition_implILS5_9ELb0ES3_jN6thrust23THRUST_200600_302600_NS6detail15normal_iteratorINS9_10device_ptrItEEEESE_PNS0_10empty_typeENS0_5tupleIJSE_SF_EEENSH_IJSE_SG_EEENS0_18inequality_wrapperINS9_8equal_toItEEEEPmJSF_EEE10hipError_tPvRmT3_T4_T5_T6_T7_T9_mT8_P12ihipStream_tbDpT10_ENKUlT_T0_E_clISt17integral_constantIbLb0EES18_EEDaS13_S14_EUlS13_E_NS1_11comp_targetILNS1_3genE5ELNS1_11target_archE942ELNS1_3gpuE9ELNS1_3repE0EEENS1_30default_config_static_selectorELNS0_4arch9wavefront6targetE0EEEvT1_,"axG",@progbits,_ZN7rocprim17ROCPRIM_400000_NS6detail17trampoline_kernelINS0_14default_configENS1_25partition_config_selectorILNS1_17partition_subalgoE9EttbEEZZNS1_14partition_implILS5_9ELb0ES3_jN6thrust23THRUST_200600_302600_NS6detail15normal_iteratorINS9_10device_ptrItEEEESE_PNS0_10empty_typeENS0_5tupleIJSE_SF_EEENSH_IJSE_SG_EEENS0_18inequality_wrapperINS9_8equal_toItEEEEPmJSF_EEE10hipError_tPvRmT3_T4_T5_T6_T7_T9_mT8_P12ihipStream_tbDpT10_ENKUlT_T0_E_clISt17integral_constantIbLb0EES18_EEDaS13_S14_EUlS13_E_NS1_11comp_targetILNS1_3genE5ELNS1_11target_archE942ELNS1_3gpuE9ELNS1_3repE0EEENS1_30default_config_static_selectorELNS0_4arch9wavefront6targetE0EEEvT1_,comdat
.Lfunc_end276:
	.size	_ZN7rocprim17ROCPRIM_400000_NS6detail17trampoline_kernelINS0_14default_configENS1_25partition_config_selectorILNS1_17partition_subalgoE9EttbEEZZNS1_14partition_implILS5_9ELb0ES3_jN6thrust23THRUST_200600_302600_NS6detail15normal_iteratorINS9_10device_ptrItEEEESE_PNS0_10empty_typeENS0_5tupleIJSE_SF_EEENSH_IJSE_SG_EEENS0_18inequality_wrapperINS9_8equal_toItEEEEPmJSF_EEE10hipError_tPvRmT3_T4_T5_T6_T7_T9_mT8_P12ihipStream_tbDpT10_ENKUlT_T0_E_clISt17integral_constantIbLb0EES18_EEDaS13_S14_EUlS13_E_NS1_11comp_targetILNS1_3genE5ELNS1_11target_archE942ELNS1_3gpuE9ELNS1_3repE0EEENS1_30default_config_static_selectorELNS0_4arch9wavefront6targetE0EEEvT1_, .Lfunc_end276-_ZN7rocprim17ROCPRIM_400000_NS6detail17trampoline_kernelINS0_14default_configENS1_25partition_config_selectorILNS1_17partition_subalgoE9EttbEEZZNS1_14partition_implILS5_9ELb0ES3_jN6thrust23THRUST_200600_302600_NS6detail15normal_iteratorINS9_10device_ptrItEEEESE_PNS0_10empty_typeENS0_5tupleIJSE_SF_EEENSH_IJSE_SG_EEENS0_18inequality_wrapperINS9_8equal_toItEEEEPmJSF_EEE10hipError_tPvRmT3_T4_T5_T6_T7_T9_mT8_P12ihipStream_tbDpT10_ENKUlT_T0_E_clISt17integral_constantIbLb0EES18_EEDaS13_S14_EUlS13_E_NS1_11comp_targetILNS1_3genE5ELNS1_11target_archE942ELNS1_3gpuE9ELNS1_3repE0EEENS1_30default_config_static_selectorELNS0_4arch9wavefront6targetE0EEEvT1_
                                        ; -- End function
	.section	.AMDGPU.csdata,"",@progbits
; Kernel info:
; codeLenInByte = 0
; NumSgprs: 0
; NumVgprs: 0
; ScratchSize: 0
; MemoryBound: 0
; FloatMode: 240
; IeeeMode: 1
; LDSByteSize: 0 bytes/workgroup (compile time only)
; SGPRBlocks: 0
; VGPRBlocks: 0
; NumSGPRsForWavesPerEU: 1
; NumVGPRsForWavesPerEU: 1
; Occupancy: 16
; WaveLimiterHint : 0
; COMPUTE_PGM_RSRC2:SCRATCH_EN: 0
; COMPUTE_PGM_RSRC2:USER_SGPR: 15
; COMPUTE_PGM_RSRC2:TRAP_HANDLER: 0
; COMPUTE_PGM_RSRC2:TGID_X_EN: 1
; COMPUTE_PGM_RSRC2:TGID_Y_EN: 0
; COMPUTE_PGM_RSRC2:TGID_Z_EN: 0
; COMPUTE_PGM_RSRC2:TIDIG_COMP_CNT: 0
	.section	.text._ZN7rocprim17ROCPRIM_400000_NS6detail17trampoline_kernelINS0_14default_configENS1_25partition_config_selectorILNS1_17partition_subalgoE9EttbEEZZNS1_14partition_implILS5_9ELb0ES3_jN6thrust23THRUST_200600_302600_NS6detail15normal_iteratorINS9_10device_ptrItEEEESE_PNS0_10empty_typeENS0_5tupleIJSE_SF_EEENSH_IJSE_SG_EEENS0_18inequality_wrapperINS9_8equal_toItEEEEPmJSF_EEE10hipError_tPvRmT3_T4_T5_T6_T7_T9_mT8_P12ihipStream_tbDpT10_ENKUlT_T0_E_clISt17integral_constantIbLb0EES18_EEDaS13_S14_EUlS13_E_NS1_11comp_targetILNS1_3genE4ELNS1_11target_archE910ELNS1_3gpuE8ELNS1_3repE0EEENS1_30default_config_static_selectorELNS0_4arch9wavefront6targetE0EEEvT1_,"axG",@progbits,_ZN7rocprim17ROCPRIM_400000_NS6detail17trampoline_kernelINS0_14default_configENS1_25partition_config_selectorILNS1_17partition_subalgoE9EttbEEZZNS1_14partition_implILS5_9ELb0ES3_jN6thrust23THRUST_200600_302600_NS6detail15normal_iteratorINS9_10device_ptrItEEEESE_PNS0_10empty_typeENS0_5tupleIJSE_SF_EEENSH_IJSE_SG_EEENS0_18inequality_wrapperINS9_8equal_toItEEEEPmJSF_EEE10hipError_tPvRmT3_T4_T5_T6_T7_T9_mT8_P12ihipStream_tbDpT10_ENKUlT_T0_E_clISt17integral_constantIbLb0EES18_EEDaS13_S14_EUlS13_E_NS1_11comp_targetILNS1_3genE4ELNS1_11target_archE910ELNS1_3gpuE8ELNS1_3repE0EEENS1_30default_config_static_selectorELNS0_4arch9wavefront6targetE0EEEvT1_,comdat
	.protected	_ZN7rocprim17ROCPRIM_400000_NS6detail17trampoline_kernelINS0_14default_configENS1_25partition_config_selectorILNS1_17partition_subalgoE9EttbEEZZNS1_14partition_implILS5_9ELb0ES3_jN6thrust23THRUST_200600_302600_NS6detail15normal_iteratorINS9_10device_ptrItEEEESE_PNS0_10empty_typeENS0_5tupleIJSE_SF_EEENSH_IJSE_SG_EEENS0_18inequality_wrapperINS9_8equal_toItEEEEPmJSF_EEE10hipError_tPvRmT3_T4_T5_T6_T7_T9_mT8_P12ihipStream_tbDpT10_ENKUlT_T0_E_clISt17integral_constantIbLb0EES18_EEDaS13_S14_EUlS13_E_NS1_11comp_targetILNS1_3genE4ELNS1_11target_archE910ELNS1_3gpuE8ELNS1_3repE0EEENS1_30default_config_static_selectorELNS0_4arch9wavefront6targetE0EEEvT1_ ; -- Begin function _ZN7rocprim17ROCPRIM_400000_NS6detail17trampoline_kernelINS0_14default_configENS1_25partition_config_selectorILNS1_17partition_subalgoE9EttbEEZZNS1_14partition_implILS5_9ELb0ES3_jN6thrust23THRUST_200600_302600_NS6detail15normal_iteratorINS9_10device_ptrItEEEESE_PNS0_10empty_typeENS0_5tupleIJSE_SF_EEENSH_IJSE_SG_EEENS0_18inequality_wrapperINS9_8equal_toItEEEEPmJSF_EEE10hipError_tPvRmT3_T4_T5_T6_T7_T9_mT8_P12ihipStream_tbDpT10_ENKUlT_T0_E_clISt17integral_constantIbLb0EES18_EEDaS13_S14_EUlS13_E_NS1_11comp_targetILNS1_3genE4ELNS1_11target_archE910ELNS1_3gpuE8ELNS1_3repE0EEENS1_30default_config_static_selectorELNS0_4arch9wavefront6targetE0EEEvT1_
	.globl	_ZN7rocprim17ROCPRIM_400000_NS6detail17trampoline_kernelINS0_14default_configENS1_25partition_config_selectorILNS1_17partition_subalgoE9EttbEEZZNS1_14partition_implILS5_9ELb0ES3_jN6thrust23THRUST_200600_302600_NS6detail15normal_iteratorINS9_10device_ptrItEEEESE_PNS0_10empty_typeENS0_5tupleIJSE_SF_EEENSH_IJSE_SG_EEENS0_18inequality_wrapperINS9_8equal_toItEEEEPmJSF_EEE10hipError_tPvRmT3_T4_T5_T6_T7_T9_mT8_P12ihipStream_tbDpT10_ENKUlT_T0_E_clISt17integral_constantIbLb0EES18_EEDaS13_S14_EUlS13_E_NS1_11comp_targetILNS1_3genE4ELNS1_11target_archE910ELNS1_3gpuE8ELNS1_3repE0EEENS1_30default_config_static_selectorELNS0_4arch9wavefront6targetE0EEEvT1_
	.p2align	8
	.type	_ZN7rocprim17ROCPRIM_400000_NS6detail17trampoline_kernelINS0_14default_configENS1_25partition_config_selectorILNS1_17partition_subalgoE9EttbEEZZNS1_14partition_implILS5_9ELb0ES3_jN6thrust23THRUST_200600_302600_NS6detail15normal_iteratorINS9_10device_ptrItEEEESE_PNS0_10empty_typeENS0_5tupleIJSE_SF_EEENSH_IJSE_SG_EEENS0_18inequality_wrapperINS9_8equal_toItEEEEPmJSF_EEE10hipError_tPvRmT3_T4_T5_T6_T7_T9_mT8_P12ihipStream_tbDpT10_ENKUlT_T0_E_clISt17integral_constantIbLb0EES18_EEDaS13_S14_EUlS13_E_NS1_11comp_targetILNS1_3genE4ELNS1_11target_archE910ELNS1_3gpuE8ELNS1_3repE0EEENS1_30default_config_static_selectorELNS0_4arch9wavefront6targetE0EEEvT1_,@function
_ZN7rocprim17ROCPRIM_400000_NS6detail17trampoline_kernelINS0_14default_configENS1_25partition_config_selectorILNS1_17partition_subalgoE9EttbEEZZNS1_14partition_implILS5_9ELb0ES3_jN6thrust23THRUST_200600_302600_NS6detail15normal_iteratorINS9_10device_ptrItEEEESE_PNS0_10empty_typeENS0_5tupleIJSE_SF_EEENSH_IJSE_SG_EEENS0_18inequality_wrapperINS9_8equal_toItEEEEPmJSF_EEE10hipError_tPvRmT3_T4_T5_T6_T7_T9_mT8_P12ihipStream_tbDpT10_ENKUlT_T0_E_clISt17integral_constantIbLb0EES18_EEDaS13_S14_EUlS13_E_NS1_11comp_targetILNS1_3genE4ELNS1_11target_archE910ELNS1_3gpuE8ELNS1_3repE0EEENS1_30default_config_static_selectorELNS0_4arch9wavefront6targetE0EEEvT1_: ; @_ZN7rocprim17ROCPRIM_400000_NS6detail17trampoline_kernelINS0_14default_configENS1_25partition_config_selectorILNS1_17partition_subalgoE9EttbEEZZNS1_14partition_implILS5_9ELb0ES3_jN6thrust23THRUST_200600_302600_NS6detail15normal_iteratorINS9_10device_ptrItEEEESE_PNS0_10empty_typeENS0_5tupleIJSE_SF_EEENSH_IJSE_SG_EEENS0_18inequality_wrapperINS9_8equal_toItEEEEPmJSF_EEE10hipError_tPvRmT3_T4_T5_T6_T7_T9_mT8_P12ihipStream_tbDpT10_ENKUlT_T0_E_clISt17integral_constantIbLb0EES18_EEDaS13_S14_EUlS13_E_NS1_11comp_targetILNS1_3genE4ELNS1_11target_archE910ELNS1_3gpuE8ELNS1_3repE0EEENS1_30default_config_static_selectorELNS0_4arch9wavefront6targetE0EEEvT1_
; %bb.0:
	.section	.rodata,"a",@progbits
	.p2align	6, 0x0
	.amdhsa_kernel _ZN7rocprim17ROCPRIM_400000_NS6detail17trampoline_kernelINS0_14default_configENS1_25partition_config_selectorILNS1_17partition_subalgoE9EttbEEZZNS1_14partition_implILS5_9ELb0ES3_jN6thrust23THRUST_200600_302600_NS6detail15normal_iteratorINS9_10device_ptrItEEEESE_PNS0_10empty_typeENS0_5tupleIJSE_SF_EEENSH_IJSE_SG_EEENS0_18inequality_wrapperINS9_8equal_toItEEEEPmJSF_EEE10hipError_tPvRmT3_T4_T5_T6_T7_T9_mT8_P12ihipStream_tbDpT10_ENKUlT_T0_E_clISt17integral_constantIbLb0EES18_EEDaS13_S14_EUlS13_E_NS1_11comp_targetILNS1_3genE4ELNS1_11target_archE910ELNS1_3gpuE8ELNS1_3repE0EEENS1_30default_config_static_selectorELNS0_4arch9wavefront6targetE0EEEvT1_
		.amdhsa_group_segment_fixed_size 0
		.amdhsa_private_segment_fixed_size 0
		.amdhsa_kernarg_size 112
		.amdhsa_user_sgpr_count 15
		.amdhsa_user_sgpr_dispatch_ptr 0
		.amdhsa_user_sgpr_queue_ptr 0
		.amdhsa_user_sgpr_kernarg_segment_ptr 1
		.amdhsa_user_sgpr_dispatch_id 0
		.amdhsa_user_sgpr_private_segment_size 0
		.amdhsa_wavefront_size32 1
		.amdhsa_uses_dynamic_stack 0
		.amdhsa_enable_private_segment 0
		.amdhsa_system_sgpr_workgroup_id_x 1
		.amdhsa_system_sgpr_workgroup_id_y 0
		.amdhsa_system_sgpr_workgroup_id_z 0
		.amdhsa_system_sgpr_workgroup_info 0
		.amdhsa_system_vgpr_workitem_id 0
		.amdhsa_next_free_vgpr 1
		.amdhsa_next_free_sgpr 1
		.amdhsa_reserve_vcc 0
		.amdhsa_float_round_mode_32 0
		.amdhsa_float_round_mode_16_64 0
		.amdhsa_float_denorm_mode_32 3
		.amdhsa_float_denorm_mode_16_64 3
		.amdhsa_dx10_clamp 1
		.amdhsa_ieee_mode 1
		.amdhsa_fp16_overflow 0
		.amdhsa_workgroup_processor_mode 1
		.amdhsa_memory_ordered 1
		.amdhsa_forward_progress 0
		.amdhsa_shared_vgpr_count 0
		.amdhsa_exception_fp_ieee_invalid_op 0
		.amdhsa_exception_fp_denorm_src 0
		.amdhsa_exception_fp_ieee_div_zero 0
		.amdhsa_exception_fp_ieee_overflow 0
		.amdhsa_exception_fp_ieee_underflow 0
		.amdhsa_exception_fp_ieee_inexact 0
		.amdhsa_exception_int_div_zero 0
	.end_amdhsa_kernel
	.section	.text._ZN7rocprim17ROCPRIM_400000_NS6detail17trampoline_kernelINS0_14default_configENS1_25partition_config_selectorILNS1_17partition_subalgoE9EttbEEZZNS1_14partition_implILS5_9ELb0ES3_jN6thrust23THRUST_200600_302600_NS6detail15normal_iteratorINS9_10device_ptrItEEEESE_PNS0_10empty_typeENS0_5tupleIJSE_SF_EEENSH_IJSE_SG_EEENS0_18inequality_wrapperINS9_8equal_toItEEEEPmJSF_EEE10hipError_tPvRmT3_T4_T5_T6_T7_T9_mT8_P12ihipStream_tbDpT10_ENKUlT_T0_E_clISt17integral_constantIbLb0EES18_EEDaS13_S14_EUlS13_E_NS1_11comp_targetILNS1_3genE4ELNS1_11target_archE910ELNS1_3gpuE8ELNS1_3repE0EEENS1_30default_config_static_selectorELNS0_4arch9wavefront6targetE0EEEvT1_,"axG",@progbits,_ZN7rocprim17ROCPRIM_400000_NS6detail17trampoline_kernelINS0_14default_configENS1_25partition_config_selectorILNS1_17partition_subalgoE9EttbEEZZNS1_14partition_implILS5_9ELb0ES3_jN6thrust23THRUST_200600_302600_NS6detail15normal_iteratorINS9_10device_ptrItEEEESE_PNS0_10empty_typeENS0_5tupleIJSE_SF_EEENSH_IJSE_SG_EEENS0_18inequality_wrapperINS9_8equal_toItEEEEPmJSF_EEE10hipError_tPvRmT3_T4_T5_T6_T7_T9_mT8_P12ihipStream_tbDpT10_ENKUlT_T0_E_clISt17integral_constantIbLb0EES18_EEDaS13_S14_EUlS13_E_NS1_11comp_targetILNS1_3genE4ELNS1_11target_archE910ELNS1_3gpuE8ELNS1_3repE0EEENS1_30default_config_static_selectorELNS0_4arch9wavefront6targetE0EEEvT1_,comdat
.Lfunc_end277:
	.size	_ZN7rocprim17ROCPRIM_400000_NS6detail17trampoline_kernelINS0_14default_configENS1_25partition_config_selectorILNS1_17partition_subalgoE9EttbEEZZNS1_14partition_implILS5_9ELb0ES3_jN6thrust23THRUST_200600_302600_NS6detail15normal_iteratorINS9_10device_ptrItEEEESE_PNS0_10empty_typeENS0_5tupleIJSE_SF_EEENSH_IJSE_SG_EEENS0_18inequality_wrapperINS9_8equal_toItEEEEPmJSF_EEE10hipError_tPvRmT3_T4_T5_T6_T7_T9_mT8_P12ihipStream_tbDpT10_ENKUlT_T0_E_clISt17integral_constantIbLb0EES18_EEDaS13_S14_EUlS13_E_NS1_11comp_targetILNS1_3genE4ELNS1_11target_archE910ELNS1_3gpuE8ELNS1_3repE0EEENS1_30default_config_static_selectorELNS0_4arch9wavefront6targetE0EEEvT1_, .Lfunc_end277-_ZN7rocprim17ROCPRIM_400000_NS6detail17trampoline_kernelINS0_14default_configENS1_25partition_config_selectorILNS1_17partition_subalgoE9EttbEEZZNS1_14partition_implILS5_9ELb0ES3_jN6thrust23THRUST_200600_302600_NS6detail15normal_iteratorINS9_10device_ptrItEEEESE_PNS0_10empty_typeENS0_5tupleIJSE_SF_EEENSH_IJSE_SG_EEENS0_18inequality_wrapperINS9_8equal_toItEEEEPmJSF_EEE10hipError_tPvRmT3_T4_T5_T6_T7_T9_mT8_P12ihipStream_tbDpT10_ENKUlT_T0_E_clISt17integral_constantIbLb0EES18_EEDaS13_S14_EUlS13_E_NS1_11comp_targetILNS1_3genE4ELNS1_11target_archE910ELNS1_3gpuE8ELNS1_3repE0EEENS1_30default_config_static_selectorELNS0_4arch9wavefront6targetE0EEEvT1_
                                        ; -- End function
	.section	.AMDGPU.csdata,"",@progbits
; Kernel info:
; codeLenInByte = 0
; NumSgprs: 0
; NumVgprs: 0
; ScratchSize: 0
; MemoryBound: 0
; FloatMode: 240
; IeeeMode: 1
; LDSByteSize: 0 bytes/workgroup (compile time only)
; SGPRBlocks: 0
; VGPRBlocks: 0
; NumSGPRsForWavesPerEU: 1
; NumVGPRsForWavesPerEU: 1
; Occupancy: 16
; WaveLimiterHint : 0
; COMPUTE_PGM_RSRC2:SCRATCH_EN: 0
; COMPUTE_PGM_RSRC2:USER_SGPR: 15
; COMPUTE_PGM_RSRC2:TRAP_HANDLER: 0
; COMPUTE_PGM_RSRC2:TGID_X_EN: 1
; COMPUTE_PGM_RSRC2:TGID_Y_EN: 0
; COMPUTE_PGM_RSRC2:TGID_Z_EN: 0
; COMPUTE_PGM_RSRC2:TIDIG_COMP_CNT: 0
	.section	.text._ZN7rocprim17ROCPRIM_400000_NS6detail17trampoline_kernelINS0_14default_configENS1_25partition_config_selectorILNS1_17partition_subalgoE9EttbEEZZNS1_14partition_implILS5_9ELb0ES3_jN6thrust23THRUST_200600_302600_NS6detail15normal_iteratorINS9_10device_ptrItEEEESE_PNS0_10empty_typeENS0_5tupleIJSE_SF_EEENSH_IJSE_SG_EEENS0_18inequality_wrapperINS9_8equal_toItEEEEPmJSF_EEE10hipError_tPvRmT3_T4_T5_T6_T7_T9_mT8_P12ihipStream_tbDpT10_ENKUlT_T0_E_clISt17integral_constantIbLb0EES18_EEDaS13_S14_EUlS13_E_NS1_11comp_targetILNS1_3genE3ELNS1_11target_archE908ELNS1_3gpuE7ELNS1_3repE0EEENS1_30default_config_static_selectorELNS0_4arch9wavefront6targetE0EEEvT1_,"axG",@progbits,_ZN7rocprim17ROCPRIM_400000_NS6detail17trampoline_kernelINS0_14default_configENS1_25partition_config_selectorILNS1_17partition_subalgoE9EttbEEZZNS1_14partition_implILS5_9ELb0ES3_jN6thrust23THRUST_200600_302600_NS6detail15normal_iteratorINS9_10device_ptrItEEEESE_PNS0_10empty_typeENS0_5tupleIJSE_SF_EEENSH_IJSE_SG_EEENS0_18inequality_wrapperINS9_8equal_toItEEEEPmJSF_EEE10hipError_tPvRmT3_T4_T5_T6_T7_T9_mT8_P12ihipStream_tbDpT10_ENKUlT_T0_E_clISt17integral_constantIbLb0EES18_EEDaS13_S14_EUlS13_E_NS1_11comp_targetILNS1_3genE3ELNS1_11target_archE908ELNS1_3gpuE7ELNS1_3repE0EEENS1_30default_config_static_selectorELNS0_4arch9wavefront6targetE0EEEvT1_,comdat
	.protected	_ZN7rocprim17ROCPRIM_400000_NS6detail17trampoline_kernelINS0_14default_configENS1_25partition_config_selectorILNS1_17partition_subalgoE9EttbEEZZNS1_14partition_implILS5_9ELb0ES3_jN6thrust23THRUST_200600_302600_NS6detail15normal_iteratorINS9_10device_ptrItEEEESE_PNS0_10empty_typeENS0_5tupleIJSE_SF_EEENSH_IJSE_SG_EEENS0_18inequality_wrapperINS9_8equal_toItEEEEPmJSF_EEE10hipError_tPvRmT3_T4_T5_T6_T7_T9_mT8_P12ihipStream_tbDpT10_ENKUlT_T0_E_clISt17integral_constantIbLb0EES18_EEDaS13_S14_EUlS13_E_NS1_11comp_targetILNS1_3genE3ELNS1_11target_archE908ELNS1_3gpuE7ELNS1_3repE0EEENS1_30default_config_static_selectorELNS0_4arch9wavefront6targetE0EEEvT1_ ; -- Begin function _ZN7rocprim17ROCPRIM_400000_NS6detail17trampoline_kernelINS0_14default_configENS1_25partition_config_selectorILNS1_17partition_subalgoE9EttbEEZZNS1_14partition_implILS5_9ELb0ES3_jN6thrust23THRUST_200600_302600_NS6detail15normal_iteratorINS9_10device_ptrItEEEESE_PNS0_10empty_typeENS0_5tupleIJSE_SF_EEENSH_IJSE_SG_EEENS0_18inequality_wrapperINS9_8equal_toItEEEEPmJSF_EEE10hipError_tPvRmT3_T4_T5_T6_T7_T9_mT8_P12ihipStream_tbDpT10_ENKUlT_T0_E_clISt17integral_constantIbLb0EES18_EEDaS13_S14_EUlS13_E_NS1_11comp_targetILNS1_3genE3ELNS1_11target_archE908ELNS1_3gpuE7ELNS1_3repE0EEENS1_30default_config_static_selectorELNS0_4arch9wavefront6targetE0EEEvT1_
	.globl	_ZN7rocprim17ROCPRIM_400000_NS6detail17trampoline_kernelINS0_14default_configENS1_25partition_config_selectorILNS1_17partition_subalgoE9EttbEEZZNS1_14partition_implILS5_9ELb0ES3_jN6thrust23THRUST_200600_302600_NS6detail15normal_iteratorINS9_10device_ptrItEEEESE_PNS0_10empty_typeENS0_5tupleIJSE_SF_EEENSH_IJSE_SG_EEENS0_18inequality_wrapperINS9_8equal_toItEEEEPmJSF_EEE10hipError_tPvRmT3_T4_T5_T6_T7_T9_mT8_P12ihipStream_tbDpT10_ENKUlT_T0_E_clISt17integral_constantIbLb0EES18_EEDaS13_S14_EUlS13_E_NS1_11comp_targetILNS1_3genE3ELNS1_11target_archE908ELNS1_3gpuE7ELNS1_3repE0EEENS1_30default_config_static_selectorELNS0_4arch9wavefront6targetE0EEEvT1_
	.p2align	8
	.type	_ZN7rocprim17ROCPRIM_400000_NS6detail17trampoline_kernelINS0_14default_configENS1_25partition_config_selectorILNS1_17partition_subalgoE9EttbEEZZNS1_14partition_implILS5_9ELb0ES3_jN6thrust23THRUST_200600_302600_NS6detail15normal_iteratorINS9_10device_ptrItEEEESE_PNS0_10empty_typeENS0_5tupleIJSE_SF_EEENSH_IJSE_SG_EEENS0_18inequality_wrapperINS9_8equal_toItEEEEPmJSF_EEE10hipError_tPvRmT3_T4_T5_T6_T7_T9_mT8_P12ihipStream_tbDpT10_ENKUlT_T0_E_clISt17integral_constantIbLb0EES18_EEDaS13_S14_EUlS13_E_NS1_11comp_targetILNS1_3genE3ELNS1_11target_archE908ELNS1_3gpuE7ELNS1_3repE0EEENS1_30default_config_static_selectorELNS0_4arch9wavefront6targetE0EEEvT1_,@function
_ZN7rocprim17ROCPRIM_400000_NS6detail17trampoline_kernelINS0_14default_configENS1_25partition_config_selectorILNS1_17partition_subalgoE9EttbEEZZNS1_14partition_implILS5_9ELb0ES3_jN6thrust23THRUST_200600_302600_NS6detail15normal_iteratorINS9_10device_ptrItEEEESE_PNS0_10empty_typeENS0_5tupleIJSE_SF_EEENSH_IJSE_SG_EEENS0_18inequality_wrapperINS9_8equal_toItEEEEPmJSF_EEE10hipError_tPvRmT3_T4_T5_T6_T7_T9_mT8_P12ihipStream_tbDpT10_ENKUlT_T0_E_clISt17integral_constantIbLb0EES18_EEDaS13_S14_EUlS13_E_NS1_11comp_targetILNS1_3genE3ELNS1_11target_archE908ELNS1_3gpuE7ELNS1_3repE0EEENS1_30default_config_static_selectorELNS0_4arch9wavefront6targetE0EEEvT1_: ; @_ZN7rocprim17ROCPRIM_400000_NS6detail17trampoline_kernelINS0_14default_configENS1_25partition_config_selectorILNS1_17partition_subalgoE9EttbEEZZNS1_14partition_implILS5_9ELb0ES3_jN6thrust23THRUST_200600_302600_NS6detail15normal_iteratorINS9_10device_ptrItEEEESE_PNS0_10empty_typeENS0_5tupleIJSE_SF_EEENSH_IJSE_SG_EEENS0_18inequality_wrapperINS9_8equal_toItEEEEPmJSF_EEE10hipError_tPvRmT3_T4_T5_T6_T7_T9_mT8_P12ihipStream_tbDpT10_ENKUlT_T0_E_clISt17integral_constantIbLb0EES18_EEDaS13_S14_EUlS13_E_NS1_11comp_targetILNS1_3genE3ELNS1_11target_archE908ELNS1_3gpuE7ELNS1_3repE0EEENS1_30default_config_static_selectorELNS0_4arch9wavefront6targetE0EEEvT1_
; %bb.0:
	.section	.rodata,"a",@progbits
	.p2align	6, 0x0
	.amdhsa_kernel _ZN7rocprim17ROCPRIM_400000_NS6detail17trampoline_kernelINS0_14default_configENS1_25partition_config_selectorILNS1_17partition_subalgoE9EttbEEZZNS1_14partition_implILS5_9ELb0ES3_jN6thrust23THRUST_200600_302600_NS6detail15normal_iteratorINS9_10device_ptrItEEEESE_PNS0_10empty_typeENS0_5tupleIJSE_SF_EEENSH_IJSE_SG_EEENS0_18inequality_wrapperINS9_8equal_toItEEEEPmJSF_EEE10hipError_tPvRmT3_T4_T5_T6_T7_T9_mT8_P12ihipStream_tbDpT10_ENKUlT_T0_E_clISt17integral_constantIbLb0EES18_EEDaS13_S14_EUlS13_E_NS1_11comp_targetILNS1_3genE3ELNS1_11target_archE908ELNS1_3gpuE7ELNS1_3repE0EEENS1_30default_config_static_selectorELNS0_4arch9wavefront6targetE0EEEvT1_
		.amdhsa_group_segment_fixed_size 0
		.amdhsa_private_segment_fixed_size 0
		.amdhsa_kernarg_size 112
		.amdhsa_user_sgpr_count 15
		.amdhsa_user_sgpr_dispatch_ptr 0
		.amdhsa_user_sgpr_queue_ptr 0
		.amdhsa_user_sgpr_kernarg_segment_ptr 1
		.amdhsa_user_sgpr_dispatch_id 0
		.amdhsa_user_sgpr_private_segment_size 0
		.amdhsa_wavefront_size32 1
		.amdhsa_uses_dynamic_stack 0
		.amdhsa_enable_private_segment 0
		.amdhsa_system_sgpr_workgroup_id_x 1
		.amdhsa_system_sgpr_workgroup_id_y 0
		.amdhsa_system_sgpr_workgroup_id_z 0
		.amdhsa_system_sgpr_workgroup_info 0
		.amdhsa_system_vgpr_workitem_id 0
		.amdhsa_next_free_vgpr 1
		.amdhsa_next_free_sgpr 1
		.amdhsa_reserve_vcc 0
		.amdhsa_float_round_mode_32 0
		.amdhsa_float_round_mode_16_64 0
		.amdhsa_float_denorm_mode_32 3
		.amdhsa_float_denorm_mode_16_64 3
		.amdhsa_dx10_clamp 1
		.amdhsa_ieee_mode 1
		.amdhsa_fp16_overflow 0
		.amdhsa_workgroup_processor_mode 1
		.amdhsa_memory_ordered 1
		.amdhsa_forward_progress 0
		.amdhsa_shared_vgpr_count 0
		.amdhsa_exception_fp_ieee_invalid_op 0
		.amdhsa_exception_fp_denorm_src 0
		.amdhsa_exception_fp_ieee_div_zero 0
		.amdhsa_exception_fp_ieee_overflow 0
		.amdhsa_exception_fp_ieee_underflow 0
		.amdhsa_exception_fp_ieee_inexact 0
		.amdhsa_exception_int_div_zero 0
	.end_amdhsa_kernel
	.section	.text._ZN7rocprim17ROCPRIM_400000_NS6detail17trampoline_kernelINS0_14default_configENS1_25partition_config_selectorILNS1_17partition_subalgoE9EttbEEZZNS1_14partition_implILS5_9ELb0ES3_jN6thrust23THRUST_200600_302600_NS6detail15normal_iteratorINS9_10device_ptrItEEEESE_PNS0_10empty_typeENS0_5tupleIJSE_SF_EEENSH_IJSE_SG_EEENS0_18inequality_wrapperINS9_8equal_toItEEEEPmJSF_EEE10hipError_tPvRmT3_T4_T5_T6_T7_T9_mT8_P12ihipStream_tbDpT10_ENKUlT_T0_E_clISt17integral_constantIbLb0EES18_EEDaS13_S14_EUlS13_E_NS1_11comp_targetILNS1_3genE3ELNS1_11target_archE908ELNS1_3gpuE7ELNS1_3repE0EEENS1_30default_config_static_selectorELNS0_4arch9wavefront6targetE0EEEvT1_,"axG",@progbits,_ZN7rocprim17ROCPRIM_400000_NS6detail17trampoline_kernelINS0_14default_configENS1_25partition_config_selectorILNS1_17partition_subalgoE9EttbEEZZNS1_14partition_implILS5_9ELb0ES3_jN6thrust23THRUST_200600_302600_NS6detail15normal_iteratorINS9_10device_ptrItEEEESE_PNS0_10empty_typeENS0_5tupleIJSE_SF_EEENSH_IJSE_SG_EEENS0_18inequality_wrapperINS9_8equal_toItEEEEPmJSF_EEE10hipError_tPvRmT3_T4_T5_T6_T7_T9_mT8_P12ihipStream_tbDpT10_ENKUlT_T0_E_clISt17integral_constantIbLb0EES18_EEDaS13_S14_EUlS13_E_NS1_11comp_targetILNS1_3genE3ELNS1_11target_archE908ELNS1_3gpuE7ELNS1_3repE0EEENS1_30default_config_static_selectorELNS0_4arch9wavefront6targetE0EEEvT1_,comdat
.Lfunc_end278:
	.size	_ZN7rocprim17ROCPRIM_400000_NS6detail17trampoline_kernelINS0_14default_configENS1_25partition_config_selectorILNS1_17partition_subalgoE9EttbEEZZNS1_14partition_implILS5_9ELb0ES3_jN6thrust23THRUST_200600_302600_NS6detail15normal_iteratorINS9_10device_ptrItEEEESE_PNS0_10empty_typeENS0_5tupleIJSE_SF_EEENSH_IJSE_SG_EEENS0_18inequality_wrapperINS9_8equal_toItEEEEPmJSF_EEE10hipError_tPvRmT3_T4_T5_T6_T7_T9_mT8_P12ihipStream_tbDpT10_ENKUlT_T0_E_clISt17integral_constantIbLb0EES18_EEDaS13_S14_EUlS13_E_NS1_11comp_targetILNS1_3genE3ELNS1_11target_archE908ELNS1_3gpuE7ELNS1_3repE0EEENS1_30default_config_static_selectorELNS0_4arch9wavefront6targetE0EEEvT1_, .Lfunc_end278-_ZN7rocprim17ROCPRIM_400000_NS6detail17trampoline_kernelINS0_14default_configENS1_25partition_config_selectorILNS1_17partition_subalgoE9EttbEEZZNS1_14partition_implILS5_9ELb0ES3_jN6thrust23THRUST_200600_302600_NS6detail15normal_iteratorINS9_10device_ptrItEEEESE_PNS0_10empty_typeENS0_5tupleIJSE_SF_EEENSH_IJSE_SG_EEENS0_18inequality_wrapperINS9_8equal_toItEEEEPmJSF_EEE10hipError_tPvRmT3_T4_T5_T6_T7_T9_mT8_P12ihipStream_tbDpT10_ENKUlT_T0_E_clISt17integral_constantIbLb0EES18_EEDaS13_S14_EUlS13_E_NS1_11comp_targetILNS1_3genE3ELNS1_11target_archE908ELNS1_3gpuE7ELNS1_3repE0EEENS1_30default_config_static_selectorELNS0_4arch9wavefront6targetE0EEEvT1_
                                        ; -- End function
	.section	.AMDGPU.csdata,"",@progbits
; Kernel info:
; codeLenInByte = 0
; NumSgprs: 0
; NumVgprs: 0
; ScratchSize: 0
; MemoryBound: 0
; FloatMode: 240
; IeeeMode: 1
; LDSByteSize: 0 bytes/workgroup (compile time only)
; SGPRBlocks: 0
; VGPRBlocks: 0
; NumSGPRsForWavesPerEU: 1
; NumVGPRsForWavesPerEU: 1
; Occupancy: 16
; WaveLimiterHint : 0
; COMPUTE_PGM_RSRC2:SCRATCH_EN: 0
; COMPUTE_PGM_RSRC2:USER_SGPR: 15
; COMPUTE_PGM_RSRC2:TRAP_HANDLER: 0
; COMPUTE_PGM_RSRC2:TGID_X_EN: 1
; COMPUTE_PGM_RSRC2:TGID_Y_EN: 0
; COMPUTE_PGM_RSRC2:TGID_Z_EN: 0
; COMPUTE_PGM_RSRC2:TIDIG_COMP_CNT: 0
	.section	.text._ZN7rocprim17ROCPRIM_400000_NS6detail17trampoline_kernelINS0_14default_configENS1_25partition_config_selectorILNS1_17partition_subalgoE9EttbEEZZNS1_14partition_implILS5_9ELb0ES3_jN6thrust23THRUST_200600_302600_NS6detail15normal_iteratorINS9_10device_ptrItEEEESE_PNS0_10empty_typeENS0_5tupleIJSE_SF_EEENSH_IJSE_SG_EEENS0_18inequality_wrapperINS9_8equal_toItEEEEPmJSF_EEE10hipError_tPvRmT3_T4_T5_T6_T7_T9_mT8_P12ihipStream_tbDpT10_ENKUlT_T0_E_clISt17integral_constantIbLb0EES18_EEDaS13_S14_EUlS13_E_NS1_11comp_targetILNS1_3genE2ELNS1_11target_archE906ELNS1_3gpuE6ELNS1_3repE0EEENS1_30default_config_static_selectorELNS0_4arch9wavefront6targetE0EEEvT1_,"axG",@progbits,_ZN7rocprim17ROCPRIM_400000_NS6detail17trampoline_kernelINS0_14default_configENS1_25partition_config_selectorILNS1_17partition_subalgoE9EttbEEZZNS1_14partition_implILS5_9ELb0ES3_jN6thrust23THRUST_200600_302600_NS6detail15normal_iteratorINS9_10device_ptrItEEEESE_PNS0_10empty_typeENS0_5tupleIJSE_SF_EEENSH_IJSE_SG_EEENS0_18inequality_wrapperINS9_8equal_toItEEEEPmJSF_EEE10hipError_tPvRmT3_T4_T5_T6_T7_T9_mT8_P12ihipStream_tbDpT10_ENKUlT_T0_E_clISt17integral_constantIbLb0EES18_EEDaS13_S14_EUlS13_E_NS1_11comp_targetILNS1_3genE2ELNS1_11target_archE906ELNS1_3gpuE6ELNS1_3repE0EEENS1_30default_config_static_selectorELNS0_4arch9wavefront6targetE0EEEvT1_,comdat
	.protected	_ZN7rocprim17ROCPRIM_400000_NS6detail17trampoline_kernelINS0_14default_configENS1_25partition_config_selectorILNS1_17partition_subalgoE9EttbEEZZNS1_14partition_implILS5_9ELb0ES3_jN6thrust23THRUST_200600_302600_NS6detail15normal_iteratorINS9_10device_ptrItEEEESE_PNS0_10empty_typeENS0_5tupleIJSE_SF_EEENSH_IJSE_SG_EEENS0_18inequality_wrapperINS9_8equal_toItEEEEPmJSF_EEE10hipError_tPvRmT3_T4_T5_T6_T7_T9_mT8_P12ihipStream_tbDpT10_ENKUlT_T0_E_clISt17integral_constantIbLb0EES18_EEDaS13_S14_EUlS13_E_NS1_11comp_targetILNS1_3genE2ELNS1_11target_archE906ELNS1_3gpuE6ELNS1_3repE0EEENS1_30default_config_static_selectorELNS0_4arch9wavefront6targetE0EEEvT1_ ; -- Begin function _ZN7rocprim17ROCPRIM_400000_NS6detail17trampoline_kernelINS0_14default_configENS1_25partition_config_selectorILNS1_17partition_subalgoE9EttbEEZZNS1_14partition_implILS5_9ELb0ES3_jN6thrust23THRUST_200600_302600_NS6detail15normal_iteratorINS9_10device_ptrItEEEESE_PNS0_10empty_typeENS0_5tupleIJSE_SF_EEENSH_IJSE_SG_EEENS0_18inequality_wrapperINS9_8equal_toItEEEEPmJSF_EEE10hipError_tPvRmT3_T4_T5_T6_T7_T9_mT8_P12ihipStream_tbDpT10_ENKUlT_T0_E_clISt17integral_constantIbLb0EES18_EEDaS13_S14_EUlS13_E_NS1_11comp_targetILNS1_3genE2ELNS1_11target_archE906ELNS1_3gpuE6ELNS1_3repE0EEENS1_30default_config_static_selectorELNS0_4arch9wavefront6targetE0EEEvT1_
	.globl	_ZN7rocprim17ROCPRIM_400000_NS6detail17trampoline_kernelINS0_14default_configENS1_25partition_config_selectorILNS1_17partition_subalgoE9EttbEEZZNS1_14partition_implILS5_9ELb0ES3_jN6thrust23THRUST_200600_302600_NS6detail15normal_iteratorINS9_10device_ptrItEEEESE_PNS0_10empty_typeENS0_5tupleIJSE_SF_EEENSH_IJSE_SG_EEENS0_18inequality_wrapperINS9_8equal_toItEEEEPmJSF_EEE10hipError_tPvRmT3_T4_T5_T6_T7_T9_mT8_P12ihipStream_tbDpT10_ENKUlT_T0_E_clISt17integral_constantIbLb0EES18_EEDaS13_S14_EUlS13_E_NS1_11comp_targetILNS1_3genE2ELNS1_11target_archE906ELNS1_3gpuE6ELNS1_3repE0EEENS1_30default_config_static_selectorELNS0_4arch9wavefront6targetE0EEEvT1_
	.p2align	8
	.type	_ZN7rocprim17ROCPRIM_400000_NS6detail17trampoline_kernelINS0_14default_configENS1_25partition_config_selectorILNS1_17partition_subalgoE9EttbEEZZNS1_14partition_implILS5_9ELb0ES3_jN6thrust23THRUST_200600_302600_NS6detail15normal_iteratorINS9_10device_ptrItEEEESE_PNS0_10empty_typeENS0_5tupleIJSE_SF_EEENSH_IJSE_SG_EEENS0_18inequality_wrapperINS9_8equal_toItEEEEPmJSF_EEE10hipError_tPvRmT3_T4_T5_T6_T7_T9_mT8_P12ihipStream_tbDpT10_ENKUlT_T0_E_clISt17integral_constantIbLb0EES18_EEDaS13_S14_EUlS13_E_NS1_11comp_targetILNS1_3genE2ELNS1_11target_archE906ELNS1_3gpuE6ELNS1_3repE0EEENS1_30default_config_static_selectorELNS0_4arch9wavefront6targetE0EEEvT1_,@function
_ZN7rocprim17ROCPRIM_400000_NS6detail17trampoline_kernelINS0_14default_configENS1_25partition_config_selectorILNS1_17partition_subalgoE9EttbEEZZNS1_14partition_implILS5_9ELb0ES3_jN6thrust23THRUST_200600_302600_NS6detail15normal_iteratorINS9_10device_ptrItEEEESE_PNS0_10empty_typeENS0_5tupleIJSE_SF_EEENSH_IJSE_SG_EEENS0_18inequality_wrapperINS9_8equal_toItEEEEPmJSF_EEE10hipError_tPvRmT3_T4_T5_T6_T7_T9_mT8_P12ihipStream_tbDpT10_ENKUlT_T0_E_clISt17integral_constantIbLb0EES18_EEDaS13_S14_EUlS13_E_NS1_11comp_targetILNS1_3genE2ELNS1_11target_archE906ELNS1_3gpuE6ELNS1_3repE0EEENS1_30default_config_static_selectorELNS0_4arch9wavefront6targetE0EEEvT1_: ; @_ZN7rocprim17ROCPRIM_400000_NS6detail17trampoline_kernelINS0_14default_configENS1_25partition_config_selectorILNS1_17partition_subalgoE9EttbEEZZNS1_14partition_implILS5_9ELb0ES3_jN6thrust23THRUST_200600_302600_NS6detail15normal_iteratorINS9_10device_ptrItEEEESE_PNS0_10empty_typeENS0_5tupleIJSE_SF_EEENSH_IJSE_SG_EEENS0_18inequality_wrapperINS9_8equal_toItEEEEPmJSF_EEE10hipError_tPvRmT3_T4_T5_T6_T7_T9_mT8_P12ihipStream_tbDpT10_ENKUlT_T0_E_clISt17integral_constantIbLb0EES18_EEDaS13_S14_EUlS13_E_NS1_11comp_targetILNS1_3genE2ELNS1_11target_archE906ELNS1_3gpuE6ELNS1_3repE0EEENS1_30default_config_static_selectorELNS0_4arch9wavefront6targetE0EEEvT1_
; %bb.0:
	.section	.rodata,"a",@progbits
	.p2align	6, 0x0
	.amdhsa_kernel _ZN7rocprim17ROCPRIM_400000_NS6detail17trampoline_kernelINS0_14default_configENS1_25partition_config_selectorILNS1_17partition_subalgoE9EttbEEZZNS1_14partition_implILS5_9ELb0ES3_jN6thrust23THRUST_200600_302600_NS6detail15normal_iteratorINS9_10device_ptrItEEEESE_PNS0_10empty_typeENS0_5tupleIJSE_SF_EEENSH_IJSE_SG_EEENS0_18inequality_wrapperINS9_8equal_toItEEEEPmJSF_EEE10hipError_tPvRmT3_T4_T5_T6_T7_T9_mT8_P12ihipStream_tbDpT10_ENKUlT_T0_E_clISt17integral_constantIbLb0EES18_EEDaS13_S14_EUlS13_E_NS1_11comp_targetILNS1_3genE2ELNS1_11target_archE906ELNS1_3gpuE6ELNS1_3repE0EEENS1_30default_config_static_selectorELNS0_4arch9wavefront6targetE0EEEvT1_
		.amdhsa_group_segment_fixed_size 0
		.amdhsa_private_segment_fixed_size 0
		.amdhsa_kernarg_size 112
		.amdhsa_user_sgpr_count 15
		.amdhsa_user_sgpr_dispatch_ptr 0
		.amdhsa_user_sgpr_queue_ptr 0
		.amdhsa_user_sgpr_kernarg_segment_ptr 1
		.amdhsa_user_sgpr_dispatch_id 0
		.amdhsa_user_sgpr_private_segment_size 0
		.amdhsa_wavefront_size32 1
		.amdhsa_uses_dynamic_stack 0
		.amdhsa_enable_private_segment 0
		.amdhsa_system_sgpr_workgroup_id_x 1
		.amdhsa_system_sgpr_workgroup_id_y 0
		.amdhsa_system_sgpr_workgroup_id_z 0
		.amdhsa_system_sgpr_workgroup_info 0
		.amdhsa_system_vgpr_workitem_id 0
		.amdhsa_next_free_vgpr 1
		.amdhsa_next_free_sgpr 1
		.amdhsa_reserve_vcc 0
		.amdhsa_float_round_mode_32 0
		.amdhsa_float_round_mode_16_64 0
		.amdhsa_float_denorm_mode_32 3
		.amdhsa_float_denorm_mode_16_64 3
		.amdhsa_dx10_clamp 1
		.amdhsa_ieee_mode 1
		.amdhsa_fp16_overflow 0
		.amdhsa_workgroup_processor_mode 1
		.amdhsa_memory_ordered 1
		.amdhsa_forward_progress 0
		.amdhsa_shared_vgpr_count 0
		.amdhsa_exception_fp_ieee_invalid_op 0
		.amdhsa_exception_fp_denorm_src 0
		.amdhsa_exception_fp_ieee_div_zero 0
		.amdhsa_exception_fp_ieee_overflow 0
		.amdhsa_exception_fp_ieee_underflow 0
		.amdhsa_exception_fp_ieee_inexact 0
		.amdhsa_exception_int_div_zero 0
	.end_amdhsa_kernel
	.section	.text._ZN7rocprim17ROCPRIM_400000_NS6detail17trampoline_kernelINS0_14default_configENS1_25partition_config_selectorILNS1_17partition_subalgoE9EttbEEZZNS1_14partition_implILS5_9ELb0ES3_jN6thrust23THRUST_200600_302600_NS6detail15normal_iteratorINS9_10device_ptrItEEEESE_PNS0_10empty_typeENS0_5tupleIJSE_SF_EEENSH_IJSE_SG_EEENS0_18inequality_wrapperINS9_8equal_toItEEEEPmJSF_EEE10hipError_tPvRmT3_T4_T5_T6_T7_T9_mT8_P12ihipStream_tbDpT10_ENKUlT_T0_E_clISt17integral_constantIbLb0EES18_EEDaS13_S14_EUlS13_E_NS1_11comp_targetILNS1_3genE2ELNS1_11target_archE906ELNS1_3gpuE6ELNS1_3repE0EEENS1_30default_config_static_selectorELNS0_4arch9wavefront6targetE0EEEvT1_,"axG",@progbits,_ZN7rocprim17ROCPRIM_400000_NS6detail17trampoline_kernelINS0_14default_configENS1_25partition_config_selectorILNS1_17partition_subalgoE9EttbEEZZNS1_14partition_implILS5_9ELb0ES3_jN6thrust23THRUST_200600_302600_NS6detail15normal_iteratorINS9_10device_ptrItEEEESE_PNS0_10empty_typeENS0_5tupleIJSE_SF_EEENSH_IJSE_SG_EEENS0_18inequality_wrapperINS9_8equal_toItEEEEPmJSF_EEE10hipError_tPvRmT3_T4_T5_T6_T7_T9_mT8_P12ihipStream_tbDpT10_ENKUlT_T0_E_clISt17integral_constantIbLb0EES18_EEDaS13_S14_EUlS13_E_NS1_11comp_targetILNS1_3genE2ELNS1_11target_archE906ELNS1_3gpuE6ELNS1_3repE0EEENS1_30default_config_static_selectorELNS0_4arch9wavefront6targetE0EEEvT1_,comdat
.Lfunc_end279:
	.size	_ZN7rocprim17ROCPRIM_400000_NS6detail17trampoline_kernelINS0_14default_configENS1_25partition_config_selectorILNS1_17partition_subalgoE9EttbEEZZNS1_14partition_implILS5_9ELb0ES3_jN6thrust23THRUST_200600_302600_NS6detail15normal_iteratorINS9_10device_ptrItEEEESE_PNS0_10empty_typeENS0_5tupleIJSE_SF_EEENSH_IJSE_SG_EEENS0_18inequality_wrapperINS9_8equal_toItEEEEPmJSF_EEE10hipError_tPvRmT3_T4_T5_T6_T7_T9_mT8_P12ihipStream_tbDpT10_ENKUlT_T0_E_clISt17integral_constantIbLb0EES18_EEDaS13_S14_EUlS13_E_NS1_11comp_targetILNS1_3genE2ELNS1_11target_archE906ELNS1_3gpuE6ELNS1_3repE0EEENS1_30default_config_static_selectorELNS0_4arch9wavefront6targetE0EEEvT1_, .Lfunc_end279-_ZN7rocprim17ROCPRIM_400000_NS6detail17trampoline_kernelINS0_14default_configENS1_25partition_config_selectorILNS1_17partition_subalgoE9EttbEEZZNS1_14partition_implILS5_9ELb0ES3_jN6thrust23THRUST_200600_302600_NS6detail15normal_iteratorINS9_10device_ptrItEEEESE_PNS0_10empty_typeENS0_5tupleIJSE_SF_EEENSH_IJSE_SG_EEENS0_18inequality_wrapperINS9_8equal_toItEEEEPmJSF_EEE10hipError_tPvRmT3_T4_T5_T6_T7_T9_mT8_P12ihipStream_tbDpT10_ENKUlT_T0_E_clISt17integral_constantIbLb0EES18_EEDaS13_S14_EUlS13_E_NS1_11comp_targetILNS1_3genE2ELNS1_11target_archE906ELNS1_3gpuE6ELNS1_3repE0EEENS1_30default_config_static_selectorELNS0_4arch9wavefront6targetE0EEEvT1_
                                        ; -- End function
	.section	.AMDGPU.csdata,"",@progbits
; Kernel info:
; codeLenInByte = 0
; NumSgprs: 0
; NumVgprs: 0
; ScratchSize: 0
; MemoryBound: 0
; FloatMode: 240
; IeeeMode: 1
; LDSByteSize: 0 bytes/workgroup (compile time only)
; SGPRBlocks: 0
; VGPRBlocks: 0
; NumSGPRsForWavesPerEU: 1
; NumVGPRsForWavesPerEU: 1
; Occupancy: 16
; WaveLimiterHint : 0
; COMPUTE_PGM_RSRC2:SCRATCH_EN: 0
; COMPUTE_PGM_RSRC2:USER_SGPR: 15
; COMPUTE_PGM_RSRC2:TRAP_HANDLER: 0
; COMPUTE_PGM_RSRC2:TGID_X_EN: 1
; COMPUTE_PGM_RSRC2:TGID_Y_EN: 0
; COMPUTE_PGM_RSRC2:TGID_Z_EN: 0
; COMPUTE_PGM_RSRC2:TIDIG_COMP_CNT: 0
	.section	.text._ZN7rocprim17ROCPRIM_400000_NS6detail17trampoline_kernelINS0_14default_configENS1_25partition_config_selectorILNS1_17partition_subalgoE9EttbEEZZNS1_14partition_implILS5_9ELb0ES3_jN6thrust23THRUST_200600_302600_NS6detail15normal_iteratorINS9_10device_ptrItEEEESE_PNS0_10empty_typeENS0_5tupleIJSE_SF_EEENSH_IJSE_SG_EEENS0_18inequality_wrapperINS9_8equal_toItEEEEPmJSF_EEE10hipError_tPvRmT3_T4_T5_T6_T7_T9_mT8_P12ihipStream_tbDpT10_ENKUlT_T0_E_clISt17integral_constantIbLb0EES18_EEDaS13_S14_EUlS13_E_NS1_11comp_targetILNS1_3genE10ELNS1_11target_archE1200ELNS1_3gpuE4ELNS1_3repE0EEENS1_30default_config_static_selectorELNS0_4arch9wavefront6targetE0EEEvT1_,"axG",@progbits,_ZN7rocprim17ROCPRIM_400000_NS6detail17trampoline_kernelINS0_14default_configENS1_25partition_config_selectorILNS1_17partition_subalgoE9EttbEEZZNS1_14partition_implILS5_9ELb0ES3_jN6thrust23THRUST_200600_302600_NS6detail15normal_iteratorINS9_10device_ptrItEEEESE_PNS0_10empty_typeENS0_5tupleIJSE_SF_EEENSH_IJSE_SG_EEENS0_18inequality_wrapperINS9_8equal_toItEEEEPmJSF_EEE10hipError_tPvRmT3_T4_T5_T6_T7_T9_mT8_P12ihipStream_tbDpT10_ENKUlT_T0_E_clISt17integral_constantIbLb0EES18_EEDaS13_S14_EUlS13_E_NS1_11comp_targetILNS1_3genE10ELNS1_11target_archE1200ELNS1_3gpuE4ELNS1_3repE0EEENS1_30default_config_static_selectorELNS0_4arch9wavefront6targetE0EEEvT1_,comdat
	.protected	_ZN7rocprim17ROCPRIM_400000_NS6detail17trampoline_kernelINS0_14default_configENS1_25partition_config_selectorILNS1_17partition_subalgoE9EttbEEZZNS1_14partition_implILS5_9ELb0ES3_jN6thrust23THRUST_200600_302600_NS6detail15normal_iteratorINS9_10device_ptrItEEEESE_PNS0_10empty_typeENS0_5tupleIJSE_SF_EEENSH_IJSE_SG_EEENS0_18inequality_wrapperINS9_8equal_toItEEEEPmJSF_EEE10hipError_tPvRmT3_T4_T5_T6_T7_T9_mT8_P12ihipStream_tbDpT10_ENKUlT_T0_E_clISt17integral_constantIbLb0EES18_EEDaS13_S14_EUlS13_E_NS1_11comp_targetILNS1_3genE10ELNS1_11target_archE1200ELNS1_3gpuE4ELNS1_3repE0EEENS1_30default_config_static_selectorELNS0_4arch9wavefront6targetE0EEEvT1_ ; -- Begin function _ZN7rocprim17ROCPRIM_400000_NS6detail17trampoline_kernelINS0_14default_configENS1_25partition_config_selectorILNS1_17partition_subalgoE9EttbEEZZNS1_14partition_implILS5_9ELb0ES3_jN6thrust23THRUST_200600_302600_NS6detail15normal_iteratorINS9_10device_ptrItEEEESE_PNS0_10empty_typeENS0_5tupleIJSE_SF_EEENSH_IJSE_SG_EEENS0_18inequality_wrapperINS9_8equal_toItEEEEPmJSF_EEE10hipError_tPvRmT3_T4_T5_T6_T7_T9_mT8_P12ihipStream_tbDpT10_ENKUlT_T0_E_clISt17integral_constantIbLb0EES18_EEDaS13_S14_EUlS13_E_NS1_11comp_targetILNS1_3genE10ELNS1_11target_archE1200ELNS1_3gpuE4ELNS1_3repE0EEENS1_30default_config_static_selectorELNS0_4arch9wavefront6targetE0EEEvT1_
	.globl	_ZN7rocprim17ROCPRIM_400000_NS6detail17trampoline_kernelINS0_14default_configENS1_25partition_config_selectorILNS1_17partition_subalgoE9EttbEEZZNS1_14partition_implILS5_9ELb0ES3_jN6thrust23THRUST_200600_302600_NS6detail15normal_iteratorINS9_10device_ptrItEEEESE_PNS0_10empty_typeENS0_5tupleIJSE_SF_EEENSH_IJSE_SG_EEENS0_18inequality_wrapperINS9_8equal_toItEEEEPmJSF_EEE10hipError_tPvRmT3_T4_T5_T6_T7_T9_mT8_P12ihipStream_tbDpT10_ENKUlT_T0_E_clISt17integral_constantIbLb0EES18_EEDaS13_S14_EUlS13_E_NS1_11comp_targetILNS1_3genE10ELNS1_11target_archE1200ELNS1_3gpuE4ELNS1_3repE0EEENS1_30default_config_static_selectorELNS0_4arch9wavefront6targetE0EEEvT1_
	.p2align	8
	.type	_ZN7rocprim17ROCPRIM_400000_NS6detail17trampoline_kernelINS0_14default_configENS1_25partition_config_selectorILNS1_17partition_subalgoE9EttbEEZZNS1_14partition_implILS5_9ELb0ES3_jN6thrust23THRUST_200600_302600_NS6detail15normal_iteratorINS9_10device_ptrItEEEESE_PNS0_10empty_typeENS0_5tupleIJSE_SF_EEENSH_IJSE_SG_EEENS0_18inequality_wrapperINS9_8equal_toItEEEEPmJSF_EEE10hipError_tPvRmT3_T4_T5_T6_T7_T9_mT8_P12ihipStream_tbDpT10_ENKUlT_T0_E_clISt17integral_constantIbLb0EES18_EEDaS13_S14_EUlS13_E_NS1_11comp_targetILNS1_3genE10ELNS1_11target_archE1200ELNS1_3gpuE4ELNS1_3repE0EEENS1_30default_config_static_selectorELNS0_4arch9wavefront6targetE0EEEvT1_,@function
_ZN7rocprim17ROCPRIM_400000_NS6detail17trampoline_kernelINS0_14default_configENS1_25partition_config_selectorILNS1_17partition_subalgoE9EttbEEZZNS1_14partition_implILS5_9ELb0ES3_jN6thrust23THRUST_200600_302600_NS6detail15normal_iteratorINS9_10device_ptrItEEEESE_PNS0_10empty_typeENS0_5tupleIJSE_SF_EEENSH_IJSE_SG_EEENS0_18inequality_wrapperINS9_8equal_toItEEEEPmJSF_EEE10hipError_tPvRmT3_T4_T5_T6_T7_T9_mT8_P12ihipStream_tbDpT10_ENKUlT_T0_E_clISt17integral_constantIbLb0EES18_EEDaS13_S14_EUlS13_E_NS1_11comp_targetILNS1_3genE10ELNS1_11target_archE1200ELNS1_3gpuE4ELNS1_3repE0EEENS1_30default_config_static_selectorELNS0_4arch9wavefront6targetE0EEEvT1_: ; @_ZN7rocprim17ROCPRIM_400000_NS6detail17trampoline_kernelINS0_14default_configENS1_25partition_config_selectorILNS1_17partition_subalgoE9EttbEEZZNS1_14partition_implILS5_9ELb0ES3_jN6thrust23THRUST_200600_302600_NS6detail15normal_iteratorINS9_10device_ptrItEEEESE_PNS0_10empty_typeENS0_5tupleIJSE_SF_EEENSH_IJSE_SG_EEENS0_18inequality_wrapperINS9_8equal_toItEEEEPmJSF_EEE10hipError_tPvRmT3_T4_T5_T6_T7_T9_mT8_P12ihipStream_tbDpT10_ENKUlT_T0_E_clISt17integral_constantIbLb0EES18_EEDaS13_S14_EUlS13_E_NS1_11comp_targetILNS1_3genE10ELNS1_11target_archE1200ELNS1_3gpuE4ELNS1_3repE0EEENS1_30default_config_static_selectorELNS0_4arch9wavefront6targetE0EEEvT1_
; %bb.0:
	.section	.rodata,"a",@progbits
	.p2align	6, 0x0
	.amdhsa_kernel _ZN7rocprim17ROCPRIM_400000_NS6detail17trampoline_kernelINS0_14default_configENS1_25partition_config_selectorILNS1_17partition_subalgoE9EttbEEZZNS1_14partition_implILS5_9ELb0ES3_jN6thrust23THRUST_200600_302600_NS6detail15normal_iteratorINS9_10device_ptrItEEEESE_PNS0_10empty_typeENS0_5tupleIJSE_SF_EEENSH_IJSE_SG_EEENS0_18inequality_wrapperINS9_8equal_toItEEEEPmJSF_EEE10hipError_tPvRmT3_T4_T5_T6_T7_T9_mT8_P12ihipStream_tbDpT10_ENKUlT_T0_E_clISt17integral_constantIbLb0EES18_EEDaS13_S14_EUlS13_E_NS1_11comp_targetILNS1_3genE10ELNS1_11target_archE1200ELNS1_3gpuE4ELNS1_3repE0EEENS1_30default_config_static_selectorELNS0_4arch9wavefront6targetE0EEEvT1_
		.amdhsa_group_segment_fixed_size 0
		.amdhsa_private_segment_fixed_size 0
		.amdhsa_kernarg_size 112
		.amdhsa_user_sgpr_count 15
		.amdhsa_user_sgpr_dispatch_ptr 0
		.amdhsa_user_sgpr_queue_ptr 0
		.amdhsa_user_sgpr_kernarg_segment_ptr 1
		.amdhsa_user_sgpr_dispatch_id 0
		.amdhsa_user_sgpr_private_segment_size 0
		.amdhsa_wavefront_size32 1
		.amdhsa_uses_dynamic_stack 0
		.amdhsa_enable_private_segment 0
		.amdhsa_system_sgpr_workgroup_id_x 1
		.amdhsa_system_sgpr_workgroup_id_y 0
		.amdhsa_system_sgpr_workgroup_id_z 0
		.amdhsa_system_sgpr_workgroup_info 0
		.amdhsa_system_vgpr_workitem_id 0
		.amdhsa_next_free_vgpr 1
		.amdhsa_next_free_sgpr 1
		.amdhsa_reserve_vcc 0
		.amdhsa_float_round_mode_32 0
		.amdhsa_float_round_mode_16_64 0
		.amdhsa_float_denorm_mode_32 3
		.amdhsa_float_denorm_mode_16_64 3
		.amdhsa_dx10_clamp 1
		.amdhsa_ieee_mode 1
		.amdhsa_fp16_overflow 0
		.amdhsa_workgroup_processor_mode 1
		.amdhsa_memory_ordered 1
		.amdhsa_forward_progress 0
		.amdhsa_shared_vgpr_count 0
		.amdhsa_exception_fp_ieee_invalid_op 0
		.amdhsa_exception_fp_denorm_src 0
		.amdhsa_exception_fp_ieee_div_zero 0
		.amdhsa_exception_fp_ieee_overflow 0
		.amdhsa_exception_fp_ieee_underflow 0
		.amdhsa_exception_fp_ieee_inexact 0
		.amdhsa_exception_int_div_zero 0
	.end_amdhsa_kernel
	.section	.text._ZN7rocprim17ROCPRIM_400000_NS6detail17trampoline_kernelINS0_14default_configENS1_25partition_config_selectorILNS1_17partition_subalgoE9EttbEEZZNS1_14partition_implILS5_9ELb0ES3_jN6thrust23THRUST_200600_302600_NS6detail15normal_iteratorINS9_10device_ptrItEEEESE_PNS0_10empty_typeENS0_5tupleIJSE_SF_EEENSH_IJSE_SG_EEENS0_18inequality_wrapperINS9_8equal_toItEEEEPmJSF_EEE10hipError_tPvRmT3_T4_T5_T6_T7_T9_mT8_P12ihipStream_tbDpT10_ENKUlT_T0_E_clISt17integral_constantIbLb0EES18_EEDaS13_S14_EUlS13_E_NS1_11comp_targetILNS1_3genE10ELNS1_11target_archE1200ELNS1_3gpuE4ELNS1_3repE0EEENS1_30default_config_static_selectorELNS0_4arch9wavefront6targetE0EEEvT1_,"axG",@progbits,_ZN7rocprim17ROCPRIM_400000_NS6detail17trampoline_kernelINS0_14default_configENS1_25partition_config_selectorILNS1_17partition_subalgoE9EttbEEZZNS1_14partition_implILS5_9ELb0ES3_jN6thrust23THRUST_200600_302600_NS6detail15normal_iteratorINS9_10device_ptrItEEEESE_PNS0_10empty_typeENS0_5tupleIJSE_SF_EEENSH_IJSE_SG_EEENS0_18inequality_wrapperINS9_8equal_toItEEEEPmJSF_EEE10hipError_tPvRmT3_T4_T5_T6_T7_T9_mT8_P12ihipStream_tbDpT10_ENKUlT_T0_E_clISt17integral_constantIbLb0EES18_EEDaS13_S14_EUlS13_E_NS1_11comp_targetILNS1_3genE10ELNS1_11target_archE1200ELNS1_3gpuE4ELNS1_3repE0EEENS1_30default_config_static_selectorELNS0_4arch9wavefront6targetE0EEEvT1_,comdat
.Lfunc_end280:
	.size	_ZN7rocprim17ROCPRIM_400000_NS6detail17trampoline_kernelINS0_14default_configENS1_25partition_config_selectorILNS1_17partition_subalgoE9EttbEEZZNS1_14partition_implILS5_9ELb0ES3_jN6thrust23THRUST_200600_302600_NS6detail15normal_iteratorINS9_10device_ptrItEEEESE_PNS0_10empty_typeENS0_5tupleIJSE_SF_EEENSH_IJSE_SG_EEENS0_18inequality_wrapperINS9_8equal_toItEEEEPmJSF_EEE10hipError_tPvRmT3_T4_T5_T6_T7_T9_mT8_P12ihipStream_tbDpT10_ENKUlT_T0_E_clISt17integral_constantIbLb0EES18_EEDaS13_S14_EUlS13_E_NS1_11comp_targetILNS1_3genE10ELNS1_11target_archE1200ELNS1_3gpuE4ELNS1_3repE0EEENS1_30default_config_static_selectorELNS0_4arch9wavefront6targetE0EEEvT1_, .Lfunc_end280-_ZN7rocprim17ROCPRIM_400000_NS6detail17trampoline_kernelINS0_14default_configENS1_25partition_config_selectorILNS1_17partition_subalgoE9EttbEEZZNS1_14partition_implILS5_9ELb0ES3_jN6thrust23THRUST_200600_302600_NS6detail15normal_iteratorINS9_10device_ptrItEEEESE_PNS0_10empty_typeENS0_5tupleIJSE_SF_EEENSH_IJSE_SG_EEENS0_18inequality_wrapperINS9_8equal_toItEEEEPmJSF_EEE10hipError_tPvRmT3_T4_T5_T6_T7_T9_mT8_P12ihipStream_tbDpT10_ENKUlT_T0_E_clISt17integral_constantIbLb0EES18_EEDaS13_S14_EUlS13_E_NS1_11comp_targetILNS1_3genE10ELNS1_11target_archE1200ELNS1_3gpuE4ELNS1_3repE0EEENS1_30default_config_static_selectorELNS0_4arch9wavefront6targetE0EEEvT1_
                                        ; -- End function
	.section	.AMDGPU.csdata,"",@progbits
; Kernel info:
; codeLenInByte = 0
; NumSgprs: 0
; NumVgprs: 0
; ScratchSize: 0
; MemoryBound: 0
; FloatMode: 240
; IeeeMode: 1
; LDSByteSize: 0 bytes/workgroup (compile time only)
; SGPRBlocks: 0
; VGPRBlocks: 0
; NumSGPRsForWavesPerEU: 1
; NumVGPRsForWavesPerEU: 1
; Occupancy: 16
; WaveLimiterHint : 0
; COMPUTE_PGM_RSRC2:SCRATCH_EN: 0
; COMPUTE_PGM_RSRC2:USER_SGPR: 15
; COMPUTE_PGM_RSRC2:TRAP_HANDLER: 0
; COMPUTE_PGM_RSRC2:TGID_X_EN: 1
; COMPUTE_PGM_RSRC2:TGID_Y_EN: 0
; COMPUTE_PGM_RSRC2:TGID_Z_EN: 0
; COMPUTE_PGM_RSRC2:TIDIG_COMP_CNT: 0
	.section	.text._ZN7rocprim17ROCPRIM_400000_NS6detail17trampoline_kernelINS0_14default_configENS1_25partition_config_selectorILNS1_17partition_subalgoE9EttbEEZZNS1_14partition_implILS5_9ELb0ES3_jN6thrust23THRUST_200600_302600_NS6detail15normal_iteratorINS9_10device_ptrItEEEESE_PNS0_10empty_typeENS0_5tupleIJSE_SF_EEENSH_IJSE_SG_EEENS0_18inequality_wrapperINS9_8equal_toItEEEEPmJSF_EEE10hipError_tPvRmT3_T4_T5_T6_T7_T9_mT8_P12ihipStream_tbDpT10_ENKUlT_T0_E_clISt17integral_constantIbLb0EES18_EEDaS13_S14_EUlS13_E_NS1_11comp_targetILNS1_3genE9ELNS1_11target_archE1100ELNS1_3gpuE3ELNS1_3repE0EEENS1_30default_config_static_selectorELNS0_4arch9wavefront6targetE0EEEvT1_,"axG",@progbits,_ZN7rocprim17ROCPRIM_400000_NS6detail17trampoline_kernelINS0_14default_configENS1_25partition_config_selectorILNS1_17partition_subalgoE9EttbEEZZNS1_14partition_implILS5_9ELb0ES3_jN6thrust23THRUST_200600_302600_NS6detail15normal_iteratorINS9_10device_ptrItEEEESE_PNS0_10empty_typeENS0_5tupleIJSE_SF_EEENSH_IJSE_SG_EEENS0_18inequality_wrapperINS9_8equal_toItEEEEPmJSF_EEE10hipError_tPvRmT3_T4_T5_T6_T7_T9_mT8_P12ihipStream_tbDpT10_ENKUlT_T0_E_clISt17integral_constantIbLb0EES18_EEDaS13_S14_EUlS13_E_NS1_11comp_targetILNS1_3genE9ELNS1_11target_archE1100ELNS1_3gpuE3ELNS1_3repE0EEENS1_30default_config_static_selectorELNS0_4arch9wavefront6targetE0EEEvT1_,comdat
	.protected	_ZN7rocprim17ROCPRIM_400000_NS6detail17trampoline_kernelINS0_14default_configENS1_25partition_config_selectorILNS1_17partition_subalgoE9EttbEEZZNS1_14partition_implILS5_9ELb0ES3_jN6thrust23THRUST_200600_302600_NS6detail15normal_iteratorINS9_10device_ptrItEEEESE_PNS0_10empty_typeENS0_5tupleIJSE_SF_EEENSH_IJSE_SG_EEENS0_18inequality_wrapperINS9_8equal_toItEEEEPmJSF_EEE10hipError_tPvRmT3_T4_T5_T6_T7_T9_mT8_P12ihipStream_tbDpT10_ENKUlT_T0_E_clISt17integral_constantIbLb0EES18_EEDaS13_S14_EUlS13_E_NS1_11comp_targetILNS1_3genE9ELNS1_11target_archE1100ELNS1_3gpuE3ELNS1_3repE0EEENS1_30default_config_static_selectorELNS0_4arch9wavefront6targetE0EEEvT1_ ; -- Begin function _ZN7rocprim17ROCPRIM_400000_NS6detail17trampoline_kernelINS0_14default_configENS1_25partition_config_selectorILNS1_17partition_subalgoE9EttbEEZZNS1_14partition_implILS5_9ELb0ES3_jN6thrust23THRUST_200600_302600_NS6detail15normal_iteratorINS9_10device_ptrItEEEESE_PNS0_10empty_typeENS0_5tupleIJSE_SF_EEENSH_IJSE_SG_EEENS0_18inequality_wrapperINS9_8equal_toItEEEEPmJSF_EEE10hipError_tPvRmT3_T4_T5_T6_T7_T9_mT8_P12ihipStream_tbDpT10_ENKUlT_T0_E_clISt17integral_constantIbLb0EES18_EEDaS13_S14_EUlS13_E_NS1_11comp_targetILNS1_3genE9ELNS1_11target_archE1100ELNS1_3gpuE3ELNS1_3repE0EEENS1_30default_config_static_selectorELNS0_4arch9wavefront6targetE0EEEvT1_
	.globl	_ZN7rocprim17ROCPRIM_400000_NS6detail17trampoline_kernelINS0_14default_configENS1_25partition_config_selectorILNS1_17partition_subalgoE9EttbEEZZNS1_14partition_implILS5_9ELb0ES3_jN6thrust23THRUST_200600_302600_NS6detail15normal_iteratorINS9_10device_ptrItEEEESE_PNS0_10empty_typeENS0_5tupleIJSE_SF_EEENSH_IJSE_SG_EEENS0_18inequality_wrapperINS9_8equal_toItEEEEPmJSF_EEE10hipError_tPvRmT3_T4_T5_T6_T7_T9_mT8_P12ihipStream_tbDpT10_ENKUlT_T0_E_clISt17integral_constantIbLb0EES18_EEDaS13_S14_EUlS13_E_NS1_11comp_targetILNS1_3genE9ELNS1_11target_archE1100ELNS1_3gpuE3ELNS1_3repE0EEENS1_30default_config_static_selectorELNS0_4arch9wavefront6targetE0EEEvT1_
	.p2align	8
	.type	_ZN7rocprim17ROCPRIM_400000_NS6detail17trampoline_kernelINS0_14default_configENS1_25partition_config_selectorILNS1_17partition_subalgoE9EttbEEZZNS1_14partition_implILS5_9ELb0ES3_jN6thrust23THRUST_200600_302600_NS6detail15normal_iteratorINS9_10device_ptrItEEEESE_PNS0_10empty_typeENS0_5tupleIJSE_SF_EEENSH_IJSE_SG_EEENS0_18inequality_wrapperINS9_8equal_toItEEEEPmJSF_EEE10hipError_tPvRmT3_T4_T5_T6_T7_T9_mT8_P12ihipStream_tbDpT10_ENKUlT_T0_E_clISt17integral_constantIbLb0EES18_EEDaS13_S14_EUlS13_E_NS1_11comp_targetILNS1_3genE9ELNS1_11target_archE1100ELNS1_3gpuE3ELNS1_3repE0EEENS1_30default_config_static_selectorELNS0_4arch9wavefront6targetE0EEEvT1_,@function
_ZN7rocprim17ROCPRIM_400000_NS6detail17trampoline_kernelINS0_14default_configENS1_25partition_config_selectorILNS1_17partition_subalgoE9EttbEEZZNS1_14partition_implILS5_9ELb0ES3_jN6thrust23THRUST_200600_302600_NS6detail15normal_iteratorINS9_10device_ptrItEEEESE_PNS0_10empty_typeENS0_5tupleIJSE_SF_EEENSH_IJSE_SG_EEENS0_18inequality_wrapperINS9_8equal_toItEEEEPmJSF_EEE10hipError_tPvRmT3_T4_T5_T6_T7_T9_mT8_P12ihipStream_tbDpT10_ENKUlT_T0_E_clISt17integral_constantIbLb0EES18_EEDaS13_S14_EUlS13_E_NS1_11comp_targetILNS1_3genE9ELNS1_11target_archE1100ELNS1_3gpuE3ELNS1_3repE0EEENS1_30default_config_static_selectorELNS0_4arch9wavefront6targetE0EEEvT1_: ; @_ZN7rocprim17ROCPRIM_400000_NS6detail17trampoline_kernelINS0_14default_configENS1_25partition_config_selectorILNS1_17partition_subalgoE9EttbEEZZNS1_14partition_implILS5_9ELb0ES3_jN6thrust23THRUST_200600_302600_NS6detail15normal_iteratorINS9_10device_ptrItEEEESE_PNS0_10empty_typeENS0_5tupleIJSE_SF_EEENSH_IJSE_SG_EEENS0_18inequality_wrapperINS9_8equal_toItEEEEPmJSF_EEE10hipError_tPvRmT3_T4_T5_T6_T7_T9_mT8_P12ihipStream_tbDpT10_ENKUlT_T0_E_clISt17integral_constantIbLb0EES18_EEDaS13_S14_EUlS13_E_NS1_11comp_targetILNS1_3genE9ELNS1_11target_archE1100ELNS1_3gpuE3ELNS1_3repE0EEENS1_30default_config_static_selectorELNS0_4arch9wavefront6targetE0EEEvT1_
; %bb.0:
	s_clause 0x4
	s_load_b128 s[4:7], s[0:1], 0x8
	s_load_b32 s12, s[0:1], 0x68
	s_load_b128 s[16:19], s[0:1], 0x40
	s_load_b64 s[2:3], s[0:1], 0x50
	s_load_b64 s[8:9], s[0:1], 0x18
	s_waitcnt lgkmcnt(0)
	s_lshl_b64 s[10:11], s[6:7], 1
	s_mul_i32 s13, s12, 0x600
	s_add_u32 s22, s4, s10
	s_addc_u32 s23, s5, s11
	s_add_i32 s4, s13, s6
	s_load_b64 s[18:19], s[18:19], 0x0
	s_sub_i32 s20, s2, s4
	s_add_i32 s12, s12, -1
	s_addk_i32 s20, 0x600
	s_add_u32 s4, s6, s13
	s_addc_u32 s5, s7, 0
	s_cmp_eq_u32 s15, s12
	v_cmp_ge_u64_e64 s4, s[4:5], s[2:3]
	s_cselect_b32 s13, -1, 0
	s_mov_b32 s3, 0
	s_mul_i32 s2, s15, 0x600
	s_delay_alu instid0(VALU_DEP_1)
	s_and_b32 s21, s13, s4
	s_lshl_b64 s[4:5], s[2:3], 1
	s_xor_b32 s14, s21, -1
	s_add_u32 s12, s22, s4
	s_addc_u32 s3, s23, s5
	s_and_b32 vcc_lo, exec_lo, s14
	s_mov_b32 s22, -1
	s_cbranch_vccz .LBB281_2
; %bb.1:
	v_lshlrev_b32_e32 v3, 1, v0
	s_mov_b32 s22, 0
	s_delay_alu instid0(VALU_DEP_1) | instskip(NEXT) | instid1(VALU_DEP_1)
	v_add_co_u32 v1, s2, s12, v3
	v_add_co_ci_u32_e64 v2, null, s3, 0, s2
	s_clause 0xb
	flat_load_u16 v4, v[1:2]
	flat_load_u16 v5, v[1:2] offset:256
	flat_load_u16 v6, v[1:2] offset:512
	;; [unrolled: 1-line block ×11, first 2 shown]
	s_waitcnt vmcnt(11) lgkmcnt(0)
	ds_store_b16 v3, v4
	s_waitcnt vmcnt(10)
	ds_store_b16 v3, v5 offset:256
	s_waitcnt vmcnt(9)
	ds_store_b16 v3, v6 offset:512
	;; [unrolled: 2-line block ×11, first 2 shown]
	s_waitcnt lgkmcnt(0)
	s_barrier
.LBB281_2:
	v_cmp_gt_u32_e64 s2, s20, v0
	s_and_not1_b32 vcc_lo, exec_lo, s22
	s_cbranch_vccnz .LBB281_28
; %bb.3:
                                        ; implicit-def: $vgpr1_vgpr2_vgpr3_vgpr4_vgpr5_vgpr6_vgpr7_vgpr8
	s_delay_alu instid0(VALU_DEP_1)
	s_and_saveexec_b32 s22, s2
	s_cbranch_execz .LBB281_5
; %bb.4:
	v_lshlrev_b32_e32 v1, 1, v0
	s_delay_alu instid0(VALU_DEP_1) | instskip(NEXT) | instid1(VALU_DEP_1)
	v_add_co_u32 v1, s2, s12, v1
	v_add_co_ci_u32_e64 v2, null, s3, 0, s2
	flat_load_d16_b16 v1, v[1:2]
.LBB281_5:
	s_or_b32 exec_lo, exec_lo, s22
	v_or_b32_e32 v7, 0x80, v0
	s_mov_b32 s2, exec_lo
	s_delay_alu instid0(VALU_DEP_1)
	v_cmpx_gt_u32_e64 s20, v7
	s_cbranch_execz .LBB281_7
; %bb.6:
	v_lshlrev_b32_e32 v7, 1, v0
	s_delay_alu instid0(VALU_DEP_1) | instskip(NEXT) | instid1(VALU_DEP_1)
	v_add_co_u32 v7, s22, s12, v7
	v_add_co_ci_u32_e64 v8, null, s3, 0, s22
	s_waitcnt vmcnt(0) lgkmcnt(0)
	flat_load_d16_hi_b16 v1, v[7:8] offset:256
.LBB281_7:
	s_or_b32 exec_lo, exec_lo, s2
	v_or_b32_e32 v7, 0x100, v0
	s_mov_b32 s2, exec_lo
	s_delay_alu instid0(VALU_DEP_1)
	v_cmpx_gt_u32_e64 s20, v7
	s_cbranch_execz .LBB281_9
; %bb.8:
	v_lshlrev_b32_e32 v7, 1, v0
	s_delay_alu instid0(VALU_DEP_1) | instskip(NEXT) | instid1(VALU_DEP_1)
	v_add_co_u32 v7, s22, s12, v7
	v_add_co_ci_u32_e64 v8, null, s3, 0, s22
	flat_load_d16_b16 v2, v[7:8] offset:512
.LBB281_9:
	s_or_b32 exec_lo, exec_lo, s2
	v_or_b32_e32 v7, 0x180, v0
	s_mov_b32 s2, exec_lo
	s_delay_alu instid0(VALU_DEP_1)
	v_cmpx_gt_u32_e64 s20, v7
	s_cbranch_execz .LBB281_11
; %bb.10:
	v_lshlrev_b32_e32 v7, 1, v0
	s_delay_alu instid0(VALU_DEP_1) | instskip(NEXT) | instid1(VALU_DEP_1)
	v_add_co_u32 v7, s22, s12, v7
	v_add_co_ci_u32_e64 v8, null, s3, 0, s22
	s_waitcnt vmcnt(0) lgkmcnt(0)
	flat_load_d16_hi_b16 v2, v[7:8] offset:768
.LBB281_11:
	s_or_b32 exec_lo, exec_lo, s2
	v_or_b32_e32 v7, 0x200, v0
	s_mov_b32 s2, exec_lo
	s_delay_alu instid0(VALU_DEP_1)
	v_cmpx_gt_u32_e64 s20, v7
	s_cbranch_execz .LBB281_13
; %bb.12:
	v_lshlrev_b32_e32 v7, 1, v0
	s_delay_alu instid0(VALU_DEP_1) | instskip(NEXT) | instid1(VALU_DEP_1)
	v_add_co_u32 v7, s22, s12, v7
	v_add_co_ci_u32_e64 v8, null, s3, 0, s22
	flat_load_d16_b16 v3, v[7:8] offset:1024
.LBB281_13:
	;; [unrolled: 27-line block ×5, first 2 shown]
	s_or_b32 exec_lo, exec_lo, s2
	v_or_b32_e32 v7, 0x580, v0
	s_mov_b32 s2, exec_lo
	s_delay_alu instid0(VALU_DEP_1)
	v_cmpx_gt_u32_e64 s20, v7
	s_cbranch_execz .LBB281_27
; %bb.26:
	v_lshlrev_b32_e32 v7, 1, v0
	s_delay_alu instid0(VALU_DEP_1) | instskip(NEXT) | instid1(VALU_DEP_1)
	v_add_co_u32 v7, s22, s12, v7
	v_add_co_ci_u32_e64 v8, null, s3, 0, s22
	s_waitcnt vmcnt(0) lgkmcnt(0)
	flat_load_d16_hi_b16 v6, v[7:8] offset:2816
.LBB281_27:
	s_or_b32 exec_lo, exec_lo, s2
	v_lshlrev_b32_e32 v7, 1, v0
	s_waitcnt vmcnt(0) lgkmcnt(0)
	ds_store_b16 v7, v1
	ds_store_b16_d16_hi v7, v1 offset:256
	ds_store_b16 v7, v2 offset:512
	ds_store_b16_d16_hi v7, v2 offset:768
	ds_store_b16 v7, v3 offset:1024
	;; [unrolled: 2-line block ×5, first 2 shown]
	ds_store_b16_d16_hi v7, v6 offset:2816
	s_waitcnt lgkmcnt(0)
	s_barrier
.LBB281_28:
	v_mul_u32_u24_e32 v1, 12, v0
	s_waitcnt lgkmcnt(0)
	buffer_gl0_inv
	s_add_u32 s2, s8, s10
	s_addc_u32 s8, s9, s11
	s_add_u32 s2, s2, s4
	v_lshlrev_b32_e32 v8, 1, v1
	s_addc_u32 s4, s8, s5
	s_and_b32 vcc_lo, exec_lo, s14
	s_mov_b32 s5, -1
	ds_load_2addr_b64 v[18:21], v8 offset1:1
	ds_load_b64 v[27:28], v8 offset:16
	s_waitcnt lgkmcnt(0)
	s_barrier
	buffer_gl0_inv
	s_cbranch_vccz .LBB281_30
; %bb.29:
	v_lshlrev_b32_e32 v4, 1, v0
	s_delay_alu instid0(VALU_DEP_1) | instskip(NEXT) | instid1(VALU_DEP_1)
	v_add_co_u32 v2, s5, s2, v4
	v_add_co_ci_u32_e64 v3, null, s4, 0, s5
	s_mov_b32 s5, 0
	s_clause 0xb
	flat_load_u16 v5, v[2:3]
	flat_load_u16 v6, v[2:3] offset:256
	flat_load_u16 v7, v[2:3] offset:512
	;; [unrolled: 1-line block ×11, first 2 shown]
	s_waitcnt vmcnt(11) lgkmcnt(11)
	ds_store_b16 v4, v5
	s_waitcnt vmcnt(10) lgkmcnt(11)
	ds_store_b16 v4, v6 offset:256
	s_waitcnt vmcnt(9) lgkmcnt(11)
	ds_store_b16 v4, v7 offset:512
	;; [unrolled: 2-line block ×11, first 2 shown]
	s_waitcnt lgkmcnt(0)
	s_barrier
.LBB281_30:
	s_and_not1_b32 vcc_lo, exec_lo, s5
	s_cbranch_vccnz .LBB281_56
; %bb.31:
	s_mov_b32 s5, exec_lo
                                        ; implicit-def: $vgpr2
	v_cmpx_gt_u32_e64 s20, v0
	s_cbranch_execz .LBB281_33
; %bb.32:
	v_lshlrev_b32_e32 v2, 1, v0
	s_delay_alu instid0(VALU_DEP_1) | instskip(NEXT) | instid1(VALU_DEP_1)
	v_add_co_u32 v2, s8, s2, v2
	v_add_co_ci_u32_e64 v3, null, s4, 0, s8
	flat_load_u16 v2, v[2:3]
.LBB281_33:
	s_or_b32 exec_lo, exec_lo, s5
	v_or_b32_e32 v3, 0x80, v0
	s_delay_alu instid0(VALU_DEP_1)
	v_cmp_gt_u32_e32 vcc_lo, s20, v3
                                        ; implicit-def: $vgpr3
	s_and_saveexec_b32 s5, vcc_lo
	s_cbranch_execz .LBB281_35
; %bb.34:
	v_lshlrev_b32_e32 v3, 1, v0
	s_delay_alu instid0(VALU_DEP_1) | instskip(NEXT) | instid1(VALU_DEP_1)
	v_add_co_u32 v3, s8, s2, v3
	v_add_co_ci_u32_e64 v4, null, s4, 0, s8
	flat_load_u16 v3, v[3:4] offset:256
.LBB281_35:
	s_or_b32 exec_lo, exec_lo, s5
	v_or_b32_e32 v4, 0x100, v0
	s_delay_alu instid0(VALU_DEP_1)
	v_cmp_gt_u32_e32 vcc_lo, s20, v4
                                        ; implicit-def: $vgpr4
	s_and_saveexec_b32 s5, vcc_lo
	s_cbranch_execz .LBB281_37
; %bb.36:
	v_lshlrev_b32_e32 v4, 1, v0
	s_delay_alu instid0(VALU_DEP_1) | instskip(NEXT) | instid1(VALU_DEP_1)
	v_add_co_u32 v4, s8, s2, v4
	v_add_co_ci_u32_e64 v5, null, s4, 0, s8
	flat_load_u16 v4, v[4:5] offset:512
.LBB281_37:
	s_or_b32 exec_lo, exec_lo, s5
	v_or_b32_e32 v5, 0x180, v0
	s_delay_alu instid0(VALU_DEP_1)
	v_cmp_gt_u32_e32 vcc_lo, s20, v5
                                        ; implicit-def: $vgpr5
	s_and_saveexec_b32 s5, vcc_lo
	s_cbranch_execz .LBB281_39
; %bb.38:
	v_lshlrev_b32_e32 v5, 1, v0
	s_delay_alu instid0(VALU_DEP_1) | instskip(NEXT) | instid1(VALU_DEP_1)
	v_add_co_u32 v5, s8, s2, v5
	v_add_co_ci_u32_e64 v6, null, s4, 0, s8
	flat_load_u16 v5, v[5:6] offset:768
.LBB281_39:
	s_or_b32 exec_lo, exec_lo, s5
	v_or_b32_e32 v6, 0x200, v0
	s_delay_alu instid0(VALU_DEP_1)
	v_cmp_gt_u32_e32 vcc_lo, s20, v6
                                        ; implicit-def: $vgpr6
	s_and_saveexec_b32 s5, vcc_lo
	s_cbranch_execz .LBB281_41
; %bb.40:
	v_lshlrev_b32_e32 v6, 1, v0
	s_delay_alu instid0(VALU_DEP_1) | instskip(NEXT) | instid1(VALU_DEP_1)
	v_add_co_u32 v6, s8, s2, v6
	v_add_co_ci_u32_e64 v7, null, s4, 0, s8
	flat_load_u16 v6, v[6:7] offset:1024
.LBB281_41:
	s_or_b32 exec_lo, exec_lo, s5
	v_or_b32_e32 v7, 0x280, v0
	s_delay_alu instid0(VALU_DEP_1)
	v_cmp_gt_u32_e32 vcc_lo, s20, v7
                                        ; implicit-def: $vgpr7
	s_and_saveexec_b32 s5, vcc_lo
	s_cbranch_execz .LBB281_43
; %bb.42:
	v_lshlrev_b32_e32 v7, 1, v0
	s_delay_alu instid0(VALU_DEP_1) | instskip(NEXT) | instid1(VALU_DEP_1)
	v_add_co_u32 v9, s8, s2, v7
	v_add_co_ci_u32_e64 v10, null, s4, 0, s8
	flat_load_u16 v7, v[9:10] offset:1280
.LBB281_43:
	s_or_b32 exec_lo, exec_lo, s5
	v_or_b32_e32 v9, 0x300, v0
	s_delay_alu instid0(VALU_DEP_1)
	v_cmp_gt_u32_e32 vcc_lo, s20, v9
                                        ; implicit-def: $vgpr9
	s_and_saveexec_b32 s5, vcc_lo
	s_cbranch_execz .LBB281_45
; %bb.44:
	v_lshlrev_b32_e32 v9, 1, v0
	s_delay_alu instid0(VALU_DEP_1) | instskip(NEXT) | instid1(VALU_DEP_1)
	v_add_co_u32 v9, s8, s2, v9
	v_add_co_ci_u32_e64 v10, null, s4, 0, s8
	flat_load_u16 v9, v[9:10] offset:1536
.LBB281_45:
	s_or_b32 exec_lo, exec_lo, s5
	v_or_b32_e32 v10, 0x380, v0
	s_delay_alu instid0(VALU_DEP_1)
	v_cmp_gt_u32_e32 vcc_lo, s20, v10
                                        ; implicit-def: $vgpr10
	s_and_saveexec_b32 s5, vcc_lo
	s_cbranch_execz .LBB281_47
; %bb.46:
	v_lshlrev_b32_e32 v10, 1, v0
	s_delay_alu instid0(VALU_DEP_1) | instskip(NEXT) | instid1(VALU_DEP_1)
	v_add_co_u32 v10, s8, s2, v10
	v_add_co_ci_u32_e64 v11, null, s4, 0, s8
	flat_load_u16 v10, v[10:11] offset:1792
.LBB281_47:
	s_or_b32 exec_lo, exec_lo, s5
	v_or_b32_e32 v11, 0x400, v0
	s_delay_alu instid0(VALU_DEP_1)
	v_cmp_gt_u32_e32 vcc_lo, s20, v11
                                        ; implicit-def: $vgpr11
	s_and_saveexec_b32 s5, vcc_lo
	s_cbranch_execz .LBB281_49
; %bb.48:
	v_lshlrev_b32_e32 v11, 1, v0
	s_delay_alu instid0(VALU_DEP_1) | instskip(NEXT) | instid1(VALU_DEP_1)
	v_add_co_u32 v11, s8, s2, v11
	v_add_co_ci_u32_e64 v12, null, s4, 0, s8
	flat_load_u16 v11, v[11:12] offset:2048
.LBB281_49:
	s_or_b32 exec_lo, exec_lo, s5
	v_or_b32_e32 v12, 0x480, v0
	s_delay_alu instid0(VALU_DEP_1)
	v_cmp_gt_u32_e32 vcc_lo, s20, v12
                                        ; implicit-def: $vgpr12
	s_and_saveexec_b32 s5, vcc_lo
	s_cbranch_execz .LBB281_51
; %bb.50:
	v_lshlrev_b32_e32 v12, 1, v0
	s_delay_alu instid0(VALU_DEP_1) | instskip(NEXT) | instid1(VALU_DEP_1)
	v_add_co_u32 v12, s8, s2, v12
	v_add_co_ci_u32_e64 v13, null, s4, 0, s8
	flat_load_u16 v12, v[12:13] offset:2304
.LBB281_51:
	s_or_b32 exec_lo, exec_lo, s5
	v_or_b32_e32 v13, 0x500, v0
	s_delay_alu instid0(VALU_DEP_1)
	v_cmp_gt_u32_e32 vcc_lo, s20, v13
                                        ; implicit-def: $vgpr13
	s_and_saveexec_b32 s5, vcc_lo
	s_cbranch_execz .LBB281_53
; %bb.52:
	v_lshlrev_b32_e32 v13, 1, v0
	s_delay_alu instid0(VALU_DEP_1) | instskip(NEXT) | instid1(VALU_DEP_1)
	v_add_co_u32 v13, s8, s2, v13
	v_add_co_ci_u32_e64 v14, null, s4, 0, s8
	flat_load_u16 v13, v[13:14] offset:2560
.LBB281_53:
	s_or_b32 exec_lo, exec_lo, s5
	v_or_b32_e32 v14, 0x580, v0
	s_delay_alu instid0(VALU_DEP_1)
	v_cmp_gt_u32_e32 vcc_lo, s20, v14
                                        ; implicit-def: $vgpr14
	s_and_saveexec_b32 s5, vcc_lo
	s_cbranch_execz .LBB281_55
; %bb.54:
	v_lshlrev_b32_e32 v14, 1, v0
	s_delay_alu instid0(VALU_DEP_1) | instskip(NEXT) | instid1(VALU_DEP_1)
	v_add_co_u32 v14, s2, s2, v14
	v_add_co_ci_u32_e64 v15, null, s4, 0, s2
	flat_load_u16 v14, v[14:15] offset:2816
.LBB281_55:
	s_or_b32 exec_lo, exec_lo, s5
	v_mad_i32_i24 v15, 0xffffffea, v0, v8
	s_waitcnt vmcnt(0) lgkmcnt(0)
	ds_store_b16 v15, v2
	ds_store_b16 v15, v3 offset:256
	ds_store_b16 v15, v4 offset:512
	;; [unrolled: 1-line block ×11, first 2 shown]
	s_waitcnt lgkmcnt(0)
	s_barrier
.LBB281_56:
	buffer_gl0_inv
	ds_load_2addr_b64 v[14:17], v8 offset1:1
	ds_load_b64 v[25:26], v8 offset:16
	s_cmp_lg_u32 s15, 0
	v_lshrrev_b32_e32 v41, 16, v18
	s_cselect_b32 s22, -1, 0
	s_cmp_lg_u64 s[6:7], 0
	v_lshrrev_b32_e32 v40, 16, v19
	s_cselect_b32 s2, -1, 0
	v_lshrrev_b32_e32 v39, 16, v20
	v_lshrrev_b32_e32 v38, 16, v21
	v_or_b32_e32 v12, 1, v1
	v_or_b32_e32 v6, 2, v1
	;; [unrolled: 1-line block ×3, first 2 shown]
	v_add_nc_u32_e32 v7, 4, v1
	v_add_nc_u32_e32 v5, 5, v1
	;; [unrolled: 1-line block ×5, first 2 shown]
	v_lshrrev_b32_e32 v37, 16, v27
	v_lshrrev_b32_e32 v31, 16, v28
	v_add_nc_u32_e32 v10, 9, v1
	v_add_nc_u32_e32 v8, 10, v1
	;; [unrolled: 1-line block ×3, first 2 shown]
	s_or_b32 s2, s22, s2
	s_mov_b32 s23, 0
	s_and_b32 vcc_lo, exec_lo, s2
	s_waitcnt lgkmcnt(0)
	s_barrier
	buffer_gl0_inv
	s_cbranch_vccz .LBB281_61
; %bb.57:
	v_add_co_u32 v22, s2, -2, s12
	s_delay_alu instid0(VALU_DEP_1)
	v_add_co_ci_u32_e64 v23, null, -1, s3, s2
	v_lshlrev_b32_e32 v29, 1, v0
	s_mov_b32 s3, -1
	s_and_b32 vcc_lo, exec_lo, s14
	flat_load_u16 v13, v[22:23]
	ds_store_b16 v29, v31
	s_cbranch_vccz .LBB281_62
; %bb.58:
	s_waitcnt vmcnt(0) lgkmcnt(1)
	v_mov_b32_e32 v22, v13
	s_mov_b32 s3, 0
	s_mov_b32 s2, exec_lo
	s_waitcnt lgkmcnt(0)
	s_barrier
	buffer_gl0_inv
	v_cmpx_ne_u32_e32 0, v0
	s_cbranch_execz .LBB281_60
; %bb.59:
	v_add_nc_u32_e32 v22, -2, v29
	ds_load_u16 v22, v22
.LBB281_60:
	s_or_b32 exec_lo, exec_lo, s2
	v_cmp_ne_u16_e32 vcc_lo, v28, v31
	s_waitcnt lgkmcnt(0)
	v_cmp_ne_u16_e64 s2, v22, v18
	v_cndmask_b32_e64 v23, 0, 1, vcc_lo
	v_cmp_ne_u16_e32 vcc_lo, v37, v28
	s_delay_alu instid0(VALU_DEP_2) | instskip(SKIP_2) | instid1(VALU_DEP_2)
	v_lshlrev_b16 v23, 8, v23
	v_cndmask_b32_e64 v24, 0, 1, vcc_lo
	v_cmp_ne_u16_e32 vcc_lo, v27, v37
	v_or_b32_e32 v23, v24, v23
	v_cndmask_b32_e64 v30, 0, 1, vcc_lo
	v_cmp_ne_u16_e32 vcc_lo, v38, v27
	s_delay_alu instid0(VALU_DEP_2) | instskip(SKIP_2) | instid1(VALU_DEP_2)
	v_lshlrev_b16 v30, 8, v30
	v_cndmask_b32_e64 v32, 0, 1, vcc_lo
	v_cmp_ne_u16_e32 vcc_lo, v19, v40
	v_or_b32_e32 v30, v32, v30
	v_cndmask_b32_e64 v33, 0, 1, vcc_lo
	v_cmp_ne_u16_e32 vcc_lo, v21, v38
	s_delay_alu instid0(VALU_DEP_3) | instskip(NEXT) | instid1(VALU_DEP_3)
	v_and_b32_e32 v30, 0xffff, v30
	v_lshlrev_b16 v33, 8, v33
	v_cndmask_b32_e64 v34, 0, 1, vcc_lo
	v_cmp_ne_u16_e32 vcc_lo, v41, v19
	s_delay_alu instid0(VALU_DEP_2) | instskip(SKIP_2) | instid1(VALU_DEP_2)
	v_lshlrev_b16 v34, 8, v34
	v_cndmask_b32_e64 v35, 0, 1, vcc_lo
	v_cmp_ne_u16_e32 vcc_lo, v39, v21
	v_or_b32_e32 v33, v35, v33
	v_cndmask_b32_e64 v36, 0, 1, vcc_lo
	v_cmp_ne_u16_e32 vcc_lo, v20, v39
	s_delay_alu instid0(VALU_DEP_3) | instskip(NEXT) | instid1(VALU_DEP_3)
	v_lshlrev_b32_e32 v33, 16, v33
	v_or_b32_e32 v34, v36, v34
	v_cndmask_b32_e64 v42, 0, 1, vcc_lo
	v_cmp_ne_u16_e32 vcc_lo, v40, v20
	s_delay_alu instid0(VALU_DEP_3) | instskip(NEXT) | instid1(VALU_DEP_3)
	v_lshlrev_b32_e32 v34, 16, v34
	v_lshlrev_b16 v42, 8, v42
	v_cndmask_b32_e64 v35, 0, 1, vcc_lo
	v_cmp_ne_u16_e32 vcc_lo, v18, v41
	s_delay_alu instid0(VALU_DEP_2) | instskip(SKIP_1) | instid1(VALU_DEP_2)
	v_or_b32_e32 v35, v35, v42
	v_cndmask_b32_e64 v43, 0, 1, vcc_lo
	v_and_b32_e32 v32, 0xffff, v35
	s_delay_alu instid0(VALU_DEP_2) | instskip(SKIP_1) | instid1(VALU_DEP_3)
	v_lshlrev_b16 v43, 8, v43
	v_lshlrev_b32_e32 v35, 16, v23
	v_or_b32_e32 v23, v32, v34
	s_delay_alu instid0(VALU_DEP_3) | instskip(NEXT) | instid1(VALU_DEP_3)
	v_and_b32_e32 v24, 0xffff, v43
	v_or_b32_e32 v36, v30, v35
	s_delay_alu instid0(VALU_DEP_2)
	v_or_b32_e32 v22, v24, v33
	s_and_b32 vcc_lo, exec_lo, s3
	s_cbranch_vccnz .LBB281_63
	s_branch .LBB281_66
.LBB281_61:
                                        ; implicit-def: $sgpr2
                                        ; implicit-def: $vgpr36
                                        ; implicit-def: $vgpr22_vgpr23_vgpr24
	s_branch .LBB281_67
.LBB281_62:
                                        ; implicit-def: $sgpr2
                                        ; implicit-def: $vgpr36
                                        ; implicit-def: $vgpr22_vgpr23_vgpr24
	s_and_b32 vcc_lo, exec_lo, s3
	s_cbranch_vccz .LBB281_66
.LBB281_63:
	s_mov_b32 s2, exec_lo
	s_waitcnt vmcnt(0) lgkmcnt(0)
	s_barrier
	buffer_gl0_inv
	v_cmpx_ne_u32_e32 0, v0
	s_cbranch_execz .LBB281_65
; %bb.64:
	v_add_nc_u32_e32 v13, -2, v29
	ds_load_u16 v13, v13
.LBB281_65:
	s_or_b32 exec_lo, exec_lo, s2
	v_cmp_gt_u32_e32 vcc_lo, s20, v9
	v_cmp_ne_u16_e64 s2, v28, v31
	v_cmp_gt_u32_e64 s3, s20, v8
	v_cmp_ne_u16_e64 s4, v37, v28
	v_cmp_gt_u32_e64 s5, s20, v10
	v_cmp_ne_u16_e64 s6, v27, v37
	s_and_b32 s2, vcc_lo, s2
	v_cmp_gt_u32_e32 vcc_lo, s20, v11
	v_cndmask_b32_e64 v22, 0, 1, s2
	s_and_b32 s2, s3, s4
	v_cmp_gt_u32_e64 s3, s20, v2
	v_cndmask_b32_e64 v23, 0, 1, s2
	s_and_b32 s2, s5, s6
	v_cmp_ne_u16_e64 s4, v21, v38
	v_cndmask_b32_e64 v24, 0, 1, s2
	v_cmp_ne_u16_e64 s2, v38, v27
	v_cmp_gt_u32_e64 s5, s20, v3
	v_cmp_ne_u16_e64 s6, v39, v21
	v_lshlrev_b16 v22, 8, v22
	v_lshlrev_b16 v24, 8, v24
	s_and_b32 s2, vcc_lo, s2
	v_cmp_gt_u32_e32 vcc_lo, s20, v4
	v_cndmask_b32_e64 v29, 0, 1, s2
	s_and_b32 s2, s3, s4
	v_cmp_gt_u32_e64 s3, s20, v5
	v_cndmask_b32_e64 v30, 0, 1, s2
	s_and_b32 s2, s5, s6
	v_cmp_gt_u32_e64 s5, s20, v6
	v_cndmask_b32_e64 v32, 0, 1, s2
	v_cmp_ne_u16_e64 s2, v19, v40
	v_cmp_ne_u16_e64 s6, v41, v19
	;; [unrolled: 1-line block ×3, first 2 shown]
	v_lshlrev_b16 v30, 8, v30
	v_or_b32_e32 v24, v29, v24
	s_and_b32 s2, vcc_lo, s2
	v_cmp_gt_u32_e32 vcc_lo, s20, v7
	v_cndmask_b32_e64 v33, 0, 1, s2
	v_cmp_ne_u16_e64 s2, v40, v20
	s_and_b32 s5, s5, s6
	v_cmp_ne_u16_e64 s6, v18, v41
	v_cndmask_b32_e64 v34, 0, 1, s5
	v_lshlrev_b16 v33, 8, v33
	v_cmp_gt_u32_e64 s5, s20, v12
	s_and_b32 s3, s3, s4
	s_and_b32 s2, vcc_lo, s2
	v_cndmask_b32_e64 v35, 0, 1, s3
	v_or_b32_e32 v33, v34, v33
	v_cndmask_b32_e64 v34, 0, 1, s2
	s_and_b32 s2, s5, s6
	v_or_b32_e32 v30, v32, v30
	v_cndmask_b32_e64 v36, 0, 1, s2
	v_lshlrev_b16 v35, 8, v35
	v_or_b32_e32 v22, v23, v22
	v_lshlrev_b32_e32 v33, 16, v33
	v_lshlrev_b32_e32 v30, 16, v30
	v_lshlrev_b16 v36, 8, v36
	v_or_b32_e32 v34, v34, v35
	v_and_b32_e32 v24, 0xffff, v24
	v_lshlrev_b32_e32 v32, 16, v22
	v_cmp_gt_u32_e32 vcc_lo, s20, v1
	v_and_b32_e32 v23, 0xffff, v36
	v_and_b32_e32 v29, 0xffff, v34
	s_waitcnt lgkmcnt(0)
	v_cmp_ne_u16_e64 s2, v13, v18
	v_or_b32_e32 v36, v24, v32
	v_or_b32_e32 v22, v23, v33
	;; [unrolled: 1-line block ×3, first 2 shown]
	s_delay_alu instid0(VALU_DEP_4)
	s_and_b32 s2, vcc_lo, s2
.LBB281_66:
	s_mov_b32 s23, -1
	s_cbranch_execnz .LBB281_75
.LBB281_67:
	s_waitcnt vmcnt(0) lgkmcnt(1)
	v_lshlrev_b32_e32 v13, 1, v0
	v_cmp_ne_u16_e64 s8, v28, v31
	v_cmp_ne_u16_e64 s9, v37, v28
	;; [unrolled: 1-line block ×11, first 2 shown]
	s_and_b32 vcc_lo, exec_lo, s14
	ds_store_b16 v13, v31
	s_cbranch_vccz .LBB281_71
; %bb.68:
	v_cndmask_b32_e64 v22, 0, 1, s12
	v_cndmask_b32_e64 v23, 0, 1, s8
	;; [unrolled: 1-line block ×5, first 2 shown]
	v_lshlrev_b16 v22, 8, v22
	v_cndmask_b32_e64 v35, 0, 1, s7
	v_cndmask_b32_e64 v36, 0, 1, s3
	v_cndmask_b32_e64 v24, 0, 1, s9
	v_cndmask_b32_e64 v32, 0, 1, s4
	v_cndmask_b32_e64 v34, 0, 1, s6
	v_or_b32_e32 v22, v29, v22
	v_cndmask_b32_e64 v29, 0, 1, s2
	v_lshlrev_b16 v23, 8, v23
	v_lshlrev_b16 v33, 8, v33
	;; [unrolled: 1-line block ×5, first 2 shown]
	v_or_b32_e32 v23, v24, v23
	v_or_b32_e32 v24, v34, v33
	;; [unrolled: 1-line block ×5, first 2 shown]
	v_and_b32_e32 v22, 0xffff, v22
	v_lshlrev_b32_e32 v23, 16, v23
	v_and_b32_e32 v24, 0xffff, v24
	v_lshlrev_b32_e32 v30, 16, v30
	v_lshlrev_b32_e32 v29, 16, v29
	v_and_b32_e32 v32, 0xffff, v32
	v_or_b32_e32 v36, v22, v23
	s_mov_b32 s3, 0
	v_or_b32_e32 v23, v24, v30
	s_mov_b32 s4, exec_lo
	v_or_b32_e32 v22, v32, v29
	s_waitcnt lgkmcnt(0)
	s_barrier
	buffer_gl0_inv
                                        ; implicit-def: $sgpr2
	v_cmpx_ne_u32_e32 0, v0
	s_xor_b32 s4, exec_lo, s4
	s_cbranch_execz .LBB281_70
; %bb.69:
	v_add_nc_u32_e32 v24, -2, v13
	s_or_b32 s23, s23, exec_lo
	ds_load_u16 v24, v24
	s_waitcnt lgkmcnt(0)
	v_cmp_ne_u16_e32 vcc_lo, v24, v18
	s_and_b32 s2, vcc_lo, exec_lo
.LBB281_70:
	s_or_b32 exec_lo, exec_lo, s4
	s_delay_alu instid0(SALU_CYCLE_1)
	s_and_b32 vcc_lo, exec_lo, s3
	s_cbranch_vccnz .LBB281_72
	s_branch .LBB281_75
.LBB281_71:
                                        ; implicit-def: $sgpr2
                                        ; implicit-def: $vgpr36
                                        ; implicit-def: $vgpr22_vgpr23_vgpr24
	s_cbranch_execz .LBB281_75
.LBB281_72:
	v_cmp_gt_u32_e32 vcc_lo, s20, v9
	v_cmp_ne_u16_e64 s2, v28, v31
	v_cmp_gt_u32_e64 s3, s20, v8
	v_cmp_ne_u16_e64 s4, v37, v28
	v_cmp_gt_u32_e64 s5, s20, v2
	v_cmp_ne_u16_e64 s6, v21, v38
	s_and_b32 s2, vcc_lo, s2
	v_cmp_gt_u32_e32 vcc_lo, s20, v10
	v_cndmask_b32_e64 v22, 0, 1, s2
	s_and_b32 s2, s3, s4
	v_cmp_gt_u32_e64 s3, s20, v11
	v_cndmask_b32_e64 v23, 0, 1, s2
	v_cmp_ne_u16_e64 s2, v27, v37
	v_cmp_ne_u16_e64 s4, v38, v27
	v_lshlrev_b16 v22, 8, v22
	s_waitcnt lgkmcnt(0)
	s_barrier
	s_and_b32 s2, vcc_lo, s2
	v_cmp_gt_u32_e32 vcc_lo, s20, v3
	v_cndmask_b32_e64 v24, 0, 1, s2
	s_and_b32 s2, s3, s4
	v_cmp_gt_u32_e64 s3, s20, v5
	v_cndmask_b32_e64 v29, 0, 1, s2
	s_and_b32 s2, s5, s6
	v_cmp_ne_u16_e64 s4, v20, v39
	v_cndmask_b32_e64 v30, 0, 1, s2
	v_cmp_ne_u16_e64 s2, v39, v21
	v_cmp_gt_u32_e64 s5, s20, v7
	v_cmp_ne_u16_e64 s6, v40, v20
	v_lshlrev_b16 v24, 8, v24
	v_lshlrev_b16 v30, 8, v30
	s_and_b32 s2, vcc_lo, s2
	v_cmp_gt_u32_e32 vcc_lo, s20, v4
	v_cndmask_b32_e64 v32, 0, 1, s2
	s_and_b32 s2, s3, s4
	v_cmp_gt_u32_e64 s3, s20, v6
	v_cndmask_b32_e64 v33, 0, 1, s2
	s_and_b32 s2, s5, s6
	v_cmp_ne_u16_e64 s4, v41, v19
	v_cndmask_b32_e64 v34, 0, 1, s2
	v_cmp_ne_u16_e64 s2, v19, v40
	v_cmp_gt_u32_e64 s5, s20, v12
	v_cmp_ne_u16_e64 s6, v18, v41
	v_or_b32_e32 v24, v29, v24
	v_lshlrev_b16 v33, 8, v33
	s_and_b32 s2, vcc_lo, s2
	v_or_b32_e32 v22, v23, v22
	v_cndmask_b32_e64 v35, 0, 1, s2
	s_and_b32 s2, s3, s4
	v_or_b32_e32 v23, v34, v33
	v_cndmask_b32_e64 v29, 0, 1, s2
	s_and_b32 s2, s5, s6
	v_lshlrev_b16 v35, 8, v35
	v_cndmask_b32_e64 v36, 0, 1, s2
	v_or_b32_e32 v30, v32, v30
	v_and_b32_e32 v24, 0xffff, v24
	v_lshlrev_b32_e32 v22, 16, v22
	v_or_b32_e32 v29, v29, v35
	v_lshlrev_b16 v36, 8, v36
	v_and_b32_e32 v23, 0xffff, v23
	v_lshlrev_b32_e32 v30, 16, v30
	s_mov_b32 s3, exec_lo
	v_lshlrev_b32_e32 v29, 16, v29
	v_or_b32_e32 v32, 1, v36
	v_or_b32_e32 v36, v24, v22
	;; [unrolled: 1-line block ×3, first 2 shown]
	buffer_gl0_inv
                                        ; implicit-def: $sgpr2
	v_and_b32_e32 v32, 0xffff, v32
	s_delay_alu instid0(VALU_DEP_1)
	v_or_b32_e32 v22, v32, v29
	v_cmpx_ne_u32_e32 0, v0
	s_cbranch_execz .LBB281_74
; %bb.73:
	v_add_nc_u32_e32 v13, -2, v13
	v_cmp_gt_u32_e32 vcc_lo, s20, v1
	s_or_b32 s23, s23, exec_lo
	ds_load_u16 v13, v13
	s_waitcnt lgkmcnt(0)
	v_cmp_ne_u16_e64 s2, v13, v18
	s_delay_alu instid0(VALU_DEP_1) | instskip(NEXT) | instid1(SALU_CYCLE_1)
	s_and_b32 s2, vcc_lo, s2
	s_and_b32 s2, s2, exec_lo
.LBB281_74:
	s_or_b32 exec_lo, exec_lo, s3
.LBB281_75:
	s_and_saveexec_b32 s3, s23
	s_cbranch_execz .LBB281_77
; %bb.76:
	s_waitcnt vmcnt(0) lgkmcnt(1)
	v_and_b32_e32 v13, 0xffffff00, v22
	v_cndmask_b32_e64 v24, 0, 1, s2
	s_delay_alu instid0(VALU_DEP_1) | instskip(NEXT) | instid1(VALU_DEP_1)
	v_or_b32_e32 v13, v24, v13
	v_and_b32_e32 v13, 0xffff, v13
	s_delay_alu instid0(VALU_DEP_1)
	v_and_or_b32 v22, 0xffff0000, v22, v13
.LBB281_77:
	s_or_b32 exec_lo, exec_lo, s3
	s_load_b64 s[10:11], s[0:1], 0x60
	s_and_not1_b32 vcc_lo, exec_lo, s21
	s_cbranch_vccnz .LBB281_79
; %bb.78:
	v_cmp_gt_u32_e32 vcc_lo, s20, v1
	v_cmp_gt_u32_e64 s3, s20, v6
	v_cmp_gt_u32_e64 s5, s20, v4
	;; [unrolled: 1-line block ×4, first 2 shown]
	v_cndmask_b32_e32 v1, 0, v22, vcc_lo
	v_cmp_gt_u32_e32 vcc_lo, s20, v12
	v_and_b32_e32 v12, 0xffffff00, v23
	v_cmp_gt_u32_e64 s6, s20, v3
	s_delay_alu instid0(VALU_DEP_4) | instskip(NEXT) | instid1(VALU_DEP_3)
	v_and_b32_e32 v1, 0xff, v1
	v_cndmask_b32_e64 v7, v12, v23, s2
	s_delay_alu instid0(VALU_DEP_2) | instskip(SKIP_1) | instid1(VALU_DEP_3)
	v_cndmask_b32_e32 v1, v1, v22, vcc_lo
	v_cmp_gt_u32_e32 vcc_lo, s20, v11
	v_and_b32_e32 v7, 0xffff00ff, v7
	s_delay_alu instid0(VALU_DEP_3) | instskip(SKIP_1) | instid1(VALU_DEP_3)
	v_and_b32_e32 v1, 0xffff, v1
	v_cndmask_b32_e32 v11, 0, v36, vcc_lo
	v_cndmask_b32_e64 v5, v7, v23, s4
	s_delay_alu instid0(VALU_DEP_3) | instskip(SKIP_1) | instid1(VALU_DEP_3)
	v_cndmask_b32_e64 v1, v1, v22, s3
	v_cmp_gt_u32_e64 s3, s20, v10
	v_and_b32_e32 v5, 0xff00ffff, v5
	s_delay_alu instid0(VALU_DEP_3) | instskip(NEXT) | instid1(VALU_DEP_2)
	v_and_b32_e32 v1, 0xffffff, v1
	v_cndmask_b32_e64 v3, v5, v23, s6
	s_delay_alu instid0(VALU_DEP_2) | instskip(SKIP_1) | instid1(VALU_DEP_2)
	v_cndmask_b32_e64 v1, v1, v22, s5
	v_cmp_gt_u32_e64 s5, s20, v8
	v_cndmask_b32_e64 v1, v1, v22, s2
	v_cmp_gt_u32_e64 s2, s20, v9
	s_delay_alu instid0(VALU_DEP_2) | instskip(SKIP_2) | instid1(VALU_DEP_3)
	v_cndmask_b32_e64 v1, v1, v22, s4
	v_cmp_gt_u32_e64 s4, s20, v2
	v_and_b32_e32 v2, 0xffffff, v3
	v_cndmask_b32_e64 v1, v1, v22, s6
	v_and_b32_e32 v11, 0xff, v11
	s_delay_alu instid0(VALU_DEP_1) | instskip(NEXT) | instid1(VALU_DEP_1)
	v_cndmask_b32_e64 v6, v11, v36, s3
	v_and_b32_e32 v6, 0xffff, v6
	s_delay_alu instid0(VALU_DEP_1) | instskip(NEXT) | instid1(VALU_DEP_1)
	v_cndmask_b32_e64 v4, v6, v36, s5
	v_and_b32_e32 v4, 0xffffff, v4
	s_delay_alu instid0(VALU_DEP_1) | instskip(SKIP_1) | instid1(SALU_CYCLE_1)
	v_cndmask_b32_e64 v36, v4, v36, s2
	s_or_b32 s2, s2, s5
	s_or_b32 s2, s2, s3
	s_delay_alu instid0(SALU_CYCLE_1) | instskip(NEXT) | instid1(SALU_CYCLE_1)
	s_or_b32 s2, s2, vcc_lo
	s_or_b32 vcc_lo, s2, s4
	v_dual_cndmask_b32 v22, v1, v22 :: v_dual_cndmask_b32 v23, v2, v23
.LBB281_79:
	s_delay_alu instid0(VALU_DEP_1) | instskip(NEXT) | instid1(VALU_DEP_2)
	v_and_b32_e32 v42, 0xff, v22
	v_alignbit_b32 v1, v23, v22, 24
	v_bfe_u32 v43, v22, 8, 8
	v_bfe_u32 v44, v22, 16, 8
	v_and_b32_e32 v46, 0xff, v23
	v_bfe_u32 v47, v23, 8, 8
	v_and_b32_e32 v45, 0xff, v1
	v_dual_mov_b32 v1, v36 :: v_dual_add_nc_u32 v2, v43, v42
	v_bfe_u32 v48, v23, 16, 8
	v_lshrrev_b32_e32 v24, 24, v23
	v_and_b32_e32 v49, 0xff, v36
	v_mbcnt_lo_u32_b32 v52, -1, 0
	v_add3_u32 v2, v2, v44, v45
	v_bfe_u32 v50, v36, 8, 8
	v_alignbit_b32 v3, s0, v36, 24
	v_bfe_u32 v51, v36, 16, 8
	v_and_b32_e32 v4, 15, v52
	v_add3_u32 v2, v2, v46, v47
	v_or_b32_e32 v5, 31, v0
	v_and_b32_e32 v3, 0xff, v3
	v_and_b32_e32 v6, 16, v52
	v_cmp_eq_u32_e64 s7, 0, v4
	v_add3_u32 v2, v2, v48, v24
	v_cmp_lt_u32_e64 s6, 1, v4
	v_cmp_lt_u32_e64 s5, 3, v4
	;; [unrolled: 1-line block ×3, first 2 shown]
	v_cmp_eq_u32_e64 s3, 0, v6
	v_add3_u32 v2, v2, v49, v50
	v_lshrrev_b32_e32 v53, 5, v0
	v_cmp_eq_u32_e64 s2, v5, v0
	s_and_b32 vcc_lo, exec_lo, s22
	s_mov_b32 s8, -1
	v_add3_u32 v54, v2, v51, v3
	s_waitcnt vmcnt(0) lgkmcnt(0)
	s_barrier
	buffer_gl0_inv
	s_cbranch_vccz .LBB281_105
; %bb.80:
	v_mov_b32_dpp v2, v54 row_shr:1 row_mask:0xf bank_mask:0xf
	s_delay_alu instid0(VALU_DEP_1) | instskip(NEXT) | instid1(VALU_DEP_1)
	v_cndmask_b32_e64 v2, v2, 0, s7
	v_add_nc_u32_e32 v2, v2, v54
	s_delay_alu instid0(VALU_DEP_1) | instskip(NEXT) | instid1(VALU_DEP_1)
	v_mov_b32_dpp v3, v2 row_shr:2 row_mask:0xf bank_mask:0xf
	v_cndmask_b32_e64 v3, 0, v3, s6
	s_delay_alu instid0(VALU_DEP_1) | instskip(NEXT) | instid1(VALU_DEP_1)
	v_add_nc_u32_e32 v2, v2, v3
	v_mov_b32_dpp v3, v2 row_shr:4 row_mask:0xf bank_mask:0xf
	s_delay_alu instid0(VALU_DEP_1) | instskip(NEXT) | instid1(VALU_DEP_1)
	v_cndmask_b32_e64 v3, 0, v3, s5
	v_add_nc_u32_e32 v2, v2, v3
	s_delay_alu instid0(VALU_DEP_1) | instskip(NEXT) | instid1(VALU_DEP_1)
	v_mov_b32_dpp v3, v2 row_shr:8 row_mask:0xf bank_mask:0xf
	v_cndmask_b32_e64 v3, 0, v3, s4
	s_delay_alu instid0(VALU_DEP_1) | instskip(SKIP_3) | instid1(VALU_DEP_1)
	v_add_nc_u32_e32 v2, v2, v3
	ds_swizzle_b32 v3, v2 offset:swizzle(BROADCAST,32,15)
	s_waitcnt lgkmcnt(0)
	v_cndmask_b32_e64 v3, v3, 0, s3
	v_add_nc_u32_e32 v2, v2, v3
	s_and_saveexec_b32 s8, s2
	s_cbranch_execz .LBB281_82
; %bb.81:
	v_lshlrev_b32_e32 v3, 2, v53
	ds_store_b32 v3, v2
.LBB281_82:
	s_or_b32 exec_lo, exec_lo, s8
	s_delay_alu instid0(SALU_CYCLE_1)
	s_mov_b32 s8, exec_lo
	s_waitcnt lgkmcnt(0)
	s_barrier
	buffer_gl0_inv
	v_cmpx_gt_u32_e32 4, v0
	s_cbranch_execz .LBB281_84
; %bb.83:
	v_and_b32_e32 v5, 3, v52
	s_delay_alu instid0(VALU_DEP_1) | instskip(SKIP_4) | instid1(VALU_DEP_1)
	v_cmp_ne_u32_e32 vcc_lo, 0, v5
	v_lshlrev_b32_e32 v3, 2, v0
	ds_load_b32 v4, v3
	s_waitcnt lgkmcnt(0)
	v_mov_b32_dpp v6, v4 row_shr:1 row_mask:0xf bank_mask:0xf
	v_cndmask_b32_e32 v6, 0, v6, vcc_lo
	v_cmp_lt_u32_e32 vcc_lo, 1, v5
	s_delay_alu instid0(VALU_DEP_2) | instskip(NEXT) | instid1(VALU_DEP_1)
	v_add_nc_u32_e32 v4, v6, v4
	v_mov_b32_dpp v6, v4 row_shr:2 row_mask:0xf bank_mask:0xf
	s_delay_alu instid0(VALU_DEP_1) | instskip(NEXT) | instid1(VALU_DEP_1)
	v_cndmask_b32_e32 v5, 0, v6, vcc_lo
	v_add_nc_u32_e32 v4, v4, v5
	ds_store_b32 v3, v4
.LBB281_84:
	s_or_b32 exec_lo, exec_lo, s8
	v_cmp_gt_u32_e32 vcc_lo, 32, v0
	s_mov_b32 s9, exec_lo
	s_waitcnt lgkmcnt(0)
	s_barrier
	buffer_gl0_inv
                                        ; implicit-def: $vgpr10
	v_cmpx_lt_u32_e32 31, v0
	s_cbranch_execz .LBB281_86
; %bb.85:
	v_lshl_add_u32 v3, v53, 2, -4
	ds_load_b32 v10, v3
	s_waitcnt lgkmcnt(0)
	v_add_nc_u32_e32 v2, v10, v2
.LBB281_86:
	s_or_b32 exec_lo, exec_lo, s9
	v_add_nc_u32_e32 v3, -1, v52
	s_delay_alu instid0(VALU_DEP_1) | instskip(NEXT) | instid1(VALU_DEP_1)
	v_cmp_gt_i32_e64 s8, 0, v3
	v_cndmask_b32_e64 v3, v3, v52, s8
	v_cmp_eq_u32_e64 s8, 0, v52
	s_delay_alu instid0(VALU_DEP_2)
	v_lshlrev_b32_e32 v3, 2, v3
	ds_bpermute_b32 v11, v3, v2
	s_and_saveexec_b32 s9, vcc_lo
	s_cbranch_execz .LBB281_104
; %bb.87:
	v_mov_b32_e32 v6, 0
	ds_load_b32 v2, v6 offset:12
	s_and_saveexec_b32 s12, s8
	s_cbranch_execz .LBB281_89
; %bb.88:
	s_add_i32 s20, s15, 32
	s_mov_b32 s21, 0
	v_mov_b32_e32 v3, 1
	s_lshl_b64 s[20:21], s[20:21], 3
	s_delay_alu instid0(SALU_CYCLE_1)
	s_add_u32 s20, s10, s20
	s_addc_u32 s21, s11, s21
	s_waitcnt lgkmcnt(0)
	global_store_b64 v6, v[2:3], s[20:21]
.LBB281_89:
	s_or_b32 exec_lo, exec_lo, s12
	v_xad_u32 v4, v52, -1, s15
	s_mov_b32 s20, 0
	s_mov_b32 s12, exec_lo
	s_delay_alu instid0(VALU_DEP_1) | instskip(NEXT) | instid1(VALU_DEP_1)
	v_add_nc_u32_e32 v5, 32, v4
	v_lshlrev_b64 v[5:6], 3, v[5:6]
	s_delay_alu instid0(VALU_DEP_1) | instskip(NEXT) | instid1(VALU_DEP_2)
	v_add_co_u32 v8, vcc_lo, s10, v5
	v_add_co_ci_u32_e32 v9, vcc_lo, s11, v6, vcc_lo
	global_load_b64 v[6:7], v[8:9], off glc
	s_waitcnt vmcnt(0)
	v_and_b32_e32 v3, 0xff, v7
	s_delay_alu instid0(VALU_DEP_1)
	v_cmpx_eq_u16_e32 0, v3
	s_cbranch_execz .LBB281_92
.LBB281_90:                             ; =>This Inner Loop Header: Depth=1
	global_load_b64 v[6:7], v[8:9], off glc
	s_waitcnt vmcnt(0)
	v_and_b32_e32 v3, 0xff, v7
	s_delay_alu instid0(VALU_DEP_1) | instskip(SKIP_1) | instid1(SALU_CYCLE_1)
	v_cmp_ne_u16_e32 vcc_lo, 0, v3
	s_or_b32 s20, vcc_lo, s20
	s_and_not1_b32 exec_lo, exec_lo, s20
	s_cbranch_execnz .LBB281_90
; %bb.91:
	s_or_b32 exec_lo, exec_lo, s20
.LBB281_92:
	s_delay_alu instid0(SALU_CYCLE_1)
	s_or_b32 exec_lo, exec_lo, s12
	v_cmp_ne_u32_e32 vcc_lo, 31, v52
	v_lshlrev_b32_e64 v13, v52, -1
	v_add_nc_u32_e32 v30, 2, v52
	v_add_nc_u32_e32 v56, 16, v52
	v_add_co_ci_u32_e32 v3, vcc_lo, 0, v52, vcc_lo
	s_delay_alu instid0(VALU_DEP_1)
	v_lshlrev_b32_e32 v12, 2, v3
	v_and_b32_e32 v3, 0xff, v7
	ds_bpermute_b32 v5, v12, v6
	v_cmp_eq_u16_e32 vcc_lo, 2, v3
	v_and_or_b32 v3, vcc_lo, v13, 0x80000000
	v_cmp_gt_u32_e32 vcc_lo, 30, v52
	s_delay_alu instid0(VALU_DEP_2) | instskip(SKIP_1) | instid1(VALU_DEP_2)
	v_ctz_i32_b32_e32 v3, v3
	v_cndmask_b32_e64 v8, 0, 1, vcc_lo
	v_cmp_lt_u32_e32 vcc_lo, v52, v3
	s_waitcnt lgkmcnt(0)
	s_delay_alu instid0(VALU_DEP_2) | instskip(NEXT) | instid1(VALU_DEP_1)
	v_dual_cndmask_b32 v5, 0, v5 :: v_dual_lshlrev_b32 v8, 1, v8
	v_add_lshl_u32 v29, v8, v52, 2
	v_cmp_gt_u32_e32 vcc_lo, 28, v52
	s_delay_alu instid0(VALU_DEP_3) | instskip(SKIP_4) | instid1(VALU_DEP_1)
	v_add_nc_u32_e32 v5, v5, v6
	v_cndmask_b32_e64 v8, 0, 1, vcc_lo
	v_cmp_le_u32_e32 vcc_lo, v30, v3
	ds_bpermute_b32 v6, v29, v5
	v_lshlrev_b32_e32 v8, 2, v8
	v_add_lshl_u32 v32, v8, v52, 2
	s_waitcnt lgkmcnt(0)
	v_cndmask_b32_e32 v6, 0, v6, vcc_lo
	v_cmp_gt_u32_e32 vcc_lo, 24, v52
	s_delay_alu instid0(VALU_DEP_2) | instskip(SKIP_4) | instid1(VALU_DEP_2)
	v_add_nc_u32_e32 v5, v5, v6
	v_cndmask_b32_e64 v8, 0, 1, vcc_lo
	ds_bpermute_b32 v6, v32, v5
	v_add_nc_u32_e32 v33, 4, v52
	v_lshlrev_b32_e32 v8, 3, v8
	v_cmp_le_u32_e32 vcc_lo, v33, v3
	s_delay_alu instid0(VALU_DEP_2) | instskip(SKIP_3) | instid1(VALU_DEP_2)
	v_add_lshl_u32 v34, v8, v52, 2
	s_waitcnt lgkmcnt(0)
	v_cndmask_b32_e32 v6, 0, v6, vcc_lo
	v_cmp_gt_u32_e32 vcc_lo, 16, v52
	v_add_nc_u32_e32 v5, v5, v6
	v_cndmask_b32_e64 v8, 0, 1, vcc_lo
	ds_bpermute_b32 v6, v34, v5
	v_add_nc_u32_e32 v35, 8, v52
	v_lshlrev_b32_e32 v8, 4, v8
	s_delay_alu instid0(VALU_DEP_2) | instskip(NEXT) | instid1(VALU_DEP_2)
	v_cmp_le_u32_e32 vcc_lo, v35, v3
	v_add_lshl_u32 v55, v8, v52, 2
	s_waitcnt lgkmcnt(0)
	v_cndmask_b32_e32 v6, 0, v6, vcc_lo
	v_cmp_le_u32_e32 vcc_lo, v56, v3
	s_delay_alu instid0(VALU_DEP_2) | instskip(SKIP_3) | instid1(VALU_DEP_1)
	v_add_nc_u32_e32 v5, v5, v6
	ds_bpermute_b32 v6, v55, v5
	s_waitcnt lgkmcnt(0)
	v_cndmask_b32_e32 v3, 0, v6, vcc_lo
	v_dual_mov_b32 v5, 0 :: v_dual_add_nc_u32 v6, v5, v3
	s_branch .LBB281_94
.LBB281_93:                             ;   in Loop: Header=BB281_94 Depth=1
	s_or_b32 exec_lo, exec_lo, s12
	ds_bpermute_b32 v9, v12, v6
	v_and_b32_e32 v8, 0xff, v7
	v_subrev_nc_u32_e32 v4, 32, v4
	s_delay_alu instid0(VALU_DEP_2) | instskip(SKIP_1) | instid1(VALU_DEP_1)
	v_cmp_eq_u16_e32 vcc_lo, 2, v8
	v_and_or_b32 v8, vcc_lo, v13, 0x80000000
	v_ctz_i32_b32_e32 v8, v8
	s_delay_alu instid0(VALU_DEP_1) | instskip(SKIP_3) | instid1(VALU_DEP_2)
	v_cmp_lt_u32_e32 vcc_lo, v52, v8
	s_waitcnt lgkmcnt(0)
	v_cndmask_b32_e32 v9, 0, v9, vcc_lo
	v_cmp_le_u32_e32 vcc_lo, v30, v8
	v_add_nc_u32_e32 v6, v9, v6
	ds_bpermute_b32 v9, v29, v6
	s_waitcnt lgkmcnt(0)
	v_cndmask_b32_e32 v9, 0, v9, vcc_lo
	v_cmp_le_u32_e32 vcc_lo, v33, v8
	s_delay_alu instid0(VALU_DEP_2) | instskip(SKIP_4) | instid1(VALU_DEP_2)
	v_add_nc_u32_e32 v6, v6, v9
	ds_bpermute_b32 v9, v32, v6
	s_waitcnt lgkmcnt(0)
	v_cndmask_b32_e32 v9, 0, v9, vcc_lo
	v_cmp_le_u32_e32 vcc_lo, v35, v8
	v_add_nc_u32_e32 v6, v6, v9
	ds_bpermute_b32 v9, v34, v6
	s_waitcnt lgkmcnt(0)
	v_cndmask_b32_e32 v9, 0, v9, vcc_lo
	v_cmp_le_u32_e32 vcc_lo, v56, v8
	s_delay_alu instid0(VALU_DEP_2) | instskip(SKIP_3) | instid1(VALU_DEP_1)
	v_add_nc_u32_e32 v6, v6, v9
	ds_bpermute_b32 v9, v55, v6
	s_waitcnt lgkmcnt(0)
	v_cndmask_b32_e32 v8, 0, v9, vcc_lo
	v_add3_u32 v6, v8, v3, v6
.LBB281_94:                             ; =>This Loop Header: Depth=1
                                        ;     Child Loop BB281_97 Depth 2
	v_and_b32_e32 v3, 0xff, v7
	s_delay_alu instid0(VALU_DEP_1) | instskip(SKIP_2) | instid1(VALU_DEP_1)
	v_cmp_ne_u16_e32 vcc_lo, 2, v3
	v_cndmask_b32_e64 v3, 0, 1, vcc_lo
	;;#ASMSTART
	;;#ASMEND
	v_cmp_ne_u32_e32 vcc_lo, 0, v3
	v_mov_b32_e32 v3, v6
	s_cmp_lg_u32 vcc_lo, exec_lo
	s_cbranch_scc1 .LBB281_99
; %bb.95:                               ;   in Loop: Header=BB281_94 Depth=1
	v_lshlrev_b64 v[6:7], 3, v[4:5]
	s_mov_b32 s12, exec_lo
	s_delay_alu instid0(VALU_DEP_1) | instskip(NEXT) | instid1(VALU_DEP_2)
	v_add_co_u32 v8, vcc_lo, s10, v6
	v_add_co_ci_u32_e32 v9, vcc_lo, s11, v7, vcc_lo
	global_load_b64 v[6:7], v[8:9], off glc
	s_waitcnt vmcnt(0)
	v_and_b32_e32 v57, 0xff, v7
	s_delay_alu instid0(VALU_DEP_1)
	v_cmpx_eq_u16_e32 0, v57
	s_cbranch_execz .LBB281_93
; %bb.96:                               ;   in Loop: Header=BB281_94 Depth=1
	s_mov_b32 s20, 0
.LBB281_97:                             ;   Parent Loop BB281_94 Depth=1
                                        ; =>  This Inner Loop Header: Depth=2
	global_load_b64 v[6:7], v[8:9], off glc
	s_waitcnt vmcnt(0)
	v_and_b32_e32 v57, 0xff, v7
	s_delay_alu instid0(VALU_DEP_1) | instskip(SKIP_1) | instid1(SALU_CYCLE_1)
	v_cmp_ne_u16_e32 vcc_lo, 0, v57
	s_or_b32 s20, vcc_lo, s20
	s_and_not1_b32 exec_lo, exec_lo, s20
	s_cbranch_execnz .LBB281_97
; %bb.98:                               ;   in Loop: Header=BB281_94 Depth=1
	s_or_b32 exec_lo, exec_lo, s20
	s_branch .LBB281_93
.LBB281_99:                             ;   in Loop: Header=BB281_94 Depth=1
                                        ; implicit-def: $vgpr6
                                        ; implicit-def: $vgpr7
	s_cbranch_execz .LBB281_94
; %bb.100:
	s_and_saveexec_b32 s12, s8
	s_cbranch_execz .LBB281_102
; %bb.101:
	s_add_i32 s20, s15, 32
	s_mov_b32 s21, 0
	v_dual_mov_b32 v5, 2 :: v_dual_add_nc_u32 v4, v3, v2
	s_lshl_b64 s[20:21], s[20:21], 3
	v_mov_b32_e32 v6, 0
	s_add_u32 s20, s10, s20
	s_addc_u32 s21, s11, s21
	global_store_b64 v6, v[4:5], s[20:21]
	ds_store_b64 v6, v[2:3] offset:3072
.LBB281_102:
	s_or_b32 exec_lo, exec_lo, s12
	v_cmp_eq_u32_e32 vcc_lo, 0, v0
	s_and_b32 exec_lo, exec_lo, vcc_lo
	s_cbranch_execz .LBB281_104
; %bb.103:
	v_mov_b32_e32 v2, 0
	ds_store_b32 v2, v3 offset:12
.LBB281_104:
	s_or_b32 exec_lo, exec_lo, s9
	s_waitcnt lgkmcnt(0)
	v_cndmask_b32_e64 v3, v11, v10, s8
	v_cmp_ne_u32_e32 vcc_lo, 0, v0
	v_mov_b32_e32 v12, 0
	s_waitcnt_vscnt null, 0x0
	s_barrier
	buffer_gl0_inv
	v_cndmask_b32_e32 v3, 0, v3, vcc_lo
	ds_load_b32 v2, v12 offset:12
	s_waitcnt lgkmcnt(0)
	s_barrier
	buffer_gl0_inv
	ds_load_b64 v[29:30], v12 offset:3072
	v_add_nc_u32_e32 v2, v2, v3
	s_delay_alu instid0(VALU_DEP_1) | instskip(NEXT) | instid1(VALU_DEP_1)
	v_add_nc_u32_e32 v3, v2, v42
	v_add_nc_u32_e32 v4, v3, v43
	s_delay_alu instid0(VALU_DEP_1) | instskip(NEXT) | instid1(VALU_DEP_1)
	v_add_nc_u32_e32 v5, v4, v44
	;; [unrolled: 3-line block ×5, first 2 shown]
	v_add_nc_u32_e32 v12, v11, v50
	s_delay_alu instid0(VALU_DEP_1)
	v_add_nc_u32_e32 v13, v12, v51
	v_lshrrev_b64 v[34:35], 24, v[22:23]
	v_lshrrev_b64 v[32:33], 24, v[1:2]
	s_branch .LBB281_115
.LBB281_105:
                                        ; implicit-def: $vgpr30
                                        ; implicit-def: $vgpr2_vgpr3_vgpr4_vgpr5_vgpr6_vgpr7_vgpr8_vgpr9_vgpr10_vgpr11_vgpr12_vgpr13
                                        ; implicit-def: $vgpr29
	v_lshrrev_b64 v[34:35], 24, v[22:23]
	v_lshrrev_b64 v[32:33], 24, v[1:2]
	s_and_b32 vcc_lo, exec_lo, s8
	s_cbranch_vccz .LBB281_115
; %bb.106:
	v_mov_b32_dpp v1, v54 row_shr:1 row_mask:0xf bank_mask:0xf
	s_delay_alu instid0(VALU_DEP_1) | instskip(NEXT) | instid1(VALU_DEP_1)
	v_cndmask_b32_e64 v1, v1, 0, s7
	v_add_nc_u32_e32 v1, v1, v54
	s_delay_alu instid0(VALU_DEP_1) | instskip(NEXT) | instid1(VALU_DEP_1)
	v_mov_b32_dpp v2, v1 row_shr:2 row_mask:0xf bank_mask:0xf
	v_cndmask_b32_e64 v2, 0, v2, s6
	s_delay_alu instid0(VALU_DEP_1) | instskip(NEXT) | instid1(VALU_DEP_1)
	v_add_nc_u32_e32 v1, v1, v2
	v_mov_b32_dpp v2, v1 row_shr:4 row_mask:0xf bank_mask:0xf
	s_delay_alu instid0(VALU_DEP_1) | instskip(NEXT) | instid1(VALU_DEP_1)
	v_cndmask_b32_e64 v2, 0, v2, s5
	v_add_nc_u32_e32 v1, v1, v2
	s_delay_alu instid0(VALU_DEP_1) | instskip(NEXT) | instid1(VALU_DEP_1)
	v_mov_b32_dpp v2, v1 row_shr:8 row_mask:0xf bank_mask:0xf
	v_cndmask_b32_e64 v2, 0, v2, s4
	s_delay_alu instid0(VALU_DEP_1) | instskip(SKIP_3) | instid1(VALU_DEP_1)
	v_add_nc_u32_e32 v1, v1, v2
	ds_swizzle_b32 v2, v1 offset:swizzle(BROADCAST,32,15)
	s_waitcnt lgkmcnt(0)
	v_cndmask_b32_e64 v2, v2, 0, s3
	v_add_nc_u32_e32 v1, v1, v2
	s_and_saveexec_b32 s3, s2
	s_cbranch_execz .LBB281_108
; %bb.107:
	v_lshlrev_b32_e32 v2, 2, v53
	ds_store_b32 v2, v1
.LBB281_108:
	s_or_b32 exec_lo, exec_lo, s3
	s_delay_alu instid0(SALU_CYCLE_1)
	s_mov_b32 s2, exec_lo
	s_waitcnt lgkmcnt(0)
	s_barrier
	buffer_gl0_inv
	v_cmpx_gt_u32_e32 4, v0
	s_cbranch_execz .LBB281_110
; %bb.109:
	v_and_b32_e32 v4, 3, v52
	s_delay_alu instid0(VALU_DEP_1) | instskip(SKIP_4) | instid1(VALU_DEP_1)
	v_cmp_ne_u32_e32 vcc_lo, 0, v4
	v_lshlrev_b32_e32 v2, 2, v0
	ds_load_b32 v3, v2
	s_waitcnt lgkmcnt(0)
	v_mov_b32_dpp v5, v3 row_shr:1 row_mask:0xf bank_mask:0xf
	v_cndmask_b32_e32 v5, 0, v5, vcc_lo
	v_cmp_lt_u32_e32 vcc_lo, 1, v4
	s_delay_alu instid0(VALU_DEP_2) | instskip(NEXT) | instid1(VALU_DEP_1)
	v_add_nc_u32_e32 v3, v5, v3
	v_mov_b32_dpp v5, v3 row_shr:2 row_mask:0xf bank_mask:0xf
	s_delay_alu instid0(VALU_DEP_1) | instskip(NEXT) | instid1(VALU_DEP_1)
	v_cndmask_b32_e32 v4, 0, v5, vcc_lo
	v_add_nc_u32_e32 v3, v3, v4
	ds_store_b32 v2, v3
.LBB281_110:
	s_or_b32 exec_lo, exec_lo, s2
	v_dual_mov_b32 v3, 0 :: v_dual_mov_b32 v2, 0
	s_mov_b32 s2, exec_lo
	s_waitcnt lgkmcnt(0)
	s_barrier
	buffer_gl0_inv
	v_cmpx_lt_u32_e32 31, v0
	s_cbranch_execz .LBB281_112
; %bb.111:
	v_lshl_add_u32 v2, v53, 2, -4
	ds_load_b32 v2, v2
.LBB281_112:
	s_or_b32 exec_lo, exec_lo, s2
	v_add_nc_u32_e32 v4, -1, v52
	ds_load_b32 v29, v3 offset:12
	s_waitcnt lgkmcnt(1)
	v_add_nc_u32_e32 v1, v2, v1
	v_cmp_gt_i32_e32 vcc_lo, 0, v4
	v_cndmask_b32_e32 v4, v4, v52, vcc_lo
	v_cmp_eq_u32_e32 vcc_lo, 0, v0
	s_delay_alu instid0(VALU_DEP_2)
	v_lshlrev_b32_e32 v4, 2, v4
	ds_bpermute_b32 v1, v4, v1
	s_and_saveexec_b32 s2, vcc_lo
	s_cbranch_execz .LBB281_114
; %bb.113:
	v_dual_mov_b32 v3, 0 :: v_dual_mov_b32 v30, 2
	s_waitcnt lgkmcnt(1)
	global_store_b64 v3, v[29:30], s[10:11] offset:256
.LBB281_114:
	s_or_b32 exec_lo, exec_lo, s2
	v_cmp_eq_u32_e64 s2, 0, v52
	s_waitcnt lgkmcnt(0)
	s_waitcnt_vscnt null, 0x0
	s_barrier
	buffer_gl0_inv
	v_mov_b32_e32 v30, 0
	v_cndmask_b32_e64 v1, v1, v2, s2
	s_delay_alu instid0(VALU_DEP_1) | instskip(NEXT) | instid1(VALU_DEP_1)
	v_cndmask_b32_e64 v2, v1, 0, vcc_lo
	v_add_nc_u32_e32 v3, v2, v42
	s_delay_alu instid0(VALU_DEP_1) | instskip(NEXT) | instid1(VALU_DEP_1)
	v_add_nc_u32_e32 v4, v3, v43
	v_add_nc_u32_e32 v5, v4, v44
	s_delay_alu instid0(VALU_DEP_1) | instskip(NEXT) | instid1(VALU_DEP_1)
	v_add_nc_u32_e32 v6, v5, v45
	;; [unrolled: 3-line block ×5, first 2 shown]
	v_add_nc_u32_e32 v13, v12, v51
.LBB281_115:
	s_load_b128 s[4:7], s[0:1], 0x28
	s_waitcnt lgkmcnt(0)
	v_add_nc_u32_e32 v46, v30, v29
	v_cmp_gt_u32_e64 s0, 0x81, v29
	v_lshrrev_b32_e32 v33, 16, v36
	v_lshrrev_b32_e32 v44, 16, v22
	;; [unrolled: 1-line block ×6, first 2 shown]
	v_cmp_lt_u32_e64 s1, v2, v46
	s_and_b32 vcc_lo, exec_lo, s0
	s_mov_b32 s2, -1
	s_cbranch_vccz .LBB281_153
; %bb.116:
	s_lshl_b64 s[2:3], s[18:19], 1
	s_delay_alu instid0(SALU_CYCLE_1) | instskip(SKIP_2) | instid1(SALU_CYCLE_1)
	s_add_u32 s2, s4, s2
	s_addc_u32 s3, s5, s3
	s_or_b32 s8, s14, s1
	s_and_saveexec_b32 s1, s8
	s_cbranch_execz .LBB281_119
; %bb.117:
	v_and_b32_e32 v1, 1, v22
	s_delay_alu instid0(VALU_DEP_1)
	v_cmp_eq_u32_e32 vcc_lo, 1, v1
	s_and_b32 exec_lo, exec_lo, vcc_lo
	s_cbranch_execz .LBB281_119
; %bb.118:
	v_dual_mov_b32 v48, 0 :: v_dual_mov_b32 v47, v2
	s_delay_alu instid0(VALU_DEP_1) | instskip(NEXT) | instid1(VALU_DEP_1)
	v_lshlrev_b64 v[47:48], 1, v[47:48]
	v_add_co_u32 v47, vcc_lo, s2, v47
	s_delay_alu instid0(VALU_DEP_2)
	v_add_co_ci_u32_e32 v48, vcc_lo, s3, v48, vcc_lo
	global_store_b16 v[47:48], v18, off
.LBB281_119:
	s_or_b32 exec_lo, exec_lo, s1
	v_cmp_lt_u32_e32 vcc_lo, v3, v46
	s_or_b32 s8, s14, vcc_lo
	s_delay_alu instid0(SALU_CYCLE_1)
	s_and_saveexec_b32 s1, s8
	s_cbranch_execz .LBB281_122
; %bb.120:
	v_and_b32_e32 v1, 1, v45
	s_delay_alu instid0(VALU_DEP_1)
	v_cmp_eq_u32_e32 vcc_lo, 1, v1
	s_and_b32 exec_lo, exec_lo, vcc_lo
	s_cbranch_execz .LBB281_122
; %bb.121:
	v_dual_mov_b32 v48, 0 :: v_dual_mov_b32 v47, v3
	s_delay_alu instid0(VALU_DEP_1) | instskip(NEXT) | instid1(VALU_DEP_1)
	v_lshlrev_b64 v[47:48], 1, v[47:48]
	v_add_co_u32 v47, vcc_lo, s2, v47
	s_delay_alu instid0(VALU_DEP_2)
	v_add_co_ci_u32_e32 v48, vcc_lo, s3, v48, vcc_lo
	global_store_b16 v[47:48], v41, off
.LBB281_122:
	s_or_b32 exec_lo, exec_lo, s1
	v_cmp_lt_u32_e32 vcc_lo, v4, v46
	s_or_b32 s8, s14, vcc_lo
	s_delay_alu instid0(SALU_CYCLE_1)
	;; [unrolled: 21-line block ×11, first 2 shown]
	s_and_saveexec_b32 s1, s8
	s_cbranch_execz .LBB281_152
; %bb.150:
	v_and_b32_e32 v1, 1, v32
	s_delay_alu instid0(VALU_DEP_1)
	v_cmp_eq_u32_e32 vcc_lo, 1, v1
	s_and_b32 exec_lo, exec_lo, vcc_lo
	s_cbranch_execz .LBB281_152
; %bb.151:
	v_dual_mov_b32 v48, 0 :: v_dual_mov_b32 v47, v13
	s_delay_alu instid0(VALU_DEP_1) | instskip(NEXT) | instid1(VALU_DEP_1)
	v_lshlrev_b64 v[47:48], 1, v[47:48]
	v_add_co_u32 v47, vcc_lo, s2, v47
	s_delay_alu instid0(VALU_DEP_2)
	v_add_co_ci_u32_e32 v48, vcc_lo, s3, v48, vcc_lo
	global_store_b16 v[47:48], v31, off
.LBB281_152:
	s_or_b32 exec_lo, exec_lo, s1
	s_mov_b32 s2, 0
.LBB281_153:
	v_and_b32_e32 v22, 1, v22
	s_and_b32 vcc_lo, exec_lo, s2
	s_delay_alu instid0(VALU_DEP_1)
	v_cmp_eq_u32_e64 s1, 1, v22
	s_cbranch_vccz .LBB281_194
; %bb.154:
	s_delay_alu instid0(VALU_DEP_1)
	s_and_saveexec_b32 s2, s1
	s_cbranch_execz .LBB281_156
; %bb.155:
	v_sub_nc_u32_e32 v1, v2, v30
	s_delay_alu instid0(VALU_DEP_1)
	v_lshlrev_b32_e32 v1, 1, v1
	ds_store_b16 v1, v18
.LBB281_156:
	s_or_b32 exec_lo, exec_lo, s2
	v_and_b32_e32 v1, 1, v45
	s_mov_b32 s1, exec_lo
	s_delay_alu instid0(VALU_DEP_1)
	v_cmpx_eq_u32_e32 1, v1
	s_cbranch_execz .LBB281_158
; %bb.157:
	v_sub_nc_u32_e32 v1, v3, v30
	s_delay_alu instid0(VALU_DEP_1)
	v_lshlrev_b32_e32 v1, 1, v1
	ds_store_b16 v1, v41
.LBB281_158:
	s_or_b32 exec_lo, exec_lo, s1
	v_and_b32_e32 v1, 1, v44
	s_mov_b32 s1, exec_lo
	s_delay_alu instid0(VALU_DEP_1)
	v_cmpx_eq_u32_e32 1, v1
	;; [unrolled: 12-line block ×11, first 2 shown]
	s_cbranch_execz .LBB281_178
; %bb.177:
	v_sub_nc_u32_e32 v1, v13, v30
	s_delay_alu instid0(VALU_DEP_1)
	v_lshlrev_b32_e32 v1, 1, v1
	ds_store_b16 v1, v31
.LBB281_178:
	s_or_b32 exec_lo, exec_lo, s1
	s_delay_alu instid0(SALU_CYCLE_1)
	s_mov_b32 s3, exec_lo
	s_waitcnt lgkmcnt(0)
	s_waitcnt_vscnt null, 0x0
	s_barrier
	buffer_gl0_inv
	v_cmpx_lt_u32_e64 v0, v29
	s_cbranch_execz .LBB281_193
; %bb.179:
	v_mov_b32_e32 v31, 0
	s_lshl_b64 s[8:9], s[18:19], 1
	v_xad_u32 v1, v0, -1, v29
	s_add_u32 s2, s4, s8
	s_addc_u32 s4, s5, s9
	v_lshlrev_b64 v[18:19], 1, v[30:31]
	s_delay_alu instid0(VALU_DEP_2) | instskip(NEXT) | instid1(VALU_DEP_2)
	v_cmp_gt_u32_e32 vcc_lo, 0xc80, v1
	v_add_co_u32 v27, s2, s2, v18
	v_mov_b32_e32 v18, v0
	s_delay_alu instid0(VALU_DEP_4)
	v_add_co_ci_u32_e64 v28, s2, s4, v19, s2
	s_mov_b32 s2, -1
	s_mov_b32 s4, exec_lo
	v_cmpx_lt_u32_e32 0xc7f, v1
	s_cbranch_execz .LBB281_190
; %bb.180:
	v_sub_nc_u32_e32 v18, v0, v29
	s_delay_alu instid0(VALU_DEP_1) | instskip(NEXT) | instid1(VALU_DEP_1)
	v_or_b32_e32 v18, 0x7f, v18
	v_cmp_ge_u32_e64 s1, v18, v0
	v_mov_b32_e32 v18, v0
	s_delay_alu instid0(VALU_DEP_2)
	s_and_saveexec_b32 s5, s1
	s_cbranch_execz .LBB281_189
; %bb.181:
	v_lshrrev_b32_e32 v31, 7, v1
	v_or_b32_e32 v1, 0x80, v0
	s_delay_alu instid0(VALU_DEP_2) | instskip(NEXT) | instid1(VALU_DEP_1)
	v_add_nc_u32_e32 v18, -1, v31
	v_lshrrev_b32_e32 v19, 1, v18
	v_mov_b32_e32 v40, 0
	v_cmp_lt_u32_e64 s1, 13, v18
	s_delay_alu instid0(VALU_DEP_3) | instskip(SKIP_1) | instid1(VALU_DEP_3)
	v_add_nc_u32_e32 v37, 1, v19
	v_dual_mov_b32 v19, v1 :: v_dual_mov_b32 v18, v0
	s_and_saveexec_b32 s2, s1
	s_cbranch_execz .LBB281_185
; %bb.182:
	s_delay_alu instid0(VALU_DEP_2)
	v_dual_mov_b32 v19, v1 :: v_dual_and_b32 v38, -8, v37
	v_mov_b32_e32 v21, 0
	v_dual_mov_b32 v18, v0 :: v_dual_lshlrev_b32 v39, 1, v0
	s_mov_b32 s8, 0
	s_mov_b32 s9, 0
.LBB281_183:                            ; =>This Inner Loop Header: Depth=1
	s_delay_alu instid0(VALU_DEP_1) | instskip(SKIP_2) | instid1(VALU_DEP_3)
	v_dual_mov_b32 v20, v18 :: v_dual_add_nc_u32 v47, 0x100, v19
	v_add_nc_u32_e32 v38, -8, v38
	v_dual_mov_b32 v48, v21 :: v_dual_add_nc_u32 v49, 0x200, v19
	v_lshlrev_b64 v[61:62], 1, v[20:21]
	v_dual_mov_b32 v50, v21 :: v_dual_add_nc_u32 v51, 0x300, v19
	s_delay_alu instid0(VALU_DEP_4) | instskip(NEXT) | instid1(VALU_DEP_4)
	v_cmp_eq_u32_e64 s1, 0, v38
	v_lshlrev_b64 v[47:48], 1, v[47:48]
	v_dual_mov_b32 v52, v21 :: v_dual_add_nc_u32 v53, 0x400, v19
	s_add_i32 s9, s9, 16
	v_lshlrev_b64 v[49:50], 1, v[49:50]
	s_or_b32 s8, s1, s8
	v_add_co_u32 v61, s1, v27, v61
	v_dual_mov_b32 v54, v21 :: v_dual_add_nc_u32 v55, 0x500, v19
	v_add_co_ci_u32_e64 v62, s1, v28, v62, s1
	v_lshlrev_b64 v[51:52], 1, v[51:52]
	v_add_co_u32 v47, s1, v27, v47
	v_dual_mov_b32 v56, v21 :: v_dual_add_nc_u32 v57, 0x600, v19
	v_add_co_ci_u32_e64 v48, s1, v28, v48, s1
	v_lshlrev_b64 v[53:54], 1, v[53:54]
	v_add_co_u32 v49, s1, v27, v49
	v_dual_mov_b32 v58, v21 :: v_dual_add_nc_u32 v59, 0x700, v19
	v_add_co_ci_u32_e64 v50, s1, v28, v50, s1
	v_lshlrev_b64 v[55:56], 1, v[55:56]
	v_add_co_u32 v51, s1, v27, v51
	v_mov_b32_e32 v60, v21
	v_mov_b32_e32 v20, v19
	v_add_co_ci_u32_e64 v52, s1, v28, v52, s1
	v_lshlrev_b64 v[57:58], 1, v[57:58]
	v_add_co_u32 v53, s1, v27, v53
	ds_load_u16 v1, v39
	ds_load_u16 v41, v39 offset:256
	ds_load_u16 v67, v39 offset:512
	;; [unrolled: 1-line block ×7, first 2 shown]
	v_add_co_ci_u32_e64 v54, s1, v28, v54, s1
	ds_load_u16 v73, v39 offset:2048
	ds_load_u16 v74, v39 offset:2304
	;; [unrolled: 1-line block ×8, first 2 shown]
	v_add_nc_u32_e32 v39, 0x1000, v39
	v_lshlrev_b64 v[59:60], 1, v[59:60]
	v_add_co_u32 v55, s1, v27, v55
	v_lshlrev_b64 v[63:64], 1, v[20:21]
	v_add_nc_u32_e32 v20, 0x100, v18
	v_add_co_ci_u32_e64 v56, s1, v28, v56, s1
	v_add_co_u32 v57, s1, v27, v57
	s_delay_alu instid0(VALU_DEP_1)
	v_add_co_ci_u32_e64 v58, s1, v28, v58, s1
	v_add_co_u32 v59, s1, v27, v59
	v_lshlrev_b64 v[65:66], 1, v[20:21]
	v_add_nc_u32_e32 v20, 0x200, v18
	v_add_co_ci_u32_e64 v60, s1, v28, v60, s1
	v_add_co_u32 v63, s1, v27, v63
	s_delay_alu instid0(VALU_DEP_1)
	v_add_co_ci_u32_e64 v64, s1, v28, v64, s1
	s_waitcnt lgkmcnt(15)
	global_store_b16 v[61:62], v1, off
	v_lshlrev_b64 v[61:62], 1, v[20:21]
	v_add_nc_u32_e32 v20, 0x300, v18
	v_add_co_u32 v65, s1, v27, v65
	s_delay_alu instid0(VALU_DEP_1)
	v_add_co_ci_u32_e64 v66, s1, v28, v66, s1
	s_waitcnt lgkmcnt(14)
	global_store_b16 v[63:64], v41, off
	v_lshlrev_b64 v[63:64], 1, v[20:21]
	v_add_nc_u32_e32 v20, 0x400, v18
	s_waitcnt lgkmcnt(13)
	global_store_b16 v[65:66], v67, off
	s_waitcnt lgkmcnt(12)
	global_store_b16 v[47:48], v68, off
	v_add_co_u32 v47, s1, v27, v61
	s_delay_alu instid0(VALU_DEP_1) | instskip(SKIP_3) | instid1(VALU_DEP_1)
	v_add_co_ci_u32_e64 v48, s1, v28, v62, s1
	v_lshlrev_b64 v[61:62], 1, v[20:21]
	v_add_nc_u32_e32 v20, 0x500, v18
	v_add_co_u32 v63, s1, v27, v63
	v_add_co_ci_u32_e64 v64, s1, v28, v64, s1
	s_waitcnt lgkmcnt(11)
	global_store_b16 v[47:48], v69, off
	s_waitcnt lgkmcnt(10)
	global_store_b16 v[49:50], v70, off
	v_lshlrev_b64 v[47:48], 1, v[20:21]
	v_add_nc_u32_e32 v20, 0x600, v18
	v_add_co_u32 v49, s1, v27, v61
	s_waitcnt lgkmcnt(9)
	global_store_b16 v[63:64], v71, off
	s_waitcnt lgkmcnt(8)
	global_store_b16 v[51:52], v72, off
	v_add_co_ci_u32_e64 v50, s1, v28, v62, s1
	v_lshlrev_b64 v[51:52], 1, v[20:21]
	v_add_nc_u32_e32 v20, 0x700, v18
	v_add_co_u32 v47, s1, v27, v47
	s_delay_alu instid0(VALU_DEP_1)
	v_add_co_ci_u32_e64 v48, s1, v28, v48, s1
	s_waitcnt lgkmcnt(7)
	global_store_b16 v[49:50], v73, off
	s_waitcnt lgkmcnt(6)
	global_store_b16 v[53:54], v74, off
	v_lshlrev_b64 v[49:50], 1, v[20:21]
	v_dual_mov_b32 v40, s9 :: v_dual_add_nc_u32 v19, 0x800, v19
	s_waitcnt lgkmcnt(5)
	global_store_b16 v[47:48], v75, off
	v_add_co_u32 v47, s1, v27, v51
	v_add_nc_u32_e32 v18, 0x800, v18
	v_add_co_ci_u32_e64 v48, s1, v28, v52, s1
	v_add_co_u32 v49, s1, v27, v49
	s_delay_alu instid0(VALU_DEP_1)
	v_add_co_ci_u32_e64 v50, s1, v28, v50, s1
	s_waitcnt lgkmcnt(4)
	global_store_b16 v[55:56], v76, off
	s_waitcnt lgkmcnt(3)
	global_store_b16 v[47:48], v77, off
	s_waitcnt lgkmcnt(2)
	global_store_b16 v[57:58], v78, off
	s_waitcnt lgkmcnt(1)
	global_store_b16 v[49:50], v79, off
	s_waitcnt lgkmcnt(0)
	global_store_b16 v[59:60], v80, off
	s_and_not1_b32 exec_lo, exec_lo, s8
	s_cbranch_execnz .LBB281_183
; %bb.184:
	s_or_b32 exec_lo, exec_lo, s8
.LBB281_185:
	s_delay_alu instid0(SALU_CYCLE_1) | instskip(SKIP_3) | instid1(VALU_DEP_1)
	s_or_b32 exec_lo, exec_lo, s2
	v_and_b32_e32 v1, 7, v37
	s_mov_b32 s9, 0
	s_mov_b32 s8, exec_lo
	v_cmpx_ne_u32_e32 0, v1
	s_cbranch_execz .LBB281_188
; %bb.186:
	v_dual_mov_b32 v21, 0 :: v_dual_lshlrev_b32 v20, 1, v0
	s_delay_alu instid0(VALU_DEP_1)
	v_lshl_or_b32 v37, v40, 8, v20
	s_set_inst_prefetch_distance 0x1
	.p2align	6
.LBB281_187:                            ; =>This Inner Loop Header: Depth=1
	v_dual_mov_b32 v20, v18 :: v_dual_add_nc_u32 v1, -1, v1
	ds_load_u16 v47, v37
	ds_load_u16 v48, v37 offset:256
	v_add_nc_u32_e32 v18, 0x100, v18
	v_add_nc_u32_e32 v37, 0x200, v37
	v_lshlrev_b64 v[38:39], 1, v[20:21]
	v_mov_b32_e32 v20, v19
	v_cmp_eq_u32_e64 s1, 0, v1
	v_add_nc_u32_e32 v19, 0x100, v19
	s_delay_alu instid0(VALU_DEP_3) | instskip(SKIP_1) | instid1(VALU_DEP_1)
	v_lshlrev_b64 v[40:41], 1, v[20:21]
	v_add_co_u32 v38, s2, v27, v38
	v_add_co_ci_u32_e64 v39, s2, v28, v39, s2
	s_or_b32 s9, s1, s9
	s_delay_alu instid0(VALU_DEP_3) | instskip(NEXT) | instid1(VALU_DEP_1)
	v_add_co_u32 v40, s2, v27, v40
	v_add_co_ci_u32_e64 v41, s2, v28, v41, s2
	s_waitcnt lgkmcnt(1)
	global_store_b16 v[38:39], v47, off
	s_waitcnt lgkmcnt(0)
	global_store_b16 v[40:41], v48, off
	s_and_not1_b32 exec_lo, exec_lo, s9
	s_cbranch_execnz .LBB281_187
.LBB281_188:
	s_set_inst_prefetch_distance 0x2
	s_or_b32 exec_lo, exec_lo, s8
	v_add_nc_u32_e32 v1, 1, v31
	s_delay_alu instid0(VALU_DEP_1) | instskip(NEXT) | instid1(VALU_DEP_1)
	v_and_b32_e32 v18, 0x3fffffe, v1
	v_cmp_ne_u32_e64 s1, v1, v18
	v_lshl_or_b32 v18, v18, 7, v0
	s_delay_alu instid0(VALU_DEP_2)
	s_or_not1_b32 s2, s1, exec_lo
.LBB281_189:
	s_or_b32 exec_lo, exec_lo, s5
	s_delay_alu instid0(SALU_CYCLE_1) | instskip(SKIP_1) | instid1(SALU_CYCLE_1)
	s_and_not1_b32 s1, vcc_lo, exec_lo
	s_and_b32 s2, s2, exec_lo
	s_or_b32 vcc_lo, s1, s2
.LBB281_190:
	s_or_b32 exec_lo, exec_lo, s4
	s_delay_alu instid0(SALU_CYCLE_1)
	s_and_b32 exec_lo, exec_lo, vcc_lo
	s_cbranch_execz .LBB281_193
; %bb.191:
	v_lshlrev_b32_e32 v1, 1, v18
	v_mov_b32_e32 v19, 0
	s_mov_b32 s2, 0
	.p2align	6
.LBB281_192:                            ; =>This Inner Loop Header: Depth=1
	ds_load_u16 v31, v1
	v_lshlrev_b64 v[20:21], 1, v[18:19]
	v_add_nc_u32_e32 v18, 0x80, v18
	v_add_nc_u32_e32 v1, 0x100, v1
	s_delay_alu instid0(VALU_DEP_2) | instskip(NEXT) | instid1(VALU_DEP_4)
	v_cmp_ge_u32_e32 vcc_lo, v18, v29
	v_add_co_u32 v20, s1, v27, v20
	s_delay_alu instid0(VALU_DEP_1)
	v_add_co_ci_u32_e64 v21, s1, v28, v21, s1
	s_or_b32 s2, vcc_lo, s2
	s_waitcnt lgkmcnt(0)
	global_store_b16 v[20:21], v31, off
	s_and_not1_b32 exec_lo, exec_lo, s2
	s_cbranch_execnz .LBB281_192
.LBB281_193:
	s_or_b32 exec_lo, exec_lo, s3
.LBB281_194:
	v_lshrrev_b32_e32 v27, 16, v14
	v_lshrrev_b32_e32 v21, 16, v15
	;; [unrolled: 1-line block ×6, first 2 shown]
	s_and_b32 vcc_lo, exec_lo, s0
	s_mov_b32 s0, -1
	s_waitcnt_vscnt null, 0x0
	s_barrier
	buffer_gl0_inv
	s_cbranch_vccnz .LBB281_198
; %bb.195:
	s_and_b32 vcc_lo, exec_lo, s0
	s_cbranch_vccnz .LBB281_235
.LBB281_196:
	v_cmp_eq_u32_e32 vcc_lo, 0, v0
	s_and_b32 s0, vcc_lo, s13
	s_delay_alu instid0(SALU_CYCLE_1)
	s_and_saveexec_b32 s1, s0
	s_cbranch_execnz .LBB281_275
.LBB281_197:
	s_nop 0
	s_sendmsg sendmsg(MSG_DEALLOC_VGPRS)
	s_endpgm
.LBB281_198:
	v_cmp_lt_u32_e32 vcc_lo, v2, v46
	s_lshl_b64 s[0:1], s[18:19], 1
	s_delay_alu instid0(SALU_CYCLE_1) | instskip(SKIP_2) | instid1(SALU_CYCLE_1)
	s_add_u32 s0, s6, s0
	s_addc_u32 s1, s7, s1
	s_or_b32 s3, s14, vcc_lo
	s_and_saveexec_b32 s2, s3
	s_cbranch_execz .LBB281_201
; %bb.199:
	v_cmp_eq_u32_e32 vcc_lo, 1, v22
	s_and_b32 exec_lo, exec_lo, vcc_lo
	s_cbranch_execz .LBB281_201
; %bb.200:
	v_dual_mov_b32 v38, 0 :: v_dual_mov_b32 v37, v2
	s_delay_alu instid0(VALU_DEP_1) | instskip(NEXT) | instid1(VALU_DEP_1)
	v_lshlrev_b64 v[37:38], 1, v[37:38]
	v_add_co_u32 v37, vcc_lo, s0, v37
	s_delay_alu instid0(VALU_DEP_2)
	v_add_co_ci_u32_e32 v38, vcc_lo, s1, v38, vcc_lo
	global_store_b16 v[37:38], v14, off
.LBB281_201:
	s_or_b32 exec_lo, exec_lo, s2
	v_cmp_lt_u32_e32 vcc_lo, v3, v46
	s_or_b32 s3, s14, vcc_lo
	s_delay_alu instid0(SALU_CYCLE_1)
	s_and_saveexec_b32 s2, s3
	s_cbranch_execz .LBB281_204
; %bb.202:
	v_and_b32_e32 v28, 1, v45
	s_delay_alu instid0(VALU_DEP_1)
	v_cmp_eq_u32_e32 vcc_lo, 1, v28
	s_and_b32 exec_lo, exec_lo, vcc_lo
	s_cbranch_execz .LBB281_204
; %bb.203:
	v_dual_mov_b32 v38, 0 :: v_dual_mov_b32 v37, v3
	s_delay_alu instid0(VALU_DEP_1) | instskip(NEXT) | instid1(VALU_DEP_1)
	v_lshlrev_b64 v[37:38], 1, v[37:38]
	v_add_co_u32 v37, vcc_lo, s0, v37
	s_delay_alu instid0(VALU_DEP_2)
	v_add_co_ci_u32_e32 v38, vcc_lo, s1, v38, vcc_lo
	global_store_b16 v[37:38], v27, off
.LBB281_204:
	s_or_b32 exec_lo, exec_lo, s2
	v_cmp_lt_u32_e32 vcc_lo, v4, v46
	s_or_b32 s3, s14, vcc_lo
	s_delay_alu instid0(SALU_CYCLE_1)
	s_and_saveexec_b32 s2, s3
	s_cbranch_execz .LBB281_207
; %bb.205:
	v_and_b32_e32 v28, 1, v44
	s_delay_alu instid0(VALU_DEP_1)
	v_cmp_eq_u32_e32 vcc_lo, 1, v28
	s_and_b32 exec_lo, exec_lo, vcc_lo
	s_cbranch_execz .LBB281_207
; %bb.206:
	v_dual_mov_b32 v38, 0 :: v_dual_mov_b32 v37, v4
	s_delay_alu instid0(VALU_DEP_1) | instskip(NEXT) | instid1(VALU_DEP_1)
	v_lshlrev_b64 v[37:38], 1, v[37:38]
	v_add_co_u32 v37, vcc_lo, s0, v37
	s_delay_alu instid0(VALU_DEP_2)
	v_add_co_ci_u32_e32 v38, vcc_lo, s1, v38, vcc_lo
	global_store_b16 v[37:38], v15, off
.LBB281_207:
	;; [unrolled: 21-line block ×11, first 2 shown]
	s_or_b32 exec_lo, exec_lo, s2
	s_branch .LBB281_196
.LBB281_235:
	s_mov_b32 s0, exec_lo
	v_cmpx_eq_u32_e32 1, v22
	s_cbranch_execz .LBB281_237
; %bb.236:
	v_sub_nc_u32_e32 v2, v2, v30
	s_delay_alu instid0(VALU_DEP_1)
	v_lshlrev_b32_e32 v2, 1, v2
	ds_store_b16 v2, v14
.LBB281_237:
	s_or_b32 exec_lo, exec_lo, s0
	v_and_b32_e32 v2, 1, v45
	s_mov_b32 s0, exec_lo
	s_delay_alu instid0(VALU_DEP_1)
	v_cmpx_eq_u32_e32 1, v2
	s_cbranch_execz .LBB281_239
; %bb.238:
	v_sub_nc_u32_e32 v2, v3, v30
	s_delay_alu instid0(VALU_DEP_1)
	v_lshlrev_b32_e32 v2, 1, v2
	ds_store_b16 v2, v27
.LBB281_239:
	s_or_b32 exec_lo, exec_lo, s0
	v_and_b32_e32 v2, 1, v44
	s_mov_b32 s0, exec_lo
	s_delay_alu instid0(VALU_DEP_1)
	;; [unrolled: 12-line block ×11, first 2 shown]
	v_cmpx_eq_u32_e32 1, v2
	s_cbranch_execz .LBB281_259
; %bb.258:
	v_sub_nc_u32_e32 v2, v13, v30
	s_delay_alu instid0(VALU_DEP_1)
	v_lshlrev_b32_e32 v2, 1, v2
	ds_store_b16 v2, v1
.LBB281_259:
	s_or_b32 exec_lo, exec_lo, s0
	s_delay_alu instid0(SALU_CYCLE_1)
	s_mov_b32 s2, exec_lo
	s_waitcnt lgkmcnt(0)
	s_waitcnt_vscnt null, 0x0
	s_barrier
	buffer_gl0_inv
	v_cmpx_lt_u32_e64 v0, v29
	s_cbranch_execz .LBB281_274
; %bb.260:
	v_mov_b32_e32 v31, 0
	s_lshl_b64 s[0:1], s[18:19], 1
	v_xad_u32 v2, v0, -1, v29
	s_add_u32 s3, s6, s0
	s_addc_u32 s4, s7, s1
	v_lshlrev_b64 v[3:4], 1, v[30:31]
	v_mov_b32_e32 v1, v0
	v_cmp_gt_u32_e32 vcc_lo, 0xc80, v2
	s_delay_alu instid0(VALU_DEP_3) | instskip(NEXT) | instid1(VALU_DEP_1)
	v_add_co_u32 v6, s1, s3, v3
	v_add_co_ci_u32_e64 v7, s1, s4, v4, s1
	s_mov_b32 s1, -1
	s_mov_b32 s3, exec_lo
	v_cmpx_lt_u32_e32 0xc7f, v2
	s_cbranch_execz .LBB281_271
; %bb.261:
	v_sub_nc_u32_e32 v1, v0, v29
	s_delay_alu instid0(VALU_DEP_1) | instskip(NEXT) | instid1(VALU_DEP_1)
	v_or_b32_e32 v1, 0x7f, v1
	v_cmp_ge_u32_e64 s0, v1, v0
	v_mov_b32_e32 v1, v0
	s_delay_alu instid0(VALU_DEP_2)
	s_and_saveexec_b32 s4, s0
	s_cbranch_execz .LBB281_270
; %bb.262:
	v_lshrrev_b32_e32 v8, 7, v2
	v_or_b32_e32 v1, 0x80, v0
	v_lshlrev_b32_e32 v9, 1, v0
	s_delay_alu instid0(VALU_DEP_3) | instskip(NEXT) | instid1(VALU_DEP_1)
	v_dual_mov_b32 v13, 0 :: v_dual_add_nc_u32 v2, -1, v8
	v_lshrrev_b32_e32 v3, 1, v2
	v_cmp_lt_u32_e64 s0, 13, v2
	s_delay_alu instid0(VALU_DEP_2) | instskip(SKIP_1) | instid1(VALU_DEP_3)
	v_dual_mov_b32 v3, v1 :: v_dual_add_nc_u32 v10, 1, v3
	v_mov_b32_e32 v2, v0
	s_and_saveexec_b32 s1, s0
	s_cbranch_execz .LBB281_266
; %bb.263:
	v_mov_b32_e32 v3, v1
	v_dual_mov_b32 v12, v9 :: v_dual_and_b32 v11, -8, v10
	v_dual_mov_b32 v5, 0 :: v_dual_mov_b32 v2, v0
	s_mov_b32 s5, 0
	s_mov_b32 s6, 0
.LBB281_264:                            ; =>This Inner Loop Header: Depth=1
	s_delay_alu instid0(VALU_DEP_1) | instskip(SKIP_2) | instid1(VALU_DEP_3)
	v_dual_mov_b32 v4, v2 :: v_dual_mov_b32 v15, v5
	v_add_nc_u32_e32 v11, -8, v11
	v_dual_mov_b32 v17, v5 :: v_dual_add_nc_u32 v14, 0x100, v3
	v_lshlrev_b64 v[31:32], 1, v[4:5]
	v_dual_mov_b32 v19, v5 :: v_dual_add_nc_u32 v16, 0x200, v3
	v_mov_b32_e32 v4, v3
	v_cmp_eq_u32_e64 s0, 0, v11
	v_lshlrev_b64 v[14:15], 1, v[14:15]
	v_dual_mov_b32 v21, v5 :: v_dual_add_nc_u32 v18, 0x300, v3
	s_add_i32 s6, s6, 16
	v_lshlrev_b64 v[16:17], 1, v[16:17]
	s_or_b32 s5, s0, s5
	v_add_co_u32 v31, s0, v6, v31
	v_dual_mov_b32 v23, v5 :: v_dual_add_nc_u32 v20, 0x400, v3
	v_add_co_ci_u32_e64 v32, s0, v7, v32, s0
	v_lshlrev_b64 v[18:19], 1, v[18:19]
	v_add_co_u32 v14, s0, v6, v14
	v_dual_mov_b32 v25, v5 :: v_dual_add_nc_u32 v22, 0x500, v3
	v_add_co_ci_u32_e64 v15, s0, v7, v15, s0
	v_lshlrev_b64 v[20:21], 1, v[20:21]
	;; [unrolled: 4-line block ×4, first 2 shown]
	v_add_co_u32 v20, s0, v6, v20
	ds_load_u16 v1, v12
	ds_load_u16 v28, v12 offset:256
	ds_load_u16 v37, v12 offset:512
	ds_load_u16 v38, v12 offset:768
	ds_load_u16 v39, v12 offset:1024
	ds_load_u16 v40, v12 offset:1280
	ds_load_u16 v41, v12 offset:1536
	ds_load_u16 v42, v12 offset:1792
	v_add_co_ci_u32_e64 v21, s0, v7, v21, s0
	v_lshlrev_b64 v[26:27], 1, v[26:27]
	v_add_co_u32 v22, s0, v6, v22
	v_lshlrev_b64 v[33:34], 1, v[4:5]
	v_add_nc_u32_e32 v4, 0x100, v2
	v_add_co_ci_u32_e64 v23, s0, v7, v23, s0
	v_add_co_u32 v24, s0, v6, v24
	s_delay_alu instid0(VALU_DEP_1)
	v_add_co_ci_u32_e64 v25, s0, v7, v25, s0
	v_add_co_u32 v26, s0, v6, v26
	v_lshlrev_b64 v[35:36], 1, v[4:5]
	v_add_nc_u32_e32 v4, 0x200, v2
	v_add_co_ci_u32_e64 v27, s0, v7, v27, s0
	v_add_co_u32 v33, s0, v6, v33
	ds_load_u16 v43, v12 offset:2048
	ds_load_u16 v44, v12 offset:2304
	;; [unrolled: 1-line block ×8, first 2 shown]
	v_add_co_ci_u32_e64 v34, s0, v7, v34, s0
	s_waitcnt lgkmcnt(15)
	global_store_b16 v[31:32], v1, off
	v_lshlrev_b64 v[31:32], 1, v[4:5]
	v_add_nc_u32_e32 v4, 0x300, v2
	v_add_co_u32 v35, s0, v6, v35
	s_delay_alu instid0(VALU_DEP_1)
	v_add_co_ci_u32_e64 v36, s0, v7, v36, s0
	s_waitcnt lgkmcnt(14)
	global_store_b16 v[33:34], v28, off
	v_lshlrev_b64 v[33:34], 1, v[4:5]
	v_add_nc_u32_e32 v4, 0x400, v2
	s_waitcnt lgkmcnt(13)
	global_store_b16 v[35:36], v37, off
	s_waitcnt lgkmcnt(12)
	global_store_b16 v[14:15], v38, off
	v_add_co_u32 v14, s0, v6, v31
	s_delay_alu instid0(VALU_DEP_1) | instskip(SKIP_3) | instid1(VALU_DEP_1)
	v_add_co_ci_u32_e64 v15, s0, v7, v32, s0
	v_lshlrev_b64 v[31:32], 1, v[4:5]
	v_add_nc_u32_e32 v4, 0x500, v2
	v_add_co_u32 v33, s0, v6, v33
	v_add_co_ci_u32_e64 v34, s0, v7, v34, s0
	s_waitcnt lgkmcnt(11)
	global_store_b16 v[14:15], v39, off
	s_waitcnt lgkmcnt(10)
	global_store_b16 v[16:17], v40, off
	v_lshlrev_b64 v[14:15], 1, v[4:5]
	v_add_nc_u32_e32 v4, 0x600, v2
	v_add_co_u32 v16, s0, v6, v31
	s_waitcnt lgkmcnt(9)
	global_store_b16 v[33:34], v41, off
	s_waitcnt lgkmcnt(8)
	global_store_b16 v[18:19], v42, off
	v_add_co_ci_u32_e64 v17, s0, v7, v32, s0
	v_lshlrev_b64 v[18:19], 1, v[4:5]
	v_add_nc_u32_e32 v4, 0x700, v2
	v_add_co_u32 v14, s0, v6, v14
	s_delay_alu instid0(VALU_DEP_1)
	v_add_co_ci_u32_e64 v15, s0, v7, v15, s0
	s_waitcnt lgkmcnt(7)
	global_store_b16 v[16:17], v43, off
	s_waitcnt lgkmcnt(6)
	global_store_b16 v[20:21], v44, off
	v_lshlrev_b64 v[16:17], 1, v[4:5]
	v_add_nc_u32_e32 v12, 0x1000, v12
	s_waitcnt lgkmcnt(5)
	global_store_b16 v[14:15], v45, off
	v_add_co_u32 v14, s0, v6, v18
	v_add_nc_u32_e32 v3, 0x800, v3
	v_add_nc_u32_e32 v2, 0x800, v2
	v_add_co_ci_u32_e64 v15, s0, v7, v19, s0
	v_add_co_u32 v16, s0, v6, v16
	s_delay_alu instid0(VALU_DEP_1)
	v_add_co_ci_u32_e64 v17, s0, v7, v17, s0
	s_waitcnt lgkmcnt(4)
	global_store_b16 v[22:23], v46, off
	s_waitcnt lgkmcnt(3)
	global_store_b16 v[14:15], v47, off
	;; [unrolled: 2-line block ×5, first 2 shown]
	s_and_not1_b32 exec_lo, exec_lo, s5
	s_cbranch_execnz .LBB281_264
; %bb.265:
	s_or_b32 exec_lo, exec_lo, s5
.LBB281_266:
	s_delay_alu instid0(SALU_CYCLE_1) | instskip(SKIP_3) | instid1(VALU_DEP_1)
	s_or_b32 exec_lo, exec_lo, s1
	v_and_b32_e32 v1, 7, v10
	s_mov_b32 s6, 0
	s_mov_b32 s5, exec_lo
	v_cmpx_ne_u32_e32 0, v1
	s_cbranch_execz .LBB281_269
; %bb.267:
	v_lshl_or_b32 v9, v13, 8, v9
	v_mov_b32_e32 v5, 0
	s_set_inst_prefetch_distance 0x1
	.p2align	6
.LBB281_268:                            ; =>This Inner Loop Header: Depth=1
	v_dual_mov_b32 v4, v2 :: v_dual_add_nc_u32 v1, -1, v1
	ds_load_u16 v14, v9
	ds_load_u16 v15, v9 offset:256
	v_add_nc_u32_e32 v2, 0x100, v2
	v_add_nc_u32_e32 v9, 0x200, v9
	v_lshlrev_b64 v[10:11], 1, v[4:5]
	v_mov_b32_e32 v4, v3
	v_cmp_eq_u32_e64 s0, 0, v1
	v_add_nc_u32_e32 v3, 0x100, v3
	s_delay_alu instid0(VALU_DEP_3) | instskip(SKIP_1) | instid1(VALU_DEP_1)
	v_lshlrev_b64 v[12:13], 1, v[4:5]
	v_add_co_u32 v10, s1, v6, v10
	v_add_co_ci_u32_e64 v11, s1, v7, v11, s1
	s_or_b32 s6, s0, s6
	s_delay_alu instid0(VALU_DEP_3) | instskip(NEXT) | instid1(VALU_DEP_1)
	v_add_co_u32 v12, s1, v6, v12
	v_add_co_ci_u32_e64 v13, s1, v7, v13, s1
	s_waitcnt lgkmcnt(1)
	global_store_b16 v[10:11], v14, off
	s_waitcnt lgkmcnt(0)
	global_store_b16 v[12:13], v15, off
	s_and_not1_b32 exec_lo, exec_lo, s6
	s_cbranch_execnz .LBB281_268
.LBB281_269:
	s_set_inst_prefetch_distance 0x2
	s_or_b32 exec_lo, exec_lo, s5
	v_add_nc_u32_e32 v1, 1, v8
	s_delay_alu instid0(VALU_DEP_1) | instskip(NEXT) | instid1(VALU_DEP_1)
	v_and_b32_e32 v2, 0x3fffffe, v1
	v_cmp_ne_u32_e64 s0, v1, v2
	v_lshl_or_b32 v1, v2, 7, v0
	s_delay_alu instid0(VALU_DEP_2)
	s_or_not1_b32 s1, s0, exec_lo
.LBB281_270:
	s_or_b32 exec_lo, exec_lo, s4
	s_delay_alu instid0(SALU_CYCLE_1) | instskip(SKIP_1) | instid1(SALU_CYCLE_1)
	s_and_not1_b32 s0, vcc_lo, exec_lo
	s_and_b32 s1, s1, exec_lo
	s_or_b32 vcc_lo, s0, s1
.LBB281_271:
	s_or_b32 exec_lo, exec_lo, s3
	s_delay_alu instid0(SALU_CYCLE_1)
	s_and_b32 exec_lo, exec_lo, vcc_lo
	s_cbranch_execz .LBB281_274
; %bb.272:
	v_dual_mov_b32 v2, 0 :: v_dual_lshlrev_b32 v3, 1, v1
	s_mov_b32 s1, 0
	.p2align	6
.LBB281_273:                            ; =>This Inner Loop Header: Depth=1
	ds_load_u16 v8, v3
	v_lshlrev_b64 v[4:5], 1, v[1:2]
	v_add_nc_u32_e32 v1, 0x80, v1
	v_add_nc_u32_e32 v3, 0x100, v3
	s_delay_alu instid0(VALU_DEP_2) | instskip(NEXT) | instid1(VALU_DEP_4)
	v_cmp_ge_u32_e32 vcc_lo, v1, v29
	v_add_co_u32 v4, s0, v6, v4
	s_delay_alu instid0(VALU_DEP_1)
	v_add_co_ci_u32_e64 v5, s0, v7, v5, s0
	s_or_b32 s1, vcc_lo, s1
	s_waitcnt lgkmcnt(0)
	global_store_b16 v[4:5], v8, off
	s_and_not1_b32 exec_lo, exec_lo, s1
	s_cbranch_execnz .LBB281_273
.LBB281_274:
	s_or_b32 exec_lo, exec_lo, s2
	v_cmp_eq_u32_e32 vcc_lo, 0, v0
	s_and_b32 s0, vcc_lo, s13
	s_delay_alu instid0(SALU_CYCLE_1)
	s_and_saveexec_b32 s1, s0
	s_cbranch_execz .LBB281_197
.LBB281_275:
	v_add_co_u32 v0, s0, s18, v29
	s_delay_alu instid0(VALU_DEP_1) | instskip(SKIP_1) | instid1(VALU_DEP_3)
	v_add_co_ci_u32_e64 v1, null, s19, 0, s0
	v_mov_b32_e32 v2, 0
	v_add_co_u32 v0, vcc_lo, v0, v30
	s_delay_alu instid0(VALU_DEP_3)
	v_add_co_ci_u32_e32 v1, vcc_lo, 0, v1, vcc_lo
	global_store_b64 v2, v[0:1], s[16:17]
	s_nop 0
	s_sendmsg sendmsg(MSG_DEALLOC_VGPRS)
	s_endpgm
	.section	.rodata,"a",@progbits
	.p2align	6, 0x0
	.amdhsa_kernel _ZN7rocprim17ROCPRIM_400000_NS6detail17trampoline_kernelINS0_14default_configENS1_25partition_config_selectorILNS1_17partition_subalgoE9EttbEEZZNS1_14partition_implILS5_9ELb0ES3_jN6thrust23THRUST_200600_302600_NS6detail15normal_iteratorINS9_10device_ptrItEEEESE_PNS0_10empty_typeENS0_5tupleIJSE_SF_EEENSH_IJSE_SG_EEENS0_18inequality_wrapperINS9_8equal_toItEEEEPmJSF_EEE10hipError_tPvRmT3_T4_T5_T6_T7_T9_mT8_P12ihipStream_tbDpT10_ENKUlT_T0_E_clISt17integral_constantIbLb0EES18_EEDaS13_S14_EUlS13_E_NS1_11comp_targetILNS1_3genE9ELNS1_11target_archE1100ELNS1_3gpuE3ELNS1_3repE0EEENS1_30default_config_static_selectorELNS0_4arch9wavefront6targetE0EEEvT1_
		.amdhsa_group_segment_fixed_size 3080
		.amdhsa_private_segment_fixed_size 0
		.amdhsa_kernarg_size 112
		.amdhsa_user_sgpr_count 15
		.amdhsa_user_sgpr_dispatch_ptr 0
		.amdhsa_user_sgpr_queue_ptr 0
		.amdhsa_user_sgpr_kernarg_segment_ptr 1
		.amdhsa_user_sgpr_dispatch_id 0
		.amdhsa_user_sgpr_private_segment_size 0
		.amdhsa_wavefront_size32 1
		.amdhsa_uses_dynamic_stack 0
		.amdhsa_enable_private_segment 0
		.amdhsa_system_sgpr_workgroup_id_x 1
		.amdhsa_system_sgpr_workgroup_id_y 0
		.amdhsa_system_sgpr_workgroup_id_z 0
		.amdhsa_system_sgpr_workgroup_info 0
		.amdhsa_system_vgpr_workitem_id 0
		.amdhsa_next_free_vgpr 81
		.amdhsa_next_free_sgpr 24
		.amdhsa_reserve_vcc 1
		.amdhsa_float_round_mode_32 0
		.amdhsa_float_round_mode_16_64 0
		.amdhsa_float_denorm_mode_32 3
		.amdhsa_float_denorm_mode_16_64 3
		.amdhsa_dx10_clamp 1
		.amdhsa_ieee_mode 1
		.amdhsa_fp16_overflow 0
		.amdhsa_workgroup_processor_mode 1
		.amdhsa_memory_ordered 1
		.amdhsa_forward_progress 0
		.amdhsa_shared_vgpr_count 0
		.amdhsa_exception_fp_ieee_invalid_op 0
		.amdhsa_exception_fp_denorm_src 0
		.amdhsa_exception_fp_ieee_div_zero 0
		.amdhsa_exception_fp_ieee_overflow 0
		.amdhsa_exception_fp_ieee_underflow 0
		.amdhsa_exception_fp_ieee_inexact 0
		.amdhsa_exception_int_div_zero 0
	.end_amdhsa_kernel
	.section	.text._ZN7rocprim17ROCPRIM_400000_NS6detail17trampoline_kernelINS0_14default_configENS1_25partition_config_selectorILNS1_17partition_subalgoE9EttbEEZZNS1_14partition_implILS5_9ELb0ES3_jN6thrust23THRUST_200600_302600_NS6detail15normal_iteratorINS9_10device_ptrItEEEESE_PNS0_10empty_typeENS0_5tupleIJSE_SF_EEENSH_IJSE_SG_EEENS0_18inequality_wrapperINS9_8equal_toItEEEEPmJSF_EEE10hipError_tPvRmT3_T4_T5_T6_T7_T9_mT8_P12ihipStream_tbDpT10_ENKUlT_T0_E_clISt17integral_constantIbLb0EES18_EEDaS13_S14_EUlS13_E_NS1_11comp_targetILNS1_3genE9ELNS1_11target_archE1100ELNS1_3gpuE3ELNS1_3repE0EEENS1_30default_config_static_selectorELNS0_4arch9wavefront6targetE0EEEvT1_,"axG",@progbits,_ZN7rocprim17ROCPRIM_400000_NS6detail17trampoline_kernelINS0_14default_configENS1_25partition_config_selectorILNS1_17partition_subalgoE9EttbEEZZNS1_14partition_implILS5_9ELb0ES3_jN6thrust23THRUST_200600_302600_NS6detail15normal_iteratorINS9_10device_ptrItEEEESE_PNS0_10empty_typeENS0_5tupleIJSE_SF_EEENSH_IJSE_SG_EEENS0_18inequality_wrapperINS9_8equal_toItEEEEPmJSF_EEE10hipError_tPvRmT3_T4_T5_T6_T7_T9_mT8_P12ihipStream_tbDpT10_ENKUlT_T0_E_clISt17integral_constantIbLb0EES18_EEDaS13_S14_EUlS13_E_NS1_11comp_targetILNS1_3genE9ELNS1_11target_archE1100ELNS1_3gpuE3ELNS1_3repE0EEENS1_30default_config_static_selectorELNS0_4arch9wavefront6targetE0EEEvT1_,comdat
.Lfunc_end281:
	.size	_ZN7rocprim17ROCPRIM_400000_NS6detail17trampoline_kernelINS0_14default_configENS1_25partition_config_selectorILNS1_17partition_subalgoE9EttbEEZZNS1_14partition_implILS5_9ELb0ES3_jN6thrust23THRUST_200600_302600_NS6detail15normal_iteratorINS9_10device_ptrItEEEESE_PNS0_10empty_typeENS0_5tupleIJSE_SF_EEENSH_IJSE_SG_EEENS0_18inequality_wrapperINS9_8equal_toItEEEEPmJSF_EEE10hipError_tPvRmT3_T4_T5_T6_T7_T9_mT8_P12ihipStream_tbDpT10_ENKUlT_T0_E_clISt17integral_constantIbLb0EES18_EEDaS13_S14_EUlS13_E_NS1_11comp_targetILNS1_3genE9ELNS1_11target_archE1100ELNS1_3gpuE3ELNS1_3repE0EEENS1_30default_config_static_selectorELNS0_4arch9wavefront6targetE0EEEvT1_, .Lfunc_end281-_ZN7rocprim17ROCPRIM_400000_NS6detail17trampoline_kernelINS0_14default_configENS1_25partition_config_selectorILNS1_17partition_subalgoE9EttbEEZZNS1_14partition_implILS5_9ELb0ES3_jN6thrust23THRUST_200600_302600_NS6detail15normal_iteratorINS9_10device_ptrItEEEESE_PNS0_10empty_typeENS0_5tupleIJSE_SF_EEENSH_IJSE_SG_EEENS0_18inequality_wrapperINS9_8equal_toItEEEEPmJSF_EEE10hipError_tPvRmT3_T4_T5_T6_T7_T9_mT8_P12ihipStream_tbDpT10_ENKUlT_T0_E_clISt17integral_constantIbLb0EES18_EEDaS13_S14_EUlS13_E_NS1_11comp_targetILNS1_3genE9ELNS1_11target_archE1100ELNS1_3gpuE3ELNS1_3repE0EEENS1_30default_config_static_selectorELNS0_4arch9wavefront6targetE0EEEvT1_
                                        ; -- End function
	.section	.AMDGPU.csdata,"",@progbits
; Kernel info:
; codeLenInByte = 13808
; NumSgprs: 26
; NumVgprs: 81
; ScratchSize: 0
; MemoryBound: 0
; FloatMode: 240
; IeeeMode: 1
; LDSByteSize: 3080 bytes/workgroup (compile time only)
; SGPRBlocks: 3
; VGPRBlocks: 10
; NumSGPRsForWavesPerEU: 26
; NumVGPRsForWavesPerEU: 81
; Occupancy: 16
; WaveLimiterHint : 1
; COMPUTE_PGM_RSRC2:SCRATCH_EN: 0
; COMPUTE_PGM_RSRC2:USER_SGPR: 15
; COMPUTE_PGM_RSRC2:TRAP_HANDLER: 0
; COMPUTE_PGM_RSRC2:TGID_X_EN: 1
; COMPUTE_PGM_RSRC2:TGID_Y_EN: 0
; COMPUTE_PGM_RSRC2:TGID_Z_EN: 0
; COMPUTE_PGM_RSRC2:TIDIG_COMP_CNT: 0
	.section	.text._ZN7rocprim17ROCPRIM_400000_NS6detail17trampoline_kernelINS0_14default_configENS1_25partition_config_selectorILNS1_17partition_subalgoE9EttbEEZZNS1_14partition_implILS5_9ELb0ES3_jN6thrust23THRUST_200600_302600_NS6detail15normal_iteratorINS9_10device_ptrItEEEESE_PNS0_10empty_typeENS0_5tupleIJSE_SF_EEENSH_IJSE_SG_EEENS0_18inequality_wrapperINS9_8equal_toItEEEEPmJSF_EEE10hipError_tPvRmT3_T4_T5_T6_T7_T9_mT8_P12ihipStream_tbDpT10_ENKUlT_T0_E_clISt17integral_constantIbLb0EES18_EEDaS13_S14_EUlS13_E_NS1_11comp_targetILNS1_3genE8ELNS1_11target_archE1030ELNS1_3gpuE2ELNS1_3repE0EEENS1_30default_config_static_selectorELNS0_4arch9wavefront6targetE0EEEvT1_,"axG",@progbits,_ZN7rocprim17ROCPRIM_400000_NS6detail17trampoline_kernelINS0_14default_configENS1_25partition_config_selectorILNS1_17partition_subalgoE9EttbEEZZNS1_14partition_implILS5_9ELb0ES3_jN6thrust23THRUST_200600_302600_NS6detail15normal_iteratorINS9_10device_ptrItEEEESE_PNS0_10empty_typeENS0_5tupleIJSE_SF_EEENSH_IJSE_SG_EEENS0_18inequality_wrapperINS9_8equal_toItEEEEPmJSF_EEE10hipError_tPvRmT3_T4_T5_T6_T7_T9_mT8_P12ihipStream_tbDpT10_ENKUlT_T0_E_clISt17integral_constantIbLb0EES18_EEDaS13_S14_EUlS13_E_NS1_11comp_targetILNS1_3genE8ELNS1_11target_archE1030ELNS1_3gpuE2ELNS1_3repE0EEENS1_30default_config_static_selectorELNS0_4arch9wavefront6targetE0EEEvT1_,comdat
	.protected	_ZN7rocprim17ROCPRIM_400000_NS6detail17trampoline_kernelINS0_14default_configENS1_25partition_config_selectorILNS1_17partition_subalgoE9EttbEEZZNS1_14partition_implILS5_9ELb0ES3_jN6thrust23THRUST_200600_302600_NS6detail15normal_iteratorINS9_10device_ptrItEEEESE_PNS0_10empty_typeENS0_5tupleIJSE_SF_EEENSH_IJSE_SG_EEENS0_18inequality_wrapperINS9_8equal_toItEEEEPmJSF_EEE10hipError_tPvRmT3_T4_T5_T6_T7_T9_mT8_P12ihipStream_tbDpT10_ENKUlT_T0_E_clISt17integral_constantIbLb0EES18_EEDaS13_S14_EUlS13_E_NS1_11comp_targetILNS1_3genE8ELNS1_11target_archE1030ELNS1_3gpuE2ELNS1_3repE0EEENS1_30default_config_static_selectorELNS0_4arch9wavefront6targetE0EEEvT1_ ; -- Begin function _ZN7rocprim17ROCPRIM_400000_NS6detail17trampoline_kernelINS0_14default_configENS1_25partition_config_selectorILNS1_17partition_subalgoE9EttbEEZZNS1_14partition_implILS5_9ELb0ES3_jN6thrust23THRUST_200600_302600_NS6detail15normal_iteratorINS9_10device_ptrItEEEESE_PNS0_10empty_typeENS0_5tupleIJSE_SF_EEENSH_IJSE_SG_EEENS0_18inequality_wrapperINS9_8equal_toItEEEEPmJSF_EEE10hipError_tPvRmT3_T4_T5_T6_T7_T9_mT8_P12ihipStream_tbDpT10_ENKUlT_T0_E_clISt17integral_constantIbLb0EES18_EEDaS13_S14_EUlS13_E_NS1_11comp_targetILNS1_3genE8ELNS1_11target_archE1030ELNS1_3gpuE2ELNS1_3repE0EEENS1_30default_config_static_selectorELNS0_4arch9wavefront6targetE0EEEvT1_
	.globl	_ZN7rocprim17ROCPRIM_400000_NS6detail17trampoline_kernelINS0_14default_configENS1_25partition_config_selectorILNS1_17partition_subalgoE9EttbEEZZNS1_14partition_implILS5_9ELb0ES3_jN6thrust23THRUST_200600_302600_NS6detail15normal_iteratorINS9_10device_ptrItEEEESE_PNS0_10empty_typeENS0_5tupleIJSE_SF_EEENSH_IJSE_SG_EEENS0_18inequality_wrapperINS9_8equal_toItEEEEPmJSF_EEE10hipError_tPvRmT3_T4_T5_T6_T7_T9_mT8_P12ihipStream_tbDpT10_ENKUlT_T0_E_clISt17integral_constantIbLb0EES18_EEDaS13_S14_EUlS13_E_NS1_11comp_targetILNS1_3genE8ELNS1_11target_archE1030ELNS1_3gpuE2ELNS1_3repE0EEENS1_30default_config_static_selectorELNS0_4arch9wavefront6targetE0EEEvT1_
	.p2align	8
	.type	_ZN7rocprim17ROCPRIM_400000_NS6detail17trampoline_kernelINS0_14default_configENS1_25partition_config_selectorILNS1_17partition_subalgoE9EttbEEZZNS1_14partition_implILS5_9ELb0ES3_jN6thrust23THRUST_200600_302600_NS6detail15normal_iteratorINS9_10device_ptrItEEEESE_PNS0_10empty_typeENS0_5tupleIJSE_SF_EEENSH_IJSE_SG_EEENS0_18inequality_wrapperINS9_8equal_toItEEEEPmJSF_EEE10hipError_tPvRmT3_T4_T5_T6_T7_T9_mT8_P12ihipStream_tbDpT10_ENKUlT_T0_E_clISt17integral_constantIbLb0EES18_EEDaS13_S14_EUlS13_E_NS1_11comp_targetILNS1_3genE8ELNS1_11target_archE1030ELNS1_3gpuE2ELNS1_3repE0EEENS1_30default_config_static_selectorELNS0_4arch9wavefront6targetE0EEEvT1_,@function
_ZN7rocprim17ROCPRIM_400000_NS6detail17trampoline_kernelINS0_14default_configENS1_25partition_config_selectorILNS1_17partition_subalgoE9EttbEEZZNS1_14partition_implILS5_9ELb0ES3_jN6thrust23THRUST_200600_302600_NS6detail15normal_iteratorINS9_10device_ptrItEEEESE_PNS0_10empty_typeENS0_5tupleIJSE_SF_EEENSH_IJSE_SG_EEENS0_18inequality_wrapperINS9_8equal_toItEEEEPmJSF_EEE10hipError_tPvRmT3_T4_T5_T6_T7_T9_mT8_P12ihipStream_tbDpT10_ENKUlT_T0_E_clISt17integral_constantIbLb0EES18_EEDaS13_S14_EUlS13_E_NS1_11comp_targetILNS1_3genE8ELNS1_11target_archE1030ELNS1_3gpuE2ELNS1_3repE0EEENS1_30default_config_static_selectorELNS0_4arch9wavefront6targetE0EEEvT1_: ; @_ZN7rocprim17ROCPRIM_400000_NS6detail17trampoline_kernelINS0_14default_configENS1_25partition_config_selectorILNS1_17partition_subalgoE9EttbEEZZNS1_14partition_implILS5_9ELb0ES3_jN6thrust23THRUST_200600_302600_NS6detail15normal_iteratorINS9_10device_ptrItEEEESE_PNS0_10empty_typeENS0_5tupleIJSE_SF_EEENSH_IJSE_SG_EEENS0_18inequality_wrapperINS9_8equal_toItEEEEPmJSF_EEE10hipError_tPvRmT3_T4_T5_T6_T7_T9_mT8_P12ihipStream_tbDpT10_ENKUlT_T0_E_clISt17integral_constantIbLb0EES18_EEDaS13_S14_EUlS13_E_NS1_11comp_targetILNS1_3genE8ELNS1_11target_archE1030ELNS1_3gpuE2ELNS1_3repE0EEENS1_30default_config_static_selectorELNS0_4arch9wavefront6targetE0EEEvT1_
; %bb.0:
	.section	.rodata,"a",@progbits
	.p2align	6, 0x0
	.amdhsa_kernel _ZN7rocprim17ROCPRIM_400000_NS6detail17trampoline_kernelINS0_14default_configENS1_25partition_config_selectorILNS1_17partition_subalgoE9EttbEEZZNS1_14partition_implILS5_9ELb0ES3_jN6thrust23THRUST_200600_302600_NS6detail15normal_iteratorINS9_10device_ptrItEEEESE_PNS0_10empty_typeENS0_5tupleIJSE_SF_EEENSH_IJSE_SG_EEENS0_18inequality_wrapperINS9_8equal_toItEEEEPmJSF_EEE10hipError_tPvRmT3_T4_T5_T6_T7_T9_mT8_P12ihipStream_tbDpT10_ENKUlT_T0_E_clISt17integral_constantIbLb0EES18_EEDaS13_S14_EUlS13_E_NS1_11comp_targetILNS1_3genE8ELNS1_11target_archE1030ELNS1_3gpuE2ELNS1_3repE0EEENS1_30default_config_static_selectorELNS0_4arch9wavefront6targetE0EEEvT1_
		.amdhsa_group_segment_fixed_size 0
		.amdhsa_private_segment_fixed_size 0
		.amdhsa_kernarg_size 112
		.amdhsa_user_sgpr_count 15
		.amdhsa_user_sgpr_dispatch_ptr 0
		.amdhsa_user_sgpr_queue_ptr 0
		.amdhsa_user_sgpr_kernarg_segment_ptr 1
		.amdhsa_user_sgpr_dispatch_id 0
		.amdhsa_user_sgpr_private_segment_size 0
		.amdhsa_wavefront_size32 1
		.amdhsa_uses_dynamic_stack 0
		.amdhsa_enable_private_segment 0
		.amdhsa_system_sgpr_workgroup_id_x 1
		.amdhsa_system_sgpr_workgroup_id_y 0
		.amdhsa_system_sgpr_workgroup_id_z 0
		.amdhsa_system_sgpr_workgroup_info 0
		.amdhsa_system_vgpr_workitem_id 0
		.amdhsa_next_free_vgpr 1
		.amdhsa_next_free_sgpr 1
		.amdhsa_reserve_vcc 0
		.amdhsa_float_round_mode_32 0
		.amdhsa_float_round_mode_16_64 0
		.amdhsa_float_denorm_mode_32 3
		.amdhsa_float_denorm_mode_16_64 3
		.amdhsa_dx10_clamp 1
		.amdhsa_ieee_mode 1
		.amdhsa_fp16_overflow 0
		.amdhsa_workgroup_processor_mode 1
		.amdhsa_memory_ordered 1
		.amdhsa_forward_progress 0
		.amdhsa_shared_vgpr_count 0
		.amdhsa_exception_fp_ieee_invalid_op 0
		.amdhsa_exception_fp_denorm_src 0
		.amdhsa_exception_fp_ieee_div_zero 0
		.amdhsa_exception_fp_ieee_overflow 0
		.amdhsa_exception_fp_ieee_underflow 0
		.amdhsa_exception_fp_ieee_inexact 0
		.amdhsa_exception_int_div_zero 0
	.end_amdhsa_kernel
	.section	.text._ZN7rocprim17ROCPRIM_400000_NS6detail17trampoline_kernelINS0_14default_configENS1_25partition_config_selectorILNS1_17partition_subalgoE9EttbEEZZNS1_14partition_implILS5_9ELb0ES3_jN6thrust23THRUST_200600_302600_NS6detail15normal_iteratorINS9_10device_ptrItEEEESE_PNS0_10empty_typeENS0_5tupleIJSE_SF_EEENSH_IJSE_SG_EEENS0_18inequality_wrapperINS9_8equal_toItEEEEPmJSF_EEE10hipError_tPvRmT3_T4_T5_T6_T7_T9_mT8_P12ihipStream_tbDpT10_ENKUlT_T0_E_clISt17integral_constantIbLb0EES18_EEDaS13_S14_EUlS13_E_NS1_11comp_targetILNS1_3genE8ELNS1_11target_archE1030ELNS1_3gpuE2ELNS1_3repE0EEENS1_30default_config_static_selectorELNS0_4arch9wavefront6targetE0EEEvT1_,"axG",@progbits,_ZN7rocprim17ROCPRIM_400000_NS6detail17trampoline_kernelINS0_14default_configENS1_25partition_config_selectorILNS1_17partition_subalgoE9EttbEEZZNS1_14partition_implILS5_9ELb0ES3_jN6thrust23THRUST_200600_302600_NS6detail15normal_iteratorINS9_10device_ptrItEEEESE_PNS0_10empty_typeENS0_5tupleIJSE_SF_EEENSH_IJSE_SG_EEENS0_18inequality_wrapperINS9_8equal_toItEEEEPmJSF_EEE10hipError_tPvRmT3_T4_T5_T6_T7_T9_mT8_P12ihipStream_tbDpT10_ENKUlT_T0_E_clISt17integral_constantIbLb0EES18_EEDaS13_S14_EUlS13_E_NS1_11comp_targetILNS1_3genE8ELNS1_11target_archE1030ELNS1_3gpuE2ELNS1_3repE0EEENS1_30default_config_static_selectorELNS0_4arch9wavefront6targetE0EEEvT1_,comdat
.Lfunc_end282:
	.size	_ZN7rocprim17ROCPRIM_400000_NS6detail17trampoline_kernelINS0_14default_configENS1_25partition_config_selectorILNS1_17partition_subalgoE9EttbEEZZNS1_14partition_implILS5_9ELb0ES3_jN6thrust23THRUST_200600_302600_NS6detail15normal_iteratorINS9_10device_ptrItEEEESE_PNS0_10empty_typeENS0_5tupleIJSE_SF_EEENSH_IJSE_SG_EEENS0_18inequality_wrapperINS9_8equal_toItEEEEPmJSF_EEE10hipError_tPvRmT3_T4_T5_T6_T7_T9_mT8_P12ihipStream_tbDpT10_ENKUlT_T0_E_clISt17integral_constantIbLb0EES18_EEDaS13_S14_EUlS13_E_NS1_11comp_targetILNS1_3genE8ELNS1_11target_archE1030ELNS1_3gpuE2ELNS1_3repE0EEENS1_30default_config_static_selectorELNS0_4arch9wavefront6targetE0EEEvT1_, .Lfunc_end282-_ZN7rocprim17ROCPRIM_400000_NS6detail17trampoline_kernelINS0_14default_configENS1_25partition_config_selectorILNS1_17partition_subalgoE9EttbEEZZNS1_14partition_implILS5_9ELb0ES3_jN6thrust23THRUST_200600_302600_NS6detail15normal_iteratorINS9_10device_ptrItEEEESE_PNS0_10empty_typeENS0_5tupleIJSE_SF_EEENSH_IJSE_SG_EEENS0_18inequality_wrapperINS9_8equal_toItEEEEPmJSF_EEE10hipError_tPvRmT3_T4_T5_T6_T7_T9_mT8_P12ihipStream_tbDpT10_ENKUlT_T0_E_clISt17integral_constantIbLb0EES18_EEDaS13_S14_EUlS13_E_NS1_11comp_targetILNS1_3genE8ELNS1_11target_archE1030ELNS1_3gpuE2ELNS1_3repE0EEENS1_30default_config_static_selectorELNS0_4arch9wavefront6targetE0EEEvT1_
                                        ; -- End function
	.section	.AMDGPU.csdata,"",@progbits
; Kernel info:
; codeLenInByte = 0
; NumSgprs: 0
; NumVgprs: 0
; ScratchSize: 0
; MemoryBound: 0
; FloatMode: 240
; IeeeMode: 1
; LDSByteSize: 0 bytes/workgroup (compile time only)
; SGPRBlocks: 0
; VGPRBlocks: 0
; NumSGPRsForWavesPerEU: 1
; NumVGPRsForWavesPerEU: 1
; Occupancy: 15
; WaveLimiterHint : 0
; COMPUTE_PGM_RSRC2:SCRATCH_EN: 0
; COMPUTE_PGM_RSRC2:USER_SGPR: 15
; COMPUTE_PGM_RSRC2:TRAP_HANDLER: 0
; COMPUTE_PGM_RSRC2:TGID_X_EN: 1
; COMPUTE_PGM_RSRC2:TGID_Y_EN: 0
; COMPUTE_PGM_RSRC2:TGID_Z_EN: 0
; COMPUTE_PGM_RSRC2:TIDIG_COMP_CNT: 0
	.section	.text._ZN7rocprim17ROCPRIM_400000_NS6detail17trampoline_kernelINS0_14default_configENS1_25partition_config_selectorILNS1_17partition_subalgoE9EttbEEZZNS1_14partition_implILS5_9ELb0ES3_jN6thrust23THRUST_200600_302600_NS6detail15normal_iteratorINS9_10device_ptrItEEEESE_PNS0_10empty_typeENS0_5tupleIJSE_SF_EEENSH_IJSE_SG_EEENS0_18inequality_wrapperINS9_8equal_toItEEEEPmJSF_EEE10hipError_tPvRmT3_T4_T5_T6_T7_T9_mT8_P12ihipStream_tbDpT10_ENKUlT_T0_E_clISt17integral_constantIbLb1EES18_EEDaS13_S14_EUlS13_E_NS1_11comp_targetILNS1_3genE0ELNS1_11target_archE4294967295ELNS1_3gpuE0ELNS1_3repE0EEENS1_30default_config_static_selectorELNS0_4arch9wavefront6targetE0EEEvT1_,"axG",@progbits,_ZN7rocprim17ROCPRIM_400000_NS6detail17trampoline_kernelINS0_14default_configENS1_25partition_config_selectorILNS1_17partition_subalgoE9EttbEEZZNS1_14partition_implILS5_9ELb0ES3_jN6thrust23THRUST_200600_302600_NS6detail15normal_iteratorINS9_10device_ptrItEEEESE_PNS0_10empty_typeENS0_5tupleIJSE_SF_EEENSH_IJSE_SG_EEENS0_18inequality_wrapperINS9_8equal_toItEEEEPmJSF_EEE10hipError_tPvRmT3_T4_T5_T6_T7_T9_mT8_P12ihipStream_tbDpT10_ENKUlT_T0_E_clISt17integral_constantIbLb1EES18_EEDaS13_S14_EUlS13_E_NS1_11comp_targetILNS1_3genE0ELNS1_11target_archE4294967295ELNS1_3gpuE0ELNS1_3repE0EEENS1_30default_config_static_selectorELNS0_4arch9wavefront6targetE0EEEvT1_,comdat
	.protected	_ZN7rocprim17ROCPRIM_400000_NS6detail17trampoline_kernelINS0_14default_configENS1_25partition_config_selectorILNS1_17partition_subalgoE9EttbEEZZNS1_14partition_implILS5_9ELb0ES3_jN6thrust23THRUST_200600_302600_NS6detail15normal_iteratorINS9_10device_ptrItEEEESE_PNS0_10empty_typeENS0_5tupleIJSE_SF_EEENSH_IJSE_SG_EEENS0_18inequality_wrapperINS9_8equal_toItEEEEPmJSF_EEE10hipError_tPvRmT3_T4_T5_T6_T7_T9_mT8_P12ihipStream_tbDpT10_ENKUlT_T0_E_clISt17integral_constantIbLb1EES18_EEDaS13_S14_EUlS13_E_NS1_11comp_targetILNS1_3genE0ELNS1_11target_archE4294967295ELNS1_3gpuE0ELNS1_3repE0EEENS1_30default_config_static_selectorELNS0_4arch9wavefront6targetE0EEEvT1_ ; -- Begin function _ZN7rocprim17ROCPRIM_400000_NS6detail17trampoline_kernelINS0_14default_configENS1_25partition_config_selectorILNS1_17partition_subalgoE9EttbEEZZNS1_14partition_implILS5_9ELb0ES3_jN6thrust23THRUST_200600_302600_NS6detail15normal_iteratorINS9_10device_ptrItEEEESE_PNS0_10empty_typeENS0_5tupleIJSE_SF_EEENSH_IJSE_SG_EEENS0_18inequality_wrapperINS9_8equal_toItEEEEPmJSF_EEE10hipError_tPvRmT3_T4_T5_T6_T7_T9_mT8_P12ihipStream_tbDpT10_ENKUlT_T0_E_clISt17integral_constantIbLb1EES18_EEDaS13_S14_EUlS13_E_NS1_11comp_targetILNS1_3genE0ELNS1_11target_archE4294967295ELNS1_3gpuE0ELNS1_3repE0EEENS1_30default_config_static_selectorELNS0_4arch9wavefront6targetE0EEEvT1_
	.globl	_ZN7rocprim17ROCPRIM_400000_NS6detail17trampoline_kernelINS0_14default_configENS1_25partition_config_selectorILNS1_17partition_subalgoE9EttbEEZZNS1_14partition_implILS5_9ELb0ES3_jN6thrust23THRUST_200600_302600_NS6detail15normal_iteratorINS9_10device_ptrItEEEESE_PNS0_10empty_typeENS0_5tupleIJSE_SF_EEENSH_IJSE_SG_EEENS0_18inequality_wrapperINS9_8equal_toItEEEEPmJSF_EEE10hipError_tPvRmT3_T4_T5_T6_T7_T9_mT8_P12ihipStream_tbDpT10_ENKUlT_T0_E_clISt17integral_constantIbLb1EES18_EEDaS13_S14_EUlS13_E_NS1_11comp_targetILNS1_3genE0ELNS1_11target_archE4294967295ELNS1_3gpuE0ELNS1_3repE0EEENS1_30default_config_static_selectorELNS0_4arch9wavefront6targetE0EEEvT1_
	.p2align	8
	.type	_ZN7rocprim17ROCPRIM_400000_NS6detail17trampoline_kernelINS0_14default_configENS1_25partition_config_selectorILNS1_17partition_subalgoE9EttbEEZZNS1_14partition_implILS5_9ELb0ES3_jN6thrust23THRUST_200600_302600_NS6detail15normal_iteratorINS9_10device_ptrItEEEESE_PNS0_10empty_typeENS0_5tupleIJSE_SF_EEENSH_IJSE_SG_EEENS0_18inequality_wrapperINS9_8equal_toItEEEEPmJSF_EEE10hipError_tPvRmT3_T4_T5_T6_T7_T9_mT8_P12ihipStream_tbDpT10_ENKUlT_T0_E_clISt17integral_constantIbLb1EES18_EEDaS13_S14_EUlS13_E_NS1_11comp_targetILNS1_3genE0ELNS1_11target_archE4294967295ELNS1_3gpuE0ELNS1_3repE0EEENS1_30default_config_static_selectorELNS0_4arch9wavefront6targetE0EEEvT1_,@function
_ZN7rocprim17ROCPRIM_400000_NS6detail17trampoline_kernelINS0_14default_configENS1_25partition_config_selectorILNS1_17partition_subalgoE9EttbEEZZNS1_14partition_implILS5_9ELb0ES3_jN6thrust23THRUST_200600_302600_NS6detail15normal_iteratorINS9_10device_ptrItEEEESE_PNS0_10empty_typeENS0_5tupleIJSE_SF_EEENSH_IJSE_SG_EEENS0_18inequality_wrapperINS9_8equal_toItEEEEPmJSF_EEE10hipError_tPvRmT3_T4_T5_T6_T7_T9_mT8_P12ihipStream_tbDpT10_ENKUlT_T0_E_clISt17integral_constantIbLb1EES18_EEDaS13_S14_EUlS13_E_NS1_11comp_targetILNS1_3genE0ELNS1_11target_archE4294967295ELNS1_3gpuE0ELNS1_3repE0EEENS1_30default_config_static_selectorELNS0_4arch9wavefront6targetE0EEEvT1_: ; @_ZN7rocprim17ROCPRIM_400000_NS6detail17trampoline_kernelINS0_14default_configENS1_25partition_config_selectorILNS1_17partition_subalgoE9EttbEEZZNS1_14partition_implILS5_9ELb0ES3_jN6thrust23THRUST_200600_302600_NS6detail15normal_iteratorINS9_10device_ptrItEEEESE_PNS0_10empty_typeENS0_5tupleIJSE_SF_EEENSH_IJSE_SG_EEENS0_18inequality_wrapperINS9_8equal_toItEEEEPmJSF_EEE10hipError_tPvRmT3_T4_T5_T6_T7_T9_mT8_P12ihipStream_tbDpT10_ENKUlT_T0_E_clISt17integral_constantIbLb1EES18_EEDaS13_S14_EUlS13_E_NS1_11comp_targetILNS1_3genE0ELNS1_11target_archE4294967295ELNS1_3gpuE0ELNS1_3repE0EEENS1_30default_config_static_selectorELNS0_4arch9wavefront6targetE0EEEvT1_
; %bb.0:
	.section	.rodata,"a",@progbits
	.p2align	6, 0x0
	.amdhsa_kernel _ZN7rocprim17ROCPRIM_400000_NS6detail17trampoline_kernelINS0_14default_configENS1_25partition_config_selectorILNS1_17partition_subalgoE9EttbEEZZNS1_14partition_implILS5_9ELb0ES3_jN6thrust23THRUST_200600_302600_NS6detail15normal_iteratorINS9_10device_ptrItEEEESE_PNS0_10empty_typeENS0_5tupleIJSE_SF_EEENSH_IJSE_SG_EEENS0_18inequality_wrapperINS9_8equal_toItEEEEPmJSF_EEE10hipError_tPvRmT3_T4_T5_T6_T7_T9_mT8_P12ihipStream_tbDpT10_ENKUlT_T0_E_clISt17integral_constantIbLb1EES18_EEDaS13_S14_EUlS13_E_NS1_11comp_targetILNS1_3genE0ELNS1_11target_archE4294967295ELNS1_3gpuE0ELNS1_3repE0EEENS1_30default_config_static_selectorELNS0_4arch9wavefront6targetE0EEEvT1_
		.amdhsa_group_segment_fixed_size 0
		.amdhsa_private_segment_fixed_size 0
		.amdhsa_kernarg_size 128
		.amdhsa_user_sgpr_count 15
		.amdhsa_user_sgpr_dispatch_ptr 0
		.amdhsa_user_sgpr_queue_ptr 0
		.amdhsa_user_sgpr_kernarg_segment_ptr 1
		.amdhsa_user_sgpr_dispatch_id 0
		.amdhsa_user_sgpr_private_segment_size 0
		.amdhsa_wavefront_size32 1
		.amdhsa_uses_dynamic_stack 0
		.amdhsa_enable_private_segment 0
		.amdhsa_system_sgpr_workgroup_id_x 1
		.amdhsa_system_sgpr_workgroup_id_y 0
		.amdhsa_system_sgpr_workgroup_id_z 0
		.amdhsa_system_sgpr_workgroup_info 0
		.amdhsa_system_vgpr_workitem_id 0
		.amdhsa_next_free_vgpr 1
		.amdhsa_next_free_sgpr 1
		.amdhsa_reserve_vcc 0
		.amdhsa_float_round_mode_32 0
		.amdhsa_float_round_mode_16_64 0
		.amdhsa_float_denorm_mode_32 3
		.amdhsa_float_denorm_mode_16_64 3
		.amdhsa_dx10_clamp 1
		.amdhsa_ieee_mode 1
		.amdhsa_fp16_overflow 0
		.amdhsa_workgroup_processor_mode 1
		.amdhsa_memory_ordered 1
		.amdhsa_forward_progress 0
		.amdhsa_shared_vgpr_count 0
		.amdhsa_exception_fp_ieee_invalid_op 0
		.amdhsa_exception_fp_denorm_src 0
		.amdhsa_exception_fp_ieee_div_zero 0
		.amdhsa_exception_fp_ieee_overflow 0
		.amdhsa_exception_fp_ieee_underflow 0
		.amdhsa_exception_fp_ieee_inexact 0
		.amdhsa_exception_int_div_zero 0
	.end_amdhsa_kernel
	.section	.text._ZN7rocprim17ROCPRIM_400000_NS6detail17trampoline_kernelINS0_14default_configENS1_25partition_config_selectorILNS1_17partition_subalgoE9EttbEEZZNS1_14partition_implILS5_9ELb0ES3_jN6thrust23THRUST_200600_302600_NS6detail15normal_iteratorINS9_10device_ptrItEEEESE_PNS0_10empty_typeENS0_5tupleIJSE_SF_EEENSH_IJSE_SG_EEENS0_18inequality_wrapperINS9_8equal_toItEEEEPmJSF_EEE10hipError_tPvRmT3_T4_T5_T6_T7_T9_mT8_P12ihipStream_tbDpT10_ENKUlT_T0_E_clISt17integral_constantIbLb1EES18_EEDaS13_S14_EUlS13_E_NS1_11comp_targetILNS1_3genE0ELNS1_11target_archE4294967295ELNS1_3gpuE0ELNS1_3repE0EEENS1_30default_config_static_selectorELNS0_4arch9wavefront6targetE0EEEvT1_,"axG",@progbits,_ZN7rocprim17ROCPRIM_400000_NS6detail17trampoline_kernelINS0_14default_configENS1_25partition_config_selectorILNS1_17partition_subalgoE9EttbEEZZNS1_14partition_implILS5_9ELb0ES3_jN6thrust23THRUST_200600_302600_NS6detail15normal_iteratorINS9_10device_ptrItEEEESE_PNS0_10empty_typeENS0_5tupleIJSE_SF_EEENSH_IJSE_SG_EEENS0_18inequality_wrapperINS9_8equal_toItEEEEPmJSF_EEE10hipError_tPvRmT3_T4_T5_T6_T7_T9_mT8_P12ihipStream_tbDpT10_ENKUlT_T0_E_clISt17integral_constantIbLb1EES18_EEDaS13_S14_EUlS13_E_NS1_11comp_targetILNS1_3genE0ELNS1_11target_archE4294967295ELNS1_3gpuE0ELNS1_3repE0EEENS1_30default_config_static_selectorELNS0_4arch9wavefront6targetE0EEEvT1_,comdat
.Lfunc_end283:
	.size	_ZN7rocprim17ROCPRIM_400000_NS6detail17trampoline_kernelINS0_14default_configENS1_25partition_config_selectorILNS1_17partition_subalgoE9EttbEEZZNS1_14partition_implILS5_9ELb0ES3_jN6thrust23THRUST_200600_302600_NS6detail15normal_iteratorINS9_10device_ptrItEEEESE_PNS0_10empty_typeENS0_5tupleIJSE_SF_EEENSH_IJSE_SG_EEENS0_18inequality_wrapperINS9_8equal_toItEEEEPmJSF_EEE10hipError_tPvRmT3_T4_T5_T6_T7_T9_mT8_P12ihipStream_tbDpT10_ENKUlT_T0_E_clISt17integral_constantIbLb1EES18_EEDaS13_S14_EUlS13_E_NS1_11comp_targetILNS1_3genE0ELNS1_11target_archE4294967295ELNS1_3gpuE0ELNS1_3repE0EEENS1_30default_config_static_selectorELNS0_4arch9wavefront6targetE0EEEvT1_, .Lfunc_end283-_ZN7rocprim17ROCPRIM_400000_NS6detail17trampoline_kernelINS0_14default_configENS1_25partition_config_selectorILNS1_17partition_subalgoE9EttbEEZZNS1_14partition_implILS5_9ELb0ES3_jN6thrust23THRUST_200600_302600_NS6detail15normal_iteratorINS9_10device_ptrItEEEESE_PNS0_10empty_typeENS0_5tupleIJSE_SF_EEENSH_IJSE_SG_EEENS0_18inequality_wrapperINS9_8equal_toItEEEEPmJSF_EEE10hipError_tPvRmT3_T4_T5_T6_T7_T9_mT8_P12ihipStream_tbDpT10_ENKUlT_T0_E_clISt17integral_constantIbLb1EES18_EEDaS13_S14_EUlS13_E_NS1_11comp_targetILNS1_3genE0ELNS1_11target_archE4294967295ELNS1_3gpuE0ELNS1_3repE0EEENS1_30default_config_static_selectorELNS0_4arch9wavefront6targetE0EEEvT1_
                                        ; -- End function
	.section	.AMDGPU.csdata,"",@progbits
; Kernel info:
; codeLenInByte = 0
; NumSgprs: 0
; NumVgprs: 0
; ScratchSize: 0
; MemoryBound: 0
; FloatMode: 240
; IeeeMode: 1
; LDSByteSize: 0 bytes/workgroup (compile time only)
; SGPRBlocks: 0
; VGPRBlocks: 0
; NumSGPRsForWavesPerEU: 1
; NumVGPRsForWavesPerEU: 1
; Occupancy: 16
; WaveLimiterHint : 0
; COMPUTE_PGM_RSRC2:SCRATCH_EN: 0
; COMPUTE_PGM_RSRC2:USER_SGPR: 15
; COMPUTE_PGM_RSRC2:TRAP_HANDLER: 0
; COMPUTE_PGM_RSRC2:TGID_X_EN: 1
; COMPUTE_PGM_RSRC2:TGID_Y_EN: 0
; COMPUTE_PGM_RSRC2:TGID_Z_EN: 0
; COMPUTE_PGM_RSRC2:TIDIG_COMP_CNT: 0
	.section	.text._ZN7rocprim17ROCPRIM_400000_NS6detail17trampoline_kernelINS0_14default_configENS1_25partition_config_selectorILNS1_17partition_subalgoE9EttbEEZZNS1_14partition_implILS5_9ELb0ES3_jN6thrust23THRUST_200600_302600_NS6detail15normal_iteratorINS9_10device_ptrItEEEESE_PNS0_10empty_typeENS0_5tupleIJSE_SF_EEENSH_IJSE_SG_EEENS0_18inequality_wrapperINS9_8equal_toItEEEEPmJSF_EEE10hipError_tPvRmT3_T4_T5_T6_T7_T9_mT8_P12ihipStream_tbDpT10_ENKUlT_T0_E_clISt17integral_constantIbLb1EES18_EEDaS13_S14_EUlS13_E_NS1_11comp_targetILNS1_3genE5ELNS1_11target_archE942ELNS1_3gpuE9ELNS1_3repE0EEENS1_30default_config_static_selectorELNS0_4arch9wavefront6targetE0EEEvT1_,"axG",@progbits,_ZN7rocprim17ROCPRIM_400000_NS6detail17trampoline_kernelINS0_14default_configENS1_25partition_config_selectorILNS1_17partition_subalgoE9EttbEEZZNS1_14partition_implILS5_9ELb0ES3_jN6thrust23THRUST_200600_302600_NS6detail15normal_iteratorINS9_10device_ptrItEEEESE_PNS0_10empty_typeENS0_5tupleIJSE_SF_EEENSH_IJSE_SG_EEENS0_18inequality_wrapperINS9_8equal_toItEEEEPmJSF_EEE10hipError_tPvRmT3_T4_T5_T6_T7_T9_mT8_P12ihipStream_tbDpT10_ENKUlT_T0_E_clISt17integral_constantIbLb1EES18_EEDaS13_S14_EUlS13_E_NS1_11comp_targetILNS1_3genE5ELNS1_11target_archE942ELNS1_3gpuE9ELNS1_3repE0EEENS1_30default_config_static_selectorELNS0_4arch9wavefront6targetE0EEEvT1_,comdat
	.protected	_ZN7rocprim17ROCPRIM_400000_NS6detail17trampoline_kernelINS0_14default_configENS1_25partition_config_selectorILNS1_17partition_subalgoE9EttbEEZZNS1_14partition_implILS5_9ELb0ES3_jN6thrust23THRUST_200600_302600_NS6detail15normal_iteratorINS9_10device_ptrItEEEESE_PNS0_10empty_typeENS0_5tupleIJSE_SF_EEENSH_IJSE_SG_EEENS0_18inequality_wrapperINS9_8equal_toItEEEEPmJSF_EEE10hipError_tPvRmT3_T4_T5_T6_T7_T9_mT8_P12ihipStream_tbDpT10_ENKUlT_T0_E_clISt17integral_constantIbLb1EES18_EEDaS13_S14_EUlS13_E_NS1_11comp_targetILNS1_3genE5ELNS1_11target_archE942ELNS1_3gpuE9ELNS1_3repE0EEENS1_30default_config_static_selectorELNS0_4arch9wavefront6targetE0EEEvT1_ ; -- Begin function _ZN7rocprim17ROCPRIM_400000_NS6detail17trampoline_kernelINS0_14default_configENS1_25partition_config_selectorILNS1_17partition_subalgoE9EttbEEZZNS1_14partition_implILS5_9ELb0ES3_jN6thrust23THRUST_200600_302600_NS6detail15normal_iteratorINS9_10device_ptrItEEEESE_PNS0_10empty_typeENS0_5tupleIJSE_SF_EEENSH_IJSE_SG_EEENS0_18inequality_wrapperINS9_8equal_toItEEEEPmJSF_EEE10hipError_tPvRmT3_T4_T5_T6_T7_T9_mT8_P12ihipStream_tbDpT10_ENKUlT_T0_E_clISt17integral_constantIbLb1EES18_EEDaS13_S14_EUlS13_E_NS1_11comp_targetILNS1_3genE5ELNS1_11target_archE942ELNS1_3gpuE9ELNS1_3repE0EEENS1_30default_config_static_selectorELNS0_4arch9wavefront6targetE0EEEvT1_
	.globl	_ZN7rocprim17ROCPRIM_400000_NS6detail17trampoline_kernelINS0_14default_configENS1_25partition_config_selectorILNS1_17partition_subalgoE9EttbEEZZNS1_14partition_implILS5_9ELb0ES3_jN6thrust23THRUST_200600_302600_NS6detail15normal_iteratorINS9_10device_ptrItEEEESE_PNS0_10empty_typeENS0_5tupleIJSE_SF_EEENSH_IJSE_SG_EEENS0_18inequality_wrapperINS9_8equal_toItEEEEPmJSF_EEE10hipError_tPvRmT3_T4_T5_T6_T7_T9_mT8_P12ihipStream_tbDpT10_ENKUlT_T0_E_clISt17integral_constantIbLb1EES18_EEDaS13_S14_EUlS13_E_NS1_11comp_targetILNS1_3genE5ELNS1_11target_archE942ELNS1_3gpuE9ELNS1_3repE0EEENS1_30default_config_static_selectorELNS0_4arch9wavefront6targetE0EEEvT1_
	.p2align	8
	.type	_ZN7rocprim17ROCPRIM_400000_NS6detail17trampoline_kernelINS0_14default_configENS1_25partition_config_selectorILNS1_17partition_subalgoE9EttbEEZZNS1_14partition_implILS5_9ELb0ES3_jN6thrust23THRUST_200600_302600_NS6detail15normal_iteratorINS9_10device_ptrItEEEESE_PNS0_10empty_typeENS0_5tupleIJSE_SF_EEENSH_IJSE_SG_EEENS0_18inequality_wrapperINS9_8equal_toItEEEEPmJSF_EEE10hipError_tPvRmT3_T4_T5_T6_T7_T9_mT8_P12ihipStream_tbDpT10_ENKUlT_T0_E_clISt17integral_constantIbLb1EES18_EEDaS13_S14_EUlS13_E_NS1_11comp_targetILNS1_3genE5ELNS1_11target_archE942ELNS1_3gpuE9ELNS1_3repE0EEENS1_30default_config_static_selectorELNS0_4arch9wavefront6targetE0EEEvT1_,@function
_ZN7rocprim17ROCPRIM_400000_NS6detail17trampoline_kernelINS0_14default_configENS1_25partition_config_selectorILNS1_17partition_subalgoE9EttbEEZZNS1_14partition_implILS5_9ELb0ES3_jN6thrust23THRUST_200600_302600_NS6detail15normal_iteratorINS9_10device_ptrItEEEESE_PNS0_10empty_typeENS0_5tupleIJSE_SF_EEENSH_IJSE_SG_EEENS0_18inequality_wrapperINS9_8equal_toItEEEEPmJSF_EEE10hipError_tPvRmT3_T4_T5_T6_T7_T9_mT8_P12ihipStream_tbDpT10_ENKUlT_T0_E_clISt17integral_constantIbLb1EES18_EEDaS13_S14_EUlS13_E_NS1_11comp_targetILNS1_3genE5ELNS1_11target_archE942ELNS1_3gpuE9ELNS1_3repE0EEENS1_30default_config_static_selectorELNS0_4arch9wavefront6targetE0EEEvT1_: ; @_ZN7rocprim17ROCPRIM_400000_NS6detail17trampoline_kernelINS0_14default_configENS1_25partition_config_selectorILNS1_17partition_subalgoE9EttbEEZZNS1_14partition_implILS5_9ELb0ES3_jN6thrust23THRUST_200600_302600_NS6detail15normal_iteratorINS9_10device_ptrItEEEESE_PNS0_10empty_typeENS0_5tupleIJSE_SF_EEENSH_IJSE_SG_EEENS0_18inequality_wrapperINS9_8equal_toItEEEEPmJSF_EEE10hipError_tPvRmT3_T4_T5_T6_T7_T9_mT8_P12ihipStream_tbDpT10_ENKUlT_T0_E_clISt17integral_constantIbLb1EES18_EEDaS13_S14_EUlS13_E_NS1_11comp_targetILNS1_3genE5ELNS1_11target_archE942ELNS1_3gpuE9ELNS1_3repE0EEENS1_30default_config_static_selectorELNS0_4arch9wavefront6targetE0EEEvT1_
; %bb.0:
	.section	.rodata,"a",@progbits
	.p2align	6, 0x0
	.amdhsa_kernel _ZN7rocprim17ROCPRIM_400000_NS6detail17trampoline_kernelINS0_14default_configENS1_25partition_config_selectorILNS1_17partition_subalgoE9EttbEEZZNS1_14partition_implILS5_9ELb0ES3_jN6thrust23THRUST_200600_302600_NS6detail15normal_iteratorINS9_10device_ptrItEEEESE_PNS0_10empty_typeENS0_5tupleIJSE_SF_EEENSH_IJSE_SG_EEENS0_18inequality_wrapperINS9_8equal_toItEEEEPmJSF_EEE10hipError_tPvRmT3_T4_T5_T6_T7_T9_mT8_P12ihipStream_tbDpT10_ENKUlT_T0_E_clISt17integral_constantIbLb1EES18_EEDaS13_S14_EUlS13_E_NS1_11comp_targetILNS1_3genE5ELNS1_11target_archE942ELNS1_3gpuE9ELNS1_3repE0EEENS1_30default_config_static_selectorELNS0_4arch9wavefront6targetE0EEEvT1_
		.amdhsa_group_segment_fixed_size 0
		.amdhsa_private_segment_fixed_size 0
		.amdhsa_kernarg_size 128
		.amdhsa_user_sgpr_count 15
		.amdhsa_user_sgpr_dispatch_ptr 0
		.amdhsa_user_sgpr_queue_ptr 0
		.amdhsa_user_sgpr_kernarg_segment_ptr 1
		.amdhsa_user_sgpr_dispatch_id 0
		.amdhsa_user_sgpr_private_segment_size 0
		.amdhsa_wavefront_size32 1
		.amdhsa_uses_dynamic_stack 0
		.amdhsa_enable_private_segment 0
		.amdhsa_system_sgpr_workgroup_id_x 1
		.amdhsa_system_sgpr_workgroup_id_y 0
		.amdhsa_system_sgpr_workgroup_id_z 0
		.amdhsa_system_sgpr_workgroup_info 0
		.amdhsa_system_vgpr_workitem_id 0
		.amdhsa_next_free_vgpr 1
		.amdhsa_next_free_sgpr 1
		.amdhsa_reserve_vcc 0
		.amdhsa_float_round_mode_32 0
		.amdhsa_float_round_mode_16_64 0
		.amdhsa_float_denorm_mode_32 3
		.amdhsa_float_denorm_mode_16_64 3
		.amdhsa_dx10_clamp 1
		.amdhsa_ieee_mode 1
		.amdhsa_fp16_overflow 0
		.amdhsa_workgroup_processor_mode 1
		.amdhsa_memory_ordered 1
		.amdhsa_forward_progress 0
		.amdhsa_shared_vgpr_count 0
		.amdhsa_exception_fp_ieee_invalid_op 0
		.amdhsa_exception_fp_denorm_src 0
		.amdhsa_exception_fp_ieee_div_zero 0
		.amdhsa_exception_fp_ieee_overflow 0
		.amdhsa_exception_fp_ieee_underflow 0
		.amdhsa_exception_fp_ieee_inexact 0
		.amdhsa_exception_int_div_zero 0
	.end_amdhsa_kernel
	.section	.text._ZN7rocprim17ROCPRIM_400000_NS6detail17trampoline_kernelINS0_14default_configENS1_25partition_config_selectorILNS1_17partition_subalgoE9EttbEEZZNS1_14partition_implILS5_9ELb0ES3_jN6thrust23THRUST_200600_302600_NS6detail15normal_iteratorINS9_10device_ptrItEEEESE_PNS0_10empty_typeENS0_5tupleIJSE_SF_EEENSH_IJSE_SG_EEENS0_18inequality_wrapperINS9_8equal_toItEEEEPmJSF_EEE10hipError_tPvRmT3_T4_T5_T6_T7_T9_mT8_P12ihipStream_tbDpT10_ENKUlT_T0_E_clISt17integral_constantIbLb1EES18_EEDaS13_S14_EUlS13_E_NS1_11comp_targetILNS1_3genE5ELNS1_11target_archE942ELNS1_3gpuE9ELNS1_3repE0EEENS1_30default_config_static_selectorELNS0_4arch9wavefront6targetE0EEEvT1_,"axG",@progbits,_ZN7rocprim17ROCPRIM_400000_NS6detail17trampoline_kernelINS0_14default_configENS1_25partition_config_selectorILNS1_17partition_subalgoE9EttbEEZZNS1_14partition_implILS5_9ELb0ES3_jN6thrust23THRUST_200600_302600_NS6detail15normal_iteratorINS9_10device_ptrItEEEESE_PNS0_10empty_typeENS0_5tupleIJSE_SF_EEENSH_IJSE_SG_EEENS0_18inequality_wrapperINS9_8equal_toItEEEEPmJSF_EEE10hipError_tPvRmT3_T4_T5_T6_T7_T9_mT8_P12ihipStream_tbDpT10_ENKUlT_T0_E_clISt17integral_constantIbLb1EES18_EEDaS13_S14_EUlS13_E_NS1_11comp_targetILNS1_3genE5ELNS1_11target_archE942ELNS1_3gpuE9ELNS1_3repE0EEENS1_30default_config_static_selectorELNS0_4arch9wavefront6targetE0EEEvT1_,comdat
.Lfunc_end284:
	.size	_ZN7rocprim17ROCPRIM_400000_NS6detail17trampoline_kernelINS0_14default_configENS1_25partition_config_selectorILNS1_17partition_subalgoE9EttbEEZZNS1_14partition_implILS5_9ELb0ES3_jN6thrust23THRUST_200600_302600_NS6detail15normal_iteratorINS9_10device_ptrItEEEESE_PNS0_10empty_typeENS0_5tupleIJSE_SF_EEENSH_IJSE_SG_EEENS0_18inequality_wrapperINS9_8equal_toItEEEEPmJSF_EEE10hipError_tPvRmT3_T4_T5_T6_T7_T9_mT8_P12ihipStream_tbDpT10_ENKUlT_T0_E_clISt17integral_constantIbLb1EES18_EEDaS13_S14_EUlS13_E_NS1_11comp_targetILNS1_3genE5ELNS1_11target_archE942ELNS1_3gpuE9ELNS1_3repE0EEENS1_30default_config_static_selectorELNS0_4arch9wavefront6targetE0EEEvT1_, .Lfunc_end284-_ZN7rocprim17ROCPRIM_400000_NS6detail17trampoline_kernelINS0_14default_configENS1_25partition_config_selectorILNS1_17partition_subalgoE9EttbEEZZNS1_14partition_implILS5_9ELb0ES3_jN6thrust23THRUST_200600_302600_NS6detail15normal_iteratorINS9_10device_ptrItEEEESE_PNS0_10empty_typeENS0_5tupleIJSE_SF_EEENSH_IJSE_SG_EEENS0_18inequality_wrapperINS9_8equal_toItEEEEPmJSF_EEE10hipError_tPvRmT3_T4_T5_T6_T7_T9_mT8_P12ihipStream_tbDpT10_ENKUlT_T0_E_clISt17integral_constantIbLb1EES18_EEDaS13_S14_EUlS13_E_NS1_11comp_targetILNS1_3genE5ELNS1_11target_archE942ELNS1_3gpuE9ELNS1_3repE0EEENS1_30default_config_static_selectorELNS0_4arch9wavefront6targetE0EEEvT1_
                                        ; -- End function
	.section	.AMDGPU.csdata,"",@progbits
; Kernel info:
; codeLenInByte = 0
; NumSgprs: 0
; NumVgprs: 0
; ScratchSize: 0
; MemoryBound: 0
; FloatMode: 240
; IeeeMode: 1
; LDSByteSize: 0 bytes/workgroup (compile time only)
; SGPRBlocks: 0
; VGPRBlocks: 0
; NumSGPRsForWavesPerEU: 1
; NumVGPRsForWavesPerEU: 1
; Occupancy: 16
; WaveLimiterHint : 0
; COMPUTE_PGM_RSRC2:SCRATCH_EN: 0
; COMPUTE_PGM_RSRC2:USER_SGPR: 15
; COMPUTE_PGM_RSRC2:TRAP_HANDLER: 0
; COMPUTE_PGM_RSRC2:TGID_X_EN: 1
; COMPUTE_PGM_RSRC2:TGID_Y_EN: 0
; COMPUTE_PGM_RSRC2:TGID_Z_EN: 0
; COMPUTE_PGM_RSRC2:TIDIG_COMP_CNT: 0
	.section	.text._ZN7rocprim17ROCPRIM_400000_NS6detail17trampoline_kernelINS0_14default_configENS1_25partition_config_selectorILNS1_17partition_subalgoE9EttbEEZZNS1_14partition_implILS5_9ELb0ES3_jN6thrust23THRUST_200600_302600_NS6detail15normal_iteratorINS9_10device_ptrItEEEESE_PNS0_10empty_typeENS0_5tupleIJSE_SF_EEENSH_IJSE_SG_EEENS0_18inequality_wrapperINS9_8equal_toItEEEEPmJSF_EEE10hipError_tPvRmT3_T4_T5_T6_T7_T9_mT8_P12ihipStream_tbDpT10_ENKUlT_T0_E_clISt17integral_constantIbLb1EES18_EEDaS13_S14_EUlS13_E_NS1_11comp_targetILNS1_3genE4ELNS1_11target_archE910ELNS1_3gpuE8ELNS1_3repE0EEENS1_30default_config_static_selectorELNS0_4arch9wavefront6targetE0EEEvT1_,"axG",@progbits,_ZN7rocprim17ROCPRIM_400000_NS6detail17trampoline_kernelINS0_14default_configENS1_25partition_config_selectorILNS1_17partition_subalgoE9EttbEEZZNS1_14partition_implILS5_9ELb0ES3_jN6thrust23THRUST_200600_302600_NS6detail15normal_iteratorINS9_10device_ptrItEEEESE_PNS0_10empty_typeENS0_5tupleIJSE_SF_EEENSH_IJSE_SG_EEENS0_18inequality_wrapperINS9_8equal_toItEEEEPmJSF_EEE10hipError_tPvRmT3_T4_T5_T6_T7_T9_mT8_P12ihipStream_tbDpT10_ENKUlT_T0_E_clISt17integral_constantIbLb1EES18_EEDaS13_S14_EUlS13_E_NS1_11comp_targetILNS1_3genE4ELNS1_11target_archE910ELNS1_3gpuE8ELNS1_3repE0EEENS1_30default_config_static_selectorELNS0_4arch9wavefront6targetE0EEEvT1_,comdat
	.protected	_ZN7rocprim17ROCPRIM_400000_NS6detail17trampoline_kernelINS0_14default_configENS1_25partition_config_selectorILNS1_17partition_subalgoE9EttbEEZZNS1_14partition_implILS5_9ELb0ES3_jN6thrust23THRUST_200600_302600_NS6detail15normal_iteratorINS9_10device_ptrItEEEESE_PNS0_10empty_typeENS0_5tupleIJSE_SF_EEENSH_IJSE_SG_EEENS0_18inequality_wrapperINS9_8equal_toItEEEEPmJSF_EEE10hipError_tPvRmT3_T4_T5_T6_T7_T9_mT8_P12ihipStream_tbDpT10_ENKUlT_T0_E_clISt17integral_constantIbLb1EES18_EEDaS13_S14_EUlS13_E_NS1_11comp_targetILNS1_3genE4ELNS1_11target_archE910ELNS1_3gpuE8ELNS1_3repE0EEENS1_30default_config_static_selectorELNS0_4arch9wavefront6targetE0EEEvT1_ ; -- Begin function _ZN7rocprim17ROCPRIM_400000_NS6detail17trampoline_kernelINS0_14default_configENS1_25partition_config_selectorILNS1_17partition_subalgoE9EttbEEZZNS1_14partition_implILS5_9ELb0ES3_jN6thrust23THRUST_200600_302600_NS6detail15normal_iteratorINS9_10device_ptrItEEEESE_PNS0_10empty_typeENS0_5tupleIJSE_SF_EEENSH_IJSE_SG_EEENS0_18inequality_wrapperINS9_8equal_toItEEEEPmJSF_EEE10hipError_tPvRmT3_T4_T5_T6_T7_T9_mT8_P12ihipStream_tbDpT10_ENKUlT_T0_E_clISt17integral_constantIbLb1EES18_EEDaS13_S14_EUlS13_E_NS1_11comp_targetILNS1_3genE4ELNS1_11target_archE910ELNS1_3gpuE8ELNS1_3repE0EEENS1_30default_config_static_selectorELNS0_4arch9wavefront6targetE0EEEvT1_
	.globl	_ZN7rocprim17ROCPRIM_400000_NS6detail17trampoline_kernelINS0_14default_configENS1_25partition_config_selectorILNS1_17partition_subalgoE9EttbEEZZNS1_14partition_implILS5_9ELb0ES3_jN6thrust23THRUST_200600_302600_NS6detail15normal_iteratorINS9_10device_ptrItEEEESE_PNS0_10empty_typeENS0_5tupleIJSE_SF_EEENSH_IJSE_SG_EEENS0_18inequality_wrapperINS9_8equal_toItEEEEPmJSF_EEE10hipError_tPvRmT3_T4_T5_T6_T7_T9_mT8_P12ihipStream_tbDpT10_ENKUlT_T0_E_clISt17integral_constantIbLb1EES18_EEDaS13_S14_EUlS13_E_NS1_11comp_targetILNS1_3genE4ELNS1_11target_archE910ELNS1_3gpuE8ELNS1_3repE0EEENS1_30default_config_static_selectorELNS0_4arch9wavefront6targetE0EEEvT1_
	.p2align	8
	.type	_ZN7rocprim17ROCPRIM_400000_NS6detail17trampoline_kernelINS0_14default_configENS1_25partition_config_selectorILNS1_17partition_subalgoE9EttbEEZZNS1_14partition_implILS5_9ELb0ES3_jN6thrust23THRUST_200600_302600_NS6detail15normal_iteratorINS9_10device_ptrItEEEESE_PNS0_10empty_typeENS0_5tupleIJSE_SF_EEENSH_IJSE_SG_EEENS0_18inequality_wrapperINS9_8equal_toItEEEEPmJSF_EEE10hipError_tPvRmT3_T4_T5_T6_T7_T9_mT8_P12ihipStream_tbDpT10_ENKUlT_T0_E_clISt17integral_constantIbLb1EES18_EEDaS13_S14_EUlS13_E_NS1_11comp_targetILNS1_3genE4ELNS1_11target_archE910ELNS1_3gpuE8ELNS1_3repE0EEENS1_30default_config_static_selectorELNS0_4arch9wavefront6targetE0EEEvT1_,@function
_ZN7rocprim17ROCPRIM_400000_NS6detail17trampoline_kernelINS0_14default_configENS1_25partition_config_selectorILNS1_17partition_subalgoE9EttbEEZZNS1_14partition_implILS5_9ELb0ES3_jN6thrust23THRUST_200600_302600_NS6detail15normal_iteratorINS9_10device_ptrItEEEESE_PNS0_10empty_typeENS0_5tupleIJSE_SF_EEENSH_IJSE_SG_EEENS0_18inequality_wrapperINS9_8equal_toItEEEEPmJSF_EEE10hipError_tPvRmT3_T4_T5_T6_T7_T9_mT8_P12ihipStream_tbDpT10_ENKUlT_T0_E_clISt17integral_constantIbLb1EES18_EEDaS13_S14_EUlS13_E_NS1_11comp_targetILNS1_3genE4ELNS1_11target_archE910ELNS1_3gpuE8ELNS1_3repE0EEENS1_30default_config_static_selectorELNS0_4arch9wavefront6targetE0EEEvT1_: ; @_ZN7rocprim17ROCPRIM_400000_NS6detail17trampoline_kernelINS0_14default_configENS1_25partition_config_selectorILNS1_17partition_subalgoE9EttbEEZZNS1_14partition_implILS5_9ELb0ES3_jN6thrust23THRUST_200600_302600_NS6detail15normal_iteratorINS9_10device_ptrItEEEESE_PNS0_10empty_typeENS0_5tupleIJSE_SF_EEENSH_IJSE_SG_EEENS0_18inequality_wrapperINS9_8equal_toItEEEEPmJSF_EEE10hipError_tPvRmT3_T4_T5_T6_T7_T9_mT8_P12ihipStream_tbDpT10_ENKUlT_T0_E_clISt17integral_constantIbLb1EES18_EEDaS13_S14_EUlS13_E_NS1_11comp_targetILNS1_3genE4ELNS1_11target_archE910ELNS1_3gpuE8ELNS1_3repE0EEENS1_30default_config_static_selectorELNS0_4arch9wavefront6targetE0EEEvT1_
; %bb.0:
	.section	.rodata,"a",@progbits
	.p2align	6, 0x0
	.amdhsa_kernel _ZN7rocprim17ROCPRIM_400000_NS6detail17trampoline_kernelINS0_14default_configENS1_25partition_config_selectorILNS1_17partition_subalgoE9EttbEEZZNS1_14partition_implILS5_9ELb0ES3_jN6thrust23THRUST_200600_302600_NS6detail15normal_iteratorINS9_10device_ptrItEEEESE_PNS0_10empty_typeENS0_5tupleIJSE_SF_EEENSH_IJSE_SG_EEENS0_18inequality_wrapperINS9_8equal_toItEEEEPmJSF_EEE10hipError_tPvRmT3_T4_T5_T6_T7_T9_mT8_P12ihipStream_tbDpT10_ENKUlT_T0_E_clISt17integral_constantIbLb1EES18_EEDaS13_S14_EUlS13_E_NS1_11comp_targetILNS1_3genE4ELNS1_11target_archE910ELNS1_3gpuE8ELNS1_3repE0EEENS1_30default_config_static_selectorELNS0_4arch9wavefront6targetE0EEEvT1_
		.amdhsa_group_segment_fixed_size 0
		.amdhsa_private_segment_fixed_size 0
		.amdhsa_kernarg_size 128
		.amdhsa_user_sgpr_count 15
		.amdhsa_user_sgpr_dispatch_ptr 0
		.amdhsa_user_sgpr_queue_ptr 0
		.amdhsa_user_sgpr_kernarg_segment_ptr 1
		.amdhsa_user_sgpr_dispatch_id 0
		.amdhsa_user_sgpr_private_segment_size 0
		.amdhsa_wavefront_size32 1
		.amdhsa_uses_dynamic_stack 0
		.amdhsa_enable_private_segment 0
		.amdhsa_system_sgpr_workgroup_id_x 1
		.amdhsa_system_sgpr_workgroup_id_y 0
		.amdhsa_system_sgpr_workgroup_id_z 0
		.amdhsa_system_sgpr_workgroup_info 0
		.amdhsa_system_vgpr_workitem_id 0
		.amdhsa_next_free_vgpr 1
		.amdhsa_next_free_sgpr 1
		.amdhsa_reserve_vcc 0
		.amdhsa_float_round_mode_32 0
		.amdhsa_float_round_mode_16_64 0
		.amdhsa_float_denorm_mode_32 3
		.amdhsa_float_denorm_mode_16_64 3
		.amdhsa_dx10_clamp 1
		.amdhsa_ieee_mode 1
		.amdhsa_fp16_overflow 0
		.amdhsa_workgroup_processor_mode 1
		.amdhsa_memory_ordered 1
		.amdhsa_forward_progress 0
		.amdhsa_shared_vgpr_count 0
		.amdhsa_exception_fp_ieee_invalid_op 0
		.amdhsa_exception_fp_denorm_src 0
		.amdhsa_exception_fp_ieee_div_zero 0
		.amdhsa_exception_fp_ieee_overflow 0
		.amdhsa_exception_fp_ieee_underflow 0
		.amdhsa_exception_fp_ieee_inexact 0
		.amdhsa_exception_int_div_zero 0
	.end_amdhsa_kernel
	.section	.text._ZN7rocprim17ROCPRIM_400000_NS6detail17trampoline_kernelINS0_14default_configENS1_25partition_config_selectorILNS1_17partition_subalgoE9EttbEEZZNS1_14partition_implILS5_9ELb0ES3_jN6thrust23THRUST_200600_302600_NS6detail15normal_iteratorINS9_10device_ptrItEEEESE_PNS0_10empty_typeENS0_5tupleIJSE_SF_EEENSH_IJSE_SG_EEENS0_18inequality_wrapperINS9_8equal_toItEEEEPmJSF_EEE10hipError_tPvRmT3_T4_T5_T6_T7_T9_mT8_P12ihipStream_tbDpT10_ENKUlT_T0_E_clISt17integral_constantIbLb1EES18_EEDaS13_S14_EUlS13_E_NS1_11comp_targetILNS1_3genE4ELNS1_11target_archE910ELNS1_3gpuE8ELNS1_3repE0EEENS1_30default_config_static_selectorELNS0_4arch9wavefront6targetE0EEEvT1_,"axG",@progbits,_ZN7rocprim17ROCPRIM_400000_NS6detail17trampoline_kernelINS0_14default_configENS1_25partition_config_selectorILNS1_17partition_subalgoE9EttbEEZZNS1_14partition_implILS5_9ELb0ES3_jN6thrust23THRUST_200600_302600_NS6detail15normal_iteratorINS9_10device_ptrItEEEESE_PNS0_10empty_typeENS0_5tupleIJSE_SF_EEENSH_IJSE_SG_EEENS0_18inequality_wrapperINS9_8equal_toItEEEEPmJSF_EEE10hipError_tPvRmT3_T4_T5_T6_T7_T9_mT8_P12ihipStream_tbDpT10_ENKUlT_T0_E_clISt17integral_constantIbLb1EES18_EEDaS13_S14_EUlS13_E_NS1_11comp_targetILNS1_3genE4ELNS1_11target_archE910ELNS1_3gpuE8ELNS1_3repE0EEENS1_30default_config_static_selectorELNS0_4arch9wavefront6targetE0EEEvT1_,comdat
.Lfunc_end285:
	.size	_ZN7rocprim17ROCPRIM_400000_NS6detail17trampoline_kernelINS0_14default_configENS1_25partition_config_selectorILNS1_17partition_subalgoE9EttbEEZZNS1_14partition_implILS5_9ELb0ES3_jN6thrust23THRUST_200600_302600_NS6detail15normal_iteratorINS9_10device_ptrItEEEESE_PNS0_10empty_typeENS0_5tupleIJSE_SF_EEENSH_IJSE_SG_EEENS0_18inequality_wrapperINS9_8equal_toItEEEEPmJSF_EEE10hipError_tPvRmT3_T4_T5_T6_T7_T9_mT8_P12ihipStream_tbDpT10_ENKUlT_T0_E_clISt17integral_constantIbLb1EES18_EEDaS13_S14_EUlS13_E_NS1_11comp_targetILNS1_3genE4ELNS1_11target_archE910ELNS1_3gpuE8ELNS1_3repE0EEENS1_30default_config_static_selectorELNS0_4arch9wavefront6targetE0EEEvT1_, .Lfunc_end285-_ZN7rocprim17ROCPRIM_400000_NS6detail17trampoline_kernelINS0_14default_configENS1_25partition_config_selectorILNS1_17partition_subalgoE9EttbEEZZNS1_14partition_implILS5_9ELb0ES3_jN6thrust23THRUST_200600_302600_NS6detail15normal_iteratorINS9_10device_ptrItEEEESE_PNS0_10empty_typeENS0_5tupleIJSE_SF_EEENSH_IJSE_SG_EEENS0_18inequality_wrapperINS9_8equal_toItEEEEPmJSF_EEE10hipError_tPvRmT3_T4_T5_T6_T7_T9_mT8_P12ihipStream_tbDpT10_ENKUlT_T0_E_clISt17integral_constantIbLb1EES18_EEDaS13_S14_EUlS13_E_NS1_11comp_targetILNS1_3genE4ELNS1_11target_archE910ELNS1_3gpuE8ELNS1_3repE0EEENS1_30default_config_static_selectorELNS0_4arch9wavefront6targetE0EEEvT1_
                                        ; -- End function
	.section	.AMDGPU.csdata,"",@progbits
; Kernel info:
; codeLenInByte = 0
; NumSgprs: 0
; NumVgprs: 0
; ScratchSize: 0
; MemoryBound: 0
; FloatMode: 240
; IeeeMode: 1
; LDSByteSize: 0 bytes/workgroup (compile time only)
; SGPRBlocks: 0
; VGPRBlocks: 0
; NumSGPRsForWavesPerEU: 1
; NumVGPRsForWavesPerEU: 1
; Occupancy: 16
; WaveLimiterHint : 0
; COMPUTE_PGM_RSRC2:SCRATCH_EN: 0
; COMPUTE_PGM_RSRC2:USER_SGPR: 15
; COMPUTE_PGM_RSRC2:TRAP_HANDLER: 0
; COMPUTE_PGM_RSRC2:TGID_X_EN: 1
; COMPUTE_PGM_RSRC2:TGID_Y_EN: 0
; COMPUTE_PGM_RSRC2:TGID_Z_EN: 0
; COMPUTE_PGM_RSRC2:TIDIG_COMP_CNT: 0
	.section	.text._ZN7rocprim17ROCPRIM_400000_NS6detail17trampoline_kernelINS0_14default_configENS1_25partition_config_selectorILNS1_17partition_subalgoE9EttbEEZZNS1_14partition_implILS5_9ELb0ES3_jN6thrust23THRUST_200600_302600_NS6detail15normal_iteratorINS9_10device_ptrItEEEESE_PNS0_10empty_typeENS0_5tupleIJSE_SF_EEENSH_IJSE_SG_EEENS0_18inequality_wrapperINS9_8equal_toItEEEEPmJSF_EEE10hipError_tPvRmT3_T4_T5_T6_T7_T9_mT8_P12ihipStream_tbDpT10_ENKUlT_T0_E_clISt17integral_constantIbLb1EES18_EEDaS13_S14_EUlS13_E_NS1_11comp_targetILNS1_3genE3ELNS1_11target_archE908ELNS1_3gpuE7ELNS1_3repE0EEENS1_30default_config_static_selectorELNS0_4arch9wavefront6targetE0EEEvT1_,"axG",@progbits,_ZN7rocprim17ROCPRIM_400000_NS6detail17trampoline_kernelINS0_14default_configENS1_25partition_config_selectorILNS1_17partition_subalgoE9EttbEEZZNS1_14partition_implILS5_9ELb0ES3_jN6thrust23THRUST_200600_302600_NS6detail15normal_iteratorINS9_10device_ptrItEEEESE_PNS0_10empty_typeENS0_5tupleIJSE_SF_EEENSH_IJSE_SG_EEENS0_18inequality_wrapperINS9_8equal_toItEEEEPmJSF_EEE10hipError_tPvRmT3_T4_T5_T6_T7_T9_mT8_P12ihipStream_tbDpT10_ENKUlT_T0_E_clISt17integral_constantIbLb1EES18_EEDaS13_S14_EUlS13_E_NS1_11comp_targetILNS1_3genE3ELNS1_11target_archE908ELNS1_3gpuE7ELNS1_3repE0EEENS1_30default_config_static_selectorELNS0_4arch9wavefront6targetE0EEEvT1_,comdat
	.protected	_ZN7rocprim17ROCPRIM_400000_NS6detail17trampoline_kernelINS0_14default_configENS1_25partition_config_selectorILNS1_17partition_subalgoE9EttbEEZZNS1_14partition_implILS5_9ELb0ES3_jN6thrust23THRUST_200600_302600_NS6detail15normal_iteratorINS9_10device_ptrItEEEESE_PNS0_10empty_typeENS0_5tupleIJSE_SF_EEENSH_IJSE_SG_EEENS0_18inequality_wrapperINS9_8equal_toItEEEEPmJSF_EEE10hipError_tPvRmT3_T4_T5_T6_T7_T9_mT8_P12ihipStream_tbDpT10_ENKUlT_T0_E_clISt17integral_constantIbLb1EES18_EEDaS13_S14_EUlS13_E_NS1_11comp_targetILNS1_3genE3ELNS1_11target_archE908ELNS1_3gpuE7ELNS1_3repE0EEENS1_30default_config_static_selectorELNS0_4arch9wavefront6targetE0EEEvT1_ ; -- Begin function _ZN7rocprim17ROCPRIM_400000_NS6detail17trampoline_kernelINS0_14default_configENS1_25partition_config_selectorILNS1_17partition_subalgoE9EttbEEZZNS1_14partition_implILS5_9ELb0ES3_jN6thrust23THRUST_200600_302600_NS6detail15normal_iteratorINS9_10device_ptrItEEEESE_PNS0_10empty_typeENS0_5tupleIJSE_SF_EEENSH_IJSE_SG_EEENS0_18inequality_wrapperINS9_8equal_toItEEEEPmJSF_EEE10hipError_tPvRmT3_T4_T5_T6_T7_T9_mT8_P12ihipStream_tbDpT10_ENKUlT_T0_E_clISt17integral_constantIbLb1EES18_EEDaS13_S14_EUlS13_E_NS1_11comp_targetILNS1_3genE3ELNS1_11target_archE908ELNS1_3gpuE7ELNS1_3repE0EEENS1_30default_config_static_selectorELNS0_4arch9wavefront6targetE0EEEvT1_
	.globl	_ZN7rocprim17ROCPRIM_400000_NS6detail17trampoline_kernelINS0_14default_configENS1_25partition_config_selectorILNS1_17partition_subalgoE9EttbEEZZNS1_14partition_implILS5_9ELb0ES3_jN6thrust23THRUST_200600_302600_NS6detail15normal_iteratorINS9_10device_ptrItEEEESE_PNS0_10empty_typeENS0_5tupleIJSE_SF_EEENSH_IJSE_SG_EEENS0_18inequality_wrapperINS9_8equal_toItEEEEPmJSF_EEE10hipError_tPvRmT3_T4_T5_T6_T7_T9_mT8_P12ihipStream_tbDpT10_ENKUlT_T0_E_clISt17integral_constantIbLb1EES18_EEDaS13_S14_EUlS13_E_NS1_11comp_targetILNS1_3genE3ELNS1_11target_archE908ELNS1_3gpuE7ELNS1_3repE0EEENS1_30default_config_static_selectorELNS0_4arch9wavefront6targetE0EEEvT1_
	.p2align	8
	.type	_ZN7rocprim17ROCPRIM_400000_NS6detail17trampoline_kernelINS0_14default_configENS1_25partition_config_selectorILNS1_17partition_subalgoE9EttbEEZZNS1_14partition_implILS5_9ELb0ES3_jN6thrust23THRUST_200600_302600_NS6detail15normal_iteratorINS9_10device_ptrItEEEESE_PNS0_10empty_typeENS0_5tupleIJSE_SF_EEENSH_IJSE_SG_EEENS0_18inequality_wrapperINS9_8equal_toItEEEEPmJSF_EEE10hipError_tPvRmT3_T4_T5_T6_T7_T9_mT8_P12ihipStream_tbDpT10_ENKUlT_T0_E_clISt17integral_constantIbLb1EES18_EEDaS13_S14_EUlS13_E_NS1_11comp_targetILNS1_3genE3ELNS1_11target_archE908ELNS1_3gpuE7ELNS1_3repE0EEENS1_30default_config_static_selectorELNS0_4arch9wavefront6targetE0EEEvT1_,@function
_ZN7rocprim17ROCPRIM_400000_NS6detail17trampoline_kernelINS0_14default_configENS1_25partition_config_selectorILNS1_17partition_subalgoE9EttbEEZZNS1_14partition_implILS5_9ELb0ES3_jN6thrust23THRUST_200600_302600_NS6detail15normal_iteratorINS9_10device_ptrItEEEESE_PNS0_10empty_typeENS0_5tupleIJSE_SF_EEENSH_IJSE_SG_EEENS0_18inequality_wrapperINS9_8equal_toItEEEEPmJSF_EEE10hipError_tPvRmT3_T4_T5_T6_T7_T9_mT8_P12ihipStream_tbDpT10_ENKUlT_T0_E_clISt17integral_constantIbLb1EES18_EEDaS13_S14_EUlS13_E_NS1_11comp_targetILNS1_3genE3ELNS1_11target_archE908ELNS1_3gpuE7ELNS1_3repE0EEENS1_30default_config_static_selectorELNS0_4arch9wavefront6targetE0EEEvT1_: ; @_ZN7rocprim17ROCPRIM_400000_NS6detail17trampoline_kernelINS0_14default_configENS1_25partition_config_selectorILNS1_17partition_subalgoE9EttbEEZZNS1_14partition_implILS5_9ELb0ES3_jN6thrust23THRUST_200600_302600_NS6detail15normal_iteratorINS9_10device_ptrItEEEESE_PNS0_10empty_typeENS0_5tupleIJSE_SF_EEENSH_IJSE_SG_EEENS0_18inequality_wrapperINS9_8equal_toItEEEEPmJSF_EEE10hipError_tPvRmT3_T4_T5_T6_T7_T9_mT8_P12ihipStream_tbDpT10_ENKUlT_T0_E_clISt17integral_constantIbLb1EES18_EEDaS13_S14_EUlS13_E_NS1_11comp_targetILNS1_3genE3ELNS1_11target_archE908ELNS1_3gpuE7ELNS1_3repE0EEENS1_30default_config_static_selectorELNS0_4arch9wavefront6targetE0EEEvT1_
; %bb.0:
	.section	.rodata,"a",@progbits
	.p2align	6, 0x0
	.amdhsa_kernel _ZN7rocprim17ROCPRIM_400000_NS6detail17trampoline_kernelINS0_14default_configENS1_25partition_config_selectorILNS1_17partition_subalgoE9EttbEEZZNS1_14partition_implILS5_9ELb0ES3_jN6thrust23THRUST_200600_302600_NS6detail15normal_iteratorINS9_10device_ptrItEEEESE_PNS0_10empty_typeENS0_5tupleIJSE_SF_EEENSH_IJSE_SG_EEENS0_18inequality_wrapperINS9_8equal_toItEEEEPmJSF_EEE10hipError_tPvRmT3_T4_T5_T6_T7_T9_mT8_P12ihipStream_tbDpT10_ENKUlT_T0_E_clISt17integral_constantIbLb1EES18_EEDaS13_S14_EUlS13_E_NS1_11comp_targetILNS1_3genE3ELNS1_11target_archE908ELNS1_3gpuE7ELNS1_3repE0EEENS1_30default_config_static_selectorELNS0_4arch9wavefront6targetE0EEEvT1_
		.amdhsa_group_segment_fixed_size 0
		.amdhsa_private_segment_fixed_size 0
		.amdhsa_kernarg_size 128
		.amdhsa_user_sgpr_count 15
		.amdhsa_user_sgpr_dispatch_ptr 0
		.amdhsa_user_sgpr_queue_ptr 0
		.amdhsa_user_sgpr_kernarg_segment_ptr 1
		.amdhsa_user_sgpr_dispatch_id 0
		.amdhsa_user_sgpr_private_segment_size 0
		.amdhsa_wavefront_size32 1
		.amdhsa_uses_dynamic_stack 0
		.amdhsa_enable_private_segment 0
		.amdhsa_system_sgpr_workgroup_id_x 1
		.amdhsa_system_sgpr_workgroup_id_y 0
		.amdhsa_system_sgpr_workgroup_id_z 0
		.amdhsa_system_sgpr_workgroup_info 0
		.amdhsa_system_vgpr_workitem_id 0
		.amdhsa_next_free_vgpr 1
		.amdhsa_next_free_sgpr 1
		.amdhsa_reserve_vcc 0
		.amdhsa_float_round_mode_32 0
		.amdhsa_float_round_mode_16_64 0
		.amdhsa_float_denorm_mode_32 3
		.amdhsa_float_denorm_mode_16_64 3
		.amdhsa_dx10_clamp 1
		.amdhsa_ieee_mode 1
		.amdhsa_fp16_overflow 0
		.amdhsa_workgroup_processor_mode 1
		.amdhsa_memory_ordered 1
		.amdhsa_forward_progress 0
		.amdhsa_shared_vgpr_count 0
		.amdhsa_exception_fp_ieee_invalid_op 0
		.amdhsa_exception_fp_denorm_src 0
		.amdhsa_exception_fp_ieee_div_zero 0
		.amdhsa_exception_fp_ieee_overflow 0
		.amdhsa_exception_fp_ieee_underflow 0
		.amdhsa_exception_fp_ieee_inexact 0
		.amdhsa_exception_int_div_zero 0
	.end_amdhsa_kernel
	.section	.text._ZN7rocprim17ROCPRIM_400000_NS6detail17trampoline_kernelINS0_14default_configENS1_25partition_config_selectorILNS1_17partition_subalgoE9EttbEEZZNS1_14partition_implILS5_9ELb0ES3_jN6thrust23THRUST_200600_302600_NS6detail15normal_iteratorINS9_10device_ptrItEEEESE_PNS0_10empty_typeENS0_5tupleIJSE_SF_EEENSH_IJSE_SG_EEENS0_18inequality_wrapperINS9_8equal_toItEEEEPmJSF_EEE10hipError_tPvRmT3_T4_T5_T6_T7_T9_mT8_P12ihipStream_tbDpT10_ENKUlT_T0_E_clISt17integral_constantIbLb1EES18_EEDaS13_S14_EUlS13_E_NS1_11comp_targetILNS1_3genE3ELNS1_11target_archE908ELNS1_3gpuE7ELNS1_3repE0EEENS1_30default_config_static_selectorELNS0_4arch9wavefront6targetE0EEEvT1_,"axG",@progbits,_ZN7rocprim17ROCPRIM_400000_NS6detail17trampoline_kernelINS0_14default_configENS1_25partition_config_selectorILNS1_17partition_subalgoE9EttbEEZZNS1_14partition_implILS5_9ELb0ES3_jN6thrust23THRUST_200600_302600_NS6detail15normal_iteratorINS9_10device_ptrItEEEESE_PNS0_10empty_typeENS0_5tupleIJSE_SF_EEENSH_IJSE_SG_EEENS0_18inequality_wrapperINS9_8equal_toItEEEEPmJSF_EEE10hipError_tPvRmT3_T4_T5_T6_T7_T9_mT8_P12ihipStream_tbDpT10_ENKUlT_T0_E_clISt17integral_constantIbLb1EES18_EEDaS13_S14_EUlS13_E_NS1_11comp_targetILNS1_3genE3ELNS1_11target_archE908ELNS1_3gpuE7ELNS1_3repE0EEENS1_30default_config_static_selectorELNS0_4arch9wavefront6targetE0EEEvT1_,comdat
.Lfunc_end286:
	.size	_ZN7rocprim17ROCPRIM_400000_NS6detail17trampoline_kernelINS0_14default_configENS1_25partition_config_selectorILNS1_17partition_subalgoE9EttbEEZZNS1_14partition_implILS5_9ELb0ES3_jN6thrust23THRUST_200600_302600_NS6detail15normal_iteratorINS9_10device_ptrItEEEESE_PNS0_10empty_typeENS0_5tupleIJSE_SF_EEENSH_IJSE_SG_EEENS0_18inequality_wrapperINS9_8equal_toItEEEEPmJSF_EEE10hipError_tPvRmT3_T4_T5_T6_T7_T9_mT8_P12ihipStream_tbDpT10_ENKUlT_T0_E_clISt17integral_constantIbLb1EES18_EEDaS13_S14_EUlS13_E_NS1_11comp_targetILNS1_3genE3ELNS1_11target_archE908ELNS1_3gpuE7ELNS1_3repE0EEENS1_30default_config_static_selectorELNS0_4arch9wavefront6targetE0EEEvT1_, .Lfunc_end286-_ZN7rocprim17ROCPRIM_400000_NS6detail17trampoline_kernelINS0_14default_configENS1_25partition_config_selectorILNS1_17partition_subalgoE9EttbEEZZNS1_14partition_implILS5_9ELb0ES3_jN6thrust23THRUST_200600_302600_NS6detail15normal_iteratorINS9_10device_ptrItEEEESE_PNS0_10empty_typeENS0_5tupleIJSE_SF_EEENSH_IJSE_SG_EEENS0_18inequality_wrapperINS9_8equal_toItEEEEPmJSF_EEE10hipError_tPvRmT3_T4_T5_T6_T7_T9_mT8_P12ihipStream_tbDpT10_ENKUlT_T0_E_clISt17integral_constantIbLb1EES18_EEDaS13_S14_EUlS13_E_NS1_11comp_targetILNS1_3genE3ELNS1_11target_archE908ELNS1_3gpuE7ELNS1_3repE0EEENS1_30default_config_static_selectorELNS0_4arch9wavefront6targetE0EEEvT1_
                                        ; -- End function
	.section	.AMDGPU.csdata,"",@progbits
; Kernel info:
; codeLenInByte = 0
; NumSgprs: 0
; NumVgprs: 0
; ScratchSize: 0
; MemoryBound: 0
; FloatMode: 240
; IeeeMode: 1
; LDSByteSize: 0 bytes/workgroup (compile time only)
; SGPRBlocks: 0
; VGPRBlocks: 0
; NumSGPRsForWavesPerEU: 1
; NumVGPRsForWavesPerEU: 1
; Occupancy: 16
; WaveLimiterHint : 0
; COMPUTE_PGM_RSRC2:SCRATCH_EN: 0
; COMPUTE_PGM_RSRC2:USER_SGPR: 15
; COMPUTE_PGM_RSRC2:TRAP_HANDLER: 0
; COMPUTE_PGM_RSRC2:TGID_X_EN: 1
; COMPUTE_PGM_RSRC2:TGID_Y_EN: 0
; COMPUTE_PGM_RSRC2:TGID_Z_EN: 0
; COMPUTE_PGM_RSRC2:TIDIG_COMP_CNT: 0
	.section	.text._ZN7rocprim17ROCPRIM_400000_NS6detail17trampoline_kernelINS0_14default_configENS1_25partition_config_selectorILNS1_17partition_subalgoE9EttbEEZZNS1_14partition_implILS5_9ELb0ES3_jN6thrust23THRUST_200600_302600_NS6detail15normal_iteratorINS9_10device_ptrItEEEESE_PNS0_10empty_typeENS0_5tupleIJSE_SF_EEENSH_IJSE_SG_EEENS0_18inequality_wrapperINS9_8equal_toItEEEEPmJSF_EEE10hipError_tPvRmT3_T4_T5_T6_T7_T9_mT8_P12ihipStream_tbDpT10_ENKUlT_T0_E_clISt17integral_constantIbLb1EES18_EEDaS13_S14_EUlS13_E_NS1_11comp_targetILNS1_3genE2ELNS1_11target_archE906ELNS1_3gpuE6ELNS1_3repE0EEENS1_30default_config_static_selectorELNS0_4arch9wavefront6targetE0EEEvT1_,"axG",@progbits,_ZN7rocprim17ROCPRIM_400000_NS6detail17trampoline_kernelINS0_14default_configENS1_25partition_config_selectorILNS1_17partition_subalgoE9EttbEEZZNS1_14partition_implILS5_9ELb0ES3_jN6thrust23THRUST_200600_302600_NS6detail15normal_iteratorINS9_10device_ptrItEEEESE_PNS0_10empty_typeENS0_5tupleIJSE_SF_EEENSH_IJSE_SG_EEENS0_18inequality_wrapperINS9_8equal_toItEEEEPmJSF_EEE10hipError_tPvRmT3_T4_T5_T6_T7_T9_mT8_P12ihipStream_tbDpT10_ENKUlT_T0_E_clISt17integral_constantIbLb1EES18_EEDaS13_S14_EUlS13_E_NS1_11comp_targetILNS1_3genE2ELNS1_11target_archE906ELNS1_3gpuE6ELNS1_3repE0EEENS1_30default_config_static_selectorELNS0_4arch9wavefront6targetE0EEEvT1_,comdat
	.protected	_ZN7rocprim17ROCPRIM_400000_NS6detail17trampoline_kernelINS0_14default_configENS1_25partition_config_selectorILNS1_17partition_subalgoE9EttbEEZZNS1_14partition_implILS5_9ELb0ES3_jN6thrust23THRUST_200600_302600_NS6detail15normal_iteratorINS9_10device_ptrItEEEESE_PNS0_10empty_typeENS0_5tupleIJSE_SF_EEENSH_IJSE_SG_EEENS0_18inequality_wrapperINS9_8equal_toItEEEEPmJSF_EEE10hipError_tPvRmT3_T4_T5_T6_T7_T9_mT8_P12ihipStream_tbDpT10_ENKUlT_T0_E_clISt17integral_constantIbLb1EES18_EEDaS13_S14_EUlS13_E_NS1_11comp_targetILNS1_3genE2ELNS1_11target_archE906ELNS1_3gpuE6ELNS1_3repE0EEENS1_30default_config_static_selectorELNS0_4arch9wavefront6targetE0EEEvT1_ ; -- Begin function _ZN7rocprim17ROCPRIM_400000_NS6detail17trampoline_kernelINS0_14default_configENS1_25partition_config_selectorILNS1_17partition_subalgoE9EttbEEZZNS1_14partition_implILS5_9ELb0ES3_jN6thrust23THRUST_200600_302600_NS6detail15normal_iteratorINS9_10device_ptrItEEEESE_PNS0_10empty_typeENS0_5tupleIJSE_SF_EEENSH_IJSE_SG_EEENS0_18inequality_wrapperINS9_8equal_toItEEEEPmJSF_EEE10hipError_tPvRmT3_T4_T5_T6_T7_T9_mT8_P12ihipStream_tbDpT10_ENKUlT_T0_E_clISt17integral_constantIbLb1EES18_EEDaS13_S14_EUlS13_E_NS1_11comp_targetILNS1_3genE2ELNS1_11target_archE906ELNS1_3gpuE6ELNS1_3repE0EEENS1_30default_config_static_selectorELNS0_4arch9wavefront6targetE0EEEvT1_
	.globl	_ZN7rocprim17ROCPRIM_400000_NS6detail17trampoline_kernelINS0_14default_configENS1_25partition_config_selectorILNS1_17partition_subalgoE9EttbEEZZNS1_14partition_implILS5_9ELb0ES3_jN6thrust23THRUST_200600_302600_NS6detail15normal_iteratorINS9_10device_ptrItEEEESE_PNS0_10empty_typeENS0_5tupleIJSE_SF_EEENSH_IJSE_SG_EEENS0_18inequality_wrapperINS9_8equal_toItEEEEPmJSF_EEE10hipError_tPvRmT3_T4_T5_T6_T7_T9_mT8_P12ihipStream_tbDpT10_ENKUlT_T0_E_clISt17integral_constantIbLb1EES18_EEDaS13_S14_EUlS13_E_NS1_11comp_targetILNS1_3genE2ELNS1_11target_archE906ELNS1_3gpuE6ELNS1_3repE0EEENS1_30default_config_static_selectorELNS0_4arch9wavefront6targetE0EEEvT1_
	.p2align	8
	.type	_ZN7rocprim17ROCPRIM_400000_NS6detail17trampoline_kernelINS0_14default_configENS1_25partition_config_selectorILNS1_17partition_subalgoE9EttbEEZZNS1_14partition_implILS5_9ELb0ES3_jN6thrust23THRUST_200600_302600_NS6detail15normal_iteratorINS9_10device_ptrItEEEESE_PNS0_10empty_typeENS0_5tupleIJSE_SF_EEENSH_IJSE_SG_EEENS0_18inequality_wrapperINS9_8equal_toItEEEEPmJSF_EEE10hipError_tPvRmT3_T4_T5_T6_T7_T9_mT8_P12ihipStream_tbDpT10_ENKUlT_T0_E_clISt17integral_constantIbLb1EES18_EEDaS13_S14_EUlS13_E_NS1_11comp_targetILNS1_3genE2ELNS1_11target_archE906ELNS1_3gpuE6ELNS1_3repE0EEENS1_30default_config_static_selectorELNS0_4arch9wavefront6targetE0EEEvT1_,@function
_ZN7rocprim17ROCPRIM_400000_NS6detail17trampoline_kernelINS0_14default_configENS1_25partition_config_selectorILNS1_17partition_subalgoE9EttbEEZZNS1_14partition_implILS5_9ELb0ES3_jN6thrust23THRUST_200600_302600_NS6detail15normal_iteratorINS9_10device_ptrItEEEESE_PNS0_10empty_typeENS0_5tupleIJSE_SF_EEENSH_IJSE_SG_EEENS0_18inequality_wrapperINS9_8equal_toItEEEEPmJSF_EEE10hipError_tPvRmT3_T4_T5_T6_T7_T9_mT8_P12ihipStream_tbDpT10_ENKUlT_T0_E_clISt17integral_constantIbLb1EES18_EEDaS13_S14_EUlS13_E_NS1_11comp_targetILNS1_3genE2ELNS1_11target_archE906ELNS1_3gpuE6ELNS1_3repE0EEENS1_30default_config_static_selectorELNS0_4arch9wavefront6targetE0EEEvT1_: ; @_ZN7rocprim17ROCPRIM_400000_NS6detail17trampoline_kernelINS0_14default_configENS1_25partition_config_selectorILNS1_17partition_subalgoE9EttbEEZZNS1_14partition_implILS5_9ELb0ES3_jN6thrust23THRUST_200600_302600_NS6detail15normal_iteratorINS9_10device_ptrItEEEESE_PNS0_10empty_typeENS0_5tupleIJSE_SF_EEENSH_IJSE_SG_EEENS0_18inequality_wrapperINS9_8equal_toItEEEEPmJSF_EEE10hipError_tPvRmT3_T4_T5_T6_T7_T9_mT8_P12ihipStream_tbDpT10_ENKUlT_T0_E_clISt17integral_constantIbLb1EES18_EEDaS13_S14_EUlS13_E_NS1_11comp_targetILNS1_3genE2ELNS1_11target_archE906ELNS1_3gpuE6ELNS1_3repE0EEENS1_30default_config_static_selectorELNS0_4arch9wavefront6targetE0EEEvT1_
; %bb.0:
	.section	.rodata,"a",@progbits
	.p2align	6, 0x0
	.amdhsa_kernel _ZN7rocprim17ROCPRIM_400000_NS6detail17trampoline_kernelINS0_14default_configENS1_25partition_config_selectorILNS1_17partition_subalgoE9EttbEEZZNS1_14partition_implILS5_9ELb0ES3_jN6thrust23THRUST_200600_302600_NS6detail15normal_iteratorINS9_10device_ptrItEEEESE_PNS0_10empty_typeENS0_5tupleIJSE_SF_EEENSH_IJSE_SG_EEENS0_18inequality_wrapperINS9_8equal_toItEEEEPmJSF_EEE10hipError_tPvRmT3_T4_T5_T6_T7_T9_mT8_P12ihipStream_tbDpT10_ENKUlT_T0_E_clISt17integral_constantIbLb1EES18_EEDaS13_S14_EUlS13_E_NS1_11comp_targetILNS1_3genE2ELNS1_11target_archE906ELNS1_3gpuE6ELNS1_3repE0EEENS1_30default_config_static_selectorELNS0_4arch9wavefront6targetE0EEEvT1_
		.amdhsa_group_segment_fixed_size 0
		.amdhsa_private_segment_fixed_size 0
		.amdhsa_kernarg_size 128
		.amdhsa_user_sgpr_count 15
		.amdhsa_user_sgpr_dispatch_ptr 0
		.amdhsa_user_sgpr_queue_ptr 0
		.amdhsa_user_sgpr_kernarg_segment_ptr 1
		.amdhsa_user_sgpr_dispatch_id 0
		.amdhsa_user_sgpr_private_segment_size 0
		.amdhsa_wavefront_size32 1
		.amdhsa_uses_dynamic_stack 0
		.amdhsa_enable_private_segment 0
		.amdhsa_system_sgpr_workgroup_id_x 1
		.amdhsa_system_sgpr_workgroup_id_y 0
		.amdhsa_system_sgpr_workgroup_id_z 0
		.amdhsa_system_sgpr_workgroup_info 0
		.amdhsa_system_vgpr_workitem_id 0
		.amdhsa_next_free_vgpr 1
		.amdhsa_next_free_sgpr 1
		.amdhsa_reserve_vcc 0
		.amdhsa_float_round_mode_32 0
		.amdhsa_float_round_mode_16_64 0
		.amdhsa_float_denorm_mode_32 3
		.amdhsa_float_denorm_mode_16_64 3
		.amdhsa_dx10_clamp 1
		.amdhsa_ieee_mode 1
		.amdhsa_fp16_overflow 0
		.amdhsa_workgroup_processor_mode 1
		.amdhsa_memory_ordered 1
		.amdhsa_forward_progress 0
		.amdhsa_shared_vgpr_count 0
		.amdhsa_exception_fp_ieee_invalid_op 0
		.amdhsa_exception_fp_denorm_src 0
		.amdhsa_exception_fp_ieee_div_zero 0
		.amdhsa_exception_fp_ieee_overflow 0
		.amdhsa_exception_fp_ieee_underflow 0
		.amdhsa_exception_fp_ieee_inexact 0
		.amdhsa_exception_int_div_zero 0
	.end_amdhsa_kernel
	.section	.text._ZN7rocprim17ROCPRIM_400000_NS6detail17trampoline_kernelINS0_14default_configENS1_25partition_config_selectorILNS1_17partition_subalgoE9EttbEEZZNS1_14partition_implILS5_9ELb0ES3_jN6thrust23THRUST_200600_302600_NS6detail15normal_iteratorINS9_10device_ptrItEEEESE_PNS0_10empty_typeENS0_5tupleIJSE_SF_EEENSH_IJSE_SG_EEENS0_18inequality_wrapperINS9_8equal_toItEEEEPmJSF_EEE10hipError_tPvRmT3_T4_T5_T6_T7_T9_mT8_P12ihipStream_tbDpT10_ENKUlT_T0_E_clISt17integral_constantIbLb1EES18_EEDaS13_S14_EUlS13_E_NS1_11comp_targetILNS1_3genE2ELNS1_11target_archE906ELNS1_3gpuE6ELNS1_3repE0EEENS1_30default_config_static_selectorELNS0_4arch9wavefront6targetE0EEEvT1_,"axG",@progbits,_ZN7rocprim17ROCPRIM_400000_NS6detail17trampoline_kernelINS0_14default_configENS1_25partition_config_selectorILNS1_17partition_subalgoE9EttbEEZZNS1_14partition_implILS5_9ELb0ES3_jN6thrust23THRUST_200600_302600_NS6detail15normal_iteratorINS9_10device_ptrItEEEESE_PNS0_10empty_typeENS0_5tupleIJSE_SF_EEENSH_IJSE_SG_EEENS0_18inequality_wrapperINS9_8equal_toItEEEEPmJSF_EEE10hipError_tPvRmT3_T4_T5_T6_T7_T9_mT8_P12ihipStream_tbDpT10_ENKUlT_T0_E_clISt17integral_constantIbLb1EES18_EEDaS13_S14_EUlS13_E_NS1_11comp_targetILNS1_3genE2ELNS1_11target_archE906ELNS1_3gpuE6ELNS1_3repE0EEENS1_30default_config_static_selectorELNS0_4arch9wavefront6targetE0EEEvT1_,comdat
.Lfunc_end287:
	.size	_ZN7rocprim17ROCPRIM_400000_NS6detail17trampoline_kernelINS0_14default_configENS1_25partition_config_selectorILNS1_17partition_subalgoE9EttbEEZZNS1_14partition_implILS5_9ELb0ES3_jN6thrust23THRUST_200600_302600_NS6detail15normal_iteratorINS9_10device_ptrItEEEESE_PNS0_10empty_typeENS0_5tupleIJSE_SF_EEENSH_IJSE_SG_EEENS0_18inequality_wrapperINS9_8equal_toItEEEEPmJSF_EEE10hipError_tPvRmT3_T4_T5_T6_T7_T9_mT8_P12ihipStream_tbDpT10_ENKUlT_T0_E_clISt17integral_constantIbLb1EES18_EEDaS13_S14_EUlS13_E_NS1_11comp_targetILNS1_3genE2ELNS1_11target_archE906ELNS1_3gpuE6ELNS1_3repE0EEENS1_30default_config_static_selectorELNS0_4arch9wavefront6targetE0EEEvT1_, .Lfunc_end287-_ZN7rocprim17ROCPRIM_400000_NS6detail17trampoline_kernelINS0_14default_configENS1_25partition_config_selectorILNS1_17partition_subalgoE9EttbEEZZNS1_14partition_implILS5_9ELb0ES3_jN6thrust23THRUST_200600_302600_NS6detail15normal_iteratorINS9_10device_ptrItEEEESE_PNS0_10empty_typeENS0_5tupleIJSE_SF_EEENSH_IJSE_SG_EEENS0_18inequality_wrapperINS9_8equal_toItEEEEPmJSF_EEE10hipError_tPvRmT3_T4_T5_T6_T7_T9_mT8_P12ihipStream_tbDpT10_ENKUlT_T0_E_clISt17integral_constantIbLb1EES18_EEDaS13_S14_EUlS13_E_NS1_11comp_targetILNS1_3genE2ELNS1_11target_archE906ELNS1_3gpuE6ELNS1_3repE0EEENS1_30default_config_static_selectorELNS0_4arch9wavefront6targetE0EEEvT1_
                                        ; -- End function
	.section	.AMDGPU.csdata,"",@progbits
; Kernel info:
; codeLenInByte = 0
; NumSgprs: 0
; NumVgprs: 0
; ScratchSize: 0
; MemoryBound: 0
; FloatMode: 240
; IeeeMode: 1
; LDSByteSize: 0 bytes/workgroup (compile time only)
; SGPRBlocks: 0
; VGPRBlocks: 0
; NumSGPRsForWavesPerEU: 1
; NumVGPRsForWavesPerEU: 1
; Occupancy: 16
; WaveLimiterHint : 0
; COMPUTE_PGM_RSRC2:SCRATCH_EN: 0
; COMPUTE_PGM_RSRC2:USER_SGPR: 15
; COMPUTE_PGM_RSRC2:TRAP_HANDLER: 0
; COMPUTE_PGM_RSRC2:TGID_X_EN: 1
; COMPUTE_PGM_RSRC2:TGID_Y_EN: 0
; COMPUTE_PGM_RSRC2:TGID_Z_EN: 0
; COMPUTE_PGM_RSRC2:TIDIG_COMP_CNT: 0
	.section	.text._ZN7rocprim17ROCPRIM_400000_NS6detail17trampoline_kernelINS0_14default_configENS1_25partition_config_selectorILNS1_17partition_subalgoE9EttbEEZZNS1_14partition_implILS5_9ELb0ES3_jN6thrust23THRUST_200600_302600_NS6detail15normal_iteratorINS9_10device_ptrItEEEESE_PNS0_10empty_typeENS0_5tupleIJSE_SF_EEENSH_IJSE_SG_EEENS0_18inequality_wrapperINS9_8equal_toItEEEEPmJSF_EEE10hipError_tPvRmT3_T4_T5_T6_T7_T9_mT8_P12ihipStream_tbDpT10_ENKUlT_T0_E_clISt17integral_constantIbLb1EES18_EEDaS13_S14_EUlS13_E_NS1_11comp_targetILNS1_3genE10ELNS1_11target_archE1200ELNS1_3gpuE4ELNS1_3repE0EEENS1_30default_config_static_selectorELNS0_4arch9wavefront6targetE0EEEvT1_,"axG",@progbits,_ZN7rocprim17ROCPRIM_400000_NS6detail17trampoline_kernelINS0_14default_configENS1_25partition_config_selectorILNS1_17partition_subalgoE9EttbEEZZNS1_14partition_implILS5_9ELb0ES3_jN6thrust23THRUST_200600_302600_NS6detail15normal_iteratorINS9_10device_ptrItEEEESE_PNS0_10empty_typeENS0_5tupleIJSE_SF_EEENSH_IJSE_SG_EEENS0_18inequality_wrapperINS9_8equal_toItEEEEPmJSF_EEE10hipError_tPvRmT3_T4_T5_T6_T7_T9_mT8_P12ihipStream_tbDpT10_ENKUlT_T0_E_clISt17integral_constantIbLb1EES18_EEDaS13_S14_EUlS13_E_NS1_11comp_targetILNS1_3genE10ELNS1_11target_archE1200ELNS1_3gpuE4ELNS1_3repE0EEENS1_30default_config_static_selectorELNS0_4arch9wavefront6targetE0EEEvT1_,comdat
	.protected	_ZN7rocprim17ROCPRIM_400000_NS6detail17trampoline_kernelINS0_14default_configENS1_25partition_config_selectorILNS1_17partition_subalgoE9EttbEEZZNS1_14partition_implILS5_9ELb0ES3_jN6thrust23THRUST_200600_302600_NS6detail15normal_iteratorINS9_10device_ptrItEEEESE_PNS0_10empty_typeENS0_5tupleIJSE_SF_EEENSH_IJSE_SG_EEENS0_18inequality_wrapperINS9_8equal_toItEEEEPmJSF_EEE10hipError_tPvRmT3_T4_T5_T6_T7_T9_mT8_P12ihipStream_tbDpT10_ENKUlT_T0_E_clISt17integral_constantIbLb1EES18_EEDaS13_S14_EUlS13_E_NS1_11comp_targetILNS1_3genE10ELNS1_11target_archE1200ELNS1_3gpuE4ELNS1_3repE0EEENS1_30default_config_static_selectorELNS0_4arch9wavefront6targetE0EEEvT1_ ; -- Begin function _ZN7rocprim17ROCPRIM_400000_NS6detail17trampoline_kernelINS0_14default_configENS1_25partition_config_selectorILNS1_17partition_subalgoE9EttbEEZZNS1_14partition_implILS5_9ELb0ES3_jN6thrust23THRUST_200600_302600_NS6detail15normal_iteratorINS9_10device_ptrItEEEESE_PNS0_10empty_typeENS0_5tupleIJSE_SF_EEENSH_IJSE_SG_EEENS0_18inequality_wrapperINS9_8equal_toItEEEEPmJSF_EEE10hipError_tPvRmT3_T4_T5_T6_T7_T9_mT8_P12ihipStream_tbDpT10_ENKUlT_T0_E_clISt17integral_constantIbLb1EES18_EEDaS13_S14_EUlS13_E_NS1_11comp_targetILNS1_3genE10ELNS1_11target_archE1200ELNS1_3gpuE4ELNS1_3repE0EEENS1_30default_config_static_selectorELNS0_4arch9wavefront6targetE0EEEvT1_
	.globl	_ZN7rocprim17ROCPRIM_400000_NS6detail17trampoline_kernelINS0_14default_configENS1_25partition_config_selectorILNS1_17partition_subalgoE9EttbEEZZNS1_14partition_implILS5_9ELb0ES3_jN6thrust23THRUST_200600_302600_NS6detail15normal_iteratorINS9_10device_ptrItEEEESE_PNS0_10empty_typeENS0_5tupleIJSE_SF_EEENSH_IJSE_SG_EEENS0_18inequality_wrapperINS9_8equal_toItEEEEPmJSF_EEE10hipError_tPvRmT3_T4_T5_T6_T7_T9_mT8_P12ihipStream_tbDpT10_ENKUlT_T0_E_clISt17integral_constantIbLb1EES18_EEDaS13_S14_EUlS13_E_NS1_11comp_targetILNS1_3genE10ELNS1_11target_archE1200ELNS1_3gpuE4ELNS1_3repE0EEENS1_30default_config_static_selectorELNS0_4arch9wavefront6targetE0EEEvT1_
	.p2align	8
	.type	_ZN7rocprim17ROCPRIM_400000_NS6detail17trampoline_kernelINS0_14default_configENS1_25partition_config_selectorILNS1_17partition_subalgoE9EttbEEZZNS1_14partition_implILS5_9ELb0ES3_jN6thrust23THRUST_200600_302600_NS6detail15normal_iteratorINS9_10device_ptrItEEEESE_PNS0_10empty_typeENS0_5tupleIJSE_SF_EEENSH_IJSE_SG_EEENS0_18inequality_wrapperINS9_8equal_toItEEEEPmJSF_EEE10hipError_tPvRmT3_T4_T5_T6_T7_T9_mT8_P12ihipStream_tbDpT10_ENKUlT_T0_E_clISt17integral_constantIbLb1EES18_EEDaS13_S14_EUlS13_E_NS1_11comp_targetILNS1_3genE10ELNS1_11target_archE1200ELNS1_3gpuE4ELNS1_3repE0EEENS1_30default_config_static_selectorELNS0_4arch9wavefront6targetE0EEEvT1_,@function
_ZN7rocprim17ROCPRIM_400000_NS6detail17trampoline_kernelINS0_14default_configENS1_25partition_config_selectorILNS1_17partition_subalgoE9EttbEEZZNS1_14partition_implILS5_9ELb0ES3_jN6thrust23THRUST_200600_302600_NS6detail15normal_iteratorINS9_10device_ptrItEEEESE_PNS0_10empty_typeENS0_5tupleIJSE_SF_EEENSH_IJSE_SG_EEENS0_18inequality_wrapperINS9_8equal_toItEEEEPmJSF_EEE10hipError_tPvRmT3_T4_T5_T6_T7_T9_mT8_P12ihipStream_tbDpT10_ENKUlT_T0_E_clISt17integral_constantIbLb1EES18_EEDaS13_S14_EUlS13_E_NS1_11comp_targetILNS1_3genE10ELNS1_11target_archE1200ELNS1_3gpuE4ELNS1_3repE0EEENS1_30default_config_static_selectorELNS0_4arch9wavefront6targetE0EEEvT1_: ; @_ZN7rocprim17ROCPRIM_400000_NS6detail17trampoline_kernelINS0_14default_configENS1_25partition_config_selectorILNS1_17partition_subalgoE9EttbEEZZNS1_14partition_implILS5_9ELb0ES3_jN6thrust23THRUST_200600_302600_NS6detail15normal_iteratorINS9_10device_ptrItEEEESE_PNS0_10empty_typeENS0_5tupleIJSE_SF_EEENSH_IJSE_SG_EEENS0_18inequality_wrapperINS9_8equal_toItEEEEPmJSF_EEE10hipError_tPvRmT3_T4_T5_T6_T7_T9_mT8_P12ihipStream_tbDpT10_ENKUlT_T0_E_clISt17integral_constantIbLb1EES18_EEDaS13_S14_EUlS13_E_NS1_11comp_targetILNS1_3genE10ELNS1_11target_archE1200ELNS1_3gpuE4ELNS1_3repE0EEENS1_30default_config_static_selectorELNS0_4arch9wavefront6targetE0EEEvT1_
; %bb.0:
	.section	.rodata,"a",@progbits
	.p2align	6, 0x0
	.amdhsa_kernel _ZN7rocprim17ROCPRIM_400000_NS6detail17trampoline_kernelINS0_14default_configENS1_25partition_config_selectorILNS1_17partition_subalgoE9EttbEEZZNS1_14partition_implILS5_9ELb0ES3_jN6thrust23THRUST_200600_302600_NS6detail15normal_iteratorINS9_10device_ptrItEEEESE_PNS0_10empty_typeENS0_5tupleIJSE_SF_EEENSH_IJSE_SG_EEENS0_18inequality_wrapperINS9_8equal_toItEEEEPmJSF_EEE10hipError_tPvRmT3_T4_T5_T6_T7_T9_mT8_P12ihipStream_tbDpT10_ENKUlT_T0_E_clISt17integral_constantIbLb1EES18_EEDaS13_S14_EUlS13_E_NS1_11comp_targetILNS1_3genE10ELNS1_11target_archE1200ELNS1_3gpuE4ELNS1_3repE0EEENS1_30default_config_static_selectorELNS0_4arch9wavefront6targetE0EEEvT1_
		.amdhsa_group_segment_fixed_size 0
		.amdhsa_private_segment_fixed_size 0
		.amdhsa_kernarg_size 128
		.amdhsa_user_sgpr_count 15
		.amdhsa_user_sgpr_dispatch_ptr 0
		.amdhsa_user_sgpr_queue_ptr 0
		.amdhsa_user_sgpr_kernarg_segment_ptr 1
		.amdhsa_user_sgpr_dispatch_id 0
		.amdhsa_user_sgpr_private_segment_size 0
		.amdhsa_wavefront_size32 1
		.amdhsa_uses_dynamic_stack 0
		.amdhsa_enable_private_segment 0
		.amdhsa_system_sgpr_workgroup_id_x 1
		.amdhsa_system_sgpr_workgroup_id_y 0
		.amdhsa_system_sgpr_workgroup_id_z 0
		.amdhsa_system_sgpr_workgroup_info 0
		.amdhsa_system_vgpr_workitem_id 0
		.amdhsa_next_free_vgpr 1
		.amdhsa_next_free_sgpr 1
		.amdhsa_reserve_vcc 0
		.amdhsa_float_round_mode_32 0
		.amdhsa_float_round_mode_16_64 0
		.amdhsa_float_denorm_mode_32 3
		.amdhsa_float_denorm_mode_16_64 3
		.amdhsa_dx10_clamp 1
		.amdhsa_ieee_mode 1
		.amdhsa_fp16_overflow 0
		.amdhsa_workgroup_processor_mode 1
		.amdhsa_memory_ordered 1
		.amdhsa_forward_progress 0
		.amdhsa_shared_vgpr_count 0
		.amdhsa_exception_fp_ieee_invalid_op 0
		.amdhsa_exception_fp_denorm_src 0
		.amdhsa_exception_fp_ieee_div_zero 0
		.amdhsa_exception_fp_ieee_overflow 0
		.amdhsa_exception_fp_ieee_underflow 0
		.amdhsa_exception_fp_ieee_inexact 0
		.amdhsa_exception_int_div_zero 0
	.end_amdhsa_kernel
	.section	.text._ZN7rocprim17ROCPRIM_400000_NS6detail17trampoline_kernelINS0_14default_configENS1_25partition_config_selectorILNS1_17partition_subalgoE9EttbEEZZNS1_14partition_implILS5_9ELb0ES3_jN6thrust23THRUST_200600_302600_NS6detail15normal_iteratorINS9_10device_ptrItEEEESE_PNS0_10empty_typeENS0_5tupleIJSE_SF_EEENSH_IJSE_SG_EEENS0_18inequality_wrapperINS9_8equal_toItEEEEPmJSF_EEE10hipError_tPvRmT3_T4_T5_T6_T7_T9_mT8_P12ihipStream_tbDpT10_ENKUlT_T0_E_clISt17integral_constantIbLb1EES18_EEDaS13_S14_EUlS13_E_NS1_11comp_targetILNS1_3genE10ELNS1_11target_archE1200ELNS1_3gpuE4ELNS1_3repE0EEENS1_30default_config_static_selectorELNS0_4arch9wavefront6targetE0EEEvT1_,"axG",@progbits,_ZN7rocprim17ROCPRIM_400000_NS6detail17trampoline_kernelINS0_14default_configENS1_25partition_config_selectorILNS1_17partition_subalgoE9EttbEEZZNS1_14partition_implILS5_9ELb0ES3_jN6thrust23THRUST_200600_302600_NS6detail15normal_iteratorINS9_10device_ptrItEEEESE_PNS0_10empty_typeENS0_5tupleIJSE_SF_EEENSH_IJSE_SG_EEENS0_18inequality_wrapperINS9_8equal_toItEEEEPmJSF_EEE10hipError_tPvRmT3_T4_T5_T6_T7_T9_mT8_P12ihipStream_tbDpT10_ENKUlT_T0_E_clISt17integral_constantIbLb1EES18_EEDaS13_S14_EUlS13_E_NS1_11comp_targetILNS1_3genE10ELNS1_11target_archE1200ELNS1_3gpuE4ELNS1_3repE0EEENS1_30default_config_static_selectorELNS0_4arch9wavefront6targetE0EEEvT1_,comdat
.Lfunc_end288:
	.size	_ZN7rocprim17ROCPRIM_400000_NS6detail17trampoline_kernelINS0_14default_configENS1_25partition_config_selectorILNS1_17partition_subalgoE9EttbEEZZNS1_14partition_implILS5_9ELb0ES3_jN6thrust23THRUST_200600_302600_NS6detail15normal_iteratorINS9_10device_ptrItEEEESE_PNS0_10empty_typeENS0_5tupleIJSE_SF_EEENSH_IJSE_SG_EEENS0_18inequality_wrapperINS9_8equal_toItEEEEPmJSF_EEE10hipError_tPvRmT3_T4_T5_T6_T7_T9_mT8_P12ihipStream_tbDpT10_ENKUlT_T0_E_clISt17integral_constantIbLb1EES18_EEDaS13_S14_EUlS13_E_NS1_11comp_targetILNS1_3genE10ELNS1_11target_archE1200ELNS1_3gpuE4ELNS1_3repE0EEENS1_30default_config_static_selectorELNS0_4arch9wavefront6targetE0EEEvT1_, .Lfunc_end288-_ZN7rocprim17ROCPRIM_400000_NS6detail17trampoline_kernelINS0_14default_configENS1_25partition_config_selectorILNS1_17partition_subalgoE9EttbEEZZNS1_14partition_implILS5_9ELb0ES3_jN6thrust23THRUST_200600_302600_NS6detail15normal_iteratorINS9_10device_ptrItEEEESE_PNS0_10empty_typeENS0_5tupleIJSE_SF_EEENSH_IJSE_SG_EEENS0_18inequality_wrapperINS9_8equal_toItEEEEPmJSF_EEE10hipError_tPvRmT3_T4_T5_T6_T7_T9_mT8_P12ihipStream_tbDpT10_ENKUlT_T0_E_clISt17integral_constantIbLb1EES18_EEDaS13_S14_EUlS13_E_NS1_11comp_targetILNS1_3genE10ELNS1_11target_archE1200ELNS1_3gpuE4ELNS1_3repE0EEENS1_30default_config_static_selectorELNS0_4arch9wavefront6targetE0EEEvT1_
                                        ; -- End function
	.section	.AMDGPU.csdata,"",@progbits
; Kernel info:
; codeLenInByte = 0
; NumSgprs: 0
; NumVgprs: 0
; ScratchSize: 0
; MemoryBound: 0
; FloatMode: 240
; IeeeMode: 1
; LDSByteSize: 0 bytes/workgroup (compile time only)
; SGPRBlocks: 0
; VGPRBlocks: 0
; NumSGPRsForWavesPerEU: 1
; NumVGPRsForWavesPerEU: 1
; Occupancy: 16
; WaveLimiterHint : 0
; COMPUTE_PGM_RSRC2:SCRATCH_EN: 0
; COMPUTE_PGM_RSRC2:USER_SGPR: 15
; COMPUTE_PGM_RSRC2:TRAP_HANDLER: 0
; COMPUTE_PGM_RSRC2:TGID_X_EN: 1
; COMPUTE_PGM_RSRC2:TGID_Y_EN: 0
; COMPUTE_PGM_RSRC2:TGID_Z_EN: 0
; COMPUTE_PGM_RSRC2:TIDIG_COMP_CNT: 0
	.section	.text._ZN7rocprim17ROCPRIM_400000_NS6detail17trampoline_kernelINS0_14default_configENS1_25partition_config_selectorILNS1_17partition_subalgoE9EttbEEZZNS1_14partition_implILS5_9ELb0ES3_jN6thrust23THRUST_200600_302600_NS6detail15normal_iteratorINS9_10device_ptrItEEEESE_PNS0_10empty_typeENS0_5tupleIJSE_SF_EEENSH_IJSE_SG_EEENS0_18inequality_wrapperINS9_8equal_toItEEEEPmJSF_EEE10hipError_tPvRmT3_T4_T5_T6_T7_T9_mT8_P12ihipStream_tbDpT10_ENKUlT_T0_E_clISt17integral_constantIbLb1EES18_EEDaS13_S14_EUlS13_E_NS1_11comp_targetILNS1_3genE9ELNS1_11target_archE1100ELNS1_3gpuE3ELNS1_3repE0EEENS1_30default_config_static_selectorELNS0_4arch9wavefront6targetE0EEEvT1_,"axG",@progbits,_ZN7rocprim17ROCPRIM_400000_NS6detail17trampoline_kernelINS0_14default_configENS1_25partition_config_selectorILNS1_17partition_subalgoE9EttbEEZZNS1_14partition_implILS5_9ELb0ES3_jN6thrust23THRUST_200600_302600_NS6detail15normal_iteratorINS9_10device_ptrItEEEESE_PNS0_10empty_typeENS0_5tupleIJSE_SF_EEENSH_IJSE_SG_EEENS0_18inequality_wrapperINS9_8equal_toItEEEEPmJSF_EEE10hipError_tPvRmT3_T4_T5_T6_T7_T9_mT8_P12ihipStream_tbDpT10_ENKUlT_T0_E_clISt17integral_constantIbLb1EES18_EEDaS13_S14_EUlS13_E_NS1_11comp_targetILNS1_3genE9ELNS1_11target_archE1100ELNS1_3gpuE3ELNS1_3repE0EEENS1_30default_config_static_selectorELNS0_4arch9wavefront6targetE0EEEvT1_,comdat
	.protected	_ZN7rocprim17ROCPRIM_400000_NS6detail17trampoline_kernelINS0_14default_configENS1_25partition_config_selectorILNS1_17partition_subalgoE9EttbEEZZNS1_14partition_implILS5_9ELb0ES3_jN6thrust23THRUST_200600_302600_NS6detail15normal_iteratorINS9_10device_ptrItEEEESE_PNS0_10empty_typeENS0_5tupleIJSE_SF_EEENSH_IJSE_SG_EEENS0_18inequality_wrapperINS9_8equal_toItEEEEPmJSF_EEE10hipError_tPvRmT3_T4_T5_T6_T7_T9_mT8_P12ihipStream_tbDpT10_ENKUlT_T0_E_clISt17integral_constantIbLb1EES18_EEDaS13_S14_EUlS13_E_NS1_11comp_targetILNS1_3genE9ELNS1_11target_archE1100ELNS1_3gpuE3ELNS1_3repE0EEENS1_30default_config_static_selectorELNS0_4arch9wavefront6targetE0EEEvT1_ ; -- Begin function _ZN7rocprim17ROCPRIM_400000_NS6detail17trampoline_kernelINS0_14default_configENS1_25partition_config_selectorILNS1_17partition_subalgoE9EttbEEZZNS1_14partition_implILS5_9ELb0ES3_jN6thrust23THRUST_200600_302600_NS6detail15normal_iteratorINS9_10device_ptrItEEEESE_PNS0_10empty_typeENS0_5tupleIJSE_SF_EEENSH_IJSE_SG_EEENS0_18inequality_wrapperINS9_8equal_toItEEEEPmJSF_EEE10hipError_tPvRmT3_T4_T5_T6_T7_T9_mT8_P12ihipStream_tbDpT10_ENKUlT_T0_E_clISt17integral_constantIbLb1EES18_EEDaS13_S14_EUlS13_E_NS1_11comp_targetILNS1_3genE9ELNS1_11target_archE1100ELNS1_3gpuE3ELNS1_3repE0EEENS1_30default_config_static_selectorELNS0_4arch9wavefront6targetE0EEEvT1_
	.globl	_ZN7rocprim17ROCPRIM_400000_NS6detail17trampoline_kernelINS0_14default_configENS1_25partition_config_selectorILNS1_17partition_subalgoE9EttbEEZZNS1_14partition_implILS5_9ELb0ES3_jN6thrust23THRUST_200600_302600_NS6detail15normal_iteratorINS9_10device_ptrItEEEESE_PNS0_10empty_typeENS0_5tupleIJSE_SF_EEENSH_IJSE_SG_EEENS0_18inequality_wrapperINS9_8equal_toItEEEEPmJSF_EEE10hipError_tPvRmT3_T4_T5_T6_T7_T9_mT8_P12ihipStream_tbDpT10_ENKUlT_T0_E_clISt17integral_constantIbLb1EES18_EEDaS13_S14_EUlS13_E_NS1_11comp_targetILNS1_3genE9ELNS1_11target_archE1100ELNS1_3gpuE3ELNS1_3repE0EEENS1_30default_config_static_selectorELNS0_4arch9wavefront6targetE0EEEvT1_
	.p2align	8
	.type	_ZN7rocprim17ROCPRIM_400000_NS6detail17trampoline_kernelINS0_14default_configENS1_25partition_config_selectorILNS1_17partition_subalgoE9EttbEEZZNS1_14partition_implILS5_9ELb0ES3_jN6thrust23THRUST_200600_302600_NS6detail15normal_iteratorINS9_10device_ptrItEEEESE_PNS0_10empty_typeENS0_5tupleIJSE_SF_EEENSH_IJSE_SG_EEENS0_18inequality_wrapperINS9_8equal_toItEEEEPmJSF_EEE10hipError_tPvRmT3_T4_T5_T6_T7_T9_mT8_P12ihipStream_tbDpT10_ENKUlT_T0_E_clISt17integral_constantIbLb1EES18_EEDaS13_S14_EUlS13_E_NS1_11comp_targetILNS1_3genE9ELNS1_11target_archE1100ELNS1_3gpuE3ELNS1_3repE0EEENS1_30default_config_static_selectorELNS0_4arch9wavefront6targetE0EEEvT1_,@function
_ZN7rocprim17ROCPRIM_400000_NS6detail17trampoline_kernelINS0_14default_configENS1_25partition_config_selectorILNS1_17partition_subalgoE9EttbEEZZNS1_14partition_implILS5_9ELb0ES3_jN6thrust23THRUST_200600_302600_NS6detail15normal_iteratorINS9_10device_ptrItEEEESE_PNS0_10empty_typeENS0_5tupleIJSE_SF_EEENSH_IJSE_SG_EEENS0_18inequality_wrapperINS9_8equal_toItEEEEPmJSF_EEE10hipError_tPvRmT3_T4_T5_T6_T7_T9_mT8_P12ihipStream_tbDpT10_ENKUlT_T0_E_clISt17integral_constantIbLb1EES18_EEDaS13_S14_EUlS13_E_NS1_11comp_targetILNS1_3genE9ELNS1_11target_archE1100ELNS1_3gpuE3ELNS1_3repE0EEENS1_30default_config_static_selectorELNS0_4arch9wavefront6targetE0EEEvT1_: ; @_ZN7rocprim17ROCPRIM_400000_NS6detail17trampoline_kernelINS0_14default_configENS1_25partition_config_selectorILNS1_17partition_subalgoE9EttbEEZZNS1_14partition_implILS5_9ELb0ES3_jN6thrust23THRUST_200600_302600_NS6detail15normal_iteratorINS9_10device_ptrItEEEESE_PNS0_10empty_typeENS0_5tupleIJSE_SF_EEENSH_IJSE_SG_EEENS0_18inequality_wrapperINS9_8equal_toItEEEEPmJSF_EEE10hipError_tPvRmT3_T4_T5_T6_T7_T9_mT8_P12ihipStream_tbDpT10_ENKUlT_T0_E_clISt17integral_constantIbLb1EES18_EEDaS13_S14_EUlS13_E_NS1_11comp_targetILNS1_3genE9ELNS1_11target_archE1100ELNS1_3gpuE3ELNS1_3repE0EEENS1_30default_config_static_selectorELNS0_4arch9wavefront6targetE0EEEvT1_
; %bb.0:
	s_clause 0x4
	s_load_b128 s[4:7], s[0:1], 0x8
	s_load_b64 s[8:9], s[0:1], 0x18
	s_load_b128 s[16:19], s[0:1], 0x40
	s_load_b64 s[12:13], s[0:1], 0x50
	s_load_b64 s[24:25], s[0:1], 0x60
	v_cmp_ne_u32_e64 s3, 0, v0
	v_cmp_eq_u32_e64 s2, 0, v0
	s_delay_alu instid0(VALU_DEP_1)
	s_and_saveexec_b32 s10, s2
	s_cbranch_execz .LBB289_4
; %bb.1:
	s_mov_b32 s14, exec_lo
	s_mov_b32 s11, exec_lo
	v_mbcnt_lo_u32_b32 v1, s14, 0
                                        ; implicit-def: $vgpr2
	s_delay_alu instid0(VALU_DEP_1)
	v_cmpx_eq_u32_e32 0, v1
	s_cbranch_execz .LBB289_3
; %bb.2:
	s_load_b64 s[20:21], s[0:1], 0x70
	s_bcnt1_i32_b32 s14, s14
	s_delay_alu instid0(SALU_CYCLE_1)
	v_dual_mov_b32 v2, 0 :: v_dual_mov_b32 v3, s14
	s_waitcnt lgkmcnt(0)
	global_atomic_add_u32 v2, v2, v3, s[20:21] glc
.LBB289_3:
	s_or_b32 exec_lo, exec_lo, s11
	s_waitcnt vmcnt(0)
	v_readfirstlane_b32 s11, v2
	s_delay_alu instid0(VALU_DEP_1)
	v_dual_mov_b32 v2, 0 :: v_dual_add_nc_u32 v1, s11, v1
	ds_store_b32 v2, v1
.LBB289_4:
	s_or_b32 exec_lo, exec_lo, s10
	v_mov_b32_e32 v1, 0
	s_clause 0x1
	s_load_b128 s[20:23], s[0:1], 0x28
	s_load_b32 s0, s[0:1], 0x68
	s_waitcnt lgkmcnt(0)
	s_barrier
	buffer_gl0_inv
	ds_load_b32 v3, v1
	s_waitcnt lgkmcnt(0)
	s_barrier
	buffer_gl0_inv
	global_load_b64 v[1:2], v1, s[18:19]
	s_lshl_b64 s[10:11], s[6:7], 1
	s_mov_b32 s28, -1
	s_add_u32 s14, s4, s10
	s_addc_u32 s15, s5, s11
	s_mul_i32 s1, s0, 0x600
	s_delay_alu instid0(SALU_CYCLE_1) | instskip(NEXT) | instid1(SALU_CYCLE_1)
	s_add_i32 s4, s1, s6
	s_sub_i32 s26, s12, s4
	s_add_i32 s4, s0, -1
	s_addk_i32 s26, 0x600
	s_add_u32 s0, s6, s1
	v_readfirstlane_b32 s19, v3
	s_addc_u32 s1, s7, 0
	s_delay_alu instid0(SALU_CYCLE_1) | instskip(SKIP_1) | instid1(VALU_DEP_2)
	v_cmp_ge_u64_e64 s5, s[0:1], s[12:13]
	s_mov_b32 s1, 0
	s_cmp_eq_u32 s19, s4
	s_mul_i32 s0, s19, 0x600
	s_cselect_b32 s13, -1, 0
	s_delay_alu instid0(VALU_DEP_1) | instid1(SALU_CYCLE_1)
	s_and_b32 s27, s5, s13
	s_lshl_b64 s[4:5], s[0:1], 1
	s_xor_b32 s18, s27, -1
	s_add_u32 s12, s14, s4
	s_addc_u32 s1, s15, s5
	s_and_b32 vcc_lo, exec_lo, s18
	s_waitcnt vmcnt(0)
	v_readfirstlane_b32 s14, v1
	v_readfirstlane_b32 s15, v2
	s_cbranch_vccz .LBB289_6
; %bb.5:
	v_lshlrev_b32_e32 v3, 1, v0
	s_mov_b32 s28, 0
	s_delay_alu instid0(VALU_DEP_1) | instskip(NEXT) | instid1(VALU_DEP_1)
	v_add_co_u32 v1, s0, s12, v3
	v_add_co_ci_u32_e64 v2, null, s1, 0, s0
	s_clause 0xb
	flat_load_u16 v4, v[1:2]
	flat_load_u16 v5, v[1:2] offset:256
	flat_load_u16 v6, v[1:2] offset:512
	;; [unrolled: 1-line block ×11, first 2 shown]
	s_waitcnt vmcnt(11) lgkmcnt(11)
	ds_store_b16 v3, v4
	s_waitcnt vmcnt(10) lgkmcnt(11)
	ds_store_b16 v3, v5 offset:256
	s_waitcnt vmcnt(9) lgkmcnt(11)
	ds_store_b16 v3, v6 offset:512
	s_waitcnt vmcnt(8) lgkmcnt(11)
	ds_store_b16 v3, v7 offset:768
	s_waitcnt vmcnt(7) lgkmcnt(11)
	ds_store_b16 v3, v8 offset:1024
	s_waitcnt vmcnt(6) lgkmcnt(11)
	ds_store_b16 v3, v9 offset:1280
	s_waitcnt vmcnt(5) lgkmcnt(11)
	ds_store_b16 v3, v10 offset:1536
	s_waitcnt vmcnt(4) lgkmcnt(11)
	ds_store_b16 v3, v11 offset:1792
	s_waitcnt vmcnt(3) lgkmcnt(11)
	ds_store_b16 v3, v12 offset:2048
	s_waitcnt vmcnt(2) lgkmcnt(11)
	ds_store_b16 v3, v13 offset:2304
	s_waitcnt vmcnt(1) lgkmcnt(11)
	ds_store_b16 v3, v14 offset:2560
	s_waitcnt vmcnt(0) lgkmcnt(11)
	ds_store_b16 v3, v1 offset:2816
	s_waitcnt lgkmcnt(0)
	s_barrier
.LBB289_6:
	v_cmp_gt_u32_e64 s0, s26, v0
	s_and_not1_b32 vcc_lo, exec_lo, s28
	s_cbranch_vccnz .LBB289_32
; %bb.7:
                                        ; implicit-def: $vgpr1_vgpr2_vgpr3_vgpr4_vgpr5_vgpr6_vgpr7_vgpr8
	s_delay_alu instid0(VALU_DEP_1)
	s_and_saveexec_b32 s28, s0
	s_cbranch_execz .LBB289_9
; %bb.8:
	v_lshlrev_b32_e32 v1, 1, v0
	s_delay_alu instid0(VALU_DEP_1) | instskip(NEXT) | instid1(VALU_DEP_1)
	v_add_co_u32 v1, s0, s12, v1
	v_add_co_ci_u32_e64 v2, null, s1, 0, s0
	flat_load_d16_b16 v1, v[1:2]
.LBB289_9:
	s_or_b32 exec_lo, exec_lo, s28
	v_or_b32_e32 v7, 0x80, v0
	s_mov_b32 s0, exec_lo
	s_delay_alu instid0(VALU_DEP_1)
	v_cmpx_gt_u32_e64 s26, v7
	s_cbranch_execz .LBB289_11
; %bb.10:
	v_lshlrev_b32_e32 v7, 1, v0
	s_delay_alu instid0(VALU_DEP_1) | instskip(NEXT) | instid1(VALU_DEP_1)
	v_add_co_u32 v7, s28, s12, v7
	v_add_co_ci_u32_e64 v8, null, s1, 0, s28
	s_waitcnt vmcnt(0) lgkmcnt(0)
	flat_load_d16_hi_b16 v1, v[7:8] offset:256
.LBB289_11:
	s_or_b32 exec_lo, exec_lo, s0
	v_or_b32_e32 v7, 0x100, v0
	s_mov_b32 s0, exec_lo
	s_delay_alu instid0(VALU_DEP_1)
	v_cmpx_gt_u32_e64 s26, v7
	s_cbranch_execz .LBB289_13
; %bb.12:
	v_lshlrev_b32_e32 v7, 1, v0
	s_delay_alu instid0(VALU_DEP_1) | instskip(NEXT) | instid1(VALU_DEP_1)
	v_add_co_u32 v7, s28, s12, v7
	v_add_co_ci_u32_e64 v8, null, s1, 0, s28
	flat_load_d16_b16 v2, v[7:8] offset:512
.LBB289_13:
	s_or_b32 exec_lo, exec_lo, s0
	v_or_b32_e32 v7, 0x180, v0
	s_mov_b32 s0, exec_lo
	s_delay_alu instid0(VALU_DEP_1)
	v_cmpx_gt_u32_e64 s26, v7
	s_cbranch_execz .LBB289_15
; %bb.14:
	v_lshlrev_b32_e32 v7, 1, v0
	s_delay_alu instid0(VALU_DEP_1) | instskip(NEXT) | instid1(VALU_DEP_1)
	v_add_co_u32 v7, s28, s12, v7
	v_add_co_ci_u32_e64 v8, null, s1, 0, s28
	s_waitcnt vmcnt(0) lgkmcnt(0)
	flat_load_d16_hi_b16 v2, v[7:8] offset:768
.LBB289_15:
	s_or_b32 exec_lo, exec_lo, s0
	v_or_b32_e32 v7, 0x200, v0
	s_mov_b32 s0, exec_lo
	s_delay_alu instid0(VALU_DEP_1)
	v_cmpx_gt_u32_e64 s26, v7
	s_cbranch_execz .LBB289_17
; %bb.16:
	v_lshlrev_b32_e32 v7, 1, v0
	s_delay_alu instid0(VALU_DEP_1) | instskip(NEXT) | instid1(VALU_DEP_1)
	v_add_co_u32 v7, s28, s12, v7
	v_add_co_ci_u32_e64 v8, null, s1, 0, s28
	flat_load_d16_b16 v3, v[7:8] offset:1024
.LBB289_17:
	;; [unrolled: 27-line block ×5, first 2 shown]
	s_or_b32 exec_lo, exec_lo, s0
	v_or_b32_e32 v7, 0x580, v0
	s_mov_b32 s0, exec_lo
	s_delay_alu instid0(VALU_DEP_1)
	v_cmpx_gt_u32_e64 s26, v7
	s_cbranch_execz .LBB289_31
; %bb.30:
	v_lshlrev_b32_e32 v7, 1, v0
	s_delay_alu instid0(VALU_DEP_1) | instskip(NEXT) | instid1(VALU_DEP_1)
	v_add_co_u32 v7, s28, s12, v7
	v_add_co_ci_u32_e64 v8, null, s1, 0, s28
	s_waitcnt vmcnt(0) lgkmcnt(0)
	flat_load_d16_hi_b16 v6, v[7:8] offset:2816
.LBB289_31:
	s_or_b32 exec_lo, exec_lo, s0
	v_lshlrev_b32_e32 v7, 1, v0
	s_waitcnt vmcnt(0) lgkmcnt(0)
	ds_store_b16 v7, v1
	ds_store_b16_d16_hi v7, v1 offset:256
	ds_store_b16 v7, v2 offset:512
	ds_store_b16_d16_hi v7, v2 offset:768
	ds_store_b16 v7, v3 offset:1024
	;; [unrolled: 2-line block ×5, first 2 shown]
	ds_store_b16_d16_hi v7, v6 offset:2816
	s_waitcnt lgkmcnt(0)
	s_barrier
.LBB289_32:
	v_mul_u32_u24_e32 v1, 12, v0
	buffer_gl0_inv
	s_add_u32 s0, s8, s10
	s_addc_u32 s8, s9, s11
	s_add_u32 s0, s0, s4
	v_lshlrev_b32_e32 v8, 1, v1
	s_addc_u32 s4, s8, s5
	s_and_b32 vcc_lo, exec_lo, s18
	s_mov_b32 s5, -1
	ds_load_2addr_b64 v[18:21], v8 offset1:1
	ds_load_b64 v[27:28], v8 offset:16
	s_waitcnt lgkmcnt(0)
	s_barrier
	buffer_gl0_inv
	s_cbranch_vccz .LBB289_34
; %bb.33:
	v_lshlrev_b32_e32 v4, 1, v0
	s_delay_alu instid0(VALU_DEP_1) | instskip(NEXT) | instid1(VALU_DEP_1)
	v_add_co_u32 v2, s5, s0, v4
	v_add_co_ci_u32_e64 v3, null, s4, 0, s5
	s_mov_b32 s5, 0
	s_clause 0xb
	flat_load_u16 v5, v[2:3]
	flat_load_u16 v6, v[2:3] offset:256
	flat_load_u16 v7, v[2:3] offset:512
	;; [unrolled: 1-line block ×11, first 2 shown]
	s_waitcnt vmcnt(11) lgkmcnt(11)
	ds_store_b16 v4, v5
	s_waitcnt vmcnt(10) lgkmcnt(11)
	ds_store_b16 v4, v6 offset:256
	s_waitcnt vmcnt(9) lgkmcnt(11)
	ds_store_b16 v4, v7 offset:512
	;; [unrolled: 2-line block ×11, first 2 shown]
	s_waitcnt lgkmcnt(0)
	s_barrier
.LBB289_34:
	s_and_not1_b32 vcc_lo, exec_lo, s5
	s_cbranch_vccnz .LBB289_60
; %bb.35:
	s_mov_b32 s5, exec_lo
                                        ; implicit-def: $vgpr2
	v_cmpx_gt_u32_e64 s26, v0
	s_cbranch_execz .LBB289_37
; %bb.36:
	v_lshlrev_b32_e32 v2, 1, v0
	s_delay_alu instid0(VALU_DEP_1) | instskip(NEXT) | instid1(VALU_DEP_1)
	v_add_co_u32 v2, s8, s0, v2
	v_add_co_ci_u32_e64 v3, null, s4, 0, s8
	flat_load_u16 v2, v[2:3]
.LBB289_37:
	s_or_b32 exec_lo, exec_lo, s5
	v_or_b32_e32 v3, 0x80, v0
	s_delay_alu instid0(VALU_DEP_1)
	v_cmp_gt_u32_e32 vcc_lo, s26, v3
                                        ; implicit-def: $vgpr3
	s_and_saveexec_b32 s5, vcc_lo
	s_cbranch_execz .LBB289_39
; %bb.38:
	v_lshlrev_b32_e32 v3, 1, v0
	s_delay_alu instid0(VALU_DEP_1) | instskip(NEXT) | instid1(VALU_DEP_1)
	v_add_co_u32 v3, s8, s0, v3
	v_add_co_ci_u32_e64 v4, null, s4, 0, s8
	flat_load_u16 v3, v[3:4] offset:256
.LBB289_39:
	s_or_b32 exec_lo, exec_lo, s5
	v_or_b32_e32 v4, 0x100, v0
	s_delay_alu instid0(VALU_DEP_1)
	v_cmp_gt_u32_e32 vcc_lo, s26, v4
                                        ; implicit-def: $vgpr4
	s_and_saveexec_b32 s5, vcc_lo
	s_cbranch_execz .LBB289_41
; %bb.40:
	v_lshlrev_b32_e32 v4, 1, v0
	s_delay_alu instid0(VALU_DEP_1) | instskip(NEXT) | instid1(VALU_DEP_1)
	v_add_co_u32 v4, s8, s0, v4
	v_add_co_ci_u32_e64 v5, null, s4, 0, s8
	flat_load_u16 v4, v[4:5] offset:512
.LBB289_41:
	s_or_b32 exec_lo, exec_lo, s5
	v_or_b32_e32 v5, 0x180, v0
	s_delay_alu instid0(VALU_DEP_1)
	v_cmp_gt_u32_e32 vcc_lo, s26, v5
                                        ; implicit-def: $vgpr5
	s_and_saveexec_b32 s5, vcc_lo
	s_cbranch_execz .LBB289_43
; %bb.42:
	v_lshlrev_b32_e32 v5, 1, v0
	s_delay_alu instid0(VALU_DEP_1) | instskip(NEXT) | instid1(VALU_DEP_1)
	v_add_co_u32 v5, s8, s0, v5
	v_add_co_ci_u32_e64 v6, null, s4, 0, s8
	flat_load_u16 v5, v[5:6] offset:768
.LBB289_43:
	s_or_b32 exec_lo, exec_lo, s5
	v_or_b32_e32 v6, 0x200, v0
	s_delay_alu instid0(VALU_DEP_1)
	v_cmp_gt_u32_e32 vcc_lo, s26, v6
                                        ; implicit-def: $vgpr6
	s_and_saveexec_b32 s5, vcc_lo
	s_cbranch_execz .LBB289_45
; %bb.44:
	v_lshlrev_b32_e32 v6, 1, v0
	s_delay_alu instid0(VALU_DEP_1) | instskip(NEXT) | instid1(VALU_DEP_1)
	v_add_co_u32 v6, s8, s0, v6
	v_add_co_ci_u32_e64 v7, null, s4, 0, s8
	flat_load_u16 v6, v[6:7] offset:1024
.LBB289_45:
	s_or_b32 exec_lo, exec_lo, s5
	v_or_b32_e32 v7, 0x280, v0
	s_delay_alu instid0(VALU_DEP_1)
	v_cmp_gt_u32_e32 vcc_lo, s26, v7
                                        ; implicit-def: $vgpr7
	s_and_saveexec_b32 s5, vcc_lo
	s_cbranch_execz .LBB289_47
; %bb.46:
	v_lshlrev_b32_e32 v7, 1, v0
	s_delay_alu instid0(VALU_DEP_1) | instskip(NEXT) | instid1(VALU_DEP_1)
	v_add_co_u32 v9, s8, s0, v7
	v_add_co_ci_u32_e64 v10, null, s4, 0, s8
	flat_load_u16 v7, v[9:10] offset:1280
.LBB289_47:
	s_or_b32 exec_lo, exec_lo, s5
	v_or_b32_e32 v9, 0x300, v0
	s_delay_alu instid0(VALU_DEP_1)
	v_cmp_gt_u32_e32 vcc_lo, s26, v9
                                        ; implicit-def: $vgpr9
	s_and_saveexec_b32 s5, vcc_lo
	s_cbranch_execz .LBB289_49
; %bb.48:
	v_lshlrev_b32_e32 v9, 1, v0
	s_delay_alu instid0(VALU_DEP_1) | instskip(NEXT) | instid1(VALU_DEP_1)
	v_add_co_u32 v9, s8, s0, v9
	v_add_co_ci_u32_e64 v10, null, s4, 0, s8
	flat_load_u16 v9, v[9:10] offset:1536
.LBB289_49:
	s_or_b32 exec_lo, exec_lo, s5
	v_or_b32_e32 v10, 0x380, v0
	s_delay_alu instid0(VALU_DEP_1)
	v_cmp_gt_u32_e32 vcc_lo, s26, v10
                                        ; implicit-def: $vgpr10
	s_and_saveexec_b32 s5, vcc_lo
	s_cbranch_execz .LBB289_51
; %bb.50:
	v_lshlrev_b32_e32 v10, 1, v0
	s_delay_alu instid0(VALU_DEP_1) | instskip(NEXT) | instid1(VALU_DEP_1)
	v_add_co_u32 v10, s8, s0, v10
	v_add_co_ci_u32_e64 v11, null, s4, 0, s8
	flat_load_u16 v10, v[10:11] offset:1792
.LBB289_51:
	s_or_b32 exec_lo, exec_lo, s5
	v_or_b32_e32 v11, 0x400, v0
	s_delay_alu instid0(VALU_DEP_1)
	v_cmp_gt_u32_e32 vcc_lo, s26, v11
                                        ; implicit-def: $vgpr11
	s_and_saveexec_b32 s5, vcc_lo
	s_cbranch_execz .LBB289_53
; %bb.52:
	v_lshlrev_b32_e32 v11, 1, v0
	s_delay_alu instid0(VALU_DEP_1) | instskip(NEXT) | instid1(VALU_DEP_1)
	v_add_co_u32 v11, s8, s0, v11
	v_add_co_ci_u32_e64 v12, null, s4, 0, s8
	flat_load_u16 v11, v[11:12] offset:2048
.LBB289_53:
	s_or_b32 exec_lo, exec_lo, s5
	v_or_b32_e32 v12, 0x480, v0
	s_delay_alu instid0(VALU_DEP_1)
	v_cmp_gt_u32_e32 vcc_lo, s26, v12
                                        ; implicit-def: $vgpr12
	s_and_saveexec_b32 s5, vcc_lo
	s_cbranch_execz .LBB289_55
; %bb.54:
	v_lshlrev_b32_e32 v12, 1, v0
	s_delay_alu instid0(VALU_DEP_1) | instskip(NEXT) | instid1(VALU_DEP_1)
	v_add_co_u32 v12, s8, s0, v12
	v_add_co_ci_u32_e64 v13, null, s4, 0, s8
	flat_load_u16 v12, v[12:13] offset:2304
.LBB289_55:
	s_or_b32 exec_lo, exec_lo, s5
	v_or_b32_e32 v13, 0x500, v0
	s_delay_alu instid0(VALU_DEP_1)
	v_cmp_gt_u32_e32 vcc_lo, s26, v13
                                        ; implicit-def: $vgpr13
	s_and_saveexec_b32 s5, vcc_lo
	s_cbranch_execz .LBB289_57
; %bb.56:
	v_lshlrev_b32_e32 v13, 1, v0
	s_delay_alu instid0(VALU_DEP_1) | instskip(NEXT) | instid1(VALU_DEP_1)
	v_add_co_u32 v13, s8, s0, v13
	v_add_co_ci_u32_e64 v14, null, s4, 0, s8
	flat_load_u16 v13, v[13:14] offset:2560
.LBB289_57:
	s_or_b32 exec_lo, exec_lo, s5
	v_or_b32_e32 v14, 0x580, v0
	s_delay_alu instid0(VALU_DEP_1)
	v_cmp_gt_u32_e32 vcc_lo, s26, v14
                                        ; implicit-def: $vgpr14
	s_and_saveexec_b32 s5, vcc_lo
	s_cbranch_execz .LBB289_59
; %bb.58:
	v_lshlrev_b32_e32 v14, 1, v0
	s_delay_alu instid0(VALU_DEP_1) | instskip(NEXT) | instid1(VALU_DEP_1)
	v_add_co_u32 v14, s0, s0, v14
	v_add_co_ci_u32_e64 v15, null, s4, 0, s0
	flat_load_u16 v14, v[14:15] offset:2816
.LBB289_59:
	s_or_b32 exec_lo, exec_lo, s5
	v_mad_i32_i24 v15, 0xffffffea, v0, v8
	s_waitcnt vmcnt(0) lgkmcnt(0)
	ds_store_b16 v15, v2
	ds_store_b16 v15, v3 offset:256
	ds_store_b16 v15, v4 offset:512
	;; [unrolled: 1-line block ×11, first 2 shown]
	s_waitcnt lgkmcnt(0)
	s_barrier
.LBB289_60:
	buffer_gl0_inv
	ds_load_2addr_b64 v[14:17], v8 offset1:1
	ds_load_b64 v[25:26], v8 offset:16
	s_cmp_lg_u32 s19, 0
	v_lshrrev_b32_e32 v41, 16, v18
	s_cselect_b32 s28, -1, 0
	s_cmp_lg_u64 s[6:7], 0
	v_lshrrev_b32_e32 v40, 16, v19
	s_cselect_b32 s0, -1, 0
	v_lshrrev_b32_e32 v39, 16, v20
	v_lshrrev_b32_e32 v38, 16, v21
	v_or_b32_e32 v12, 1, v1
	v_or_b32_e32 v6, 2, v1
	;; [unrolled: 1-line block ×3, first 2 shown]
	v_add_nc_u32_e32 v7, 4, v1
	v_add_nc_u32_e32 v5, 5, v1
	;; [unrolled: 1-line block ×5, first 2 shown]
	v_lshrrev_b32_e32 v37, 16, v27
	v_lshrrev_b32_e32 v31, 16, v28
	v_add_nc_u32_e32 v10, 9, v1
	v_add_nc_u32_e32 v8, 10, v1
	v_add_nc_u32_e32 v9, 11, v1
	s_or_b32 s0, s0, s28
	s_mov_b32 s29, 0
	s_and_b32 vcc_lo, exec_lo, s0
	s_waitcnt lgkmcnt(0)
	s_barrier
	buffer_gl0_inv
	s_cbranch_vccz .LBB289_65
; %bb.61:
	v_add_co_u32 v22, s0, -2, s12
	s_delay_alu instid0(VALU_DEP_1)
	v_add_co_ci_u32_e64 v23, null, -1, s1, s0
	v_lshlrev_b32_e32 v29, 1, v0
	s_mov_b32 s1, -1
	s_and_b32 vcc_lo, exec_lo, s18
	flat_load_u16 v13, v[22:23]
	ds_store_b16 v29, v31
	s_cbranch_vccz .LBB289_66
; %bb.62:
	s_waitcnt vmcnt(0) lgkmcnt(1)
	v_mov_b32_e32 v22, v13
	s_waitcnt lgkmcnt(0)
	s_barrier
	buffer_gl0_inv
	s_and_saveexec_b32 s0, s3
	s_cbranch_execz .LBB289_64
; %bb.63:
	v_add_nc_u32_e32 v22, -2, v29
	ds_load_u16 v22, v22
.LBB289_64:
	s_or_b32 exec_lo, exec_lo, s0
	v_cmp_ne_u16_e32 vcc_lo, v28, v31
	s_waitcnt lgkmcnt(0)
	v_cmp_ne_u16_e64 s0, v22, v18
	v_cndmask_b32_e64 v23, 0, 1, vcc_lo
	v_cmp_ne_u16_e32 vcc_lo, v37, v28
	s_delay_alu instid0(VALU_DEP_2) | instskip(SKIP_2) | instid1(VALU_DEP_2)
	v_lshlrev_b16 v23, 8, v23
	v_cndmask_b32_e64 v24, 0, 1, vcc_lo
	v_cmp_ne_u16_e32 vcc_lo, v27, v37
	v_or_b32_e32 v23, v24, v23
	v_cndmask_b32_e64 v30, 0, 1, vcc_lo
	v_cmp_ne_u16_e32 vcc_lo, v38, v27
	s_delay_alu instid0(VALU_DEP_2) | instskip(SKIP_2) | instid1(VALU_DEP_2)
	v_lshlrev_b16 v30, 8, v30
	v_cndmask_b32_e64 v32, 0, 1, vcc_lo
	v_cmp_ne_u16_e32 vcc_lo, v19, v40
	v_or_b32_e32 v30, v32, v30
	v_cndmask_b32_e64 v33, 0, 1, vcc_lo
	v_cmp_ne_u16_e32 vcc_lo, v21, v38
	s_delay_alu instid0(VALU_DEP_3) | instskip(NEXT) | instid1(VALU_DEP_3)
	v_and_b32_e32 v30, 0xffff, v30
	v_lshlrev_b16 v33, 8, v33
	v_cndmask_b32_e64 v34, 0, 1, vcc_lo
	v_cmp_ne_u16_e32 vcc_lo, v41, v19
	s_delay_alu instid0(VALU_DEP_2) | instskip(SKIP_2) | instid1(VALU_DEP_2)
	v_lshlrev_b16 v34, 8, v34
	v_cndmask_b32_e64 v35, 0, 1, vcc_lo
	v_cmp_ne_u16_e32 vcc_lo, v39, v21
	v_or_b32_e32 v33, v35, v33
	v_cndmask_b32_e64 v36, 0, 1, vcc_lo
	v_cmp_ne_u16_e32 vcc_lo, v20, v39
	s_delay_alu instid0(VALU_DEP_3) | instskip(NEXT) | instid1(VALU_DEP_3)
	v_lshlrev_b32_e32 v33, 16, v33
	v_or_b32_e32 v34, v36, v34
	v_cndmask_b32_e64 v42, 0, 1, vcc_lo
	v_cmp_ne_u16_e32 vcc_lo, v40, v20
	s_delay_alu instid0(VALU_DEP_3) | instskip(NEXT) | instid1(VALU_DEP_3)
	v_lshlrev_b32_e32 v34, 16, v34
	v_lshlrev_b16 v42, 8, v42
	v_cndmask_b32_e64 v35, 0, 1, vcc_lo
	v_cmp_ne_u16_e32 vcc_lo, v18, v41
	s_delay_alu instid0(VALU_DEP_2) | instskip(SKIP_1) | instid1(VALU_DEP_2)
	v_or_b32_e32 v35, v35, v42
	v_cndmask_b32_e64 v43, 0, 1, vcc_lo
	v_and_b32_e32 v32, 0xffff, v35
	s_delay_alu instid0(VALU_DEP_2) | instskip(SKIP_1) | instid1(VALU_DEP_3)
	v_lshlrev_b16 v43, 8, v43
	v_lshlrev_b32_e32 v35, 16, v23
	v_or_b32_e32 v23, v32, v34
	s_delay_alu instid0(VALU_DEP_3) | instskip(NEXT) | instid1(VALU_DEP_3)
	v_and_b32_e32 v24, 0xffff, v43
	v_or_b32_e32 v36, v30, v35
	s_delay_alu instid0(VALU_DEP_2)
	v_or_b32_e32 v22, v24, v33
	s_branch .LBB289_70
.LBB289_65:
                                        ; implicit-def: $sgpr0
                                        ; implicit-def: $vgpr36
                                        ; implicit-def: $vgpr22_vgpr23_vgpr24
	s_branch .LBB289_71
.LBB289_66:
                                        ; implicit-def: $sgpr0
                                        ; implicit-def: $vgpr36
                                        ; implicit-def: $vgpr22_vgpr23_vgpr24
	s_and_b32 vcc_lo, exec_lo, s1
	s_cbranch_vccz .LBB289_70
; %bb.67:
	s_waitcnt vmcnt(0) lgkmcnt(0)
	s_barrier
	buffer_gl0_inv
	s_and_saveexec_b32 s0, s3
	s_cbranch_execz .LBB289_69
; %bb.68:
	v_add_nc_u32_e32 v13, -2, v29
	ds_load_u16 v13, v13
.LBB289_69:
	s_or_b32 exec_lo, exec_lo, s0
	v_cmp_gt_u32_e32 vcc_lo, s26, v9
	v_cmp_ne_u16_e64 s0, v28, v31
	v_cmp_gt_u32_e64 s1, s26, v8
	v_cmp_ne_u16_e64 s4, v37, v28
	v_cmp_gt_u32_e64 s5, s26, v10
	v_cmp_ne_u16_e64 s6, v27, v37
	s_and_b32 s0, vcc_lo, s0
	v_cmp_gt_u32_e32 vcc_lo, s26, v11
	v_cndmask_b32_e64 v22, 0, 1, s0
	s_and_b32 s0, s1, s4
	v_cmp_gt_u32_e64 s1, s26, v2
	v_cndmask_b32_e64 v23, 0, 1, s0
	s_and_b32 s0, s5, s6
	v_cmp_ne_u16_e64 s4, v21, v38
	v_cndmask_b32_e64 v24, 0, 1, s0
	v_cmp_ne_u16_e64 s0, v38, v27
	v_cmp_gt_u32_e64 s5, s26, v3
	v_cmp_ne_u16_e64 s6, v39, v21
	v_lshlrev_b16 v22, 8, v22
	v_lshlrev_b16 v24, 8, v24
	s_and_b32 s0, vcc_lo, s0
	v_cmp_gt_u32_e32 vcc_lo, s26, v4
	v_cndmask_b32_e64 v29, 0, 1, s0
	s_and_b32 s0, s1, s4
	v_cmp_gt_u32_e64 s1, s26, v5
	v_cndmask_b32_e64 v30, 0, 1, s0
	s_and_b32 s0, s5, s6
	v_cmp_gt_u32_e64 s5, s26, v6
	v_cndmask_b32_e64 v32, 0, 1, s0
	v_cmp_ne_u16_e64 s0, v19, v40
	v_cmp_ne_u16_e64 s6, v41, v19
	;; [unrolled: 1-line block ×3, first 2 shown]
	v_lshlrev_b16 v30, 8, v30
	v_or_b32_e32 v24, v29, v24
	s_and_b32 s0, vcc_lo, s0
	v_cmp_gt_u32_e32 vcc_lo, s26, v7
	v_cndmask_b32_e64 v33, 0, 1, s0
	v_cmp_ne_u16_e64 s0, v40, v20
	s_and_b32 s5, s5, s6
	v_cmp_ne_u16_e64 s6, v18, v41
	v_cndmask_b32_e64 v34, 0, 1, s5
	v_lshlrev_b16 v33, 8, v33
	v_cmp_gt_u32_e64 s5, s26, v12
	s_and_b32 s1, s1, s4
	s_and_b32 s0, vcc_lo, s0
	v_cndmask_b32_e64 v35, 0, 1, s1
	v_or_b32_e32 v33, v34, v33
	v_cndmask_b32_e64 v34, 0, 1, s0
	s_and_b32 s0, s5, s6
	v_or_b32_e32 v30, v32, v30
	v_cndmask_b32_e64 v36, 0, 1, s0
	v_lshlrev_b16 v35, 8, v35
	v_or_b32_e32 v22, v23, v22
	v_lshlrev_b32_e32 v33, 16, v33
	v_lshlrev_b32_e32 v30, 16, v30
	v_lshlrev_b16 v36, 8, v36
	v_or_b32_e32 v34, v34, v35
	v_and_b32_e32 v24, 0xffff, v24
	v_lshlrev_b32_e32 v32, 16, v22
	v_cmp_gt_u32_e32 vcc_lo, s26, v1
	v_and_b32_e32 v23, 0xffff, v36
	v_and_b32_e32 v29, 0xffff, v34
	s_waitcnt lgkmcnt(0)
	v_cmp_ne_u16_e64 s0, v13, v18
	v_or_b32_e32 v36, v24, v32
	v_or_b32_e32 v22, v23, v33
	;; [unrolled: 1-line block ×3, first 2 shown]
	s_delay_alu instid0(VALU_DEP_4)
	s_and_b32 s0, vcc_lo, s0
.LBB289_70:
	s_mov_b32 s29, -1
	s_cbranch_execnz .LBB289_79
.LBB289_71:
	s_waitcnt vmcnt(0) lgkmcnt(1)
	v_lshlrev_b32_e32 v13, 1, v0
	v_cmp_ne_u16_e64 s8, v28, v31
	v_cmp_ne_u16_e64 s9, v37, v28
	v_cmp_ne_u16_e64 s12, v27, v37
	v_cmp_ne_u16_e64 s10, v38, v27
	v_cmp_ne_u16_e64 s11, v21, v38
	v_cmp_ne_u16_e64 s4, v39, v21
	v_cmp_ne_u16_e64 s5, v20, v39
	v_cmp_ne_u16_e64 s6, v40, v20
	v_cmp_ne_u16_e64 s7, v19, v40
	v_cmp_ne_u16_e64 s0, v41, v19
	v_cmp_ne_u16_e64 s1, v18, v41
	s_and_b32 vcc_lo, exec_lo, s18
	ds_store_b16 v13, v31
	s_cbranch_vccz .LBB289_75
; %bb.72:
	v_cndmask_b32_e64 v22, 0, 1, s12
	v_cndmask_b32_e64 v23, 0, 1, s8
	;; [unrolled: 1-line block ×5, first 2 shown]
	v_lshlrev_b16 v22, 8, v22
	v_cndmask_b32_e64 v35, 0, 1, s7
	v_cndmask_b32_e64 v36, 0, 1, s1
	;; [unrolled: 1-line block ×5, first 2 shown]
	v_or_b32_e32 v22, v29, v22
	v_cndmask_b32_e64 v29, 0, 1, s0
	v_lshlrev_b16 v23, 8, v23
	v_lshlrev_b16 v33, 8, v33
	;; [unrolled: 1-line block ×5, first 2 shown]
	v_or_b32_e32 v23, v24, v23
	v_or_b32_e32 v24, v34, v33
	;; [unrolled: 1-line block ×5, first 2 shown]
	v_and_b32_e32 v22, 0xffff, v22
	v_lshlrev_b32_e32 v23, 16, v23
	v_and_b32_e32 v24, 0xffff, v24
	v_lshlrev_b32_e32 v30, 16, v30
	v_lshlrev_b32_e32 v29, 16, v29
	v_and_b32_e32 v32, 0xffff, v32
	v_or_b32_e32 v36, v22, v23
	s_waitcnt lgkmcnt(0)
	v_or_b32_e32 v23, v24, v30
	s_barrier
	v_or_b32_e32 v22, v32, v29
	buffer_gl0_inv
                                        ; implicit-def: $sgpr0
	s_and_saveexec_b32 s1, s3
	s_delay_alu instid0(SALU_CYCLE_1)
	s_xor_b32 s1, exec_lo, s1
	s_cbranch_execz .LBB289_74
; %bb.73:
	v_add_nc_u32_e32 v24, -2, v13
	s_or_b32 s29, s29, exec_lo
	ds_load_u16 v24, v24
	s_waitcnt lgkmcnt(0)
	v_cmp_ne_u16_e32 vcc_lo, v24, v18
	s_and_b32 s0, vcc_lo, exec_lo
.LBB289_74:
	s_or_b32 exec_lo, exec_lo, s1
	s_branch .LBB289_79
.LBB289_75:
                                        ; implicit-def: $sgpr0
                                        ; implicit-def: $vgpr36
                                        ; implicit-def: $vgpr22_vgpr23_vgpr24
	s_cbranch_execz .LBB289_79
; %bb.76:
	v_cmp_gt_u32_e32 vcc_lo, s26, v9
	v_cmp_ne_u16_e64 s0, v28, v31
	v_cmp_gt_u32_e64 s1, s26, v8
	v_cmp_ne_u16_e64 s4, v37, v28
	v_cmp_gt_u32_e64 s5, s26, v2
	v_cmp_ne_u16_e64 s6, v21, v38
	s_and_b32 s0, vcc_lo, s0
	v_cmp_gt_u32_e32 vcc_lo, s26, v10
	v_cndmask_b32_e64 v22, 0, 1, s0
	s_and_b32 s0, s1, s4
	v_cmp_gt_u32_e64 s1, s26, v11
	v_cndmask_b32_e64 v23, 0, 1, s0
	v_cmp_ne_u16_e64 s0, v27, v37
	v_cmp_ne_u16_e64 s4, v38, v27
	v_lshlrev_b16 v22, 8, v22
	s_waitcnt lgkmcnt(0)
	s_barrier
	s_and_b32 s0, vcc_lo, s0
	v_cmp_gt_u32_e32 vcc_lo, s26, v3
	v_cndmask_b32_e64 v24, 0, 1, s0
	s_and_b32 s0, s1, s4
	v_cmp_gt_u32_e64 s1, s26, v5
	v_cndmask_b32_e64 v29, 0, 1, s0
	s_and_b32 s0, s5, s6
	v_cmp_ne_u16_e64 s4, v20, v39
	v_cndmask_b32_e64 v30, 0, 1, s0
	v_cmp_ne_u16_e64 s0, v39, v21
	v_cmp_gt_u32_e64 s5, s26, v7
	v_cmp_ne_u16_e64 s6, v40, v20
	v_lshlrev_b16 v24, 8, v24
	v_lshlrev_b16 v30, 8, v30
	s_and_b32 s0, vcc_lo, s0
	v_cmp_gt_u32_e32 vcc_lo, s26, v4
	v_cndmask_b32_e64 v32, 0, 1, s0
	s_and_b32 s0, s1, s4
	v_cmp_gt_u32_e64 s1, s26, v6
	v_cndmask_b32_e64 v33, 0, 1, s0
	s_and_b32 s0, s5, s6
	v_cmp_ne_u16_e64 s4, v41, v19
	v_cndmask_b32_e64 v34, 0, 1, s0
	v_cmp_ne_u16_e64 s0, v19, v40
	v_cmp_gt_u32_e64 s5, s26, v12
	v_cmp_ne_u16_e64 s6, v18, v41
	v_or_b32_e32 v24, v29, v24
	v_lshlrev_b16 v33, 8, v33
	s_and_b32 s0, vcc_lo, s0
	v_or_b32_e32 v22, v23, v22
	v_cndmask_b32_e64 v35, 0, 1, s0
	s_and_b32 s0, s1, s4
	v_or_b32_e32 v23, v34, v33
	v_cndmask_b32_e64 v29, 0, 1, s0
	s_and_b32 s0, s5, s6
	v_lshlrev_b16 v35, 8, v35
	v_cndmask_b32_e64 v36, 0, 1, s0
	v_or_b32_e32 v30, v32, v30
	v_and_b32_e32 v24, 0xffff, v24
	v_lshlrev_b32_e32 v22, 16, v22
	v_or_b32_e32 v29, v29, v35
	v_lshlrev_b16 v36, 8, v36
	v_and_b32_e32 v23, 0xffff, v23
	v_lshlrev_b32_e32 v30, 16, v30
	buffer_gl0_inv
	v_lshlrev_b32_e32 v29, 16, v29
	v_or_b32_e32 v32, 1, v36
	v_or_b32_e32 v36, v24, v22
	;; [unrolled: 1-line block ×3, first 2 shown]
                                        ; implicit-def: $sgpr0
	s_delay_alu instid0(VALU_DEP_3) | instskip(NEXT) | instid1(VALU_DEP_1)
	v_and_b32_e32 v32, 0xffff, v32
	v_or_b32_e32 v22, v32, v29
	s_and_saveexec_b32 s1, s3
	s_cbranch_execz .LBB289_78
; %bb.77:
	v_add_nc_u32_e32 v13, -2, v13
	v_cmp_gt_u32_e32 vcc_lo, s26, v1
	s_or_b32 s29, s29, exec_lo
	ds_load_u16 v13, v13
	s_waitcnt lgkmcnt(0)
	v_cmp_ne_u16_e64 s0, v13, v18
	s_delay_alu instid0(VALU_DEP_1) | instskip(NEXT) | instid1(SALU_CYCLE_1)
	s_and_b32 s0, vcc_lo, s0
	s_and_b32 s0, s0, exec_lo
.LBB289_78:
	s_or_b32 exec_lo, exec_lo, s1
.LBB289_79:
	s_and_saveexec_b32 s1, s29
	s_cbranch_execz .LBB289_81
; %bb.80:
	s_waitcnt vmcnt(0) lgkmcnt(1)
	v_and_b32_e32 v13, 0xffffff00, v22
	v_cndmask_b32_e64 v24, 0, 1, s0
	s_delay_alu instid0(VALU_DEP_1) | instskip(NEXT) | instid1(VALU_DEP_1)
	v_or_b32_e32 v13, v24, v13
	v_and_b32_e32 v13, 0xffff, v13
	s_delay_alu instid0(VALU_DEP_1)
	v_and_or_b32 v22, 0xffff0000, v22, v13
.LBB289_81:
	s_or_b32 exec_lo, exec_lo, s1
	s_delay_alu instid0(SALU_CYCLE_1)
	s_and_not1_b32 vcc_lo, exec_lo, s27
	s_cbranch_vccnz .LBB289_83
; %bb.82:
	v_cmp_gt_u32_e32 vcc_lo, s26, v1
	v_cmp_gt_u32_e64 s1, s26, v6
	v_cmp_gt_u32_e64 s4, s26, v4
	;; [unrolled: 1-line block ×4, first 2 shown]
	v_cndmask_b32_e32 v1, 0, v22, vcc_lo
	v_cmp_gt_u32_e32 vcc_lo, s26, v12
	v_and_b32_e32 v12, 0xffffff00, v23
	v_cmp_gt_u32_e64 s5, s26, v3
	s_delay_alu instid0(VALU_DEP_4) | instskip(NEXT) | instid1(VALU_DEP_3)
	v_and_b32_e32 v1, 0xff, v1
	v_cndmask_b32_e64 v7, v12, v23, s0
	s_delay_alu instid0(VALU_DEP_2) | instskip(SKIP_1) | instid1(VALU_DEP_3)
	v_cndmask_b32_e32 v1, v1, v22, vcc_lo
	v_cmp_gt_u32_e32 vcc_lo, s26, v11
	v_and_b32_e32 v7, 0xffff00ff, v7
	s_delay_alu instid0(VALU_DEP_3) | instskip(SKIP_1) | instid1(VALU_DEP_3)
	v_and_b32_e32 v1, 0xffff, v1
	v_cndmask_b32_e32 v11, 0, v36, vcc_lo
	v_cndmask_b32_e64 v5, v7, v23, s3
	s_delay_alu instid0(VALU_DEP_3) | instskip(SKIP_1) | instid1(VALU_DEP_3)
	v_cndmask_b32_e64 v1, v1, v22, s1
	v_cmp_gt_u32_e64 s1, s26, v10
	v_and_b32_e32 v5, 0xff00ffff, v5
	s_delay_alu instid0(VALU_DEP_3) | instskip(NEXT) | instid1(VALU_DEP_2)
	v_and_b32_e32 v1, 0xffffff, v1
	v_cndmask_b32_e64 v3, v5, v23, s5
	s_delay_alu instid0(VALU_DEP_2) | instskip(SKIP_1) | instid1(VALU_DEP_2)
	v_cndmask_b32_e64 v1, v1, v22, s4
	v_cmp_gt_u32_e64 s4, s26, v8
	v_cndmask_b32_e64 v1, v1, v22, s0
	v_cmp_gt_u32_e64 s0, s26, v9
	s_delay_alu instid0(VALU_DEP_2) | instskip(SKIP_2) | instid1(VALU_DEP_3)
	v_cndmask_b32_e64 v1, v1, v22, s3
	v_cmp_gt_u32_e64 s3, s26, v2
	v_and_b32_e32 v2, 0xffffff, v3
	v_cndmask_b32_e64 v1, v1, v22, s5
	v_and_b32_e32 v11, 0xff, v11
	s_delay_alu instid0(VALU_DEP_1) | instskip(NEXT) | instid1(VALU_DEP_1)
	v_cndmask_b32_e64 v6, v11, v36, s1
	v_and_b32_e32 v6, 0xffff, v6
	s_delay_alu instid0(VALU_DEP_1) | instskip(NEXT) | instid1(VALU_DEP_1)
	v_cndmask_b32_e64 v4, v6, v36, s4
	v_and_b32_e32 v4, 0xffffff, v4
	s_delay_alu instid0(VALU_DEP_1) | instskip(SKIP_1) | instid1(SALU_CYCLE_1)
	v_cndmask_b32_e64 v36, v4, v36, s0
	s_or_b32 s0, s0, s4
	s_or_b32 s0, s0, s1
	s_delay_alu instid0(SALU_CYCLE_1) | instskip(NEXT) | instid1(SALU_CYCLE_1)
	s_or_b32 s0, s0, vcc_lo
	s_or_b32 vcc_lo, s0, s3
	v_dual_cndmask_b32 v22, v1, v22 :: v_dual_cndmask_b32 v23, v2, v23
.LBB289_83:
	s_delay_alu instid0(VALU_DEP_1) | instskip(NEXT) | instid1(VALU_DEP_2)
	v_and_b32_e32 v42, 0xff, v22
	v_alignbit_b32 v1, v23, v22, 24
	v_bfe_u32 v43, v22, 8, 8
	v_bfe_u32 v44, v22, 16, 8
	v_and_b32_e32 v46, 0xff, v23
	v_bfe_u32 v47, v23, 8, 8
	v_and_b32_e32 v45, 0xff, v1
	v_dual_mov_b32 v1, v36 :: v_dual_add_nc_u32 v2, v43, v42
	v_bfe_u32 v48, v23, 16, 8
	v_lshrrev_b32_e32 v24, 24, v23
	v_and_b32_e32 v49, 0xff, v36
	v_mbcnt_lo_u32_b32 v52, -1, 0
	v_add3_u32 v2, v2, v44, v45
	v_bfe_u32 v50, v36, 8, 8
	v_alignbit_b32 v3, s0, v36, 24
	v_bfe_u32 v51, v36, 16, 8
	v_and_b32_e32 v4, 15, v52
	v_add3_u32 v2, v2, v46, v47
	v_or_b32_e32 v5, 31, v0
	v_and_b32_e32 v3, 0xff, v3
	v_and_b32_e32 v6, 16, v52
	v_cmp_eq_u32_e64 s6, 0, v4
	v_add3_u32 v2, v2, v48, v24
	v_cmp_lt_u32_e64 s5, 1, v4
	v_cmp_lt_u32_e64 s4, 3, v4
	;; [unrolled: 1-line block ×3, first 2 shown]
	v_cmp_eq_u32_e64 s1, 0, v6
	v_add3_u32 v2, v2, v49, v50
	v_lshrrev_b32_e32 v53, 5, v0
	v_cmp_eq_u32_e64 s0, v5, v0
	s_and_b32 vcc_lo, exec_lo, s28
	s_mov_b32 s7, -1
	v_add3_u32 v54, v2, v51, v3
	s_waitcnt vmcnt(0) lgkmcnt(0)
	s_barrier
	buffer_gl0_inv
	s_cbranch_vccz .LBB289_114
; %bb.84:
	v_mov_b32_dpp v2, v54 row_shr:1 row_mask:0xf bank_mask:0xf
	s_delay_alu instid0(VALU_DEP_1) | instskip(NEXT) | instid1(VALU_DEP_1)
	v_cndmask_b32_e64 v2, v2, 0, s6
	v_add_nc_u32_e32 v2, v2, v54
	s_delay_alu instid0(VALU_DEP_1) | instskip(NEXT) | instid1(VALU_DEP_1)
	v_mov_b32_dpp v3, v2 row_shr:2 row_mask:0xf bank_mask:0xf
	v_cndmask_b32_e64 v3, 0, v3, s5
	s_delay_alu instid0(VALU_DEP_1) | instskip(NEXT) | instid1(VALU_DEP_1)
	v_add_nc_u32_e32 v2, v2, v3
	v_mov_b32_dpp v3, v2 row_shr:4 row_mask:0xf bank_mask:0xf
	s_delay_alu instid0(VALU_DEP_1) | instskip(NEXT) | instid1(VALU_DEP_1)
	v_cndmask_b32_e64 v3, 0, v3, s4
	v_add_nc_u32_e32 v2, v2, v3
	s_delay_alu instid0(VALU_DEP_1) | instskip(NEXT) | instid1(VALU_DEP_1)
	v_mov_b32_dpp v3, v2 row_shr:8 row_mask:0xf bank_mask:0xf
	v_cndmask_b32_e64 v3, 0, v3, s3
	s_delay_alu instid0(VALU_DEP_1) | instskip(SKIP_3) | instid1(VALU_DEP_1)
	v_add_nc_u32_e32 v2, v2, v3
	ds_swizzle_b32 v3, v2 offset:swizzle(BROADCAST,32,15)
	s_waitcnt lgkmcnt(0)
	v_cndmask_b32_e64 v3, v3, 0, s1
	v_add_nc_u32_e32 v2, v2, v3
	s_and_saveexec_b32 s7, s0
	s_cbranch_execz .LBB289_86
; %bb.85:
	v_lshlrev_b32_e32 v3, 2, v53
	ds_store_b32 v3, v2
.LBB289_86:
	s_or_b32 exec_lo, exec_lo, s7
	s_delay_alu instid0(SALU_CYCLE_1)
	s_mov_b32 s7, exec_lo
	s_waitcnt lgkmcnt(0)
	s_barrier
	buffer_gl0_inv
	v_cmpx_gt_u32_e32 4, v0
	s_cbranch_execz .LBB289_88
; %bb.87:
	v_and_b32_e32 v5, 3, v52
	s_delay_alu instid0(VALU_DEP_1) | instskip(SKIP_4) | instid1(VALU_DEP_1)
	v_cmp_ne_u32_e32 vcc_lo, 0, v5
	v_lshlrev_b32_e32 v3, 2, v0
	ds_load_b32 v4, v3
	s_waitcnt lgkmcnt(0)
	v_mov_b32_dpp v6, v4 row_shr:1 row_mask:0xf bank_mask:0xf
	v_cndmask_b32_e32 v6, 0, v6, vcc_lo
	v_cmp_lt_u32_e32 vcc_lo, 1, v5
	s_delay_alu instid0(VALU_DEP_2) | instskip(NEXT) | instid1(VALU_DEP_1)
	v_add_nc_u32_e32 v4, v6, v4
	v_mov_b32_dpp v6, v4 row_shr:2 row_mask:0xf bank_mask:0xf
	s_delay_alu instid0(VALU_DEP_1) | instskip(NEXT) | instid1(VALU_DEP_1)
	v_cndmask_b32_e32 v5, 0, v6, vcc_lo
	v_add_nc_u32_e32 v4, v4, v5
	ds_store_b32 v3, v4
.LBB289_88:
	s_or_b32 exec_lo, exec_lo, s7
	v_cmp_gt_u32_e32 vcc_lo, 32, v0
	s_mov_b32 s8, exec_lo
	s_waitcnt lgkmcnt(0)
	s_barrier
	buffer_gl0_inv
                                        ; implicit-def: $vgpr10
	v_cmpx_lt_u32_e32 31, v0
	s_cbranch_execz .LBB289_90
; %bb.89:
	v_lshl_add_u32 v3, v53, 2, -4
	ds_load_b32 v10, v3
	s_waitcnt lgkmcnt(0)
	v_add_nc_u32_e32 v2, v10, v2
.LBB289_90:
	s_or_b32 exec_lo, exec_lo, s8
	v_add_nc_u32_e32 v3, -1, v52
	s_delay_alu instid0(VALU_DEP_1) | instskip(NEXT) | instid1(VALU_DEP_1)
	v_cmp_gt_i32_e64 s7, 0, v3
	v_cndmask_b32_e64 v3, v3, v52, s7
	v_cmp_eq_u32_e64 s7, 0, v52
	s_delay_alu instid0(VALU_DEP_2)
	v_lshlrev_b32_e32 v3, 2, v3
	ds_bpermute_b32 v11, v3, v2
	s_and_saveexec_b32 s8, vcc_lo
	s_cbranch_execz .LBB289_113
; %bb.91:
	v_mov_b32_e32 v6, 0
	ds_load_b32 v2, v6 offset:12
	s_and_saveexec_b32 s9, s7
	s_cbranch_execz .LBB289_93
; %bb.92:
	s_add_i32 s10, s19, 32
	s_mov_b32 s11, 0
	v_mov_b32_e32 v3, 1
	s_lshl_b64 s[10:11], s[10:11], 3
	s_delay_alu instid0(SALU_CYCLE_1)
	s_add_u32 s10, s24, s10
	s_addc_u32 s11, s25, s11
	s_waitcnt lgkmcnt(0)
	global_store_b64 v6, v[2:3], s[10:11]
.LBB289_93:
	s_or_b32 exec_lo, exec_lo, s9
	v_xad_u32 v4, v52, -1, s19
	s_mov_b32 s10, 0
	s_mov_b32 s9, exec_lo
	s_delay_alu instid0(VALU_DEP_1) | instskip(NEXT) | instid1(VALU_DEP_1)
	v_add_nc_u32_e32 v5, 32, v4
	v_lshlrev_b64 v[5:6], 3, v[5:6]
	s_delay_alu instid0(VALU_DEP_1) | instskip(NEXT) | instid1(VALU_DEP_2)
	v_add_co_u32 v8, vcc_lo, s24, v5
	v_add_co_ci_u32_e32 v9, vcc_lo, s25, v6, vcc_lo
	global_load_b64 v[6:7], v[8:9], off glc
	s_waitcnt vmcnt(0)
	v_and_b32_e32 v3, 0xff, v7
	s_delay_alu instid0(VALU_DEP_1)
	v_cmpx_eq_u16_e32 0, v3
	s_cbranch_execz .LBB289_99
; %bb.94:
	s_mov_b32 s11, 1
	.p2align	6
.LBB289_95:                             ; =>This Loop Header: Depth=1
                                        ;     Child Loop BB289_96 Depth 2
	s_delay_alu instid0(SALU_CYCLE_1)
	s_max_u32 s12, s11, 1
.LBB289_96:                             ;   Parent Loop BB289_95 Depth=1
                                        ; =>  This Inner Loop Header: Depth=2
	s_delay_alu instid0(SALU_CYCLE_1)
	s_add_i32 s12, s12, -1
	s_sleep 1
	s_cmp_eq_u32 s12, 0
	s_cbranch_scc0 .LBB289_96
; %bb.97:                               ;   in Loop: Header=BB289_95 Depth=1
	global_load_b64 v[6:7], v[8:9], off glc
	s_cmp_lt_u32 s11, 32
	s_cselect_b32 s12, -1, 0
	s_delay_alu instid0(SALU_CYCLE_1) | instskip(SKIP_3) | instid1(VALU_DEP_1)
	s_cmp_lg_u32 s12, 0
	s_addc_u32 s11, s11, 0
	s_waitcnt vmcnt(0)
	v_and_b32_e32 v3, 0xff, v7
	v_cmp_ne_u16_e32 vcc_lo, 0, v3
	s_or_b32 s10, vcc_lo, s10
	s_delay_alu instid0(SALU_CYCLE_1)
	s_and_not1_b32 exec_lo, exec_lo, s10
	s_cbranch_execnz .LBB289_95
; %bb.98:
	s_or_b32 exec_lo, exec_lo, s10
.LBB289_99:
	s_delay_alu instid0(SALU_CYCLE_1)
	s_or_b32 exec_lo, exec_lo, s9
	v_cmp_ne_u32_e32 vcc_lo, 31, v52
	v_lshlrev_b32_e64 v13, v52, -1
	v_add_nc_u32_e32 v30, 2, v52
	v_add_nc_u32_e32 v56, 16, v52
	v_add_co_ci_u32_e32 v3, vcc_lo, 0, v52, vcc_lo
	s_delay_alu instid0(VALU_DEP_1)
	v_lshlrev_b32_e32 v12, 2, v3
	v_and_b32_e32 v3, 0xff, v7
	ds_bpermute_b32 v5, v12, v6
	v_cmp_eq_u16_e32 vcc_lo, 2, v3
	v_and_or_b32 v3, vcc_lo, v13, 0x80000000
	v_cmp_gt_u32_e32 vcc_lo, 30, v52
	s_delay_alu instid0(VALU_DEP_2) | instskip(SKIP_1) | instid1(VALU_DEP_2)
	v_ctz_i32_b32_e32 v3, v3
	v_cndmask_b32_e64 v8, 0, 1, vcc_lo
	v_cmp_lt_u32_e32 vcc_lo, v52, v3
	s_waitcnt lgkmcnt(0)
	s_delay_alu instid0(VALU_DEP_2) | instskip(NEXT) | instid1(VALU_DEP_1)
	v_dual_cndmask_b32 v5, 0, v5 :: v_dual_lshlrev_b32 v8, 1, v8
	v_add_lshl_u32 v29, v8, v52, 2
	v_cmp_gt_u32_e32 vcc_lo, 28, v52
	s_delay_alu instid0(VALU_DEP_3) | instskip(SKIP_4) | instid1(VALU_DEP_1)
	v_add_nc_u32_e32 v5, v5, v6
	v_cndmask_b32_e64 v8, 0, 1, vcc_lo
	v_cmp_le_u32_e32 vcc_lo, v30, v3
	ds_bpermute_b32 v6, v29, v5
	v_lshlrev_b32_e32 v8, 2, v8
	v_add_lshl_u32 v32, v8, v52, 2
	s_waitcnt lgkmcnt(0)
	v_cndmask_b32_e32 v6, 0, v6, vcc_lo
	v_cmp_gt_u32_e32 vcc_lo, 24, v52
	s_delay_alu instid0(VALU_DEP_2) | instskip(SKIP_4) | instid1(VALU_DEP_2)
	v_add_nc_u32_e32 v5, v5, v6
	v_cndmask_b32_e64 v8, 0, 1, vcc_lo
	ds_bpermute_b32 v6, v32, v5
	v_add_nc_u32_e32 v33, 4, v52
	v_lshlrev_b32_e32 v8, 3, v8
	v_cmp_le_u32_e32 vcc_lo, v33, v3
	s_delay_alu instid0(VALU_DEP_2) | instskip(SKIP_3) | instid1(VALU_DEP_2)
	v_add_lshl_u32 v34, v8, v52, 2
	s_waitcnt lgkmcnt(0)
	v_cndmask_b32_e32 v6, 0, v6, vcc_lo
	v_cmp_gt_u32_e32 vcc_lo, 16, v52
	v_add_nc_u32_e32 v5, v5, v6
	v_cndmask_b32_e64 v8, 0, 1, vcc_lo
	ds_bpermute_b32 v6, v34, v5
	v_add_nc_u32_e32 v35, 8, v52
	v_lshlrev_b32_e32 v8, 4, v8
	s_delay_alu instid0(VALU_DEP_2) | instskip(NEXT) | instid1(VALU_DEP_2)
	v_cmp_le_u32_e32 vcc_lo, v35, v3
	v_add_lshl_u32 v55, v8, v52, 2
	s_waitcnt lgkmcnt(0)
	v_cndmask_b32_e32 v6, 0, v6, vcc_lo
	v_cmp_le_u32_e32 vcc_lo, v56, v3
	s_delay_alu instid0(VALU_DEP_2) | instskip(SKIP_3) | instid1(VALU_DEP_1)
	v_add_nc_u32_e32 v5, v5, v6
	ds_bpermute_b32 v6, v55, v5
	s_waitcnt lgkmcnt(0)
	v_cndmask_b32_e32 v3, 0, v6, vcc_lo
	v_dual_mov_b32 v5, 0 :: v_dual_add_nc_u32 v6, v5, v3
	s_branch .LBB289_101
.LBB289_100:                            ;   in Loop: Header=BB289_101 Depth=1
	s_or_b32 exec_lo, exec_lo, s9
	ds_bpermute_b32 v9, v12, v6
	v_and_b32_e32 v8, 0xff, v7
	v_subrev_nc_u32_e32 v4, 32, v4
	s_delay_alu instid0(VALU_DEP_2) | instskip(SKIP_1) | instid1(VALU_DEP_1)
	v_cmp_eq_u16_e32 vcc_lo, 2, v8
	v_and_or_b32 v8, vcc_lo, v13, 0x80000000
	v_ctz_i32_b32_e32 v8, v8
	s_delay_alu instid0(VALU_DEP_1) | instskip(SKIP_3) | instid1(VALU_DEP_2)
	v_cmp_lt_u32_e32 vcc_lo, v52, v8
	s_waitcnt lgkmcnt(0)
	v_cndmask_b32_e32 v9, 0, v9, vcc_lo
	v_cmp_le_u32_e32 vcc_lo, v30, v8
	v_add_nc_u32_e32 v6, v9, v6
	ds_bpermute_b32 v9, v29, v6
	s_waitcnt lgkmcnt(0)
	v_cndmask_b32_e32 v9, 0, v9, vcc_lo
	v_cmp_le_u32_e32 vcc_lo, v33, v8
	s_delay_alu instid0(VALU_DEP_2) | instskip(SKIP_4) | instid1(VALU_DEP_2)
	v_add_nc_u32_e32 v6, v6, v9
	ds_bpermute_b32 v9, v32, v6
	s_waitcnt lgkmcnt(0)
	v_cndmask_b32_e32 v9, 0, v9, vcc_lo
	v_cmp_le_u32_e32 vcc_lo, v35, v8
	v_add_nc_u32_e32 v6, v6, v9
	ds_bpermute_b32 v9, v34, v6
	s_waitcnt lgkmcnt(0)
	v_cndmask_b32_e32 v9, 0, v9, vcc_lo
	v_cmp_le_u32_e32 vcc_lo, v56, v8
	s_delay_alu instid0(VALU_DEP_2) | instskip(SKIP_3) | instid1(VALU_DEP_1)
	v_add_nc_u32_e32 v6, v6, v9
	ds_bpermute_b32 v9, v55, v6
	s_waitcnt lgkmcnt(0)
	v_cndmask_b32_e32 v8, 0, v9, vcc_lo
	v_add3_u32 v6, v8, v3, v6
.LBB289_101:                            ; =>This Loop Header: Depth=1
                                        ;     Child Loop BB289_104 Depth 2
                                        ;       Child Loop BB289_105 Depth 3
	v_and_b32_e32 v3, 0xff, v7
	s_delay_alu instid0(VALU_DEP_1) | instskip(SKIP_2) | instid1(VALU_DEP_1)
	v_cmp_ne_u16_e32 vcc_lo, 2, v3
	v_cndmask_b32_e64 v3, 0, 1, vcc_lo
	;;#ASMSTART
	;;#ASMEND
	v_cmp_ne_u32_e32 vcc_lo, 0, v3
	v_mov_b32_e32 v3, v6
	s_cmp_lg_u32 vcc_lo, exec_lo
	s_cbranch_scc1 .LBB289_108
; %bb.102:                              ;   in Loop: Header=BB289_101 Depth=1
	v_lshlrev_b64 v[6:7], 3, v[4:5]
	s_mov_b32 s9, exec_lo
	s_delay_alu instid0(VALU_DEP_1) | instskip(NEXT) | instid1(VALU_DEP_2)
	v_add_co_u32 v8, vcc_lo, s24, v6
	v_add_co_ci_u32_e32 v9, vcc_lo, s25, v7, vcc_lo
	global_load_b64 v[6:7], v[8:9], off glc
	s_waitcnt vmcnt(0)
	v_and_b32_e32 v57, 0xff, v7
	s_delay_alu instid0(VALU_DEP_1)
	v_cmpx_eq_u16_e32 0, v57
	s_cbranch_execz .LBB289_100
; %bb.103:                              ;   in Loop: Header=BB289_101 Depth=1
	s_mov_b32 s11, 1
	s_mov_b32 s10, 0
	.p2align	6
.LBB289_104:                            ;   Parent Loop BB289_101 Depth=1
                                        ; =>  This Loop Header: Depth=2
                                        ;       Child Loop BB289_105 Depth 3
	s_max_u32 s12, s11, 1
.LBB289_105:                            ;   Parent Loop BB289_101 Depth=1
                                        ;     Parent Loop BB289_104 Depth=2
                                        ; =>    This Inner Loop Header: Depth=3
	s_delay_alu instid0(SALU_CYCLE_1)
	s_add_i32 s12, s12, -1
	s_sleep 1
	s_cmp_eq_u32 s12, 0
	s_cbranch_scc0 .LBB289_105
; %bb.106:                              ;   in Loop: Header=BB289_104 Depth=2
	global_load_b64 v[6:7], v[8:9], off glc
	s_cmp_lt_u32 s11, 32
	s_cselect_b32 s12, -1, 0
	s_delay_alu instid0(SALU_CYCLE_1) | instskip(SKIP_3) | instid1(VALU_DEP_1)
	s_cmp_lg_u32 s12, 0
	s_addc_u32 s11, s11, 0
	s_waitcnt vmcnt(0)
	v_and_b32_e32 v57, 0xff, v7
	v_cmp_ne_u16_e32 vcc_lo, 0, v57
	s_or_b32 s10, vcc_lo, s10
	s_delay_alu instid0(SALU_CYCLE_1)
	s_and_not1_b32 exec_lo, exec_lo, s10
	s_cbranch_execnz .LBB289_104
; %bb.107:                              ;   in Loop: Header=BB289_101 Depth=1
	s_or_b32 exec_lo, exec_lo, s10
	s_branch .LBB289_100
.LBB289_108:                            ;   in Loop: Header=BB289_101 Depth=1
                                        ; implicit-def: $vgpr6
                                        ; implicit-def: $vgpr7
	s_cbranch_execz .LBB289_101
; %bb.109:
	s_and_saveexec_b32 s9, s7
	s_cbranch_execz .LBB289_111
; %bb.110:
	s_add_i32 s10, s19, 32
	s_mov_b32 s11, 0
	v_dual_mov_b32 v5, 2 :: v_dual_add_nc_u32 v4, v3, v2
	s_lshl_b64 s[10:11], s[10:11], 3
	v_mov_b32_e32 v6, 0
	s_add_u32 s10, s24, s10
	s_addc_u32 s11, s25, s11
	global_store_b64 v6, v[4:5], s[10:11]
	ds_store_b64 v6, v[2:3] offset:3072
.LBB289_111:
	s_or_b32 exec_lo, exec_lo, s9
	s_delay_alu instid0(SALU_CYCLE_1)
	s_and_b32 exec_lo, exec_lo, s2
	s_cbranch_execz .LBB289_113
; %bb.112:
	v_mov_b32_e32 v2, 0
	ds_store_b32 v2, v3 offset:12
.LBB289_113:
	s_or_b32 exec_lo, exec_lo, s8
	v_mov_b32_e32 v12, 0
	s_waitcnt lgkmcnt(0)
	s_waitcnt_vscnt null, 0x0
	s_barrier
	buffer_gl0_inv
	v_cndmask_b32_e64 v3, v11, v10, s7
	ds_load_b32 v2, v12 offset:12
	s_waitcnt lgkmcnt(0)
	s_barrier
	buffer_gl0_inv
	v_cndmask_b32_e64 v3, v3, 0, s2
	s_delay_alu instid0(VALU_DEP_1) | instskip(NEXT) | instid1(VALU_DEP_1)
	v_add_nc_u32_e32 v2, v2, v3
	v_add_nc_u32_e32 v3, v2, v42
	ds_load_b64 v[29:30], v12 offset:3072
	v_add_nc_u32_e32 v4, v3, v43
	s_delay_alu instid0(VALU_DEP_1) | instskip(NEXT) | instid1(VALU_DEP_1)
	v_add_nc_u32_e32 v5, v4, v44
	v_add_nc_u32_e32 v6, v5, v45
	s_delay_alu instid0(VALU_DEP_1) | instskip(NEXT) | instid1(VALU_DEP_1)
	v_add_nc_u32_e32 v7, v6, v46
	;; [unrolled: 3-line block ×4, first 2 shown]
	v_add_nc_u32_e32 v12, v11, v50
	s_delay_alu instid0(VALU_DEP_1)
	v_add_nc_u32_e32 v13, v12, v51
	v_lshrrev_b64 v[34:35], 24, v[22:23]
	v_lshrrev_b64 v[32:33], 24, v[1:2]
	s_branch .LBB289_124
.LBB289_114:
                                        ; implicit-def: $vgpr30
                                        ; implicit-def: $vgpr2_vgpr3_vgpr4_vgpr5_vgpr6_vgpr7_vgpr8_vgpr9_vgpr10_vgpr11_vgpr12_vgpr13
                                        ; implicit-def: $vgpr29
	v_lshrrev_b64 v[34:35], 24, v[22:23]
	v_lshrrev_b64 v[32:33], 24, v[1:2]
	s_and_b32 vcc_lo, exec_lo, s7
	s_cbranch_vccz .LBB289_124
; %bb.115:
	v_mov_b32_dpp v1, v54 row_shr:1 row_mask:0xf bank_mask:0xf
	s_delay_alu instid0(VALU_DEP_1) | instskip(NEXT) | instid1(VALU_DEP_1)
	v_cndmask_b32_e64 v1, v1, 0, s6
	v_add_nc_u32_e32 v1, v1, v54
	s_delay_alu instid0(VALU_DEP_1) | instskip(NEXT) | instid1(VALU_DEP_1)
	v_mov_b32_dpp v2, v1 row_shr:2 row_mask:0xf bank_mask:0xf
	v_cndmask_b32_e64 v2, 0, v2, s5
	s_delay_alu instid0(VALU_DEP_1) | instskip(NEXT) | instid1(VALU_DEP_1)
	v_add_nc_u32_e32 v1, v1, v2
	v_mov_b32_dpp v2, v1 row_shr:4 row_mask:0xf bank_mask:0xf
	s_delay_alu instid0(VALU_DEP_1) | instskip(NEXT) | instid1(VALU_DEP_1)
	v_cndmask_b32_e64 v2, 0, v2, s4
	v_add_nc_u32_e32 v1, v1, v2
	s_delay_alu instid0(VALU_DEP_1) | instskip(NEXT) | instid1(VALU_DEP_1)
	v_mov_b32_dpp v2, v1 row_shr:8 row_mask:0xf bank_mask:0xf
	v_cndmask_b32_e64 v2, 0, v2, s3
	s_delay_alu instid0(VALU_DEP_1) | instskip(SKIP_3) | instid1(VALU_DEP_1)
	v_add_nc_u32_e32 v1, v1, v2
	ds_swizzle_b32 v2, v1 offset:swizzle(BROADCAST,32,15)
	s_waitcnt lgkmcnt(0)
	v_cndmask_b32_e64 v2, v2, 0, s1
	v_add_nc_u32_e32 v1, v1, v2
	s_and_saveexec_b32 s1, s0
	s_cbranch_execz .LBB289_117
; %bb.116:
	v_lshlrev_b32_e32 v2, 2, v53
	ds_store_b32 v2, v1
.LBB289_117:
	s_or_b32 exec_lo, exec_lo, s1
	s_delay_alu instid0(SALU_CYCLE_1)
	s_mov_b32 s0, exec_lo
	s_waitcnt lgkmcnt(0)
	s_barrier
	buffer_gl0_inv
	v_cmpx_gt_u32_e32 4, v0
	s_cbranch_execz .LBB289_119
; %bb.118:
	v_and_b32_e32 v4, 3, v52
	s_delay_alu instid0(VALU_DEP_1) | instskip(SKIP_4) | instid1(VALU_DEP_1)
	v_cmp_ne_u32_e32 vcc_lo, 0, v4
	v_lshlrev_b32_e32 v2, 2, v0
	ds_load_b32 v3, v2
	s_waitcnt lgkmcnt(0)
	v_mov_b32_dpp v5, v3 row_shr:1 row_mask:0xf bank_mask:0xf
	v_cndmask_b32_e32 v5, 0, v5, vcc_lo
	v_cmp_lt_u32_e32 vcc_lo, 1, v4
	s_delay_alu instid0(VALU_DEP_2) | instskip(NEXT) | instid1(VALU_DEP_1)
	v_add_nc_u32_e32 v3, v5, v3
	v_mov_b32_dpp v5, v3 row_shr:2 row_mask:0xf bank_mask:0xf
	s_delay_alu instid0(VALU_DEP_1) | instskip(NEXT) | instid1(VALU_DEP_1)
	v_cndmask_b32_e32 v4, 0, v5, vcc_lo
	v_add_nc_u32_e32 v3, v3, v4
	ds_store_b32 v2, v3
.LBB289_119:
	s_or_b32 exec_lo, exec_lo, s0
	v_dual_mov_b32 v3, 0 :: v_dual_mov_b32 v2, 0
	s_mov_b32 s0, exec_lo
	s_waitcnt lgkmcnt(0)
	s_barrier
	buffer_gl0_inv
	v_cmpx_lt_u32_e32 31, v0
	s_cbranch_execz .LBB289_121
; %bb.120:
	v_lshl_add_u32 v2, v53, 2, -4
	ds_load_b32 v2, v2
.LBB289_121:
	s_or_b32 exec_lo, exec_lo, s0
	v_add_nc_u32_e32 v4, -1, v52
	ds_load_b32 v29, v3 offset:12
	s_waitcnt lgkmcnt(1)
	v_add_nc_u32_e32 v1, v2, v1
	v_cmp_gt_i32_e32 vcc_lo, 0, v4
	v_cndmask_b32_e32 v4, v4, v52, vcc_lo
	s_delay_alu instid0(VALU_DEP_1)
	v_lshlrev_b32_e32 v4, 2, v4
	ds_bpermute_b32 v1, v4, v1
	s_and_saveexec_b32 s0, s2
	s_cbranch_execz .LBB289_123
; %bb.122:
	v_dual_mov_b32 v3, 0 :: v_dual_mov_b32 v30, 2
	s_waitcnt lgkmcnt(1)
	global_store_b64 v3, v[29:30], s[24:25] offset:256
.LBB289_123:
	s_or_b32 exec_lo, exec_lo, s0
	v_cmp_eq_u32_e32 vcc_lo, 0, v52
	s_waitcnt lgkmcnt(0)
	s_waitcnt_vscnt null, 0x0
	s_barrier
	buffer_gl0_inv
	v_dual_mov_b32 v30, 0 :: v_dual_cndmask_b32 v1, v1, v2
	s_delay_alu instid0(VALU_DEP_1) | instskip(NEXT) | instid1(VALU_DEP_1)
	v_cndmask_b32_e64 v2, v1, 0, s2
	v_add_nc_u32_e32 v3, v2, v42
	s_delay_alu instid0(VALU_DEP_1) | instskip(NEXT) | instid1(VALU_DEP_1)
	v_add_nc_u32_e32 v4, v3, v43
	v_add_nc_u32_e32 v5, v4, v44
	s_delay_alu instid0(VALU_DEP_1) | instskip(NEXT) | instid1(VALU_DEP_1)
	v_add_nc_u32_e32 v6, v5, v45
	;; [unrolled: 3-line block ×5, first 2 shown]
	v_add_nc_u32_e32 v13, v12, v51
.LBB289_124:
	s_waitcnt lgkmcnt(0)
	v_add_nc_u32_e32 v46, v30, v29
	v_cmp_gt_u32_e64 s0, 0x81, v29
	v_lshrrev_b32_e32 v33, 16, v36
	v_lshrrev_b32_e32 v44, 16, v22
	;; [unrolled: 1-line block ×6, first 2 shown]
	v_cmp_lt_u32_e64 s1, v2, v46
	s_and_b32 vcc_lo, exec_lo, s0
	s_mov_b32 s3, -1
	s_cbranch_vccz .LBB289_162
; %bb.125:
	s_lshl_b64 s[4:5], s[14:15], 1
	s_delay_alu instid0(SALU_CYCLE_1) | instskip(SKIP_2) | instid1(SALU_CYCLE_1)
	s_add_u32 s3, s20, s4
	s_addc_u32 s4, s21, s5
	s_or_b32 s5, s18, s1
	s_and_saveexec_b32 s1, s5
	s_cbranch_execz .LBB289_128
; %bb.126:
	v_and_b32_e32 v1, 1, v22
	s_delay_alu instid0(VALU_DEP_1)
	v_cmp_eq_u32_e32 vcc_lo, 1, v1
	s_and_b32 exec_lo, exec_lo, vcc_lo
	s_cbranch_execz .LBB289_128
; %bb.127:
	v_dual_mov_b32 v48, 0 :: v_dual_mov_b32 v47, v2
	s_delay_alu instid0(VALU_DEP_1) | instskip(NEXT) | instid1(VALU_DEP_1)
	v_lshlrev_b64 v[47:48], 1, v[47:48]
	v_add_co_u32 v47, vcc_lo, s3, v47
	s_delay_alu instid0(VALU_DEP_2)
	v_add_co_ci_u32_e32 v48, vcc_lo, s4, v48, vcc_lo
	global_store_b16 v[47:48], v18, off
.LBB289_128:
	s_or_b32 exec_lo, exec_lo, s1
	v_cmp_lt_u32_e32 vcc_lo, v3, v46
	s_or_b32 s5, s18, vcc_lo
	s_delay_alu instid0(SALU_CYCLE_1)
	s_and_saveexec_b32 s1, s5
	s_cbranch_execz .LBB289_131
; %bb.129:
	v_and_b32_e32 v1, 1, v45
	s_delay_alu instid0(VALU_DEP_1)
	v_cmp_eq_u32_e32 vcc_lo, 1, v1
	s_and_b32 exec_lo, exec_lo, vcc_lo
	s_cbranch_execz .LBB289_131
; %bb.130:
	v_dual_mov_b32 v48, 0 :: v_dual_mov_b32 v47, v3
	s_delay_alu instid0(VALU_DEP_1) | instskip(NEXT) | instid1(VALU_DEP_1)
	v_lshlrev_b64 v[47:48], 1, v[47:48]
	v_add_co_u32 v47, vcc_lo, s3, v47
	s_delay_alu instid0(VALU_DEP_2)
	v_add_co_ci_u32_e32 v48, vcc_lo, s4, v48, vcc_lo
	global_store_b16 v[47:48], v41, off
.LBB289_131:
	s_or_b32 exec_lo, exec_lo, s1
	v_cmp_lt_u32_e32 vcc_lo, v4, v46
	s_or_b32 s5, s18, vcc_lo
	s_delay_alu instid0(SALU_CYCLE_1)
	;; [unrolled: 21-line block ×11, first 2 shown]
	s_and_saveexec_b32 s1, s5
	s_cbranch_execz .LBB289_161
; %bb.159:
	v_and_b32_e32 v1, 1, v32
	s_delay_alu instid0(VALU_DEP_1)
	v_cmp_eq_u32_e32 vcc_lo, 1, v1
	s_and_b32 exec_lo, exec_lo, vcc_lo
	s_cbranch_execz .LBB289_161
; %bb.160:
	v_dual_mov_b32 v48, 0 :: v_dual_mov_b32 v47, v13
	s_delay_alu instid0(VALU_DEP_1) | instskip(NEXT) | instid1(VALU_DEP_1)
	v_lshlrev_b64 v[47:48], 1, v[47:48]
	v_add_co_u32 v47, vcc_lo, s3, v47
	s_delay_alu instid0(VALU_DEP_2)
	v_add_co_ci_u32_e32 v48, vcc_lo, s4, v48, vcc_lo
	global_store_b16 v[47:48], v31, off
.LBB289_161:
	s_or_b32 exec_lo, exec_lo, s1
	s_mov_b32 s3, 0
.LBB289_162:
	v_and_b32_e32 v22, 1, v22
	s_and_b32 vcc_lo, exec_lo, s3
	s_delay_alu instid0(VALU_DEP_1)
	v_cmp_eq_u32_e64 s1, 1, v22
	s_cbranch_vccz .LBB289_203
; %bb.163:
	s_delay_alu instid0(VALU_DEP_1)
	s_and_saveexec_b32 s3, s1
	s_cbranch_execz .LBB289_165
; %bb.164:
	v_sub_nc_u32_e32 v1, v2, v30
	s_delay_alu instid0(VALU_DEP_1)
	v_lshlrev_b32_e32 v1, 1, v1
	ds_store_b16 v1, v18
.LBB289_165:
	s_or_b32 exec_lo, exec_lo, s3
	v_and_b32_e32 v1, 1, v45
	s_mov_b32 s1, exec_lo
	s_delay_alu instid0(VALU_DEP_1)
	v_cmpx_eq_u32_e32 1, v1
	s_cbranch_execz .LBB289_167
; %bb.166:
	v_sub_nc_u32_e32 v1, v3, v30
	s_delay_alu instid0(VALU_DEP_1)
	v_lshlrev_b32_e32 v1, 1, v1
	ds_store_b16 v1, v41
.LBB289_167:
	s_or_b32 exec_lo, exec_lo, s1
	v_and_b32_e32 v1, 1, v44
	s_mov_b32 s1, exec_lo
	s_delay_alu instid0(VALU_DEP_1)
	v_cmpx_eq_u32_e32 1, v1
	;; [unrolled: 12-line block ×11, first 2 shown]
	s_cbranch_execz .LBB289_187
; %bb.186:
	v_sub_nc_u32_e32 v1, v13, v30
	s_delay_alu instid0(VALU_DEP_1)
	v_lshlrev_b32_e32 v1, 1, v1
	ds_store_b16 v1, v31
.LBB289_187:
	s_or_b32 exec_lo, exec_lo, s1
	s_delay_alu instid0(SALU_CYCLE_1)
	s_mov_b32 s4, exec_lo
	s_waitcnt lgkmcnt(0)
	s_waitcnt_vscnt null, 0x0
	s_barrier
	buffer_gl0_inv
	v_cmpx_lt_u32_e64 v0, v29
	s_cbranch_execz .LBB289_202
; %bb.188:
	v_mov_b32_e32 v31, 0
	s_lshl_b64 s[6:7], s[14:15], 1
	v_xad_u32 v1, v0, -1, v29
	s_add_u32 s3, s20, s6
	s_addc_u32 s5, s21, s7
	v_lshlrev_b64 v[18:19], 1, v[30:31]
	s_delay_alu instid0(VALU_DEP_2) | instskip(NEXT) | instid1(VALU_DEP_2)
	v_cmp_gt_u32_e32 vcc_lo, 0xc80, v1
	v_add_co_u32 v27, s3, s3, v18
	v_mov_b32_e32 v18, v0
	s_delay_alu instid0(VALU_DEP_4)
	v_add_co_ci_u32_e64 v28, s3, s5, v19, s3
	s_mov_b32 s3, -1
	s_mov_b32 s5, exec_lo
	v_cmpx_lt_u32_e32 0xc7f, v1
	s_cbranch_execz .LBB289_199
; %bb.189:
	v_sub_nc_u32_e32 v18, v0, v29
	s_delay_alu instid0(VALU_DEP_1) | instskip(NEXT) | instid1(VALU_DEP_1)
	v_or_b32_e32 v18, 0x7f, v18
	v_cmp_ge_u32_e64 s1, v18, v0
	v_mov_b32_e32 v18, v0
	s_delay_alu instid0(VALU_DEP_2)
	s_and_saveexec_b32 s6, s1
	s_cbranch_execz .LBB289_198
; %bb.190:
	v_lshrrev_b32_e32 v31, 7, v1
	v_or_b32_e32 v1, 0x80, v0
	s_delay_alu instid0(VALU_DEP_2) | instskip(NEXT) | instid1(VALU_DEP_1)
	v_add_nc_u32_e32 v18, -1, v31
	v_lshrrev_b32_e32 v19, 1, v18
	v_mov_b32_e32 v40, 0
	v_cmp_lt_u32_e64 s1, 13, v18
	s_delay_alu instid0(VALU_DEP_3) | instskip(SKIP_1) | instid1(VALU_DEP_3)
	v_add_nc_u32_e32 v37, 1, v19
	v_dual_mov_b32 v19, v1 :: v_dual_mov_b32 v18, v0
	s_and_saveexec_b32 s3, s1
	s_cbranch_execz .LBB289_194
; %bb.191:
	s_delay_alu instid0(VALU_DEP_2)
	v_dual_mov_b32 v19, v1 :: v_dual_and_b32 v38, -8, v37
	v_mov_b32_e32 v21, 0
	v_dual_mov_b32 v18, v0 :: v_dual_lshlrev_b32 v39, 1, v0
	s_mov_b32 s7, 0
	s_mov_b32 s8, 0
.LBB289_192:                            ; =>This Inner Loop Header: Depth=1
	s_delay_alu instid0(VALU_DEP_1) | instskip(SKIP_2) | instid1(VALU_DEP_3)
	v_dual_mov_b32 v20, v18 :: v_dual_add_nc_u32 v47, 0x100, v19
	v_add_nc_u32_e32 v38, -8, v38
	v_dual_mov_b32 v48, v21 :: v_dual_add_nc_u32 v49, 0x200, v19
	v_lshlrev_b64 v[61:62], 1, v[20:21]
	v_dual_mov_b32 v50, v21 :: v_dual_add_nc_u32 v51, 0x300, v19
	s_delay_alu instid0(VALU_DEP_4) | instskip(NEXT) | instid1(VALU_DEP_4)
	v_cmp_eq_u32_e64 s1, 0, v38
	v_lshlrev_b64 v[47:48], 1, v[47:48]
	v_dual_mov_b32 v52, v21 :: v_dual_add_nc_u32 v53, 0x400, v19
	s_add_i32 s8, s8, 16
	v_lshlrev_b64 v[49:50], 1, v[49:50]
	s_or_b32 s7, s1, s7
	v_add_co_u32 v61, s1, v27, v61
	v_dual_mov_b32 v54, v21 :: v_dual_add_nc_u32 v55, 0x500, v19
	v_add_co_ci_u32_e64 v62, s1, v28, v62, s1
	v_lshlrev_b64 v[51:52], 1, v[51:52]
	v_add_co_u32 v47, s1, v27, v47
	v_dual_mov_b32 v56, v21 :: v_dual_add_nc_u32 v57, 0x600, v19
	v_add_co_ci_u32_e64 v48, s1, v28, v48, s1
	v_lshlrev_b64 v[53:54], 1, v[53:54]
	;; [unrolled: 4-line block ×3, first 2 shown]
	v_add_co_u32 v51, s1, v27, v51
	v_mov_b32_e32 v60, v21
	v_mov_b32_e32 v20, v19
	v_add_co_ci_u32_e64 v52, s1, v28, v52, s1
	v_lshlrev_b64 v[57:58], 1, v[57:58]
	v_add_co_u32 v53, s1, v27, v53
	ds_load_u16 v1, v39
	ds_load_u16 v41, v39 offset:256
	ds_load_u16 v67, v39 offset:512
	;; [unrolled: 1-line block ×7, first 2 shown]
	v_add_co_ci_u32_e64 v54, s1, v28, v54, s1
	ds_load_u16 v73, v39 offset:2048
	ds_load_u16 v74, v39 offset:2304
	ds_load_u16 v75, v39 offset:2560
	ds_load_u16 v76, v39 offset:2816
	ds_load_u16 v77, v39 offset:3072
	ds_load_u16 v78, v39 offset:3328
	ds_load_u16 v79, v39 offset:3584
	ds_load_u16 v80, v39 offset:3840
	v_add_nc_u32_e32 v39, 0x1000, v39
	v_lshlrev_b64 v[59:60], 1, v[59:60]
	v_add_co_u32 v55, s1, v27, v55
	v_lshlrev_b64 v[63:64], 1, v[20:21]
	v_add_nc_u32_e32 v20, 0x100, v18
	v_add_co_ci_u32_e64 v56, s1, v28, v56, s1
	v_add_co_u32 v57, s1, v27, v57
	s_delay_alu instid0(VALU_DEP_1)
	v_add_co_ci_u32_e64 v58, s1, v28, v58, s1
	v_add_co_u32 v59, s1, v27, v59
	v_lshlrev_b64 v[65:66], 1, v[20:21]
	v_add_nc_u32_e32 v20, 0x200, v18
	v_add_co_ci_u32_e64 v60, s1, v28, v60, s1
	v_add_co_u32 v63, s1, v27, v63
	s_delay_alu instid0(VALU_DEP_1)
	v_add_co_ci_u32_e64 v64, s1, v28, v64, s1
	s_waitcnt lgkmcnt(15)
	global_store_b16 v[61:62], v1, off
	v_lshlrev_b64 v[61:62], 1, v[20:21]
	v_add_nc_u32_e32 v20, 0x300, v18
	v_add_co_u32 v65, s1, v27, v65
	s_delay_alu instid0(VALU_DEP_1)
	v_add_co_ci_u32_e64 v66, s1, v28, v66, s1
	s_waitcnt lgkmcnt(14)
	global_store_b16 v[63:64], v41, off
	v_lshlrev_b64 v[63:64], 1, v[20:21]
	v_add_nc_u32_e32 v20, 0x400, v18
	s_waitcnt lgkmcnt(13)
	global_store_b16 v[65:66], v67, off
	s_waitcnt lgkmcnt(12)
	global_store_b16 v[47:48], v68, off
	v_add_co_u32 v47, s1, v27, v61
	s_delay_alu instid0(VALU_DEP_1) | instskip(SKIP_3) | instid1(VALU_DEP_1)
	v_add_co_ci_u32_e64 v48, s1, v28, v62, s1
	v_lshlrev_b64 v[61:62], 1, v[20:21]
	v_add_nc_u32_e32 v20, 0x500, v18
	v_add_co_u32 v63, s1, v27, v63
	v_add_co_ci_u32_e64 v64, s1, v28, v64, s1
	s_waitcnt lgkmcnt(11)
	global_store_b16 v[47:48], v69, off
	s_waitcnt lgkmcnt(10)
	global_store_b16 v[49:50], v70, off
	v_lshlrev_b64 v[47:48], 1, v[20:21]
	v_add_nc_u32_e32 v20, 0x600, v18
	v_add_co_u32 v49, s1, v27, v61
	s_waitcnt lgkmcnt(9)
	global_store_b16 v[63:64], v71, off
	s_waitcnt lgkmcnt(8)
	global_store_b16 v[51:52], v72, off
	v_add_co_ci_u32_e64 v50, s1, v28, v62, s1
	v_lshlrev_b64 v[51:52], 1, v[20:21]
	v_add_nc_u32_e32 v20, 0x700, v18
	v_add_co_u32 v47, s1, v27, v47
	s_delay_alu instid0(VALU_DEP_1)
	v_add_co_ci_u32_e64 v48, s1, v28, v48, s1
	s_waitcnt lgkmcnt(7)
	global_store_b16 v[49:50], v73, off
	s_waitcnt lgkmcnt(6)
	global_store_b16 v[53:54], v74, off
	v_lshlrev_b64 v[49:50], 1, v[20:21]
	v_dual_mov_b32 v40, s8 :: v_dual_add_nc_u32 v19, 0x800, v19
	s_waitcnt lgkmcnt(5)
	global_store_b16 v[47:48], v75, off
	v_add_co_u32 v47, s1, v27, v51
	v_add_nc_u32_e32 v18, 0x800, v18
	v_add_co_ci_u32_e64 v48, s1, v28, v52, s1
	v_add_co_u32 v49, s1, v27, v49
	s_delay_alu instid0(VALU_DEP_1)
	v_add_co_ci_u32_e64 v50, s1, v28, v50, s1
	s_waitcnt lgkmcnt(4)
	global_store_b16 v[55:56], v76, off
	s_waitcnt lgkmcnt(3)
	global_store_b16 v[47:48], v77, off
	;; [unrolled: 2-line block ×5, first 2 shown]
	s_and_not1_b32 exec_lo, exec_lo, s7
	s_cbranch_execnz .LBB289_192
; %bb.193:
	s_or_b32 exec_lo, exec_lo, s7
.LBB289_194:
	s_delay_alu instid0(SALU_CYCLE_1) | instskip(SKIP_3) | instid1(VALU_DEP_1)
	s_or_b32 exec_lo, exec_lo, s3
	v_and_b32_e32 v1, 7, v37
	s_mov_b32 s8, 0
	s_mov_b32 s7, exec_lo
	v_cmpx_ne_u32_e32 0, v1
	s_cbranch_execz .LBB289_197
; %bb.195:
	v_dual_mov_b32 v21, 0 :: v_dual_lshlrev_b32 v20, 1, v0
	s_delay_alu instid0(VALU_DEP_1)
	v_lshl_or_b32 v37, v40, 8, v20
	s_set_inst_prefetch_distance 0x1
	.p2align	6
.LBB289_196:                            ; =>This Inner Loop Header: Depth=1
	v_dual_mov_b32 v20, v18 :: v_dual_add_nc_u32 v1, -1, v1
	ds_load_u16 v47, v37
	ds_load_u16 v48, v37 offset:256
	v_add_nc_u32_e32 v18, 0x100, v18
	v_add_nc_u32_e32 v37, 0x200, v37
	v_lshlrev_b64 v[38:39], 1, v[20:21]
	v_mov_b32_e32 v20, v19
	v_cmp_eq_u32_e64 s1, 0, v1
	v_add_nc_u32_e32 v19, 0x100, v19
	s_delay_alu instid0(VALU_DEP_3) | instskip(SKIP_1) | instid1(VALU_DEP_1)
	v_lshlrev_b64 v[40:41], 1, v[20:21]
	v_add_co_u32 v38, s3, v27, v38
	v_add_co_ci_u32_e64 v39, s3, v28, v39, s3
	s_or_b32 s8, s1, s8
	s_delay_alu instid0(VALU_DEP_3) | instskip(NEXT) | instid1(VALU_DEP_1)
	v_add_co_u32 v40, s3, v27, v40
	v_add_co_ci_u32_e64 v41, s3, v28, v41, s3
	s_waitcnt lgkmcnt(1)
	global_store_b16 v[38:39], v47, off
	s_waitcnt lgkmcnt(0)
	global_store_b16 v[40:41], v48, off
	s_and_not1_b32 exec_lo, exec_lo, s8
	s_cbranch_execnz .LBB289_196
.LBB289_197:
	s_set_inst_prefetch_distance 0x2
	s_or_b32 exec_lo, exec_lo, s7
	v_add_nc_u32_e32 v1, 1, v31
	s_delay_alu instid0(VALU_DEP_1) | instskip(NEXT) | instid1(VALU_DEP_1)
	v_and_b32_e32 v18, 0x3fffffe, v1
	v_cmp_ne_u32_e64 s1, v1, v18
	v_lshl_or_b32 v18, v18, 7, v0
	s_delay_alu instid0(VALU_DEP_2)
	s_or_not1_b32 s3, s1, exec_lo
.LBB289_198:
	s_or_b32 exec_lo, exec_lo, s6
	s_delay_alu instid0(SALU_CYCLE_1) | instskip(SKIP_1) | instid1(SALU_CYCLE_1)
	s_and_not1_b32 s1, vcc_lo, exec_lo
	s_and_b32 s3, s3, exec_lo
	s_or_b32 vcc_lo, s1, s3
.LBB289_199:
	s_or_b32 exec_lo, exec_lo, s5
	s_delay_alu instid0(SALU_CYCLE_1)
	s_and_b32 exec_lo, exec_lo, vcc_lo
	s_cbranch_execz .LBB289_202
; %bb.200:
	v_lshlrev_b32_e32 v1, 1, v18
	v_mov_b32_e32 v19, 0
	s_mov_b32 s3, 0
	.p2align	6
.LBB289_201:                            ; =>This Inner Loop Header: Depth=1
	ds_load_u16 v31, v1
	v_lshlrev_b64 v[20:21], 1, v[18:19]
	v_add_nc_u32_e32 v18, 0x80, v18
	v_add_nc_u32_e32 v1, 0x100, v1
	s_delay_alu instid0(VALU_DEP_2) | instskip(NEXT) | instid1(VALU_DEP_4)
	v_cmp_ge_u32_e32 vcc_lo, v18, v29
	v_add_co_u32 v20, s1, v27, v20
	s_delay_alu instid0(VALU_DEP_1)
	v_add_co_ci_u32_e64 v21, s1, v28, v21, s1
	s_or_b32 s3, vcc_lo, s3
	s_waitcnt lgkmcnt(0)
	global_store_b16 v[20:21], v31, off
	s_and_not1_b32 exec_lo, exec_lo, s3
	s_cbranch_execnz .LBB289_201
.LBB289_202:
	s_or_b32 exec_lo, exec_lo, s4
.LBB289_203:
	v_lshrrev_b32_e32 v27, 16, v14
	v_lshrrev_b32_e32 v21, 16, v15
	;; [unrolled: 1-line block ×6, first 2 shown]
	s_and_b32 vcc_lo, exec_lo, s0
	s_mov_b32 s0, -1
	s_waitcnt_vscnt null, 0x0
	s_barrier
	buffer_gl0_inv
	s_cbranch_vccnz .LBB289_207
; %bb.204:
	s_and_b32 vcc_lo, exec_lo, s0
	s_cbranch_vccnz .LBB289_244
.LBB289_205:
	s_and_b32 s0, s2, s13
	s_delay_alu instid0(SALU_CYCLE_1)
	s_and_saveexec_b32 s1, s0
	s_cbranch_execnz .LBB289_284
.LBB289_206:
	s_nop 0
	s_sendmsg sendmsg(MSG_DEALLOC_VGPRS)
	s_endpgm
.LBB289_207:
	v_cmp_lt_u32_e32 vcc_lo, v2, v46
	s_lshl_b64 s[0:1], s[14:15], 1
	s_delay_alu instid0(SALU_CYCLE_1) | instskip(SKIP_2) | instid1(SALU_CYCLE_1)
	s_add_u32 s0, s22, s0
	s_addc_u32 s1, s23, s1
	s_or_b32 s4, s18, vcc_lo
	s_and_saveexec_b32 s3, s4
	s_cbranch_execz .LBB289_210
; %bb.208:
	v_cmp_eq_u32_e32 vcc_lo, 1, v22
	s_and_b32 exec_lo, exec_lo, vcc_lo
	s_cbranch_execz .LBB289_210
; %bb.209:
	v_dual_mov_b32 v38, 0 :: v_dual_mov_b32 v37, v2
	s_delay_alu instid0(VALU_DEP_1) | instskip(NEXT) | instid1(VALU_DEP_1)
	v_lshlrev_b64 v[37:38], 1, v[37:38]
	v_add_co_u32 v37, vcc_lo, s0, v37
	s_delay_alu instid0(VALU_DEP_2)
	v_add_co_ci_u32_e32 v38, vcc_lo, s1, v38, vcc_lo
	global_store_b16 v[37:38], v14, off
.LBB289_210:
	s_or_b32 exec_lo, exec_lo, s3
	v_cmp_lt_u32_e32 vcc_lo, v3, v46
	s_or_b32 s4, s18, vcc_lo
	s_delay_alu instid0(SALU_CYCLE_1)
	s_and_saveexec_b32 s3, s4
	s_cbranch_execz .LBB289_213
; %bb.211:
	v_and_b32_e32 v28, 1, v45
	s_delay_alu instid0(VALU_DEP_1)
	v_cmp_eq_u32_e32 vcc_lo, 1, v28
	s_and_b32 exec_lo, exec_lo, vcc_lo
	s_cbranch_execz .LBB289_213
; %bb.212:
	v_dual_mov_b32 v38, 0 :: v_dual_mov_b32 v37, v3
	s_delay_alu instid0(VALU_DEP_1) | instskip(NEXT) | instid1(VALU_DEP_1)
	v_lshlrev_b64 v[37:38], 1, v[37:38]
	v_add_co_u32 v37, vcc_lo, s0, v37
	s_delay_alu instid0(VALU_DEP_2)
	v_add_co_ci_u32_e32 v38, vcc_lo, s1, v38, vcc_lo
	global_store_b16 v[37:38], v27, off
.LBB289_213:
	s_or_b32 exec_lo, exec_lo, s3
	v_cmp_lt_u32_e32 vcc_lo, v4, v46
	s_or_b32 s4, s18, vcc_lo
	s_delay_alu instid0(SALU_CYCLE_1)
	s_and_saveexec_b32 s3, s4
	s_cbranch_execz .LBB289_216
; %bb.214:
	v_and_b32_e32 v28, 1, v44
	s_delay_alu instid0(VALU_DEP_1)
	v_cmp_eq_u32_e32 vcc_lo, 1, v28
	s_and_b32 exec_lo, exec_lo, vcc_lo
	s_cbranch_execz .LBB289_216
; %bb.215:
	v_dual_mov_b32 v38, 0 :: v_dual_mov_b32 v37, v4
	s_delay_alu instid0(VALU_DEP_1) | instskip(NEXT) | instid1(VALU_DEP_1)
	v_lshlrev_b64 v[37:38], 1, v[37:38]
	v_add_co_u32 v37, vcc_lo, s0, v37
	s_delay_alu instid0(VALU_DEP_2)
	v_add_co_ci_u32_e32 v38, vcc_lo, s1, v38, vcc_lo
	global_store_b16 v[37:38], v15, off
.LBB289_216:
	;; [unrolled: 21-line block ×11, first 2 shown]
	s_or_b32 exec_lo, exec_lo, s3
	s_branch .LBB289_205
.LBB289_244:
	s_mov_b32 s0, exec_lo
	v_cmpx_eq_u32_e32 1, v22
	s_cbranch_execz .LBB289_246
; %bb.245:
	v_sub_nc_u32_e32 v2, v2, v30
	s_delay_alu instid0(VALU_DEP_1)
	v_lshlrev_b32_e32 v2, 1, v2
	ds_store_b16 v2, v14
.LBB289_246:
	s_or_b32 exec_lo, exec_lo, s0
	v_and_b32_e32 v2, 1, v45
	s_mov_b32 s0, exec_lo
	s_delay_alu instid0(VALU_DEP_1)
	v_cmpx_eq_u32_e32 1, v2
	s_cbranch_execz .LBB289_248
; %bb.247:
	v_sub_nc_u32_e32 v2, v3, v30
	s_delay_alu instid0(VALU_DEP_1)
	v_lshlrev_b32_e32 v2, 1, v2
	ds_store_b16 v2, v27
.LBB289_248:
	s_or_b32 exec_lo, exec_lo, s0
	v_and_b32_e32 v2, 1, v44
	s_mov_b32 s0, exec_lo
	s_delay_alu instid0(VALU_DEP_1)
	;; [unrolled: 12-line block ×11, first 2 shown]
	v_cmpx_eq_u32_e32 1, v2
	s_cbranch_execz .LBB289_268
; %bb.267:
	v_sub_nc_u32_e32 v2, v13, v30
	s_delay_alu instid0(VALU_DEP_1)
	v_lshlrev_b32_e32 v2, 1, v2
	ds_store_b16 v2, v1
.LBB289_268:
	s_or_b32 exec_lo, exec_lo, s0
	s_delay_alu instid0(SALU_CYCLE_1)
	s_mov_b32 s3, exec_lo
	s_waitcnt lgkmcnt(0)
	s_waitcnt_vscnt null, 0x0
	s_barrier
	buffer_gl0_inv
	v_cmpx_lt_u32_e64 v0, v29
	s_cbranch_execz .LBB289_283
; %bb.269:
	v_mov_b32_e32 v31, 0
	s_lshl_b64 s[0:1], s[14:15], 1
	v_xad_u32 v1, v0, -1, v29
	s_add_u32 s0, s22, s0
	s_addc_u32 s1, s23, s1
	v_lshlrev_b64 v[2:3], 1, v[30:31]
	s_mov_b32 s4, exec_lo
	v_cmp_gt_u32_e32 vcc_lo, 0xc80, v1
	s_delay_alu instid0(VALU_DEP_2) | instskip(NEXT) | instid1(VALU_DEP_1)
	v_add_co_u32 v6, s0, s0, v2
	v_add_co_ci_u32_e64 v7, s0, s1, v3, s0
	s_mov_b32 s1, -1
	v_cmpx_lt_u32_e32 0xc7f, v1
	s_cbranch_execz .LBB289_280
; %bb.270:
	v_sub_nc_u32_e32 v2, v0, v29
	s_mov_b32 s5, exec_lo
	s_delay_alu instid0(VALU_DEP_1) | instskip(NEXT) | instid1(VALU_DEP_1)
	v_or_b32_e32 v2, 0x7f, v2
	v_cmpx_ge_u32_e64 v2, v0
	s_cbranch_execz .LBB289_279
; %bb.271:
	v_lshrrev_b32_e32 v8, 7, v1
	v_or_b32_e32 v1, 0x80, v0
	v_lshlrev_b32_e32 v9, 1, v0
	s_delay_alu instid0(VALU_DEP_3) | instskip(NEXT) | instid1(VALU_DEP_1)
	v_dual_mov_b32 v13, 0 :: v_dual_add_nc_u32 v2, -1, v8
	v_lshrrev_b32_e32 v3, 1, v2
	v_cmp_lt_u32_e64 s0, 13, v2
	s_delay_alu instid0(VALU_DEP_2) | instskip(SKIP_1) | instid1(VALU_DEP_3)
	v_dual_mov_b32 v3, v1 :: v_dual_add_nc_u32 v10, 1, v3
	v_mov_b32_e32 v2, v0
	s_and_saveexec_b32 s1, s0
	s_cbranch_execz .LBB289_275
; %bb.272:
	v_mov_b32_e32 v3, v1
	v_dual_mov_b32 v12, v9 :: v_dual_and_b32 v11, -8, v10
	v_dual_mov_b32 v5, 0 :: v_dual_mov_b32 v2, v0
	s_mov_b32 s6, 0
	s_mov_b32 s7, 0
.LBB289_273:                            ; =>This Inner Loop Header: Depth=1
	s_delay_alu instid0(VALU_DEP_1) | instskip(SKIP_2) | instid1(VALU_DEP_3)
	v_dual_mov_b32 v4, v2 :: v_dual_mov_b32 v15, v5
	v_add_nc_u32_e32 v11, -8, v11
	v_dual_mov_b32 v17, v5 :: v_dual_add_nc_u32 v14, 0x100, v3
	v_lshlrev_b64 v[31:32], 1, v[4:5]
	v_dual_mov_b32 v19, v5 :: v_dual_add_nc_u32 v16, 0x200, v3
	v_mov_b32_e32 v4, v3
	v_cmp_eq_u32_e64 s0, 0, v11
	v_lshlrev_b64 v[14:15], 1, v[14:15]
	v_dual_mov_b32 v21, v5 :: v_dual_add_nc_u32 v18, 0x300, v3
	s_add_i32 s7, s7, 16
	v_lshlrev_b64 v[16:17], 1, v[16:17]
	s_or_b32 s6, s0, s6
	v_add_co_u32 v31, s0, v6, v31
	v_dual_mov_b32 v23, v5 :: v_dual_add_nc_u32 v20, 0x400, v3
	v_add_co_ci_u32_e64 v32, s0, v7, v32, s0
	v_lshlrev_b64 v[18:19], 1, v[18:19]
	v_add_co_u32 v14, s0, v6, v14
	v_dual_mov_b32 v25, v5 :: v_dual_add_nc_u32 v22, 0x500, v3
	v_add_co_ci_u32_e64 v15, s0, v7, v15, s0
	v_lshlrev_b64 v[20:21], 1, v[20:21]
	;; [unrolled: 4-line block ×4, first 2 shown]
	v_add_co_u32 v20, s0, v6, v20
	ds_load_u16 v1, v12
	ds_load_u16 v28, v12 offset:256
	ds_load_u16 v37, v12 offset:512
	;; [unrolled: 1-line block ×7, first 2 shown]
	v_add_co_ci_u32_e64 v21, s0, v7, v21, s0
	v_lshlrev_b64 v[26:27], 1, v[26:27]
	v_add_co_u32 v22, s0, v6, v22
	v_lshlrev_b64 v[33:34], 1, v[4:5]
	v_add_nc_u32_e32 v4, 0x100, v2
	v_add_co_ci_u32_e64 v23, s0, v7, v23, s0
	v_add_co_u32 v24, s0, v6, v24
	s_delay_alu instid0(VALU_DEP_1)
	v_add_co_ci_u32_e64 v25, s0, v7, v25, s0
	v_add_co_u32 v26, s0, v6, v26
	v_lshlrev_b64 v[35:36], 1, v[4:5]
	v_add_nc_u32_e32 v4, 0x200, v2
	v_add_co_ci_u32_e64 v27, s0, v7, v27, s0
	v_add_co_u32 v33, s0, v6, v33
	ds_load_u16 v43, v12 offset:2048
	ds_load_u16 v44, v12 offset:2304
	;; [unrolled: 1-line block ×8, first 2 shown]
	v_add_co_ci_u32_e64 v34, s0, v7, v34, s0
	s_waitcnt lgkmcnt(15)
	global_store_b16 v[31:32], v1, off
	v_lshlrev_b64 v[31:32], 1, v[4:5]
	v_add_nc_u32_e32 v4, 0x300, v2
	v_add_co_u32 v35, s0, v6, v35
	s_delay_alu instid0(VALU_DEP_1)
	v_add_co_ci_u32_e64 v36, s0, v7, v36, s0
	s_waitcnt lgkmcnt(14)
	global_store_b16 v[33:34], v28, off
	v_lshlrev_b64 v[33:34], 1, v[4:5]
	v_add_nc_u32_e32 v4, 0x400, v2
	s_waitcnt lgkmcnt(13)
	global_store_b16 v[35:36], v37, off
	s_waitcnt lgkmcnt(12)
	global_store_b16 v[14:15], v38, off
	v_add_co_u32 v14, s0, v6, v31
	s_delay_alu instid0(VALU_DEP_1) | instskip(SKIP_3) | instid1(VALU_DEP_1)
	v_add_co_ci_u32_e64 v15, s0, v7, v32, s0
	v_lshlrev_b64 v[31:32], 1, v[4:5]
	v_add_nc_u32_e32 v4, 0x500, v2
	v_add_co_u32 v33, s0, v6, v33
	v_add_co_ci_u32_e64 v34, s0, v7, v34, s0
	s_waitcnt lgkmcnt(11)
	global_store_b16 v[14:15], v39, off
	s_waitcnt lgkmcnt(10)
	global_store_b16 v[16:17], v40, off
	v_lshlrev_b64 v[14:15], 1, v[4:5]
	v_add_nc_u32_e32 v4, 0x600, v2
	v_add_co_u32 v16, s0, v6, v31
	s_waitcnt lgkmcnt(9)
	global_store_b16 v[33:34], v41, off
	s_waitcnt lgkmcnt(8)
	global_store_b16 v[18:19], v42, off
	v_add_co_ci_u32_e64 v17, s0, v7, v32, s0
	v_lshlrev_b64 v[18:19], 1, v[4:5]
	v_add_nc_u32_e32 v4, 0x700, v2
	v_add_co_u32 v14, s0, v6, v14
	s_delay_alu instid0(VALU_DEP_1)
	v_add_co_ci_u32_e64 v15, s0, v7, v15, s0
	s_waitcnt lgkmcnt(7)
	global_store_b16 v[16:17], v43, off
	s_waitcnt lgkmcnt(6)
	global_store_b16 v[20:21], v44, off
	v_lshlrev_b64 v[16:17], 1, v[4:5]
	v_add_nc_u32_e32 v12, 0x1000, v12
	s_waitcnt lgkmcnt(5)
	global_store_b16 v[14:15], v45, off
	v_add_co_u32 v14, s0, v6, v18
	v_add_nc_u32_e32 v3, 0x800, v3
	v_add_nc_u32_e32 v2, 0x800, v2
	v_add_co_ci_u32_e64 v15, s0, v7, v19, s0
	v_add_co_u32 v16, s0, v6, v16
	s_delay_alu instid0(VALU_DEP_1)
	v_add_co_ci_u32_e64 v17, s0, v7, v17, s0
	s_waitcnt lgkmcnt(4)
	global_store_b16 v[22:23], v46, off
	s_waitcnt lgkmcnt(3)
	global_store_b16 v[14:15], v47, off
	s_waitcnt lgkmcnt(2)
	global_store_b16 v[24:25], v48, off
	s_waitcnt lgkmcnt(1)
	global_store_b16 v[16:17], v49, off
	s_waitcnt lgkmcnt(0)
	global_store_b16 v[26:27], v50, off
	s_and_not1_b32 exec_lo, exec_lo, s6
	s_cbranch_execnz .LBB289_273
; %bb.274:
	s_or_b32 exec_lo, exec_lo, s6
.LBB289_275:
	s_delay_alu instid0(SALU_CYCLE_1) | instskip(SKIP_3) | instid1(VALU_DEP_1)
	s_or_b32 exec_lo, exec_lo, s1
	v_and_b32_e32 v1, 7, v10
	s_mov_b32 s7, 0
	s_mov_b32 s6, exec_lo
	v_cmpx_ne_u32_e32 0, v1
	s_cbranch_execz .LBB289_278
; %bb.276:
	v_lshl_or_b32 v9, v13, 8, v9
	v_mov_b32_e32 v5, 0
	s_set_inst_prefetch_distance 0x1
	.p2align	6
.LBB289_277:                            ; =>This Inner Loop Header: Depth=1
	v_dual_mov_b32 v4, v2 :: v_dual_add_nc_u32 v1, -1, v1
	ds_load_u16 v14, v9
	ds_load_u16 v15, v9 offset:256
	v_add_nc_u32_e32 v2, 0x100, v2
	v_add_nc_u32_e32 v9, 0x200, v9
	v_lshlrev_b64 v[10:11], 1, v[4:5]
	v_mov_b32_e32 v4, v3
	v_cmp_eq_u32_e64 s0, 0, v1
	v_add_nc_u32_e32 v3, 0x100, v3
	s_delay_alu instid0(VALU_DEP_3) | instskip(SKIP_1) | instid1(VALU_DEP_1)
	v_lshlrev_b64 v[12:13], 1, v[4:5]
	v_add_co_u32 v10, s1, v6, v10
	v_add_co_ci_u32_e64 v11, s1, v7, v11, s1
	s_or_b32 s7, s0, s7
	s_delay_alu instid0(VALU_DEP_3) | instskip(NEXT) | instid1(VALU_DEP_1)
	v_add_co_u32 v12, s1, v6, v12
	v_add_co_ci_u32_e64 v13, s1, v7, v13, s1
	s_waitcnt lgkmcnt(1)
	global_store_b16 v[10:11], v14, off
	s_waitcnt lgkmcnt(0)
	global_store_b16 v[12:13], v15, off
	s_and_not1_b32 exec_lo, exec_lo, s7
	s_cbranch_execnz .LBB289_277
.LBB289_278:
	s_set_inst_prefetch_distance 0x2
	s_or_b32 exec_lo, exec_lo, s6
	v_add_nc_u32_e32 v1, 1, v8
	s_delay_alu instid0(VALU_DEP_1) | instskip(NEXT) | instid1(VALU_DEP_1)
	v_and_b32_e32 v2, 0x3fffffe, v1
	v_cmp_ne_u32_e64 s0, v1, v2
	v_lshl_or_b32 v0, v2, 7, v0
	s_delay_alu instid0(VALU_DEP_2)
	s_or_not1_b32 s1, s0, exec_lo
.LBB289_279:
	s_or_b32 exec_lo, exec_lo, s5
	s_delay_alu instid0(SALU_CYCLE_1) | instskip(SKIP_1) | instid1(SALU_CYCLE_1)
	s_and_not1_b32 s0, vcc_lo, exec_lo
	s_and_b32 s1, s1, exec_lo
	s_or_b32 vcc_lo, s0, s1
.LBB289_280:
	s_or_b32 exec_lo, exec_lo, s4
	s_delay_alu instid0(SALU_CYCLE_1)
	s_and_b32 exec_lo, exec_lo, vcc_lo
	s_cbranch_execz .LBB289_283
; %bb.281:
	v_dual_mov_b32 v1, 0 :: v_dual_lshlrev_b32 v2, 1, v0
	s_mov_b32 s1, 0
	.p2align	6
.LBB289_282:                            ; =>This Inner Loop Header: Depth=1
	ds_load_u16 v5, v2
	v_lshlrev_b64 v[3:4], 1, v[0:1]
	v_add_nc_u32_e32 v0, 0x80, v0
	v_add_nc_u32_e32 v2, 0x100, v2
	s_delay_alu instid0(VALU_DEP_2) | instskip(NEXT) | instid1(VALU_DEP_4)
	v_cmp_ge_u32_e32 vcc_lo, v0, v29
	v_add_co_u32 v3, s0, v6, v3
	s_delay_alu instid0(VALU_DEP_1)
	v_add_co_ci_u32_e64 v4, s0, v7, v4, s0
	s_or_b32 s1, vcc_lo, s1
	s_waitcnt lgkmcnt(0)
	global_store_b16 v[3:4], v5, off
	s_and_not1_b32 exec_lo, exec_lo, s1
	s_cbranch_execnz .LBB289_282
.LBB289_283:
	s_or_b32 exec_lo, exec_lo, s3
	s_and_b32 s0, s2, s13
	s_delay_alu instid0(SALU_CYCLE_1)
	s_and_saveexec_b32 s1, s0
	s_cbranch_execz .LBB289_206
.LBB289_284:
	v_add_co_u32 v0, s0, s14, v29
	s_delay_alu instid0(VALU_DEP_1) | instskip(SKIP_1) | instid1(VALU_DEP_3)
	v_add_co_ci_u32_e64 v1, null, s15, 0, s0
	v_mov_b32_e32 v2, 0
	v_add_co_u32 v0, vcc_lo, v0, v30
	s_delay_alu instid0(VALU_DEP_3)
	v_add_co_ci_u32_e32 v1, vcc_lo, 0, v1, vcc_lo
	global_store_b64 v2, v[0:1], s[16:17]
	s_nop 0
	s_sendmsg sendmsg(MSG_DEALLOC_VGPRS)
	s_endpgm
	.section	.rodata,"a",@progbits
	.p2align	6, 0x0
	.amdhsa_kernel _ZN7rocprim17ROCPRIM_400000_NS6detail17trampoline_kernelINS0_14default_configENS1_25partition_config_selectorILNS1_17partition_subalgoE9EttbEEZZNS1_14partition_implILS5_9ELb0ES3_jN6thrust23THRUST_200600_302600_NS6detail15normal_iteratorINS9_10device_ptrItEEEESE_PNS0_10empty_typeENS0_5tupleIJSE_SF_EEENSH_IJSE_SG_EEENS0_18inequality_wrapperINS9_8equal_toItEEEEPmJSF_EEE10hipError_tPvRmT3_T4_T5_T6_T7_T9_mT8_P12ihipStream_tbDpT10_ENKUlT_T0_E_clISt17integral_constantIbLb1EES18_EEDaS13_S14_EUlS13_E_NS1_11comp_targetILNS1_3genE9ELNS1_11target_archE1100ELNS1_3gpuE3ELNS1_3repE0EEENS1_30default_config_static_selectorELNS0_4arch9wavefront6targetE0EEEvT1_
		.amdhsa_group_segment_fixed_size 3080
		.amdhsa_private_segment_fixed_size 0
		.amdhsa_kernarg_size 128
		.amdhsa_user_sgpr_count 15
		.amdhsa_user_sgpr_dispatch_ptr 0
		.amdhsa_user_sgpr_queue_ptr 0
		.amdhsa_user_sgpr_kernarg_segment_ptr 1
		.amdhsa_user_sgpr_dispatch_id 0
		.amdhsa_user_sgpr_private_segment_size 0
		.amdhsa_wavefront_size32 1
		.amdhsa_uses_dynamic_stack 0
		.amdhsa_enable_private_segment 0
		.amdhsa_system_sgpr_workgroup_id_x 1
		.amdhsa_system_sgpr_workgroup_id_y 0
		.amdhsa_system_sgpr_workgroup_id_z 0
		.amdhsa_system_sgpr_workgroup_info 0
		.amdhsa_system_vgpr_workitem_id 0
		.amdhsa_next_free_vgpr 81
		.amdhsa_next_free_sgpr 30
		.amdhsa_reserve_vcc 1
		.amdhsa_float_round_mode_32 0
		.amdhsa_float_round_mode_16_64 0
		.amdhsa_float_denorm_mode_32 3
		.amdhsa_float_denorm_mode_16_64 3
		.amdhsa_dx10_clamp 1
		.amdhsa_ieee_mode 1
		.amdhsa_fp16_overflow 0
		.amdhsa_workgroup_processor_mode 1
		.amdhsa_memory_ordered 1
		.amdhsa_forward_progress 0
		.amdhsa_shared_vgpr_count 0
		.amdhsa_exception_fp_ieee_invalid_op 0
		.amdhsa_exception_fp_denorm_src 0
		.amdhsa_exception_fp_ieee_div_zero 0
		.amdhsa_exception_fp_ieee_overflow 0
		.amdhsa_exception_fp_ieee_underflow 0
		.amdhsa_exception_fp_ieee_inexact 0
		.amdhsa_exception_int_div_zero 0
	.end_amdhsa_kernel
	.section	.text._ZN7rocprim17ROCPRIM_400000_NS6detail17trampoline_kernelINS0_14default_configENS1_25partition_config_selectorILNS1_17partition_subalgoE9EttbEEZZNS1_14partition_implILS5_9ELb0ES3_jN6thrust23THRUST_200600_302600_NS6detail15normal_iteratorINS9_10device_ptrItEEEESE_PNS0_10empty_typeENS0_5tupleIJSE_SF_EEENSH_IJSE_SG_EEENS0_18inequality_wrapperINS9_8equal_toItEEEEPmJSF_EEE10hipError_tPvRmT3_T4_T5_T6_T7_T9_mT8_P12ihipStream_tbDpT10_ENKUlT_T0_E_clISt17integral_constantIbLb1EES18_EEDaS13_S14_EUlS13_E_NS1_11comp_targetILNS1_3genE9ELNS1_11target_archE1100ELNS1_3gpuE3ELNS1_3repE0EEENS1_30default_config_static_selectorELNS0_4arch9wavefront6targetE0EEEvT1_,"axG",@progbits,_ZN7rocprim17ROCPRIM_400000_NS6detail17trampoline_kernelINS0_14default_configENS1_25partition_config_selectorILNS1_17partition_subalgoE9EttbEEZZNS1_14partition_implILS5_9ELb0ES3_jN6thrust23THRUST_200600_302600_NS6detail15normal_iteratorINS9_10device_ptrItEEEESE_PNS0_10empty_typeENS0_5tupleIJSE_SF_EEENSH_IJSE_SG_EEENS0_18inequality_wrapperINS9_8equal_toItEEEEPmJSF_EEE10hipError_tPvRmT3_T4_T5_T6_T7_T9_mT8_P12ihipStream_tbDpT10_ENKUlT_T0_E_clISt17integral_constantIbLb1EES18_EEDaS13_S14_EUlS13_E_NS1_11comp_targetILNS1_3genE9ELNS1_11target_archE1100ELNS1_3gpuE3ELNS1_3repE0EEENS1_30default_config_static_selectorELNS0_4arch9wavefront6targetE0EEEvT1_,comdat
.Lfunc_end289:
	.size	_ZN7rocprim17ROCPRIM_400000_NS6detail17trampoline_kernelINS0_14default_configENS1_25partition_config_selectorILNS1_17partition_subalgoE9EttbEEZZNS1_14partition_implILS5_9ELb0ES3_jN6thrust23THRUST_200600_302600_NS6detail15normal_iteratorINS9_10device_ptrItEEEESE_PNS0_10empty_typeENS0_5tupleIJSE_SF_EEENSH_IJSE_SG_EEENS0_18inequality_wrapperINS9_8equal_toItEEEEPmJSF_EEE10hipError_tPvRmT3_T4_T5_T6_T7_T9_mT8_P12ihipStream_tbDpT10_ENKUlT_T0_E_clISt17integral_constantIbLb1EES18_EEDaS13_S14_EUlS13_E_NS1_11comp_targetILNS1_3genE9ELNS1_11target_archE1100ELNS1_3gpuE3ELNS1_3repE0EEENS1_30default_config_static_selectorELNS0_4arch9wavefront6targetE0EEEvT1_, .Lfunc_end289-_ZN7rocprim17ROCPRIM_400000_NS6detail17trampoline_kernelINS0_14default_configENS1_25partition_config_selectorILNS1_17partition_subalgoE9EttbEEZZNS1_14partition_implILS5_9ELb0ES3_jN6thrust23THRUST_200600_302600_NS6detail15normal_iteratorINS9_10device_ptrItEEEESE_PNS0_10empty_typeENS0_5tupleIJSE_SF_EEENSH_IJSE_SG_EEENS0_18inequality_wrapperINS9_8equal_toItEEEEPmJSF_EEE10hipError_tPvRmT3_T4_T5_T6_T7_T9_mT8_P12ihipStream_tbDpT10_ENKUlT_T0_E_clISt17integral_constantIbLb1EES18_EEDaS13_S14_EUlS13_E_NS1_11comp_targetILNS1_3genE9ELNS1_11target_archE1100ELNS1_3gpuE3ELNS1_3repE0EEENS1_30default_config_static_selectorELNS0_4arch9wavefront6targetE0EEEvT1_
                                        ; -- End function
	.section	.AMDGPU.csdata,"",@progbits
; Kernel info:
; codeLenInByte = 14032
; NumSgprs: 32
; NumVgprs: 81
; ScratchSize: 0
; MemoryBound: 0
; FloatMode: 240
; IeeeMode: 1
; LDSByteSize: 3080 bytes/workgroup (compile time only)
; SGPRBlocks: 3
; VGPRBlocks: 10
; NumSGPRsForWavesPerEU: 32
; NumVGPRsForWavesPerEU: 81
; Occupancy: 16
; WaveLimiterHint : 1
; COMPUTE_PGM_RSRC2:SCRATCH_EN: 0
; COMPUTE_PGM_RSRC2:USER_SGPR: 15
; COMPUTE_PGM_RSRC2:TRAP_HANDLER: 0
; COMPUTE_PGM_RSRC2:TGID_X_EN: 1
; COMPUTE_PGM_RSRC2:TGID_Y_EN: 0
; COMPUTE_PGM_RSRC2:TGID_Z_EN: 0
; COMPUTE_PGM_RSRC2:TIDIG_COMP_CNT: 0
	.section	.text._ZN7rocprim17ROCPRIM_400000_NS6detail17trampoline_kernelINS0_14default_configENS1_25partition_config_selectorILNS1_17partition_subalgoE9EttbEEZZNS1_14partition_implILS5_9ELb0ES3_jN6thrust23THRUST_200600_302600_NS6detail15normal_iteratorINS9_10device_ptrItEEEESE_PNS0_10empty_typeENS0_5tupleIJSE_SF_EEENSH_IJSE_SG_EEENS0_18inequality_wrapperINS9_8equal_toItEEEEPmJSF_EEE10hipError_tPvRmT3_T4_T5_T6_T7_T9_mT8_P12ihipStream_tbDpT10_ENKUlT_T0_E_clISt17integral_constantIbLb1EES18_EEDaS13_S14_EUlS13_E_NS1_11comp_targetILNS1_3genE8ELNS1_11target_archE1030ELNS1_3gpuE2ELNS1_3repE0EEENS1_30default_config_static_selectorELNS0_4arch9wavefront6targetE0EEEvT1_,"axG",@progbits,_ZN7rocprim17ROCPRIM_400000_NS6detail17trampoline_kernelINS0_14default_configENS1_25partition_config_selectorILNS1_17partition_subalgoE9EttbEEZZNS1_14partition_implILS5_9ELb0ES3_jN6thrust23THRUST_200600_302600_NS6detail15normal_iteratorINS9_10device_ptrItEEEESE_PNS0_10empty_typeENS0_5tupleIJSE_SF_EEENSH_IJSE_SG_EEENS0_18inequality_wrapperINS9_8equal_toItEEEEPmJSF_EEE10hipError_tPvRmT3_T4_T5_T6_T7_T9_mT8_P12ihipStream_tbDpT10_ENKUlT_T0_E_clISt17integral_constantIbLb1EES18_EEDaS13_S14_EUlS13_E_NS1_11comp_targetILNS1_3genE8ELNS1_11target_archE1030ELNS1_3gpuE2ELNS1_3repE0EEENS1_30default_config_static_selectorELNS0_4arch9wavefront6targetE0EEEvT1_,comdat
	.protected	_ZN7rocprim17ROCPRIM_400000_NS6detail17trampoline_kernelINS0_14default_configENS1_25partition_config_selectorILNS1_17partition_subalgoE9EttbEEZZNS1_14partition_implILS5_9ELb0ES3_jN6thrust23THRUST_200600_302600_NS6detail15normal_iteratorINS9_10device_ptrItEEEESE_PNS0_10empty_typeENS0_5tupleIJSE_SF_EEENSH_IJSE_SG_EEENS0_18inequality_wrapperINS9_8equal_toItEEEEPmJSF_EEE10hipError_tPvRmT3_T4_T5_T6_T7_T9_mT8_P12ihipStream_tbDpT10_ENKUlT_T0_E_clISt17integral_constantIbLb1EES18_EEDaS13_S14_EUlS13_E_NS1_11comp_targetILNS1_3genE8ELNS1_11target_archE1030ELNS1_3gpuE2ELNS1_3repE0EEENS1_30default_config_static_selectorELNS0_4arch9wavefront6targetE0EEEvT1_ ; -- Begin function _ZN7rocprim17ROCPRIM_400000_NS6detail17trampoline_kernelINS0_14default_configENS1_25partition_config_selectorILNS1_17partition_subalgoE9EttbEEZZNS1_14partition_implILS5_9ELb0ES3_jN6thrust23THRUST_200600_302600_NS6detail15normal_iteratorINS9_10device_ptrItEEEESE_PNS0_10empty_typeENS0_5tupleIJSE_SF_EEENSH_IJSE_SG_EEENS0_18inequality_wrapperINS9_8equal_toItEEEEPmJSF_EEE10hipError_tPvRmT3_T4_T5_T6_T7_T9_mT8_P12ihipStream_tbDpT10_ENKUlT_T0_E_clISt17integral_constantIbLb1EES18_EEDaS13_S14_EUlS13_E_NS1_11comp_targetILNS1_3genE8ELNS1_11target_archE1030ELNS1_3gpuE2ELNS1_3repE0EEENS1_30default_config_static_selectorELNS0_4arch9wavefront6targetE0EEEvT1_
	.globl	_ZN7rocprim17ROCPRIM_400000_NS6detail17trampoline_kernelINS0_14default_configENS1_25partition_config_selectorILNS1_17partition_subalgoE9EttbEEZZNS1_14partition_implILS5_9ELb0ES3_jN6thrust23THRUST_200600_302600_NS6detail15normal_iteratorINS9_10device_ptrItEEEESE_PNS0_10empty_typeENS0_5tupleIJSE_SF_EEENSH_IJSE_SG_EEENS0_18inequality_wrapperINS9_8equal_toItEEEEPmJSF_EEE10hipError_tPvRmT3_T4_T5_T6_T7_T9_mT8_P12ihipStream_tbDpT10_ENKUlT_T0_E_clISt17integral_constantIbLb1EES18_EEDaS13_S14_EUlS13_E_NS1_11comp_targetILNS1_3genE8ELNS1_11target_archE1030ELNS1_3gpuE2ELNS1_3repE0EEENS1_30default_config_static_selectorELNS0_4arch9wavefront6targetE0EEEvT1_
	.p2align	8
	.type	_ZN7rocprim17ROCPRIM_400000_NS6detail17trampoline_kernelINS0_14default_configENS1_25partition_config_selectorILNS1_17partition_subalgoE9EttbEEZZNS1_14partition_implILS5_9ELb0ES3_jN6thrust23THRUST_200600_302600_NS6detail15normal_iteratorINS9_10device_ptrItEEEESE_PNS0_10empty_typeENS0_5tupleIJSE_SF_EEENSH_IJSE_SG_EEENS0_18inequality_wrapperINS9_8equal_toItEEEEPmJSF_EEE10hipError_tPvRmT3_T4_T5_T6_T7_T9_mT8_P12ihipStream_tbDpT10_ENKUlT_T0_E_clISt17integral_constantIbLb1EES18_EEDaS13_S14_EUlS13_E_NS1_11comp_targetILNS1_3genE8ELNS1_11target_archE1030ELNS1_3gpuE2ELNS1_3repE0EEENS1_30default_config_static_selectorELNS0_4arch9wavefront6targetE0EEEvT1_,@function
_ZN7rocprim17ROCPRIM_400000_NS6detail17trampoline_kernelINS0_14default_configENS1_25partition_config_selectorILNS1_17partition_subalgoE9EttbEEZZNS1_14partition_implILS5_9ELb0ES3_jN6thrust23THRUST_200600_302600_NS6detail15normal_iteratorINS9_10device_ptrItEEEESE_PNS0_10empty_typeENS0_5tupleIJSE_SF_EEENSH_IJSE_SG_EEENS0_18inequality_wrapperINS9_8equal_toItEEEEPmJSF_EEE10hipError_tPvRmT3_T4_T5_T6_T7_T9_mT8_P12ihipStream_tbDpT10_ENKUlT_T0_E_clISt17integral_constantIbLb1EES18_EEDaS13_S14_EUlS13_E_NS1_11comp_targetILNS1_3genE8ELNS1_11target_archE1030ELNS1_3gpuE2ELNS1_3repE0EEENS1_30default_config_static_selectorELNS0_4arch9wavefront6targetE0EEEvT1_: ; @_ZN7rocprim17ROCPRIM_400000_NS6detail17trampoline_kernelINS0_14default_configENS1_25partition_config_selectorILNS1_17partition_subalgoE9EttbEEZZNS1_14partition_implILS5_9ELb0ES3_jN6thrust23THRUST_200600_302600_NS6detail15normal_iteratorINS9_10device_ptrItEEEESE_PNS0_10empty_typeENS0_5tupleIJSE_SF_EEENSH_IJSE_SG_EEENS0_18inequality_wrapperINS9_8equal_toItEEEEPmJSF_EEE10hipError_tPvRmT3_T4_T5_T6_T7_T9_mT8_P12ihipStream_tbDpT10_ENKUlT_T0_E_clISt17integral_constantIbLb1EES18_EEDaS13_S14_EUlS13_E_NS1_11comp_targetILNS1_3genE8ELNS1_11target_archE1030ELNS1_3gpuE2ELNS1_3repE0EEENS1_30default_config_static_selectorELNS0_4arch9wavefront6targetE0EEEvT1_
; %bb.0:
	.section	.rodata,"a",@progbits
	.p2align	6, 0x0
	.amdhsa_kernel _ZN7rocprim17ROCPRIM_400000_NS6detail17trampoline_kernelINS0_14default_configENS1_25partition_config_selectorILNS1_17partition_subalgoE9EttbEEZZNS1_14partition_implILS5_9ELb0ES3_jN6thrust23THRUST_200600_302600_NS6detail15normal_iteratorINS9_10device_ptrItEEEESE_PNS0_10empty_typeENS0_5tupleIJSE_SF_EEENSH_IJSE_SG_EEENS0_18inequality_wrapperINS9_8equal_toItEEEEPmJSF_EEE10hipError_tPvRmT3_T4_T5_T6_T7_T9_mT8_P12ihipStream_tbDpT10_ENKUlT_T0_E_clISt17integral_constantIbLb1EES18_EEDaS13_S14_EUlS13_E_NS1_11comp_targetILNS1_3genE8ELNS1_11target_archE1030ELNS1_3gpuE2ELNS1_3repE0EEENS1_30default_config_static_selectorELNS0_4arch9wavefront6targetE0EEEvT1_
		.amdhsa_group_segment_fixed_size 0
		.amdhsa_private_segment_fixed_size 0
		.amdhsa_kernarg_size 128
		.amdhsa_user_sgpr_count 15
		.amdhsa_user_sgpr_dispatch_ptr 0
		.amdhsa_user_sgpr_queue_ptr 0
		.amdhsa_user_sgpr_kernarg_segment_ptr 1
		.amdhsa_user_sgpr_dispatch_id 0
		.amdhsa_user_sgpr_private_segment_size 0
		.amdhsa_wavefront_size32 1
		.amdhsa_uses_dynamic_stack 0
		.amdhsa_enable_private_segment 0
		.amdhsa_system_sgpr_workgroup_id_x 1
		.amdhsa_system_sgpr_workgroup_id_y 0
		.amdhsa_system_sgpr_workgroup_id_z 0
		.amdhsa_system_sgpr_workgroup_info 0
		.amdhsa_system_vgpr_workitem_id 0
		.amdhsa_next_free_vgpr 1
		.amdhsa_next_free_sgpr 1
		.amdhsa_reserve_vcc 0
		.amdhsa_float_round_mode_32 0
		.amdhsa_float_round_mode_16_64 0
		.amdhsa_float_denorm_mode_32 3
		.amdhsa_float_denorm_mode_16_64 3
		.amdhsa_dx10_clamp 1
		.amdhsa_ieee_mode 1
		.amdhsa_fp16_overflow 0
		.amdhsa_workgroup_processor_mode 1
		.amdhsa_memory_ordered 1
		.amdhsa_forward_progress 0
		.amdhsa_shared_vgpr_count 0
		.amdhsa_exception_fp_ieee_invalid_op 0
		.amdhsa_exception_fp_denorm_src 0
		.amdhsa_exception_fp_ieee_div_zero 0
		.amdhsa_exception_fp_ieee_overflow 0
		.amdhsa_exception_fp_ieee_underflow 0
		.amdhsa_exception_fp_ieee_inexact 0
		.amdhsa_exception_int_div_zero 0
	.end_amdhsa_kernel
	.section	.text._ZN7rocprim17ROCPRIM_400000_NS6detail17trampoline_kernelINS0_14default_configENS1_25partition_config_selectorILNS1_17partition_subalgoE9EttbEEZZNS1_14partition_implILS5_9ELb0ES3_jN6thrust23THRUST_200600_302600_NS6detail15normal_iteratorINS9_10device_ptrItEEEESE_PNS0_10empty_typeENS0_5tupleIJSE_SF_EEENSH_IJSE_SG_EEENS0_18inequality_wrapperINS9_8equal_toItEEEEPmJSF_EEE10hipError_tPvRmT3_T4_T5_T6_T7_T9_mT8_P12ihipStream_tbDpT10_ENKUlT_T0_E_clISt17integral_constantIbLb1EES18_EEDaS13_S14_EUlS13_E_NS1_11comp_targetILNS1_3genE8ELNS1_11target_archE1030ELNS1_3gpuE2ELNS1_3repE0EEENS1_30default_config_static_selectorELNS0_4arch9wavefront6targetE0EEEvT1_,"axG",@progbits,_ZN7rocprim17ROCPRIM_400000_NS6detail17trampoline_kernelINS0_14default_configENS1_25partition_config_selectorILNS1_17partition_subalgoE9EttbEEZZNS1_14partition_implILS5_9ELb0ES3_jN6thrust23THRUST_200600_302600_NS6detail15normal_iteratorINS9_10device_ptrItEEEESE_PNS0_10empty_typeENS0_5tupleIJSE_SF_EEENSH_IJSE_SG_EEENS0_18inequality_wrapperINS9_8equal_toItEEEEPmJSF_EEE10hipError_tPvRmT3_T4_T5_T6_T7_T9_mT8_P12ihipStream_tbDpT10_ENKUlT_T0_E_clISt17integral_constantIbLb1EES18_EEDaS13_S14_EUlS13_E_NS1_11comp_targetILNS1_3genE8ELNS1_11target_archE1030ELNS1_3gpuE2ELNS1_3repE0EEENS1_30default_config_static_selectorELNS0_4arch9wavefront6targetE0EEEvT1_,comdat
.Lfunc_end290:
	.size	_ZN7rocprim17ROCPRIM_400000_NS6detail17trampoline_kernelINS0_14default_configENS1_25partition_config_selectorILNS1_17partition_subalgoE9EttbEEZZNS1_14partition_implILS5_9ELb0ES3_jN6thrust23THRUST_200600_302600_NS6detail15normal_iteratorINS9_10device_ptrItEEEESE_PNS0_10empty_typeENS0_5tupleIJSE_SF_EEENSH_IJSE_SG_EEENS0_18inequality_wrapperINS9_8equal_toItEEEEPmJSF_EEE10hipError_tPvRmT3_T4_T5_T6_T7_T9_mT8_P12ihipStream_tbDpT10_ENKUlT_T0_E_clISt17integral_constantIbLb1EES18_EEDaS13_S14_EUlS13_E_NS1_11comp_targetILNS1_3genE8ELNS1_11target_archE1030ELNS1_3gpuE2ELNS1_3repE0EEENS1_30default_config_static_selectorELNS0_4arch9wavefront6targetE0EEEvT1_, .Lfunc_end290-_ZN7rocprim17ROCPRIM_400000_NS6detail17trampoline_kernelINS0_14default_configENS1_25partition_config_selectorILNS1_17partition_subalgoE9EttbEEZZNS1_14partition_implILS5_9ELb0ES3_jN6thrust23THRUST_200600_302600_NS6detail15normal_iteratorINS9_10device_ptrItEEEESE_PNS0_10empty_typeENS0_5tupleIJSE_SF_EEENSH_IJSE_SG_EEENS0_18inequality_wrapperINS9_8equal_toItEEEEPmJSF_EEE10hipError_tPvRmT3_T4_T5_T6_T7_T9_mT8_P12ihipStream_tbDpT10_ENKUlT_T0_E_clISt17integral_constantIbLb1EES18_EEDaS13_S14_EUlS13_E_NS1_11comp_targetILNS1_3genE8ELNS1_11target_archE1030ELNS1_3gpuE2ELNS1_3repE0EEENS1_30default_config_static_selectorELNS0_4arch9wavefront6targetE0EEEvT1_
                                        ; -- End function
	.section	.AMDGPU.csdata,"",@progbits
; Kernel info:
; codeLenInByte = 0
; NumSgprs: 0
; NumVgprs: 0
; ScratchSize: 0
; MemoryBound: 0
; FloatMode: 240
; IeeeMode: 1
; LDSByteSize: 0 bytes/workgroup (compile time only)
; SGPRBlocks: 0
; VGPRBlocks: 0
; NumSGPRsForWavesPerEU: 1
; NumVGPRsForWavesPerEU: 1
; Occupancy: 15
; WaveLimiterHint : 0
; COMPUTE_PGM_RSRC2:SCRATCH_EN: 0
; COMPUTE_PGM_RSRC2:USER_SGPR: 15
; COMPUTE_PGM_RSRC2:TRAP_HANDLER: 0
; COMPUTE_PGM_RSRC2:TGID_X_EN: 1
; COMPUTE_PGM_RSRC2:TGID_Y_EN: 0
; COMPUTE_PGM_RSRC2:TGID_Z_EN: 0
; COMPUTE_PGM_RSRC2:TIDIG_COMP_CNT: 0
	.section	.text._ZN7rocprim17ROCPRIM_400000_NS6detail17trampoline_kernelINS0_14default_configENS1_25partition_config_selectorILNS1_17partition_subalgoE9EttbEEZZNS1_14partition_implILS5_9ELb0ES3_jN6thrust23THRUST_200600_302600_NS6detail15normal_iteratorINS9_10device_ptrItEEEESE_PNS0_10empty_typeENS0_5tupleIJSE_SF_EEENSH_IJSE_SG_EEENS0_18inequality_wrapperINS9_8equal_toItEEEEPmJSF_EEE10hipError_tPvRmT3_T4_T5_T6_T7_T9_mT8_P12ihipStream_tbDpT10_ENKUlT_T0_E_clISt17integral_constantIbLb1EES17_IbLb0EEEEDaS13_S14_EUlS13_E_NS1_11comp_targetILNS1_3genE0ELNS1_11target_archE4294967295ELNS1_3gpuE0ELNS1_3repE0EEENS1_30default_config_static_selectorELNS0_4arch9wavefront6targetE0EEEvT1_,"axG",@progbits,_ZN7rocprim17ROCPRIM_400000_NS6detail17trampoline_kernelINS0_14default_configENS1_25partition_config_selectorILNS1_17partition_subalgoE9EttbEEZZNS1_14partition_implILS5_9ELb0ES3_jN6thrust23THRUST_200600_302600_NS6detail15normal_iteratorINS9_10device_ptrItEEEESE_PNS0_10empty_typeENS0_5tupleIJSE_SF_EEENSH_IJSE_SG_EEENS0_18inequality_wrapperINS9_8equal_toItEEEEPmJSF_EEE10hipError_tPvRmT3_T4_T5_T6_T7_T9_mT8_P12ihipStream_tbDpT10_ENKUlT_T0_E_clISt17integral_constantIbLb1EES17_IbLb0EEEEDaS13_S14_EUlS13_E_NS1_11comp_targetILNS1_3genE0ELNS1_11target_archE4294967295ELNS1_3gpuE0ELNS1_3repE0EEENS1_30default_config_static_selectorELNS0_4arch9wavefront6targetE0EEEvT1_,comdat
	.protected	_ZN7rocprim17ROCPRIM_400000_NS6detail17trampoline_kernelINS0_14default_configENS1_25partition_config_selectorILNS1_17partition_subalgoE9EttbEEZZNS1_14partition_implILS5_9ELb0ES3_jN6thrust23THRUST_200600_302600_NS6detail15normal_iteratorINS9_10device_ptrItEEEESE_PNS0_10empty_typeENS0_5tupleIJSE_SF_EEENSH_IJSE_SG_EEENS0_18inequality_wrapperINS9_8equal_toItEEEEPmJSF_EEE10hipError_tPvRmT3_T4_T5_T6_T7_T9_mT8_P12ihipStream_tbDpT10_ENKUlT_T0_E_clISt17integral_constantIbLb1EES17_IbLb0EEEEDaS13_S14_EUlS13_E_NS1_11comp_targetILNS1_3genE0ELNS1_11target_archE4294967295ELNS1_3gpuE0ELNS1_3repE0EEENS1_30default_config_static_selectorELNS0_4arch9wavefront6targetE0EEEvT1_ ; -- Begin function _ZN7rocprim17ROCPRIM_400000_NS6detail17trampoline_kernelINS0_14default_configENS1_25partition_config_selectorILNS1_17partition_subalgoE9EttbEEZZNS1_14partition_implILS5_9ELb0ES3_jN6thrust23THRUST_200600_302600_NS6detail15normal_iteratorINS9_10device_ptrItEEEESE_PNS0_10empty_typeENS0_5tupleIJSE_SF_EEENSH_IJSE_SG_EEENS0_18inequality_wrapperINS9_8equal_toItEEEEPmJSF_EEE10hipError_tPvRmT3_T4_T5_T6_T7_T9_mT8_P12ihipStream_tbDpT10_ENKUlT_T0_E_clISt17integral_constantIbLb1EES17_IbLb0EEEEDaS13_S14_EUlS13_E_NS1_11comp_targetILNS1_3genE0ELNS1_11target_archE4294967295ELNS1_3gpuE0ELNS1_3repE0EEENS1_30default_config_static_selectorELNS0_4arch9wavefront6targetE0EEEvT1_
	.globl	_ZN7rocprim17ROCPRIM_400000_NS6detail17trampoline_kernelINS0_14default_configENS1_25partition_config_selectorILNS1_17partition_subalgoE9EttbEEZZNS1_14partition_implILS5_9ELb0ES3_jN6thrust23THRUST_200600_302600_NS6detail15normal_iteratorINS9_10device_ptrItEEEESE_PNS0_10empty_typeENS0_5tupleIJSE_SF_EEENSH_IJSE_SG_EEENS0_18inequality_wrapperINS9_8equal_toItEEEEPmJSF_EEE10hipError_tPvRmT3_T4_T5_T6_T7_T9_mT8_P12ihipStream_tbDpT10_ENKUlT_T0_E_clISt17integral_constantIbLb1EES17_IbLb0EEEEDaS13_S14_EUlS13_E_NS1_11comp_targetILNS1_3genE0ELNS1_11target_archE4294967295ELNS1_3gpuE0ELNS1_3repE0EEENS1_30default_config_static_selectorELNS0_4arch9wavefront6targetE0EEEvT1_
	.p2align	8
	.type	_ZN7rocprim17ROCPRIM_400000_NS6detail17trampoline_kernelINS0_14default_configENS1_25partition_config_selectorILNS1_17partition_subalgoE9EttbEEZZNS1_14partition_implILS5_9ELb0ES3_jN6thrust23THRUST_200600_302600_NS6detail15normal_iteratorINS9_10device_ptrItEEEESE_PNS0_10empty_typeENS0_5tupleIJSE_SF_EEENSH_IJSE_SG_EEENS0_18inequality_wrapperINS9_8equal_toItEEEEPmJSF_EEE10hipError_tPvRmT3_T4_T5_T6_T7_T9_mT8_P12ihipStream_tbDpT10_ENKUlT_T0_E_clISt17integral_constantIbLb1EES17_IbLb0EEEEDaS13_S14_EUlS13_E_NS1_11comp_targetILNS1_3genE0ELNS1_11target_archE4294967295ELNS1_3gpuE0ELNS1_3repE0EEENS1_30default_config_static_selectorELNS0_4arch9wavefront6targetE0EEEvT1_,@function
_ZN7rocprim17ROCPRIM_400000_NS6detail17trampoline_kernelINS0_14default_configENS1_25partition_config_selectorILNS1_17partition_subalgoE9EttbEEZZNS1_14partition_implILS5_9ELb0ES3_jN6thrust23THRUST_200600_302600_NS6detail15normal_iteratorINS9_10device_ptrItEEEESE_PNS0_10empty_typeENS0_5tupleIJSE_SF_EEENSH_IJSE_SG_EEENS0_18inequality_wrapperINS9_8equal_toItEEEEPmJSF_EEE10hipError_tPvRmT3_T4_T5_T6_T7_T9_mT8_P12ihipStream_tbDpT10_ENKUlT_T0_E_clISt17integral_constantIbLb1EES17_IbLb0EEEEDaS13_S14_EUlS13_E_NS1_11comp_targetILNS1_3genE0ELNS1_11target_archE4294967295ELNS1_3gpuE0ELNS1_3repE0EEENS1_30default_config_static_selectorELNS0_4arch9wavefront6targetE0EEEvT1_: ; @_ZN7rocprim17ROCPRIM_400000_NS6detail17trampoline_kernelINS0_14default_configENS1_25partition_config_selectorILNS1_17partition_subalgoE9EttbEEZZNS1_14partition_implILS5_9ELb0ES3_jN6thrust23THRUST_200600_302600_NS6detail15normal_iteratorINS9_10device_ptrItEEEESE_PNS0_10empty_typeENS0_5tupleIJSE_SF_EEENSH_IJSE_SG_EEENS0_18inequality_wrapperINS9_8equal_toItEEEEPmJSF_EEE10hipError_tPvRmT3_T4_T5_T6_T7_T9_mT8_P12ihipStream_tbDpT10_ENKUlT_T0_E_clISt17integral_constantIbLb1EES17_IbLb0EEEEDaS13_S14_EUlS13_E_NS1_11comp_targetILNS1_3genE0ELNS1_11target_archE4294967295ELNS1_3gpuE0ELNS1_3repE0EEENS1_30default_config_static_selectorELNS0_4arch9wavefront6targetE0EEEvT1_
; %bb.0:
	.section	.rodata,"a",@progbits
	.p2align	6, 0x0
	.amdhsa_kernel _ZN7rocprim17ROCPRIM_400000_NS6detail17trampoline_kernelINS0_14default_configENS1_25partition_config_selectorILNS1_17partition_subalgoE9EttbEEZZNS1_14partition_implILS5_9ELb0ES3_jN6thrust23THRUST_200600_302600_NS6detail15normal_iteratorINS9_10device_ptrItEEEESE_PNS0_10empty_typeENS0_5tupleIJSE_SF_EEENSH_IJSE_SG_EEENS0_18inequality_wrapperINS9_8equal_toItEEEEPmJSF_EEE10hipError_tPvRmT3_T4_T5_T6_T7_T9_mT8_P12ihipStream_tbDpT10_ENKUlT_T0_E_clISt17integral_constantIbLb1EES17_IbLb0EEEEDaS13_S14_EUlS13_E_NS1_11comp_targetILNS1_3genE0ELNS1_11target_archE4294967295ELNS1_3gpuE0ELNS1_3repE0EEENS1_30default_config_static_selectorELNS0_4arch9wavefront6targetE0EEEvT1_
		.amdhsa_group_segment_fixed_size 0
		.amdhsa_private_segment_fixed_size 0
		.amdhsa_kernarg_size 112
		.amdhsa_user_sgpr_count 15
		.amdhsa_user_sgpr_dispatch_ptr 0
		.amdhsa_user_sgpr_queue_ptr 0
		.amdhsa_user_sgpr_kernarg_segment_ptr 1
		.amdhsa_user_sgpr_dispatch_id 0
		.amdhsa_user_sgpr_private_segment_size 0
		.amdhsa_wavefront_size32 1
		.amdhsa_uses_dynamic_stack 0
		.amdhsa_enable_private_segment 0
		.amdhsa_system_sgpr_workgroup_id_x 1
		.amdhsa_system_sgpr_workgroup_id_y 0
		.amdhsa_system_sgpr_workgroup_id_z 0
		.amdhsa_system_sgpr_workgroup_info 0
		.amdhsa_system_vgpr_workitem_id 0
		.amdhsa_next_free_vgpr 1
		.amdhsa_next_free_sgpr 1
		.amdhsa_reserve_vcc 0
		.amdhsa_float_round_mode_32 0
		.amdhsa_float_round_mode_16_64 0
		.amdhsa_float_denorm_mode_32 3
		.amdhsa_float_denorm_mode_16_64 3
		.amdhsa_dx10_clamp 1
		.amdhsa_ieee_mode 1
		.amdhsa_fp16_overflow 0
		.amdhsa_workgroup_processor_mode 1
		.amdhsa_memory_ordered 1
		.amdhsa_forward_progress 0
		.amdhsa_shared_vgpr_count 0
		.amdhsa_exception_fp_ieee_invalid_op 0
		.amdhsa_exception_fp_denorm_src 0
		.amdhsa_exception_fp_ieee_div_zero 0
		.amdhsa_exception_fp_ieee_overflow 0
		.amdhsa_exception_fp_ieee_underflow 0
		.amdhsa_exception_fp_ieee_inexact 0
		.amdhsa_exception_int_div_zero 0
	.end_amdhsa_kernel
	.section	.text._ZN7rocprim17ROCPRIM_400000_NS6detail17trampoline_kernelINS0_14default_configENS1_25partition_config_selectorILNS1_17partition_subalgoE9EttbEEZZNS1_14partition_implILS5_9ELb0ES3_jN6thrust23THRUST_200600_302600_NS6detail15normal_iteratorINS9_10device_ptrItEEEESE_PNS0_10empty_typeENS0_5tupleIJSE_SF_EEENSH_IJSE_SG_EEENS0_18inequality_wrapperINS9_8equal_toItEEEEPmJSF_EEE10hipError_tPvRmT3_T4_T5_T6_T7_T9_mT8_P12ihipStream_tbDpT10_ENKUlT_T0_E_clISt17integral_constantIbLb1EES17_IbLb0EEEEDaS13_S14_EUlS13_E_NS1_11comp_targetILNS1_3genE0ELNS1_11target_archE4294967295ELNS1_3gpuE0ELNS1_3repE0EEENS1_30default_config_static_selectorELNS0_4arch9wavefront6targetE0EEEvT1_,"axG",@progbits,_ZN7rocprim17ROCPRIM_400000_NS6detail17trampoline_kernelINS0_14default_configENS1_25partition_config_selectorILNS1_17partition_subalgoE9EttbEEZZNS1_14partition_implILS5_9ELb0ES3_jN6thrust23THRUST_200600_302600_NS6detail15normal_iteratorINS9_10device_ptrItEEEESE_PNS0_10empty_typeENS0_5tupleIJSE_SF_EEENSH_IJSE_SG_EEENS0_18inequality_wrapperINS9_8equal_toItEEEEPmJSF_EEE10hipError_tPvRmT3_T4_T5_T6_T7_T9_mT8_P12ihipStream_tbDpT10_ENKUlT_T0_E_clISt17integral_constantIbLb1EES17_IbLb0EEEEDaS13_S14_EUlS13_E_NS1_11comp_targetILNS1_3genE0ELNS1_11target_archE4294967295ELNS1_3gpuE0ELNS1_3repE0EEENS1_30default_config_static_selectorELNS0_4arch9wavefront6targetE0EEEvT1_,comdat
.Lfunc_end291:
	.size	_ZN7rocprim17ROCPRIM_400000_NS6detail17trampoline_kernelINS0_14default_configENS1_25partition_config_selectorILNS1_17partition_subalgoE9EttbEEZZNS1_14partition_implILS5_9ELb0ES3_jN6thrust23THRUST_200600_302600_NS6detail15normal_iteratorINS9_10device_ptrItEEEESE_PNS0_10empty_typeENS0_5tupleIJSE_SF_EEENSH_IJSE_SG_EEENS0_18inequality_wrapperINS9_8equal_toItEEEEPmJSF_EEE10hipError_tPvRmT3_T4_T5_T6_T7_T9_mT8_P12ihipStream_tbDpT10_ENKUlT_T0_E_clISt17integral_constantIbLb1EES17_IbLb0EEEEDaS13_S14_EUlS13_E_NS1_11comp_targetILNS1_3genE0ELNS1_11target_archE4294967295ELNS1_3gpuE0ELNS1_3repE0EEENS1_30default_config_static_selectorELNS0_4arch9wavefront6targetE0EEEvT1_, .Lfunc_end291-_ZN7rocprim17ROCPRIM_400000_NS6detail17trampoline_kernelINS0_14default_configENS1_25partition_config_selectorILNS1_17partition_subalgoE9EttbEEZZNS1_14partition_implILS5_9ELb0ES3_jN6thrust23THRUST_200600_302600_NS6detail15normal_iteratorINS9_10device_ptrItEEEESE_PNS0_10empty_typeENS0_5tupleIJSE_SF_EEENSH_IJSE_SG_EEENS0_18inequality_wrapperINS9_8equal_toItEEEEPmJSF_EEE10hipError_tPvRmT3_T4_T5_T6_T7_T9_mT8_P12ihipStream_tbDpT10_ENKUlT_T0_E_clISt17integral_constantIbLb1EES17_IbLb0EEEEDaS13_S14_EUlS13_E_NS1_11comp_targetILNS1_3genE0ELNS1_11target_archE4294967295ELNS1_3gpuE0ELNS1_3repE0EEENS1_30default_config_static_selectorELNS0_4arch9wavefront6targetE0EEEvT1_
                                        ; -- End function
	.section	.AMDGPU.csdata,"",@progbits
; Kernel info:
; codeLenInByte = 0
; NumSgprs: 0
; NumVgprs: 0
; ScratchSize: 0
; MemoryBound: 0
; FloatMode: 240
; IeeeMode: 1
; LDSByteSize: 0 bytes/workgroup (compile time only)
; SGPRBlocks: 0
; VGPRBlocks: 0
; NumSGPRsForWavesPerEU: 1
; NumVGPRsForWavesPerEU: 1
; Occupancy: 16
; WaveLimiterHint : 0
; COMPUTE_PGM_RSRC2:SCRATCH_EN: 0
; COMPUTE_PGM_RSRC2:USER_SGPR: 15
; COMPUTE_PGM_RSRC2:TRAP_HANDLER: 0
; COMPUTE_PGM_RSRC2:TGID_X_EN: 1
; COMPUTE_PGM_RSRC2:TGID_Y_EN: 0
; COMPUTE_PGM_RSRC2:TGID_Z_EN: 0
; COMPUTE_PGM_RSRC2:TIDIG_COMP_CNT: 0
	.section	.text._ZN7rocprim17ROCPRIM_400000_NS6detail17trampoline_kernelINS0_14default_configENS1_25partition_config_selectorILNS1_17partition_subalgoE9EttbEEZZNS1_14partition_implILS5_9ELb0ES3_jN6thrust23THRUST_200600_302600_NS6detail15normal_iteratorINS9_10device_ptrItEEEESE_PNS0_10empty_typeENS0_5tupleIJSE_SF_EEENSH_IJSE_SG_EEENS0_18inequality_wrapperINS9_8equal_toItEEEEPmJSF_EEE10hipError_tPvRmT3_T4_T5_T6_T7_T9_mT8_P12ihipStream_tbDpT10_ENKUlT_T0_E_clISt17integral_constantIbLb1EES17_IbLb0EEEEDaS13_S14_EUlS13_E_NS1_11comp_targetILNS1_3genE5ELNS1_11target_archE942ELNS1_3gpuE9ELNS1_3repE0EEENS1_30default_config_static_selectorELNS0_4arch9wavefront6targetE0EEEvT1_,"axG",@progbits,_ZN7rocprim17ROCPRIM_400000_NS6detail17trampoline_kernelINS0_14default_configENS1_25partition_config_selectorILNS1_17partition_subalgoE9EttbEEZZNS1_14partition_implILS5_9ELb0ES3_jN6thrust23THRUST_200600_302600_NS6detail15normal_iteratorINS9_10device_ptrItEEEESE_PNS0_10empty_typeENS0_5tupleIJSE_SF_EEENSH_IJSE_SG_EEENS0_18inequality_wrapperINS9_8equal_toItEEEEPmJSF_EEE10hipError_tPvRmT3_T4_T5_T6_T7_T9_mT8_P12ihipStream_tbDpT10_ENKUlT_T0_E_clISt17integral_constantIbLb1EES17_IbLb0EEEEDaS13_S14_EUlS13_E_NS1_11comp_targetILNS1_3genE5ELNS1_11target_archE942ELNS1_3gpuE9ELNS1_3repE0EEENS1_30default_config_static_selectorELNS0_4arch9wavefront6targetE0EEEvT1_,comdat
	.protected	_ZN7rocprim17ROCPRIM_400000_NS6detail17trampoline_kernelINS0_14default_configENS1_25partition_config_selectorILNS1_17partition_subalgoE9EttbEEZZNS1_14partition_implILS5_9ELb0ES3_jN6thrust23THRUST_200600_302600_NS6detail15normal_iteratorINS9_10device_ptrItEEEESE_PNS0_10empty_typeENS0_5tupleIJSE_SF_EEENSH_IJSE_SG_EEENS0_18inequality_wrapperINS9_8equal_toItEEEEPmJSF_EEE10hipError_tPvRmT3_T4_T5_T6_T7_T9_mT8_P12ihipStream_tbDpT10_ENKUlT_T0_E_clISt17integral_constantIbLb1EES17_IbLb0EEEEDaS13_S14_EUlS13_E_NS1_11comp_targetILNS1_3genE5ELNS1_11target_archE942ELNS1_3gpuE9ELNS1_3repE0EEENS1_30default_config_static_selectorELNS0_4arch9wavefront6targetE0EEEvT1_ ; -- Begin function _ZN7rocprim17ROCPRIM_400000_NS6detail17trampoline_kernelINS0_14default_configENS1_25partition_config_selectorILNS1_17partition_subalgoE9EttbEEZZNS1_14partition_implILS5_9ELb0ES3_jN6thrust23THRUST_200600_302600_NS6detail15normal_iteratorINS9_10device_ptrItEEEESE_PNS0_10empty_typeENS0_5tupleIJSE_SF_EEENSH_IJSE_SG_EEENS0_18inequality_wrapperINS9_8equal_toItEEEEPmJSF_EEE10hipError_tPvRmT3_T4_T5_T6_T7_T9_mT8_P12ihipStream_tbDpT10_ENKUlT_T0_E_clISt17integral_constantIbLb1EES17_IbLb0EEEEDaS13_S14_EUlS13_E_NS1_11comp_targetILNS1_3genE5ELNS1_11target_archE942ELNS1_3gpuE9ELNS1_3repE0EEENS1_30default_config_static_selectorELNS0_4arch9wavefront6targetE0EEEvT1_
	.globl	_ZN7rocprim17ROCPRIM_400000_NS6detail17trampoline_kernelINS0_14default_configENS1_25partition_config_selectorILNS1_17partition_subalgoE9EttbEEZZNS1_14partition_implILS5_9ELb0ES3_jN6thrust23THRUST_200600_302600_NS6detail15normal_iteratorINS9_10device_ptrItEEEESE_PNS0_10empty_typeENS0_5tupleIJSE_SF_EEENSH_IJSE_SG_EEENS0_18inequality_wrapperINS9_8equal_toItEEEEPmJSF_EEE10hipError_tPvRmT3_T4_T5_T6_T7_T9_mT8_P12ihipStream_tbDpT10_ENKUlT_T0_E_clISt17integral_constantIbLb1EES17_IbLb0EEEEDaS13_S14_EUlS13_E_NS1_11comp_targetILNS1_3genE5ELNS1_11target_archE942ELNS1_3gpuE9ELNS1_3repE0EEENS1_30default_config_static_selectorELNS0_4arch9wavefront6targetE0EEEvT1_
	.p2align	8
	.type	_ZN7rocprim17ROCPRIM_400000_NS6detail17trampoline_kernelINS0_14default_configENS1_25partition_config_selectorILNS1_17partition_subalgoE9EttbEEZZNS1_14partition_implILS5_9ELb0ES3_jN6thrust23THRUST_200600_302600_NS6detail15normal_iteratorINS9_10device_ptrItEEEESE_PNS0_10empty_typeENS0_5tupleIJSE_SF_EEENSH_IJSE_SG_EEENS0_18inequality_wrapperINS9_8equal_toItEEEEPmJSF_EEE10hipError_tPvRmT3_T4_T5_T6_T7_T9_mT8_P12ihipStream_tbDpT10_ENKUlT_T0_E_clISt17integral_constantIbLb1EES17_IbLb0EEEEDaS13_S14_EUlS13_E_NS1_11comp_targetILNS1_3genE5ELNS1_11target_archE942ELNS1_3gpuE9ELNS1_3repE0EEENS1_30default_config_static_selectorELNS0_4arch9wavefront6targetE0EEEvT1_,@function
_ZN7rocprim17ROCPRIM_400000_NS6detail17trampoline_kernelINS0_14default_configENS1_25partition_config_selectorILNS1_17partition_subalgoE9EttbEEZZNS1_14partition_implILS5_9ELb0ES3_jN6thrust23THRUST_200600_302600_NS6detail15normal_iteratorINS9_10device_ptrItEEEESE_PNS0_10empty_typeENS0_5tupleIJSE_SF_EEENSH_IJSE_SG_EEENS0_18inequality_wrapperINS9_8equal_toItEEEEPmJSF_EEE10hipError_tPvRmT3_T4_T5_T6_T7_T9_mT8_P12ihipStream_tbDpT10_ENKUlT_T0_E_clISt17integral_constantIbLb1EES17_IbLb0EEEEDaS13_S14_EUlS13_E_NS1_11comp_targetILNS1_3genE5ELNS1_11target_archE942ELNS1_3gpuE9ELNS1_3repE0EEENS1_30default_config_static_selectorELNS0_4arch9wavefront6targetE0EEEvT1_: ; @_ZN7rocprim17ROCPRIM_400000_NS6detail17trampoline_kernelINS0_14default_configENS1_25partition_config_selectorILNS1_17partition_subalgoE9EttbEEZZNS1_14partition_implILS5_9ELb0ES3_jN6thrust23THRUST_200600_302600_NS6detail15normal_iteratorINS9_10device_ptrItEEEESE_PNS0_10empty_typeENS0_5tupleIJSE_SF_EEENSH_IJSE_SG_EEENS0_18inequality_wrapperINS9_8equal_toItEEEEPmJSF_EEE10hipError_tPvRmT3_T4_T5_T6_T7_T9_mT8_P12ihipStream_tbDpT10_ENKUlT_T0_E_clISt17integral_constantIbLb1EES17_IbLb0EEEEDaS13_S14_EUlS13_E_NS1_11comp_targetILNS1_3genE5ELNS1_11target_archE942ELNS1_3gpuE9ELNS1_3repE0EEENS1_30default_config_static_selectorELNS0_4arch9wavefront6targetE0EEEvT1_
; %bb.0:
	.section	.rodata,"a",@progbits
	.p2align	6, 0x0
	.amdhsa_kernel _ZN7rocprim17ROCPRIM_400000_NS6detail17trampoline_kernelINS0_14default_configENS1_25partition_config_selectorILNS1_17partition_subalgoE9EttbEEZZNS1_14partition_implILS5_9ELb0ES3_jN6thrust23THRUST_200600_302600_NS6detail15normal_iteratorINS9_10device_ptrItEEEESE_PNS0_10empty_typeENS0_5tupleIJSE_SF_EEENSH_IJSE_SG_EEENS0_18inequality_wrapperINS9_8equal_toItEEEEPmJSF_EEE10hipError_tPvRmT3_T4_T5_T6_T7_T9_mT8_P12ihipStream_tbDpT10_ENKUlT_T0_E_clISt17integral_constantIbLb1EES17_IbLb0EEEEDaS13_S14_EUlS13_E_NS1_11comp_targetILNS1_3genE5ELNS1_11target_archE942ELNS1_3gpuE9ELNS1_3repE0EEENS1_30default_config_static_selectorELNS0_4arch9wavefront6targetE0EEEvT1_
		.amdhsa_group_segment_fixed_size 0
		.amdhsa_private_segment_fixed_size 0
		.amdhsa_kernarg_size 112
		.amdhsa_user_sgpr_count 15
		.amdhsa_user_sgpr_dispatch_ptr 0
		.amdhsa_user_sgpr_queue_ptr 0
		.amdhsa_user_sgpr_kernarg_segment_ptr 1
		.amdhsa_user_sgpr_dispatch_id 0
		.amdhsa_user_sgpr_private_segment_size 0
		.amdhsa_wavefront_size32 1
		.amdhsa_uses_dynamic_stack 0
		.amdhsa_enable_private_segment 0
		.amdhsa_system_sgpr_workgroup_id_x 1
		.amdhsa_system_sgpr_workgroup_id_y 0
		.amdhsa_system_sgpr_workgroup_id_z 0
		.amdhsa_system_sgpr_workgroup_info 0
		.amdhsa_system_vgpr_workitem_id 0
		.amdhsa_next_free_vgpr 1
		.amdhsa_next_free_sgpr 1
		.amdhsa_reserve_vcc 0
		.amdhsa_float_round_mode_32 0
		.amdhsa_float_round_mode_16_64 0
		.amdhsa_float_denorm_mode_32 3
		.amdhsa_float_denorm_mode_16_64 3
		.amdhsa_dx10_clamp 1
		.amdhsa_ieee_mode 1
		.amdhsa_fp16_overflow 0
		.amdhsa_workgroup_processor_mode 1
		.amdhsa_memory_ordered 1
		.amdhsa_forward_progress 0
		.amdhsa_shared_vgpr_count 0
		.amdhsa_exception_fp_ieee_invalid_op 0
		.amdhsa_exception_fp_denorm_src 0
		.amdhsa_exception_fp_ieee_div_zero 0
		.amdhsa_exception_fp_ieee_overflow 0
		.amdhsa_exception_fp_ieee_underflow 0
		.amdhsa_exception_fp_ieee_inexact 0
		.amdhsa_exception_int_div_zero 0
	.end_amdhsa_kernel
	.section	.text._ZN7rocprim17ROCPRIM_400000_NS6detail17trampoline_kernelINS0_14default_configENS1_25partition_config_selectorILNS1_17partition_subalgoE9EttbEEZZNS1_14partition_implILS5_9ELb0ES3_jN6thrust23THRUST_200600_302600_NS6detail15normal_iteratorINS9_10device_ptrItEEEESE_PNS0_10empty_typeENS0_5tupleIJSE_SF_EEENSH_IJSE_SG_EEENS0_18inequality_wrapperINS9_8equal_toItEEEEPmJSF_EEE10hipError_tPvRmT3_T4_T5_T6_T7_T9_mT8_P12ihipStream_tbDpT10_ENKUlT_T0_E_clISt17integral_constantIbLb1EES17_IbLb0EEEEDaS13_S14_EUlS13_E_NS1_11comp_targetILNS1_3genE5ELNS1_11target_archE942ELNS1_3gpuE9ELNS1_3repE0EEENS1_30default_config_static_selectorELNS0_4arch9wavefront6targetE0EEEvT1_,"axG",@progbits,_ZN7rocprim17ROCPRIM_400000_NS6detail17trampoline_kernelINS0_14default_configENS1_25partition_config_selectorILNS1_17partition_subalgoE9EttbEEZZNS1_14partition_implILS5_9ELb0ES3_jN6thrust23THRUST_200600_302600_NS6detail15normal_iteratorINS9_10device_ptrItEEEESE_PNS0_10empty_typeENS0_5tupleIJSE_SF_EEENSH_IJSE_SG_EEENS0_18inequality_wrapperINS9_8equal_toItEEEEPmJSF_EEE10hipError_tPvRmT3_T4_T5_T6_T7_T9_mT8_P12ihipStream_tbDpT10_ENKUlT_T0_E_clISt17integral_constantIbLb1EES17_IbLb0EEEEDaS13_S14_EUlS13_E_NS1_11comp_targetILNS1_3genE5ELNS1_11target_archE942ELNS1_3gpuE9ELNS1_3repE0EEENS1_30default_config_static_selectorELNS0_4arch9wavefront6targetE0EEEvT1_,comdat
.Lfunc_end292:
	.size	_ZN7rocprim17ROCPRIM_400000_NS6detail17trampoline_kernelINS0_14default_configENS1_25partition_config_selectorILNS1_17partition_subalgoE9EttbEEZZNS1_14partition_implILS5_9ELb0ES3_jN6thrust23THRUST_200600_302600_NS6detail15normal_iteratorINS9_10device_ptrItEEEESE_PNS0_10empty_typeENS0_5tupleIJSE_SF_EEENSH_IJSE_SG_EEENS0_18inequality_wrapperINS9_8equal_toItEEEEPmJSF_EEE10hipError_tPvRmT3_T4_T5_T6_T7_T9_mT8_P12ihipStream_tbDpT10_ENKUlT_T0_E_clISt17integral_constantIbLb1EES17_IbLb0EEEEDaS13_S14_EUlS13_E_NS1_11comp_targetILNS1_3genE5ELNS1_11target_archE942ELNS1_3gpuE9ELNS1_3repE0EEENS1_30default_config_static_selectorELNS0_4arch9wavefront6targetE0EEEvT1_, .Lfunc_end292-_ZN7rocprim17ROCPRIM_400000_NS6detail17trampoline_kernelINS0_14default_configENS1_25partition_config_selectorILNS1_17partition_subalgoE9EttbEEZZNS1_14partition_implILS5_9ELb0ES3_jN6thrust23THRUST_200600_302600_NS6detail15normal_iteratorINS9_10device_ptrItEEEESE_PNS0_10empty_typeENS0_5tupleIJSE_SF_EEENSH_IJSE_SG_EEENS0_18inequality_wrapperINS9_8equal_toItEEEEPmJSF_EEE10hipError_tPvRmT3_T4_T5_T6_T7_T9_mT8_P12ihipStream_tbDpT10_ENKUlT_T0_E_clISt17integral_constantIbLb1EES17_IbLb0EEEEDaS13_S14_EUlS13_E_NS1_11comp_targetILNS1_3genE5ELNS1_11target_archE942ELNS1_3gpuE9ELNS1_3repE0EEENS1_30default_config_static_selectorELNS0_4arch9wavefront6targetE0EEEvT1_
                                        ; -- End function
	.section	.AMDGPU.csdata,"",@progbits
; Kernel info:
; codeLenInByte = 0
; NumSgprs: 0
; NumVgprs: 0
; ScratchSize: 0
; MemoryBound: 0
; FloatMode: 240
; IeeeMode: 1
; LDSByteSize: 0 bytes/workgroup (compile time only)
; SGPRBlocks: 0
; VGPRBlocks: 0
; NumSGPRsForWavesPerEU: 1
; NumVGPRsForWavesPerEU: 1
; Occupancy: 16
; WaveLimiterHint : 0
; COMPUTE_PGM_RSRC2:SCRATCH_EN: 0
; COMPUTE_PGM_RSRC2:USER_SGPR: 15
; COMPUTE_PGM_RSRC2:TRAP_HANDLER: 0
; COMPUTE_PGM_RSRC2:TGID_X_EN: 1
; COMPUTE_PGM_RSRC2:TGID_Y_EN: 0
; COMPUTE_PGM_RSRC2:TGID_Z_EN: 0
; COMPUTE_PGM_RSRC2:TIDIG_COMP_CNT: 0
	.section	.text._ZN7rocprim17ROCPRIM_400000_NS6detail17trampoline_kernelINS0_14default_configENS1_25partition_config_selectorILNS1_17partition_subalgoE9EttbEEZZNS1_14partition_implILS5_9ELb0ES3_jN6thrust23THRUST_200600_302600_NS6detail15normal_iteratorINS9_10device_ptrItEEEESE_PNS0_10empty_typeENS0_5tupleIJSE_SF_EEENSH_IJSE_SG_EEENS0_18inequality_wrapperINS9_8equal_toItEEEEPmJSF_EEE10hipError_tPvRmT3_T4_T5_T6_T7_T9_mT8_P12ihipStream_tbDpT10_ENKUlT_T0_E_clISt17integral_constantIbLb1EES17_IbLb0EEEEDaS13_S14_EUlS13_E_NS1_11comp_targetILNS1_3genE4ELNS1_11target_archE910ELNS1_3gpuE8ELNS1_3repE0EEENS1_30default_config_static_selectorELNS0_4arch9wavefront6targetE0EEEvT1_,"axG",@progbits,_ZN7rocprim17ROCPRIM_400000_NS6detail17trampoline_kernelINS0_14default_configENS1_25partition_config_selectorILNS1_17partition_subalgoE9EttbEEZZNS1_14partition_implILS5_9ELb0ES3_jN6thrust23THRUST_200600_302600_NS6detail15normal_iteratorINS9_10device_ptrItEEEESE_PNS0_10empty_typeENS0_5tupleIJSE_SF_EEENSH_IJSE_SG_EEENS0_18inequality_wrapperINS9_8equal_toItEEEEPmJSF_EEE10hipError_tPvRmT3_T4_T5_T6_T7_T9_mT8_P12ihipStream_tbDpT10_ENKUlT_T0_E_clISt17integral_constantIbLb1EES17_IbLb0EEEEDaS13_S14_EUlS13_E_NS1_11comp_targetILNS1_3genE4ELNS1_11target_archE910ELNS1_3gpuE8ELNS1_3repE0EEENS1_30default_config_static_selectorELNS0_4arch9wavefront6targetE0EEEvT1_,comdat
	.protected	_ZN7rocprim17ROCPRIM_400000_NS6detail17trampoline_kernelINS0_14default_configENS1_25partition_config_selectorILNS1_17partition_subalgoE9EttbEEZZNS1_14partition_implILS5_9ELb0ES3_jN6thrust23THRUST_200600_302600_NS6detail15normal_iteratorINS9_10device_ptrItEEEESE_PNS0_10empty_typeENS0_5tupleIJSE_SF_EEENSH_IJSE_SG_EEENS0_18inequality_wrapperINS9_8equal_toItEEEEPmJSF_EEE10hipError_tPvRmT3_T4_T5_T6_T7_T9_mT8_P12ihipStream_tbDpT10_ENKUlT_T0_E_clISt17integral_constantIbLb1EES17_IbLb0EEEEDaS13_S14_EUlS13_E_NS1_11comp_targetILNS1_3genE4ELNS1_11target_archE910ELNS1_3gpuE8ELNS1_3repE0EEENS1_30default_config_static_selectorELNS0_4arch9wavefront6targetE0EEEvT1_ ; -- Begin function _ZN7rocprim17ROCPRIM_400000_NS6detail17trampoline_kernelINS0_14default_configENS1_25partition_config_selectorILNS1_17partition_subalgoE9EttbEEZZNS1_14partition_implILS5_9ELb0ES3_jN6thrust23THRUST_200600_302600_NS6detail15normal_iteratorINS9_10device_ptrItEEEESE_PNS0_10empty_typeENS0_5tupleIJSE_SF_EEENSH_IJSE_SG_EEENS0_18inequality_wrapperINS9_8equal_toItEEEEPmJSF_EEE10hipError_tPvRmT3_T4_T5_T6_T7_T9_mT8_P12ihipStream_tbDpT10_ENKUlT_T0_E_clISt17integral_constantIbLb1EES17_IbLb0EEEEDaS13_S14_EUlS13_E_NS1_11comp_targetILNS1_3genE4ELNS1_11target_archE910ELNS1_3gpuE8ELNS1_3repE0EEENS1_30default_config_static_selectorELNS0_4arch9wavefront6targetE0EEEvT1_
	.globl	_ZN7rocprim17ROCPRIM_400000_NS6detail17trampoline_kernelINS0_14default_configENS1_25partition_config_selectorILNS1_17partition_subalgoE9EttbEEZZNS1_14partition_implILS5_9ELb0ES3_jN6thrust23THRUST_200600_302600_NS6detail15normal_iteratorINS9_10device_ptrItEEEESE_PNS0_10empty_typeENS0_5tupleIJSE_SF_EEENSH_IJSE_SG_EEENS0_18inequality_wrapperINS9_8equal_toItEEEEPmJSF_EEE10hipError_tPvRmT3_T4_T5_T6_T7_T9_mT8_P12ihipStream_tbDpT10_ENKUlT_T0_E_clISt17integral_constantIbLb1EES17_IbLb0EEEEDaS13_S14_EUlS13_E_NS1_11comp_targetILNS1_3genE4ELNS1_11target_archE910ELNS1_3gpuE8ELNS1_3repE0EEENS1_30default_config_static_selectorELNS0_4arch9wavefront6targetE0EEEvT1_
	.p2align	8
	.type	_ZN7rocprim17ROCPRIM_400000_NS6detail17trampoline_kernelINS0_14default_configENS1_25partition_config_selectorILNS1_17partition_subalgoE9EttbEEZZNS1_14partition_implILS5_9ELb0ES3_jN6thrust23THRUST_200600_302600_NS6detail15normal_iteratorINS9_10device_ptrItEEEESE_PNS0_10empty_typeENS0_5tupleIJSE_SF_EEENSH_IJSE_SG_EEENS0_18inequality_wrapperINS9_8equal_toItEEEEPmJSF_EEE10hipError_tPvRmT3_T4_T5_T6_T7_T9_mT8_P12ihipStream_tbDpT10_ENKUlT_T0_E_clISt17integral_constantIbLb1EES17_IbLb0EEEEDaS13_S14_EUlS13_E_NS1_11comp_targetILNS1_3genE4ELNS1_11target_archE910ELNS1_3gpuE8ELNS1_3repE0EEENS1_30default_config_static_selectorELNS0_4arch9wavefront6targetE0EEEvT1_,@function
_ZN7rocprim17ROCPRIM_400000_NS6detail17trampoline_kernelINS0_14default_configENS1_25partition_config_selectorILNS1_17partition_subalgoE9EttbEEZZNS1_14partition_implILS5_9ELb0ES3_jN6thrust23THRUST_200600_302600_NS6detail15normal_iteratorINS9_10device_ptrItEEEESE_PNS0_10empty_typeENS0_5tupleIJSE_SF_EEENSH_IJSE_SG_EEENS0_18inequality_wrapperINS9_8equal_toItEEEEPmJSF_EEE10hipError_tPvRmT3_T4_T5_T6_T7_T9_mT8_P12ihipStream_tbDpT10_ENKUlT_T0_E_clISt17integral_constantIbLb1EES17_IbLb0EEEEDaS13_S14_EUlS13_E_NS1_11comp_targetILNS1_3genE4ELNS1_11target_archE910ELNS1_3gpuE8ELNS1_3repE0EEENS1_30default_config_static_selectorELNS0_4arch9wavefront6targetE0EEEvT1_: ; @_ZN7rocprim17ROCPRIM_400000_NS6detail17trampoline_kernelINS0_14default_configENS1_25partition_config_selectorILNS1_17partition_subalgoE9EttbEEZZNS1_14partition_implILS5_9ELb0ES3_jN6thrust23THRUST_200600_302600_NS6detail15normal_iteratorINS9_10device_ptrItEEEESE_PNS0_10empty_typeENS0_5tupleIJSE_SF_EEENSH_IJSE_SG_EEENS0_18inequality_wrapperINS9_8equal_toItEEEEPmJSF_EEE10hipError_tPvRmT3_T4_T5_T6_T7_T9_mT8_P12ihipStream_tbDpT10_ENKUlT_T0_E_clISt17integral_constantIbLb1EES17_IbLb0EEEEDaS13_S14_EUlS13_E_NS1_11comp_targetILNS1_3genE4ELNS1_11target_archE910ELNS1_3gpuE8ELNS1_3repE0EEENS1_30default_config_static_selectorELNS0_4arch9wavefront6targetE0EEEvT1_
; %bb.0:
	.section	.rodata,"a",@progbits
	.p2align	6, 0x0
	.amdhsa_kernel _ZN7rocprim17ROCPRIM_400000_NS6detail17trampoline_kernelINS0_14default_configENS1_25partition_config_selectorILNS1_17partition_subalgoE9EttbEEZZNS1_14partition_implILS5_9ELb0ES3_jN6thrust23THRUST_200600_302600_NS6detail15normal_iteratorINS9_10device_ptrItEEEESE_PNS0_10empty_typeENS0_5tupleIJSE_SF_EEENSH_IJSE_SG_EEENS0_18inequality_wrapperINS9_8equal_toItEEEEPmJSF_EEE10hipError_tPvRmT3_T4_T5_T6_T7_T9_mT8_P12ihipStream_tbDpT10_ENKUlT_T0_E_clISt17integral_constantIbLb1EES17_IbLb0EEEEDaS13_S14_EUlS13_E_NS1_11comp_targetILNS1_3genE4ELNS1_11target_archE910ELNS1_3gpuE8ELNS1_3repE0EEENS1_30default_config_static_selectorELNS0_4arch9wavefront6targetE0EEEvT1_
		.amdhsa_group_segment_fixed_size 0
		.amdhsa_private_segment_fixed_size 0
		.amdhsa_kernarg_size 112
		.amdhsa_user_sgpr_count 15
		.amdhsa_user_sgpr_dispatch_ptr 0
		.amdhsa_user_sgpr_queue_ptr 0
		.amdhsa_user_sgpr_kernarg_segment_ptr 1
		.amdhsa_user_sgpr_dispatch_id 0
		.amdhsa_user_sgpr_private_segment_size 0
		.amdhsa_wavefront_size32 1
		.amdhsa_uses_dynamic_stack 0
		.amdhsa_enable_private_segment 0
		.amdhsa_system_sgpr_workgroup_id_x 1
		.amdhsa_system_sgpr_workgroup_id_y 0
		.amdhsa_system_sgpr_workgroup_id_z 0
		.amdhsa_system_sgpr_workgroup_info 0
		.amdhsa_system_vgpr_workitem_id 0
		.amdhsa_next_free_vgpr 1
		.amdhsa_next_free_sgpr 1
		.amdhsa_reserve_vcc 0
		.amdhsa_float_round_mode_32 0
		.amdhsa_float_round_mode_16_64 0
		.amdhsa_float_denorm_mode_32 3
		.amdhsa_float_denorm_mode_16_64 3
		.amdhsa_dx10_clamp 1
		.amdhsa_ieee_mode 1
		.amdhsa_fp16_overflow 0
		.amdhsa_workgroup_processor_mode 1
		.amdhsa_memory_ordered 1
		.amdhsa_forward_progress 0
		.amdhsa_shared_vgpr_count 0
		.amdhsa_exception_fp_ieee_invalid_op 0
		.amdhsa_exception_fp_denorm_src 0
		.amdhsa_exception_fp_ieee_div_zero 0
		.amdhsa_exception_fp_ieee_overflow 0
		.amdhsa_exception_fp_ieee_underflow 0
		.amdhsa_exception_fp_ieee_inexact 0
		.amdhsa_exception_int_div_zero 0
	.end_amdhsa_kernel
	.section	.text._ZN7rocprim17ROCPRIM_400000_NS6detail17trampoline_kernelINS0_14default_configENS1_25partition_config_selectorILNS1_17partition_subalgoE9EttbEEZZNS1_14partition_implILS5_9ELb0ES3_jN6thrust23THRUST_200600_302600_NS6detail15normal_iteratorINS9_10device_ptrItEEEESE_PNS0_10empty_typeENS0_5tupleIJSE_SF_EEENSH_IJSE_SG_EEENS0_18inequality_wrapperINS9_8equal_toItEEEEPmJSF_EEE10hipError_tPvRmT3_T4_T5_T6_T7_T9_mT8_P12ihipStream_tbDpT10_ENKUlT_T0_E_clISt17integral_constantIbLb1EES17_IbLb0EEEEDaS13_S14_EUlS13_E_NS1_11comp_targetILNS1_3genE4ELNS1_11target_archE910ELNS1_3gpuE8ELNS1_3repE0EEENS1_30default_config_static_selectorELNS0_4arch9wavefront6targetE0EEEvT1_,"axG",@progbits,_ZN7rocprim17ROCPRIM_400000_NS6detail17trampoline_kernelINS0_14default_configENS1_25partition_config_selectorILNS1_17partition_subalgoE9EttbEEZZNS1_14partition_implILS5_9ELb0ES3_jN6thrust23THRUST_200600_302600_NS6detail15normal_iteratorINS9_10device_ptrItEEEESE_PNS0_10empty_typeENS0_5tupleIJSE_SF_EEENSH_IJSE_SG_EEENS0_18inequality_wrapperINS9_8equal_toItEEEEPmJSF_EEE10hipError_tPvRmT3_T4_T5_T6_T7_T9_mT8_P12ihipStream_tbDpT10_ENKUlT_T0_E_clISt17integral_constantIbLb1EES17_IbLb0EEEEDaS13_S14_EUlS13_E_NS1_11comp_targetILNS1_3genE4ELNS1_11target_archE910ELNS1_3gpuE8ELNS1_3repE0EEENS1_30default_config_static_selectorELNS0_4arch9wavefront6targetE0EEEvT1_,comdat
.Lfunc_end293:
	.size	_ZN7rocprim17ROCPRIM_400000_NS6detail17trampoline_kernelINS0_14default_configENS1_25partition_config_selectorILNS1_17partition_subalgoE9EttbEEZZNS1_14partition_implILS5_9ELb0ES3_jN6thrust23THRUST_200600_302600_NS6detail15normal_iteratorINS9_10device_ptrItEEEESE_PNS0_10empty_typeENS0_5tupleIJSE_SF_EEENSH_IJSE_SG_EEENS0_18inequality_wrapperINS9_8equal_toItEEEEPmJSF_EEE10hipError_tPvRmT3_T4_T5_T6_T7_T9_mT8_P12ihipStream_tbDpT10_ENKUlT_T0_E_clISt17integral_constantIbLb1EES17_IbLb0EEEEDaS13_S14_EUlS13_E_NS1_11comp_targetILNS1_3genE4ELNS1_11target_archE910ELNS1_3gpuE8ELNS1_3repE0EEENS1_30default_config_static_selectorELNS0_4arch9wavefront6targetE0EEEvT1_, .Lfunc_end293-_ZN7rocprim17ROCPRIM_400000_NS6detail17trampoline_kernelINS0_14default_configENS1_25partition_config_selectorILNS1_17partition_subalgoE9EttbEEZZNS1_14partition_implILS5_9ELb0ES3_jN6thrust23THRUST_200600_302600_NS6detail15normal_iteratorINS9_10device_ptrItEEEESE_PNS0_10empty_typeENS0_5tupleIJSE_SF_EEENSH_IJSE_SG_EEENS0_18inequality_wrapperINS9_8equal_toItEEEEPmJSF_EEE10hipError_tPvRmT3_T4_T5_T6_T7_T9_mT8_P12ihipStream_tbDpT10_ENKUlT_T0_E_clISt17integral_constantIbLb1EES17_IbLb0EEEEDaS13_S14_EUlS13_E_NS1_11comp_targetILNS1_3genE4ELNS1_11target_archE910ELNS1_3gpuE8ELNS1_3repE0EEENS1_30default_config_static_selectorELNS0_4arch9wavefront6targetE0EEEvT1_
                                        ; -- End function
	.section	.AMDGPU.csdata,"",@progbits
; Kernel info:
; codeLenInByte = 0
; NumSgprs: 0
; NumVgprs: 0
; ScratchSize: 0
; MemoryBound: 0
; FloatMode: 240
; IeeeMode: 1
; LDSByteSize: 0 bytes/workgroup (compile time only)
; SGPRBlocks: 0
; VGPRBlocks: 0
; NumSGPRsForWavesPerEU: 1
; NumVGPRsForWavesPerEU: 1
; Occupancy: 16
; WaveLimiterHint : 0
; COMPUTE_PGM_RSRC2:SCRATCH_EN: 0
; COMPUTE_PGM_RSRC2:USER_SGPR: 15
; COMPUTE_PGM_RSRC2:TRAP_HANDLER: 0
; COMPUTE_PGM_RSRC2:TGID_X_EN: 1
; COMPUTE_PGM_RSRC2:TGID_Y_EN: 0
; COMPUTE_PGM_RSRC2:TGID_Z_EN: 0
; COMPUTE_PGM_RSRC2:TIDIG_COMP_CNT: 0
	.section	.text._ZN7rocprim17ROCPRIM_400000_NS6detail17trampoline_kernelINS0_14default_configENS1_25partition_config_selectorILNS1_17partition_subalgoE9EttbEEZZNS1_14partition_implILS5_9ELb0ES3_jN6thrust23THRUST_200600_302600_NS6detail15normal_iteratorINS9_10device_ptrItEEEESE_PNS0_10empty_typeENS0_5tupleIJSE_SF_EEENSH_IJSE_SG_EEENS0_18inequality_wrapperINS9_8equal_toItEEEEPmJSF_EEE10hipError_tPvRmT3_T4_T5_T6_T7_T9_mT8_P12ihipStream_tbDpT10_ENKUlT_T0_E_clISt17integral_constantIbLb1EES17_IbLb0EEEEDaS13_S14_EUlS13_E_NS1_11comp_targetILNS1_3genE3ELNS1_11target_archE908ELNS1_3gpuE7ELNS1_3repE0EEENS1_30default_config_static_selectorELNS0_4arch9wavefront6targetE0EEEvT1_,"axG",@progbits,_ZN7rocprim17ROCPRIM_400000_NS6detail17trampoline_kernelINS0_14default_configENS1_25partition_config_selectorILNS1_17partition_subalgoE9EttbEEZZNS1_14partition_implILS5_9ELb0ES3_jN6thrust23THRUST_200600_302600_NS6detail15normal_iteratorINS9_10device_ptrItEEEESE_PNS0_10empty_typeENS0_5tupleIJSE_SF_EEENSH_IJSE_SG_EEENS0_18inequality_wrapperINS9_8equal_toItEEEEPmJSF_EEE10hipError_tPvRmT3_T4_T5_T6_T7_T9_mT8_P12ihipStream_tbDpT10_ENKUlT_T0_E_clISt17integral_constantIbLb1EES17_IbLb0EEEEDaS13_S14_EUlS13_E_NS1_11comp_targetILNS1_3genE3ELNS1_11target_archE908ELNS1_3gpuE7ELNS1_3repE0EEENS1_30default_config_static_selectorELNS0_4arch9wavefront6targetE0EEEvT1_,comdat
	.protected	_ZN7rocprim17ROCPRIM_400000_NS6detail17trampoline_kernelINS0_14default_configENS1_25partition_config_selectorILNS1_17partition_subalgoE9EttbEEZZNS1_14partition_implILS5_9ELb0ES3_jN6thrust23THRUST_200600_302600_NS6detail15normal_iteratorINS9_10device_ptrItEEEESE_PNS0_10empty_typeENS0_5tupleIJSE_SF_EEENSH_IJSE_SG_EEENS0_18inequality_wrapperINS9_8equal_toItEEEEPmJSF_EEE10hipError_tPvRmT3_T4_T5_T6_T7_T9_mT8_P12ihipStream_tbDpT10_ENKUlT_T0_E_clISt17integral_constantIbLb1EES17_IbLb0EEEEDaS13_S14_EUlS13_E_NS1_11comp_targetILNS1_3genE3ELNS1_11target_archE908ELNS1_3gpuE7ELNS1_3repE0EEENS1_30default_config_static_selectorELNS0_4arch9wavefront6targetE0EEEvT1_ ; -- Begin function _ZN7rocprim17ROCPRIM_400000_NS6detail17trampoline_kernelINS0_14default_configENS1_25partition_config_selectorILNS1_17partition_subalgoE9EttbEEZZNS1_14partition_implILS5_9ELb0ES3_jN6thrust23THRUST_200600_302600_NS6detail15normal_iteratorINS9_10device_ptrItEEEESE_PNS0_10empty_typeENS0_5tupleIJSE_SF_EEENSH_IJSE_SG_EEENS0_18inequality_wrapperINS9_8equal_toItEEEEPmJSF_EEE10hipError_tPvRmT3_T4_T5_T6_T7_T9_mT8_P12ihipStream_tbDpT10_ENKUlT_T0_E_clISt17integral_constantIbLb1EES17_IbLb0EEEEDaS13_S14_EUlS13_E_NS1_11comp_targetILNS1_3genE3ELNS1_11target_archE908ELNS1_3gpuE7ELNS1_3repE0EEENS1_30default_config_static_selectorELNS0_4arch9wavefront6targetE0EEEvT1_
	.globl	_ZN7rocprim17ROCPRIM_400000_NS6detail17trampoline_kernelINS0_14default_configENS1_25partition_config_selectorILNS1_17partition_subalgoE9EttbEEZZNS1_14partition_implILS5_9ELb0ES3_jN6thrust23THRUST_200600_302600_NS6detail15normal_iteratorINS9_10device_ptrItEEEESE_PNS0_10empty_typeENS0_5tupleIJSE_SF_EEENSH_IJSE_SG_EEENS0_18inequality_wrapperINS9_8equal_toItEEEEPmJSF_EEE10hipError_tPvRmT3_T4_T5_T6_T7_T9_mT8_P12ihipStream_tbDpT10_ENKUlT_T0_E_clISt17integral_constantIbLb1EES17_IbLb0EEEEDaS13_S14_EUlS13_E_NS1_11comp_targetILNS1_3genE3ELNS1_11target_archE908ELNS1_3gpuE7ELNS1_3repE0EEENS1_30default_config_static_selectorELNS0_4arch9wavefront6targetE0EEEvT1_
	.p2align	8
	.type	_ZN7rocprim17ROCPRIM_400000_NS6detail17trampoline_kernelINS0_14default_configENS1_25partition_config_selectorILNS1_17partition_subalgoE9EttbEEZZNS1_14partition_implILS5_9ELb0ES3_jN6thrust23THRUST_200600_302600_NS6detail15normal_iteratorINS9_10device_ptrItEEEESE_PNS0_10empty_typeENS0_5tupleIJSE_SF_EEENSH_IJSE_SG_EEENS0_18inequality_wrapperINS9_8equal_toItEEEEPmJSF_EEE10hipError_tPvRmT3_T4_T5_T6_T7_T9_mT8_P12ihipStream_tbDpT10_ENKUlT_T0_E_clISt17integral_constantIbLb1EES17_IbLb0EEEEDaS13_S14_EUlS13_E_NS1_11comp_targetILNS1_3genE3ELNS1_11target_archE908ELNS1_3gpuE7ELNS1_3repE0EEENS1_30default_config_static_selectorELNS0_4arch9wavefront6targetE0EEEvT1_,@function
_ZN7rocprim17ROCPRIM_400000_NS6detail17trampoline_kernelINS0_14default_configENS1_25partition_config_selectorILNS1_17partition_subalgoE9EttbEEZZNS1_14partition_implILS5_9ELb0ES3_jN6thrust23THRUST_200600_302600_NS6detail15normal_iteratorINS9_10device_ptrItEEEESE_PNS0_10empty_typeENS0_5tupleIJSE_SF_EEENSH_IJSE_SG_EEENS0_18inequality_wrapperINS9_8equal_toItEEEEPmJSF_EEE10hipError_tPvRmT3_T4_T5_T6_T7_T9_mT8_P12ihipStream_tbDpT10_ENKUlT_T0_E_clISt17integral_constantIbLb1EES17_IbLb0EEEEDaS13_S14_EUlS13_E_NS1_11comp_targetILNS1_3genE3ELNS1_11target_archE908ELNS1_3gpuE7ELNS1_3repE0EEENS1_30default_config_static_selectorELNS0_4arch9wavefront6targetE0EEEvT1_: ; @_ZN7rocprim17ROCPRIM_400000_NS6detail17trampoline_kernelINS0_14default_configENS1_25partition_config_selectorILNS1_17partition_subalgoE9EttbEEZZNS1_14partition_implILS5_9ELb0ES3_jN6thrust23THRUST_200600_302600_NS6detail15normal_iteratorINS9_10device_ptrItEEEESE_PNS0_10empty_typeENS0_5tupleIJSE_SF_EEENSH_IJSE_SG_EEENS0_18inequality_wrapperINS9_8equal_toItEEEEPmJSF_EEE10hipError_tPvRmT3_T4_T5_T6_T7_T9_mT8_P12ihipStream_tbDpT10_ENKUlT_T0_E_clISt17integral_constantIbLb1EES17_IbLb0EEEEDaS13_S14_EUlS13_E_NS1_11comp_targetILNS1_3genE3ELNS1_11target_archE908ELNS1_3gpuE7ELNS1_3repE0EEENS1_30default_config_static_selectorELNS0_4arch9wavefront6targetE0EEEvT1_
; %bb.0:
	.section	.rodata,"a",@progbits
	.p2align	6, 0x0
	.amdhsa_kernel _ZN7rocprim17ROCPRIM_400000_NS6detail17trampoline_kernelINS0_14default_configENS1_25partition_config_selectorILNS1_17partition_subalgoE9EttbEEZZNS1_14partition_implILS5_9ELb0ES3_jN6thrust23THRUST_200600_302600_NS6detail15normal_iteratorINS9_10device_ptrItEEEESE_PNS0_10empty_typeENS0_5tupleIJSE_SF_EEENSH_IJSE_SG_EEENS0_18inequality_wrapperINS9_8equal_toItEEEEPmJSF_EEE10hipError_tPvRmT3_T4_T5_T6_T7_T9_mT8_P12ihipStream_tbDpT10_ENKUlT_T0_E_clISt17integral_constantIbLb1EES17_IbLb0EEEEDaS13_S14_EUlS13_E_NS1_11comp_targetILNS1_3genE3ELNS1_11target_archE908ELNS1_3gpuE7ELNS1_3repE0EEENS1_30default_config_static_selectorELNS0_4arch9wavefront6targetE0EEEvT1_
		.amdhsa_group_segment_fixed_size 0
		.amdhsa_private_segment_fixed_size 0
		.amdhsa_kernarg_size 112
		.amdhsa_user_sgpr_count 15
		.amdhsa_user_sgpr_dispatch_ptr 0
		.amdhsa_user_sgpr_queue_ptr 0
		.amdhsa_user_sgpr_kernarg_segment_ptr 1
		.amdhsa_user_sgpr_dispatch_id 0
		.amdhsa_user_sgpr_private_segment_size 0
		.amdhsa_wavefront_size32 1
		.amdhsa_uses_dynamic_stack 0
		.amdhsa_enable_private_segment 0
		.amdhsa_system_sgpr_workgroup_id_x 1
		.amdhsa_system_sgpr_workgroup_id_y 0
		.amdhsa_system_sgpr_workgroup_id_z 0
		.amdhsa_system_sgpr_workgroup_info 0
		.amdhsa_system_vgpr_workitem_id 0
		.amdhsa_next_free_vgpr 1
		.amdhsa_next_free_sgpr 1
		.amdhsa_reserve_vcc 0
		.amdhsa_float_round_mode_32 0
		.amdhsa_float_round_mode_16_64 0
		.amdhsa_float_denorm_mode_32 3
		.amdhsa_float_denorm_mode_16_64 3
		.amdhsa_dx10_clamp 1
		.amdhsa_ieee_mode 1
		.amdhsa_fp16_overflow 0
		.amdhsa_workgroup_processor_mode 1
		.amdhsa_memory_ordered 1
		.amdhsa_forward_progress 0
		.amdhsa_shared_vgpr_count 0
		.amdhsa_exception_fp_ieee_invalid_op 0
		.amdhsa_exception_fp_denorm_src 0
		.amdhsa_exception_fp_ieee_div_zero 0
		.amdhsa_exception_fp_ieee_overflow 0
		.amdhsa_exception_fp_ieee_underflow 0
		.amdhsa_exception_fp_ieee_inexact 0
		.amdhsa_exception_int_div_zero 0
	.end_amdhsa_kernel
	.section	.text._ZN7rocprim17ROCPRIM_400000_NS6detail17trampoline_kernelINS0_14default_configENS1_25partition_config_selectorILNS1_17partition_subalgoE9EttbEEZZNS1_14partition_implILS5_9ELb0ES3_jN6thrust23THRUST_200600_302600_NS6detail15normal_iteratorINS9_10device_ptrItEEEESE_PNS0_10empty_typeENS0_5tupleIJSE_SF_EEENSH_IJSE_SG_EEENS0_18inequality_wrapperINS9_8equal_toItEEEEPmJSF_EEE10hipError_tPvRmT3_T4_T5_T6_T7_T9_mT8_P12ihipStream_tbDpT10_ENKUlT_T0_E_clISt17integral_constantIbLb1EES17_IbLb0EEEEDaS13_S14_EUlS13_E_NS1_11comp_targetILNS1_3genE3ELNS1_11target_archE908ELNS1_3gpuE7ELNS1_3repE0EEENS1_30default_config_static_selectorELNS0_4arch9wavefront6targetE0EEEvT1_,"axG",@progbits,_ZN7rocprim17ROCPRIM_400000_NS6detail17trampoline_kernelINS0_14default_configENS1_25partition_config_selectorILNS1_17partition_subalgoE9EttbEEZZNS1_14partition_implILS5_9ELb0ES3_jN6thrust23THRUST_200600_302600_NS6detail15normal_iteratorINS9_10device_ptrItEEEESE_PNS0_10empty_typeENS0_5tupleIJSE_SF_EEENSH_IJSE_SG_EEENS0_18inequality_wrapperINS9_8equal_toItEEEEPmJSF_EEE10hipError_tPvRmT3_T4_T5_T6_T7_T9_mT8_P12ihipStream_tbDpT10_ENKUlT_T0_E_clISt17integral_constantIbLb1EES17_IbLb0EEEEDaS13_S14_EUlS13_E_NS1_11comp_targetILNS1_3genE3ELNS1_11target_archE908ELNS1_3gpuE7ELNS1_3repE0EEENS1_30default_config_static_selectorELNS0_4arch9wavefront6targetE0EEEvT1_,comdat
.Lfunc_end294:
	.size	_ZN7rocprim17ROCPRIM_400000_NS6detail17trampoline_kernelINS0_14default_configENS1_25partition_config_selectorILNS1_17partition_subalgoE9EttbEEZZNS1_14partition_implILS5_9ELb0ES3_jN6thrust23THRUST_200600_302600_NS6detail15normal_iteratorINS9_10device_ptrItEEEESE_PNS0_10empty_typeENS0_5tupleIJSE_SF_EEENSH_IJSE_SG_EEENS0_18inequality_wrapperINS9_8equal_toItEEEEPmJSF_EEE10hipError_tPvRmT3_T4_T5_T6_T7_T9_mT8_P12ihipStream_tbDpT10_ENKUlT_T0_E_clISt17integral_constantIbLb1EES17_IbLb0EEEEDaS13_S14_EUlS13_E_NS1_11comp_targetILNS1_3genE3ELNS1_11target_archE908ELNS1_3gpuE7ELNS1_3repE0EEENS1_30default_config_static_selectorELNS0_4arch9wavefront6targetE0EEEvT1_, .Lfunc_end294-_ZN7rocprim17ROCPRIM_400000_NS6detail17trampoline_kernelINS0_14default_configENS1_25partition_config_selectorILNS1_17partition_subalgoE9EttbEEZZNS1_14partition_implILS5_9ELb0ES3_jN6thrust23THRUST_200600_302600_NS6detail15normal_iteratorINS9_10device_ptrItEEEESE_PNS0_10empty_typeENS0_5tupleIJSE_SF_EEENSH_IJSE_SG_EEENS0_18inequality_wrapperINS9_8equal_toItEEEEPmJSF_EEE10hipError_tPvRmT3_T4_T5_T6_T7_T9_mT8_P12ihipStream_tbDpT10_ENKUlT_T0_E_clISt17integral_constantIbLb1EES17_IbLb0EEEEDaS13_S14_EUlS13_E_NS1_11comp_targetILNS1_3genE3ELNS1_11target_archE908ELNS1_3gpuE7ELNS1_3repE0EEENS1_30default_config_static_selectorELNS0_4arch9wavefront6targetE0EEEvT1_
                                        ; -- End function
	.section	.AMDGPU.csdata,"",@progbits
; Kernel info:
; codeLenInByte = 0
; NumSgprs: 0
; NumVgprs: 0
; ScratchSize: 0
; MemoryBound: 0
; FloatMode: 240
; IeeeMode: 1
; LDSByteSize: 0 bytes/workgroup (compile time only)
; SGPRBlocks: 0
; VGPRBlocks: 0
; NumSGPRsForWavesPerEU: 1
; NumVGPRsForWavesPerEU: 1
; Occupancy: 16
; WaveLimiterHint : 0
; COMPUTE_PGM_RSRC2:SCRATCH_EN: 0
; COMPUTE_PGM_RSRC2:USER_SGPR: 15
; COMPUTE_PGM_RSRC2:TRAP_HANDLER: 0
; COMPUTE_PGM_RSRC2:TGID_X_EN: 1
; COMPUTE_PGM_RSRC2:TGID_Y_EN: 0
; COMPUTE_PGM_RSRC2:TGID_Z_EN: 0
; COMPUTE_PGM_RSRC2:TIDIG_COMP_CNT: 0
	.section	.text._ZN7rocprim17ROCPRIM_400000_NS6detail17trampoline_kernelINS0_14default_configENS1_25partition_config_selectorILNS1_17partition_subalgoE9EttbEEZZNS1_14partition_implILS5_9ELb0ES3_jN6thrust23THRUST_200600_302600_NS6detail15normal_iteratorINS9_10device_ptrItEEEESE_PNS0_10empty_typeENS0_5tupleIJSE_SF_EEENSH_IJSE_SG_EEENS0_18inequality_wrapperINS9_8equal_toItEEEEPmJSF_EEE10hipError_tPvRmT3_T4_T5_T6_T7_T9_mT8_P12ihipStream_tbDpT10_ENKUlT_T0_E_clISt17integral_constantIbLb1EES17_IbLb0EEEEDaS13_S14_EUlS13_E_NS1_11comp_targetILNS1_3genE2ELNS1_11target_archE906ELNS1_3gpuE6ELNS1_3repE0EEENS1_30default_config_static_selectorELNS0_4arch9wavefront6targetE0EEEvT1_,"axG",@progbits,_ZN7rocprim17ROCPRIM_400000_NS6detail17trampoline_kernelINS0_14default_configENS1_25partition_config_selectorILNS1_17partition_subalgoE9EttbEEZZNS1_14partition_implILS5_9ELb0ES3_jN6thrust23THRUST_200600_302600_NS6detail15normal_iteratorINS9_10device_ptrItEEEESE_PNS0_10empty_typeENS0_5tupleIJSE_SF_EEENSH_IJSE_SG_EEENS0_18inequality_wrapperINS9_8equal_toItEEEEPmJSF_EEE10hipError_tPvRmT3_T4_T5_T6_T7_T9_mT8_P12ihipStream_tbDpT10_ENKUlT_T0_E_clISt17integral_constantIbLb1EES17_IbLb0EEEEDaS13_S14_EUlS13_E_NS1_11comp_targetILNS1_3genE2ELNS1_11target_archE906ELNS1_3gpuE6ELNS1_3repE0EEENS1_30default_config_static_selectorELNS0_4arch9wavefront6targetE0EEEvT1_,comdat
	.protected	_ZN7rocprim17ROCPRIM_400000_NS6detail17trampoline_kernelINS0_14default_configENS1_25partition_config_selectorILNS1_17partition_subalgoE9EttbEEZZNS1_14partition_implILS5_9ELb0ES3_jN6thrust23THRUST_200600_302600_NS6detail15normal_iteratorINS9_10device_ptrItEEEESE_PNS0_10empty_typeENS0_5tupleIJSE_SF_EEENSH_IJSE_SG_EEENS0_18inequality_wrapperINS9_8equal_toItEEEEPmJSF_EEE10hipError_tPvRmT3_T4_T5_T6_T7_T9_mT8_P12ihipStream_tbDpT10_ENKUlT_T0_E_clISt17integral_constantIbLb1EES17_IbLb0EEEEDaS13_S14_EUlS13_E_NS1_11comp_targetILNS1_3genE2ELNS1_11target_archE906ELNS1_3gpuE6ELNS1_3repE0EEENS1_30default_config_static_selectorELNS0_4arch9wavefront6targetE0EEEvT1_ ; -- Begin function _ZN7rocprim17ROCPRIM_400000_NS6detail17trampoline_kernelINS0_14default_configENS1_25partition_config_selectorILNS1_17partition_subalgoE9EttbEEZZNS1_14partition_implILS5_9ELb0ES3_jN6thrust23THRUST_200600_302600_NS6detail15normal_iteratorINS9_10device_ptrItEEEESE_PNS0_10empty_typeENS0_5tupleIJSE_SF_EEENSH_IJSE_SG_EEENS0_18inequality_wrapperINS9_8equal_toItEEEEPmJSF_EEE10hipError_tPvRmT3_T4_T5_T6_T7_T9_mT8_P12ihipStream_tbDpT10_ENKUlT_T0_E_clISt17integral_constantIbLb1EES17_IbLb0EEEEDaS13_S14_EUlS13_E_NS1_11comp_targetILNS1_3genE2ELNS1_11target_archE906ELNS1_3gpuE6ELNS1_3repE0EEENS1_30default_config_static_selectorELNS0_4arch9wavefront6targetE0EEEvT1_
	.globl	_ZN7rocprim17ROCPRIM_400000_NS6detail17trampoline_kernelINS0_14default_configENS1_25partition_config_selectorILNS1_17partition_subalgoE9EttbEEZZNS1_14partition_implILS5_9ELb0ES3_jN6thrust23THRUST_200600_302600_NS6detail15normal_iteratorINS9_10device_ptrItEEEESE_PNS0_10empty_typeENS0_5tupleIJSE_SF_EEENSH_IJSE_SG_EEENS0_18inequality_wrapperINS9_8equal_toItEEEEPmJSF_EEE10hipError_tPvRmT3_T4_T5_T6_T7_T9_mT8_P12ihipStream_tbDpT10_ENKUlT_T0_E_clISt17integral_constantIbLb1EES17_IbLb0EEEEDaS13_S14_EUlS13_E_NS1_11comp_targetILNS1_3genE2ELNS1_11target_archE906ELNS1_3gpuE6ELNS1_3repE0EEENS1_30default_config_static_selectorELNS0_4arch9wavefront6targetE0EEEvT1_
	.p2align	8
	.type	_ZN7rocprim17ROCPRIM_400000_NS6detail17trampoline_kernelINS0_14default_configENS1_25partition_config_selectorILNS1_17partition_subalgoE9EttbEEZZNS1_14partition_implILS5_9ELb0ES3_jN6thrust23THRUST_200600_302600_NS6detail15normal_iteratorINS9_10device_ptrItEEEESE_PNS0_10empty_typeENS0_5tupleIJSE_SF_EEENSH_IJSE_SG_EEENS0_18inequality_wrapperINS9_8equal_toItEEEEPmJSF_EEE10hipError_tPvRmT3_T4_T5_T6_T7_T9_mT8_P12ihipStream_tbDpT10_ENKUlT_T0_E_clISt17integral_constantIbLb1EES17_IbLb0EEEEDaS13_S14_EUlS13_E_NS1_11comp_targetILNS1_3genE2ELNS1_11target_archE906ELNS1_3gpuE6ELNS1_3repE0EEENS1_30default_config_static_selectorELNS0_4arch9wavefront6targetE0EEEvT1_,@function
_ZN7rocprim17ROCPRIM_400000_NS6detail17trampoline_kernelINS0_14default_configENS1_25partition_config_selectorILNS1_17partition_subalgoE9EttbEEZZNS1_14partition_implILS5_9ELb0ES3_jN6thrust23THRUST_200600_302600_NS6detail15normal_iteratorINS9_10device_ptrItEEEESE_PNS0_10empty_typeENS0_5tupleIJSE_SF_EEENSH_IJSE_SG_EEENS0_18inequality_wrapperINS9_8equal_toItEEEEPmJSF_EEE10hipError_tPvRmT3_T4_T5_T6_T7_T9_mT8_P12ihipStream_tbDpT10_ENKUlT_T0_E_clISt17integral_constantIbLb1EES17_IbLb0EEEEDaS13_S14_EUlS13_E_NS1_11comp_targetILNS1_3genE2ELNS1_11target_archE906ELNS1_3gpuE6ELNS1_3repE0EEENS1_30default_config_static_selectorELNS0_4arch9wavefront6targetE0EEEvT1_: ; @_ZN7rocprim17ROCPRIM_400000_NS6detail17trampoline_kernelINS0_14default_configENS1_25partition_config_selectorILNS1_17partition_subalgoE9EttbEEZZNS1_14partition_implILS5_9ELb0ES3_jN6thrust23THRUST_200600_302600_NS6detail15normal_iteratorINS9_10device_ptrItEEEESE_PNS0_10empty_typeENS0_5tupleIJSE_SF_EEENSH_IJSE_SG_EEENS0_18inequality_wrapperINS9_8equal_toItEEEEPmJSF_EEE10hipError_tPvRmT3_T4_T5_T6_T7_T9_mT8_P12ihipStream_tbDpT10_ENKUlT_T0_E_clISt17integral_constantIbLb1EES17_IbLb0EEEEDaS13_S14_EUlS13_E_NS1_11comp_targetILNS1_3genE2ELNS1_11target_archE906ELNS1_3gpuE6ELNS1_3repE0EEENS1_30default_config_static_selectorELNS0_4arch9wavefront6targetE0EEEvT1_
; %bb.0:
	.section	.rodata,"a",@progbits
	.p2align	6, 0x0
	.amdhsa_kernel _ZN7rocprim17ROCPRIM_400000_NS6detail17trampoline_kernelINS0_14default_configENS1_25partition_config_selectorILNS1_17partition_subalgoE9EttbEEZZNS1_14partition_implILS5_9ELb0ES3_jN6thrust23THRUST_200600_302600_NS6detail15normal_iteratorINS9_10device_ptrItEEEESE_PNS0_10empty_typeENS0_5tupleIJSE_SF_EEENSH_IJSE_SG_EEENS0_18inequality_wrapperINS9_8equal_toItEEEEPmJSF_EEE10hipError_tPvRmT3_T4_T5_T6_T7_T9_mT8_P12ihipStream_tbDpT10_ENKUlT_T0_E_clISt17integral_constantIbLb1EES17_IbLb0EEEEDaS13_S14_EUlS13_E_NS1_11comp_targetILNS1_3genE2ELNS1_11target_archE906ELNS1_3gpuE6ELNS1_3repE0EEENS1_30default_config_static_selectorELNS0_4arch9wavefront6targetE0EEEvT1_
		.amdhsa_group_segment_fixed_size 0
		.amdhsa_private_segment_fixed_size 0
		.amdhsa_kernarg_size 112
		.amdhsa_user_sgpr_count 15
		.amdhsa_user_sgpr_dispatch_ptr 0
		.amdhsa_user_sgpr_queue_ptr 0
		.amdhsa_user_sgpr_kernarg_segment_ptr 1
		.amdhsa_user_sgpr_dispatch_id 0
		.amdhsa_user_sgpr_private_segment_size 0
		.amdhsa_wavefront_size32 1
		.amdhsa_uses_dynamic_stack 0
		.amdhsa_enable_private_segment 0
		.amdhsa_system_sgpr_workgroup_id_x 1
		.amdhsa_system_sgpr_workgroup_id_y 0
		.amdhsa_system_sgpr_workgroup_id_z 0
		.amdhsa_system_sgpr_workgroup_info 0
		.amdhsa_system_vgpr_workitem_id 0
		.amdhsa_next_free_vgpr 1
		.amdhsa_next_free_sgpr 1
		.amdhsa_reserve_vcc 0
		.amdhsa_float_round_mode_32 0
		.amdhsa_float_round_mode_16_64 0
		.amdhsa_float_denorm_mode_32 3
		.amdhsa_float_denorm_mode_16_64 3
		.amdhsa_dx10_clamp 1
		.amdhsa_ieee_mode 1
		.amdhsa_fp16_overflow 0
		.amdhsa_workgroup_processor_mode 1
		.amdhsa_memory_ordered 1
		.amdhsa_forward_progress 0
		.amdhsa_shared_vgpr_count 0
		.amdhsa_exception_fp_ieee_invalid_op 0
		.amdhsa_exception_fp_denorm_src 0
		.amdhsa_exception_fp_ieee_div_zero 0
		.amdhsa_exception_fp_ieee_overflow 0
		.amdhsa_exception_fp_ieee_underflow 0
		.amdhsa_exception_fp_ieee_inexact 0
		.amdhsa_exception_int_div_zero 0
	.end_amdhsa_kernel
	.section	.text._ZN7rocprim17ROCPRIM_400000_NS6detail17trampoline_kernelINS0_14default_configENS1_25partition_config_selectorILNS1_17partition_subalgoE9EttbEEZZNS1_14partition_implILS5_9ELb0ES3_jN6thrust23THRUST_200600_302600_NS6detail15normal_iteratorINS9_10device_ptrItEEEESE_PNS0_10empty_typeENS0_5tupleIJSE_SF_EEENSH_IJSE_SG_EEENS0_18inequality_wrapperINS9_8equal_toItEEEEPmJSF_EEE10hipError_tPvRmT3_T4_T5_T6_T7_T9_mT8_P12ihipStream_tbDpT10_ENKUlT_T0_E_clISt17integral_constantIbLb1EES17_IbLb0EEEEDaS13_S14_EUlS13_E_NS1_11comp_targetILNS1_3genE2ELNS1_11target_archE906ELNS1_3gpuE6ELNS1_3repE0EEENS1_30default_config_static_selectorELNS0_4arch9wavefront6targetE0EEEvT1_,"axG",@progbits,_ZN7rocprim17ROCPRIM_400000_NS6detail17trampoline_kernelINS0_14default_configENS1_25partition_config_selectorILNS1_17partition_subalgoE9EttbEEZZNS1_14partition_implILS5_9ELb0ES3_jN6thrust23THRUST_200600_302600_NS6detail15normal_iteratorINS9_10device_ptrItEEEESE_PNS0_10empty_typeENS0_5tupleIJSE_SF_EEENSH_IJSE_SG_EEENS0_18inequality_wrapperINS9_8equal_toItEEEEPmJSF_EEE10hipError_tPvRmT3_T4_T5_T6_T7_T9_mT8_P12ihipStream_tbDpT10_ENKUlT_T0_E_clISt17integral_constantIbLb1EES17_IbLb0EEEEDaS13_S14_EUlS13_E_NS1_11comp_targetILNS1_3genE2ELNS1_11target_archE906ELNS1_3gpuE6ELNS1_3repE0EEENS1_30default_config_static_selectorELNS0_4arch9wavefront6targetE0EEEvT1_,comdat
.Lfunc_end295:
	.size	_ZN7rocprim17ROCPRIM_400000_NS6detail17trampoline_kernelINS0_14default_configENS1_25partition_config_selectorILNS1_17partition_subalgoE9EttbEEZZNS1_14partition_implILS5_9ELb0ES3_jN6thrust23THRUST_200600_302600_NS6detail15normal_iteratorINS9_10device_ptrItEEEESE_PNS0_10empty_typeENS0_5tupleIJSE_SF_EEENSH_IJSE_SG_EEENS0_18inequality_wrapperINS9_8equal_toItEEEEPmJSF_EEE10hipError_tPvRmT3_T4_T5_T6_T7_T9_mT8_P12ihipStream_tbDpT10_ENKUlT_T0_E_clISt17integral_constantIbLb1EES17_IbLb0EEEEDaS13_S14_EUlS13_E_NS1_11comp_targetILNS1_3genE2ELNS1_11target_archE906ELNS1_3gpuE6ELNS1_3repE0EEENS1_30default_config_static_selectorELNS0_4arch9wavefront6targetE0EEEvT1_, .Lfunc_end295-_ZN7rocprim17ROCPRIM_400000_NS6detail17trampoline_kernelINS0_14default_configENS1_25partition_config_selectorILNS1_17partition_subalgoE9EttbEEZZNS1_14partition_implILS5_9ELb0ES3_jN6thrust23THRUST_200600_302600_NS6detail15normal_iteratorINS9_10device_ptrItEEEESE_PNS0_10empty_typeENS0_5tupleIJSE_SF_EEENSH_IJSE_SG_EEENS0_18inequality_wrapperINS9_8equal_toItEEEEPmJSF_EEE10hipError_tPvRmT3_T4_T5_T6_T7_T9_mT8_P12ihipStream_tbDpT10_ENKUlT_T0_E_clISt17integral_constantIbLb1EES17_IbLb0EEEEDaS13_S14_EUlS13_E_NS1_11comp_targetILNS1_3genE2ELNS1_11target_archE906ELNS1_3gpuE6ELNS1_3repE0EEENS1_30default_config_static_selectorELNS0_4arch9wavefront6targetE0EEEvT1_
                                        ; -- End function
	.section	.AMDGPU.csdata,"",@progbits
; Kernel info:
; codeLenInByte = 0
; NumSgprs: 0
; NumVgprs: 0
; ScratchSize: 0
; MemoryBound: 0
; FloatMode: 240
; IeeeMode: 1
; LDSByteSize: 0 bytes/workgroup (compile time only)
; SGPRBlocks: 0
; VGPRBlocks: 0
; NumSGPRsForWavesPerEU: 1
; NumVGPRsForWavesPerEU: 1
; Occupancy: 16
; WaveLimiterHint : 0
; COMPUTE_PGM_RSRC2:SCRATCH_EN: 0
; COMPUTE_PGM_RSRC2:USER_SGPR: 15
; COMPUTE_PGM_RSRC2:TRAP_HANDLER: 0
; COMPUTE_PGM_RSRC2:TGID_X_EN: 1
; COMPUTE_PGM_RSRC2:TGID_Y_EN: 0
; COMPUTE_PGM_RSRC2:TGID_Z_EN: 0
; COMPUTE_PGM_RSRC2:TIDIG_COMP_CNT: 0
	.section	.text._ZN7rocprim17ROCPRIM_400000_NS6detail17trampoline_kernelINS0_14default_configENS1_25partition_config_selectorILNS1_17partition_subalgoE9EttbEEZZNS1_14partition_implILS5_9ELb0ES3_jN6thrust23THRUST_200600_302600_NS6detail15normal_iteratorINS9_10device_ptrItEEEESE_PNS0_10empty_typeENS0_5tupleIJSE_SF_EEENSH_IJSE_SG_EEENS0_18inequality_wrapperINS9_8equal_toItEEEEPmJSF_EEE10hipError_tPvRmT3_T4_T5_T6_T7_T9_mT8_P12ihipStream_tbDpT10_ENKUlT_T0_E_clISt17integral_constantIbLb1EES17_IbLb0EEEEDaS13_S14_EUlS13_E_NS1_11comp_targetILNS1_3genE10ELNS1_11target_archE1200ELNS1_3gpuE4ELNS1_3repE0EEENS1_30default_config_static_selectorELNS0_4arch9wavefront6targetE0EEEvT1_,"axG",@progbits,_ZN7rocprim17ROCPRIM_400000_NS6detail17trampoline_kernelINS0_14default_configENS1_25partition_config_selectorILNS1_17partition_subalgoE9EttbEEZZNS1_14partition_implILS5_9ELb0ES3_jN6thrust23THRUST_200600_302600_NS6detail15normal_iteratorINS9_10device_ptrItEEEESE_PNS0_10empty_typeENS0_5tupleIJSE_SF_EEENSH_IJSE_SG_EEENS0_18inequality_wrapperINS9_8equal_toItEEEEPmJSF_EEE10hipError_tPvRmT3_T4_T5_T6_T7_T9_mT8_P12ihipStream_tbDpT10_ENKUlT_T0_E_clISt17integral_constantIbLb1EES17_IbLb0EEEEDaS13_S14_EUlS13_E_NS1_11comp_targetILNS1_3genE10ELNS1_11target_archE1200ELNS1_3gpuE4ELNS1_3repE0EEENS1_30default_config_static_selectorELNS0_4arch9wavefront6targetE0EEEvT1_,comdat
	.protected	_ZN7rocprim17ROCPRIM_400000_NS6detail17trampoline_kernelINS0_14default_configENS1_25partition_config_selectorILNS1_17partition_subalgoE9EttbEEZZNS1_14partition_implILS5_9ELb0ES3_jN6thrust23THRUST_200600_302600_NS6detail15normal_iteratorINS9_10device_ptrItEEEESE_PNS0_10empty_typeENS0_5tupleIJSE_SF_EEENSH_IJSE_SG_EEENS0_18inequality_wrapperINS9_8equal_toItEEEEPmJSF_EEE10hipError_tPvRmT3_T4_T5_T6_T7_T9_mT8_P12ihipStream_tbDpT10_ENKUlT_T0_E_clISt17integral_constantIbLb1EES17_IbLb0EEEEDaS13_S14_EUlS13_E_NS1_11comp_targetILNS1_3genE10ELNS1_11target_archE1200ELNS1_3gpuE4ELNS1_3repE0EEENS1_30default_config_static_selectorELNS0_4arch9wavefront6targetE0EEEvT1_ ; -- Begin function _ZN7rocprim17ROCPRIM_400000_NS6detail17trampoline_kernelINS0_14default_configENS1_25partition_config_selectorILNS1_17partition_subalgoE9EttbEEZZNS1_14partition_implILS5_9ELb0ES3_jN6thrust23THRUST_200600_302600_NS6detail15normal_iteratorINS9_10device_ptrItEEEESE_PNS0_10empty_typeENS0_5tupleIJSE_SF_EEENSH_IJSE_SG_EEENS0_18inequality_wrapperINS9_8equal_toItEEEEPmJSF_EEE10hipError_tPvRmT3_T4_T5_T6_T7_T9_mT8_P12ihipStream_tbDpT10_ENKUlT_T0_E_clISt17integral_constantIbLb1EES17_IbLb0EEEEDaS13_S14_EUlS13_E_NS1_11comp_targetILNS1_3genE10ELNS1_11target_archE1200ELNS1_3gpuE4ELNS1_3repE0EEENS1_30default_config_static_selectorELNS0_4arch9wavefront6targetE0EEEvT1_
	.globl	_ZN7rocprim17ROCPRIM_400000_NS6detail17trampoline_kernelINS0_14default_configENS1_25partition_config_selectorILNS1_17partition_subalgoE9EttbEEZZNS1_14partition_implILS5_9ELb0ES3_jN6thrust23THRUST_200600_302600_NS6detail15normal_iteratorINS9_10device_ptrItEEEESE_PNS0_10empty_typeENS0_5tupleIJSE_SF_EEENSH_IJSE_SG_EEENS0_18inequality_wrapperINS9_8equal_toItEEEEPmJSF_EEE10hipError_tPvRmT3_T4_T5_T6_T7_T9_mT8_P12ihipStream_tbDpT10_ENKUlT_T0_E_clISt17integral_constantIbLb1EES17_IbLb0EEEEDaS13_S14_EUlS13_E_NS1_11comp_targetILNS1_3genE10ELNS1_11target_archE1200ELNS1_3gpuE4ELNS1_3repE0EEENS1_30default_config_static_selectorELNS0_4arch9wavefront6targetE0EEEvT1_
	.p2align	8
	.type	_ZN7rocprim17ROCPRIM_400000_NS6detail17trampoline_kernelINS0_14default_configENS1_25partition_config_selectorILNS1_17partition_subalgoE9EttbEEZZNS1_14partition_implILS5_9ELb0ES3_jN6thrust23THRUST_200600_302600_NS6detail15normal_iteratorINS9_10device_ptrItEEEESE_PNS0_10empty_typeENS0_5tupleIJSE_SF_EEENSH_IJSE_SG_EEENS0_18inequality_wrapperINS9_8equal_toItEEEEPmJSF_EEE10hipError_tPvRmT3_T4_T5_T6_T7_T9_mT8_P12ihipStream_tbDpT10_ENKUlT_T0_E_clISt17integral_constantIbLb1EES17_IbLb0EEEEDaS13_S14_EUlS13_E_NS1_11comp_targetILNS1_3genE10ELNS1_11target_archE1200ELNS1_3gpuE4ELNS1_3repE0EEENS1_30default_config_static_selectorELNS0_4arch9wavefront6targetE0EEEvT1_,@function
_ZN7rocprim17ROCPRIM_400000_NS6detail17trampoline_kernelINS0_14default_configENS1_25partition_config_selectorILNS1_17partition_subalgoE9EttbEEZZNS1_14partition_implILS5_9ELb0ES3_jN6thrust23THRUST_200600_302600_NS6detail15normal_iteratorINS9_10device_ptrItEEEESE_PNS0_10empty_typeENS0_5tupleIJSE_SF_EEENSH_IJSE_SG_EEENS0_18inequality_wrapperINS9_8equal_toItEEEEPmJSF_EEE10hipError_tPvRmT3_T4_T5_T6_T7_T9_mT8_P12ihipStream_tbDpT10_ENKUlT_T0_E_clISt17integral_constantIbLb1EES17_IbLb0EEEEDaS13_S14_EUlS13_E_NS1_11comp_targetILNS1_3genE10ELNS1_11target_archE1200ELNS1_3gpuE4ELNS1_3repE0EEENS1_30default_config_static_selectorELNS0_4arch9wavefront6targetE0EEEvT1_: ; @_ZN7rocprim17ROCPRIM_400000_NS6detail17trampoline_kernelINS0_14default_configENS1_25partition_config_selectorILNS1_17partition_subalgoE9EttbEEZZNS1_14partition_implILS5_9ELb0ES3_jN6thrust23THRUST_200600_302600_NS6detail15normal_iteratorINS9_10device_ptrItEEEESE_PNS0_10empty_typeENS0_5tupleIJSE_SF_EEENSH_IJSE_SG_EEENS0_18inequality_wrapperINS9_8equal_toItEEEEPmJSF_EEE10hipError_tPvRmT3_T4_T5_T6_T7_T9_mT8_P12ihipStream_tbDpT10_ENKUlT_T0_E_clISt17integral_constantIbLb1EES17_IbLb0EEEEDaS13_S14_EUlS13_E_NS1_11comp_targetILNS1_3genE10ELNS1_11target_archE1200ELNS1_3gpuE4ELNS1_3repE0EEENS1_30default_config_static_selectorELNS0_4arch9wavefront6targetE0EEEvT1_
; %bb.0:
	.section	.rodata,"a",@progbits
	.p2align	6, 0x0
	.amdhsa_kernel _ZN7rocprim17ROCPRIM_400000_NS6detail17trampoline_kernelINS0_14default_configENS1_25partition_config_selectorILNS1_17partition_subalgoE9EttbEEZZNS1_14partition_implILS5_9ELb0ES3_jN6thrust23THRUST_200600_302600_NS6detail15normal_iteratorINS9_10device_ptrItEEEESE_PNS0_10empty_typeENS0_5tupleIJSE_SF_EEENSH_IJSE_SG_EEENS0_18inequality_wrapperINS9_8equal_toItEEEEPmJSF_EEE10hipError_tPvRmT3_T4_T5_T6_T7_T9_mT8_P12ihipStream_tbDpT10_ENKUlT_T0_E_clISt17integral_constantIbLb1EES17_IbLb0EEEEDaS13_S14_EUlS13_E_NS1_11comp_targetILNS1_3genE10ELNS1_11target_archE1200ELNS1_3gpuE4ELNS1_3repE0EEENS1_30default_config_static_selectorELNS0_4arch9wavefront6targetE0EEEvT1_
		.amdhsa_group_segment_fixed_size 0
		.amdhsa_private_segment_fixed_size 0
		.amdhsa_kernarg_size 112
		.amdhsa_user_sgpr_count 15
		.amdhsa_user_sgpr_dispatch_ptr 0
		.amdhsa_user_sgpr_queue_ptr 0
		.amdhsa_user_sgpr_kernarg_segment_ptr 1
		.amdhsa_user_sgpr_dispatch_id 0
		.amdhsa_user_sgpr_private_segment_size 0
		.amdhsa_wavefront_size32 1
		.amdhsa_uses_dynamic_stack 0
		.amdhsa_enable_private_segment 0
		.amdhsa_system_sgpr_workgroup_id_x 1
		.amdhsa_system_sgpr_workgroup_id_y 0
		.amdhsa_system_sgpr_workgroup_id_z 0
		.amdhsa_system_sgpr_workgroup_info 0
		.amdhsa_system_vgpr_workitem_id 0
		.amdhsa_next_free_vgpr 1
		.amdhsa_next_free_sgpr 1
		.amdhsa_reserve_vcc 0
		.amdhsa_float_round_mode_32 0
		.amdhsa_float_round_mode_16_64 0
		.amdhsa_float_denorm_mode_32 3
		.amdhsa_float_denorm_mode_16_64 3
		.amdhsa_dx10_clamp 1
		.amdhsa_ieee_mode 1
		.amdhsa_fp16_overflow 0
		.amdhsa_workgroup_processor_mode 1
		.amdhsa_memory_ordered 1
		.amdhsa_forward_progress 0
		.amdhsa_shared_vgpr_count 0
		.amdhsa_exception_fp_ieee_invalid_op 0
		.amdhsa_exception_fp_denorm_src 0
		.amdhsa_exception_fp_ieee_div_zero 0
		.amdhsa_exception_fp_ieee_overflow 0
		.amdhsa_exception_fp_ieee_underflow 0
		.amdhsa_exception_fp_ieee_inexact 0
		.amdhsa_exception_int_div_zero 0
	.end_amdhsa_kernel
	.section	.text._ZN7rocprim17ROCPRIM_400000_NS6detail17trampoline_kernelINS0_14default_configENS1_25partition_config_selectorILNS1_17partition_subalgoE9EttbEEZZNS1_14partition_implILS5_9ELb0ES3_jN6thrust23THRUST_200600_302600_NS6detail15normal_iteratorINS9_10device_ptrItEEEESE_PNS0_10empty_typeENS0_5tupleIJSE_SF_EEENSH_IJSE_SG_EEENS0_18inequality_wrapperINS9_8equal_toItEEEEPmJSF_EEE10hipError_tPvRmT3_T4_T5_T6_T7_T9_mT8_P12ihipStream_tbDpT10_ENKUlT_T0_E_clISt17integral_constantIbLb1EES17_IbLb0EEEEDaS13_S14_EUlS13_E_NS1_11comp_targetILNS1_3genE10ELNS1_11target_archE1200ELNS1_3gpuE4ELNS1_3repE0EEENS1_30default_config_static_selectorELNS0_4arch9wavefront6targetE0EEEvT1_,"axG",@progbits,_ZN7rocprim17ROCPRIM_400000_NS6detail17trampoline_kernelINS0_14default_configENS1_25partition_config_selectorILNS1_17partition_subalgoE9EttbEEZZNS1_14partition_implILS5_9ELb0ES3_jN6thrust23THRUST_200600_302600_NS6detail15normal_iteratorINS9_10device_ptrItEEEESE_PNS0_10empty_typeENS0_5tupleIJSE_SF_EEENSH_IJSE_SG_EEENS0_18inequality_wrapperINS9_8equal_toItEEEEPmJSF_EEE10hipError_tPvRmT3_T4_T5_T6_T7_T9_mT8_P12ihipStream_tbDpT10_ENKUlT_T0_E_clISt17integral_constantIbLb1EES17_IbLb0EEEEDaS13_S14_EUlS13_E_NS1_11comp_targetILNS1_3genE10ELNS1_11target_archE1200ELNS1_3gpuE4ELNS1_3repE0EEENS1_30default_config_static_selectorELNS0_4arch9wavefront6targetE0EEEvT1_,comdat
.Lfunc_end296:
	.size	_ZN7rocprim17ROCPRIM_400000_NS6detail17trampoline_kernelINS0_14default_configENS1_25partition_config_selectorILNS1_17partition_subalgoE9EttbEEZZNS1_14partition_implILS5_9ELb0ES3_jN6thrust23THRUST_200600_302600_NS6detail15normal_iteratorINS9_10device_ptrItEEEESE_PNS0_10empty_typeENS0_5tupleIJSE_SF_EEENSH_IJSE_SG_EEENS0_18inequality_wrapperINS9_8equal_toItEEEEPmJSF_EEE10hipError_tPvRmT3_T4_T5_T6_T7_T9_mT8_P12ihipStream_tbDpT10_ENKUlT_T0_E_clISt17integral_constantIbLb1EES17_IbLb0EEEEDaS13_S14_EUlS13_E_NS1_11comp_targetILNS1_3genE10ELNS1_11target_archE1200ELNS1_3gpuE4ELNS1_3repE0EEENS1_30default_config_static_selectorELNS0_4arch9wavefront6targetE0EEEvT1_, .Lfunc_end296-_ZN7rocprim17ROCPRIM_400000_NS6detail17trampoline_kernelINS0_14default_configENS1_25partition_config_selectorILNS1_17partition_subalgoE9EttbEEZZNS1_14partition_implILS5_9ELb0ES3_jN6thrust23THRUST_200600_302600_NS6detail15normal_iteratorINS9_10device_ptrItEEEESE_PNS0_10empty_typeENS0_5tupleIJSE_SF_EEENSH_IJSE_SG_EEENS0_18inequality_wrapperINS9_8equal_toItEEEEPmJSF_EEE10hipError_tPvRmT3_T4_T5_T6_T7_T9_mT8_P12ihipStream_tbDpT10_ENKUlT_T0_E_clISt17integral_constantIbLb1EES17_IbLb0EEEEDaS13_S14_EUlS13_E_NS1_11comp_targetILNS1_3genE10ELNS1_11target_archE1200ELNS1_3gpuE4ELNS1_3repE0EEENS1_30default_config_static_selectorELNS0_4arch9wavefront6targetE0EEEvT1_
                                        ; -- End function
	.section	.AMDGPU.csdata,"",@progbits
; Kernel info:
; codeLenInByte = 0
; NumSgprs: 0
; NumVgprs: 0
; ScratchSize: 0
; MemoryBound: 0
; FloatMode: 240
; IeeeMode: 1
; LDSByteSize: 0 bytes/workgroup (compile time only)
; SGPRBlocks: 0
; VGPRBlocks: 0
; NumSGPRsForWavesPerEU: 1
; NumVGPRsForWavesPerEU: 1
; Occupancy: 16
; WaveLimiterHint : 0
; COMPUTE_PGM_RSRC2:SCRATCH_EN: 0
; COMPUTE_PGM_RSRC2:USER_SGPR: 15
; COMPUTE_PGM_RSRC2:TRAP_HANDLER: 0
; COMPUTE_PGM_RSRC2:TGID_X_EN: 1
; COMPUTE_PGM_RSRC2:TGID_Y_EN: 0
; COMPUTE_PGM_RSRC2:TGID_Z_EN: 0
; COMPUTE_PGM_RSRC2:TIDIG_COMP_CNT: 0
	.section	.text._ZN7rocprim17ROCPRIM_400000_NS6detail17trampoline_kernelINS0_14default_configENS1_25partition_config_selectorILNS1_17partition_subalgoE9EttbEEZZNS1_14partition_implILS5_9ELb0ES3_jN6thrust23THRUST_200600_302600_NS6detail15normal_iteratorINS9_10device_ptrItEEEESE_PNS0_10empty_typeENS0_5tupleIJSE_SF_EEENSH_IJSE_SG_EEENS0_18inequality_wrapperINS9_8equal_toItEEEEPmJSF_EEE10hipError_tPvRmT3_T4_T5_T6_T7_T9_mT8_P12ihipStream_tbDpT10_ENKUlT_T0_E_clISt17integral_constantIbLb1EES17_IbLb0EEEEDaS13_S14_EUlS13_E_NS1_11comp_targetILNS1_3genE9ELNS1_11target_archE1100ELNS1_3gpuE3ELNS1_3repE0EEENS1_30default_config_static_selectorELNS0_4arch9wavefront6targetE0EEEvT1_,"axG",@progbits,_ZN7rocprim17ROCPRIM_400000_NS6detail17trampoline_kernelINS0_14default_configENS1_25partition_config_selectorILNS1_17partition_subalgoE9EttbEEZZNS1_14partition_implILS5_9ELb0ES3_jN6thrust23THRUST_200600_302600_NS6detail15normal_iteratorINS9_10device_ptrItEEEESE_PNS0_10empty_typeENS0_5tupleIJSE_SF_EEENSH_IJSE_SG_EEENS0_18inequality_wrapperINS9_8equal_toItEEEEPmJSF_EEE10hipError_tPvRmT3_T4_T5_T6_T7_T9_mT8_P12ihipStream_tbDpT10_ENKUlT_T0_E_clISt17integral_constantIbLb1EES17_IbLb0EEEEDaS13_S14_EUlS13_E_NS1_11comp_targetILNS1_3genE9ELNS1_11target_archE1100ELNS1_3gpuE3ELNS1_3repE0EEENS1_30default_config_static_selectorELNS0_4arch9wavefront6targetE0EEEvT1_,comdat
	.protected	_ZN7rocprim17ROCPRIM_400000_NS6detail17trampoline_kernelINS0_14default_configENS1_25partition_config_selectorILNS1_17partition_subalgoE9EttbEEZZNS1_14partition_implILS5_9ELb0ES3_jN6thrust23THRUST_200600_302600_NS6detail15normal_iteratorINS9_10device_ptrItEEEESE_PNS0_10empty_typeENS0_5tupleIJSE_SF_EEENSH_IJSE_SG_EEENS0_18inequality_wrapperINS9_8equal_toItEEEEPmJSF_EEE10hipError_tPvRmT3_T4_T5_T6_T7_T9_mT8_P12ihipStream_tbDpT10_ENKUlT_T0_E_clISt17integral_constantIbLb1EES17_IbLb0EEEEDaS13_S14_EUlS13_E_NS1_11comp_targetILNS1_3genE9ELNS1_11target_archE1100ELNS1_3gpuE3ELNS1_3repE0EEENS1_30default_config_static_selectorELNS0_4arch9wavefront6targetE0EEEvT1_ ; -- Begin function _ZN7rocprim17ROCPRIM_400000_NS6detail17trampoline_kernelINS0_14default_configENS1_25partition_config_selectorILNS1_17partition_subalgoE9EttbEEZZNS1_14partition_implILS5_9ELb0ES3_jN6thrust23THRUST_200600_302600_NS6detail15normal_iteratorINS9_10device_ptrItEEEESE_PNS0_10empty_typeENS0_5tupleIJSE_SF_EEENSH_IJSE_SG_EEENS0_18inequality_wrapperINS9_8equal_toItEEEEPmJSF_EEE10hipError_tPvRmT3_T4_T5_T6_T7_T9_mT8_P12ihipStream_tbDpT10_ENKUlT_T0_E_clISt17integral_constantIbLb1EES17_IbLb0EEEEDaS13_S14_EUlS13_E_NS1_11comp_targetILNS1_3genE9ELNS1_11target_archE1100ELNS1_3gpuE3ELNS1_3repE0EEENS1_30default_config_static_selectorELNS0_4arch9wavefront6targetE0EEEvT1_
	.globl	_ZN7rocprim17ROCPRIM_400000_NS6detail17trampoline_kernelINS0_14default_configENS1_25partition_config_selectorILNS1_17partition_subalgoE9EttbEEZZNS1_14partition_implILS5_9ELb0ES3_jN6thrust23THRUST_200600_302600_NS6detail15normal_iteratorINS9_10device_ptrItEEEESE_PNS0_10empty_typeENS0_5tupleIJSE_SF_EEENSH_IJSE_SG_EEENS0_18inequality_wrapperINS9_8equal_toItEEEEPmJSF_EEE10hipError_tPvRmT3_T4_T5_T6_T7_T9_mT8_P12ihipStream_tbDpT10_ENKUlT_T0_E_clISt17integral_constantIbLb1EES17_IbLb0EEEEDaS13_S14_EUlS13_E_NS1_11comp_targetILNS1_3genE9ELNS1_11target_archE1100ELNS1_3gpuE3ELNS1_3repE0EEENS1_30default_config_static_selectorELNS0_4arch9wavefront6targetE0EEEvT1_
	.p2align	8
	.type	_ZN7rocprim17ROCPRIM_400000_NS6detail17trampoline_kernelINS0_14default_configENS1_25partition_config_selectorILNS1_17partition_subalgoE9EttbEEZZNS1_14partition_implILS5_9ELb0ES3_jN6thrust23THRUST_200600_302600_NS6detail15normal_iteratorINS9_10device_ptrItEEEESE_PNS0_10empty_typeENS0_5tupleIJSE_SF_EEENSH_IJSE_SG_EEENS0_18inequality_wrapperINS9_8equal_toItEEEEPmJSF_EEE10hipError_tPvRmT3_T4_T5_T6_T7_T9_mT8_P12ihipStream_tbDpT10_ENKUlT_T0_E_clISt17integral_constantIbLb1EES17_IbLb0EEEEDaS13_S14_EUlS13_E_NS1_11comp_targetILNS1_3genE9ELNS1_11target_archE1100ELNS1_3gpuE3ELNS1_3repE0EEENS1_30default_config_static_selectorELNS0_4arch9wavefront6targetE0EEEvT1_,@function
_ZN7rocprim17ROCPRIM_400000_NS6detail17trampoline_kernelINS0_14default_configENS1_25partition_config_selectorILNS1_17partition_subalgoE9EttbEEZZNS1_14partition_implILS5_9ELb0ES3_jN6thrust23THRUST_200600_302600_NS6detail15normal_iteratorINS9_10device_ptrItEEEESE_PNS0_10empty_typeENS0_5tupleIJSE_SF_EEENSH_IJSE_SG_EEENS0_18inequality_wrapperINS9_8equal_toItEEEEPmJSF_EEE10hipError_tPvRmT3_T4_T5_T6_T7_T9_mT8_P12ihipStream_tbDpT10_ENKUlT_T0_E_clISt17integral_constantIbLb1EES17_IbLb0EEEEDaS13_S14_EUlS13_E_NS1_11comp_targetILNS1_3genE9ELNS1_11target_archE1100ELNS1_3gpuE3ELNS1_3repE0EEENS1_30default_config_static_selectorELNS0_4arch9wavefront6targetE0EEEvT1_: ; @_ZN7rocprim17ROCPRIM_400000_NS6detail17trampoline_kernelINS0_14default_configENS1_25partition_config_selectorILNS1_17partition_subalgoE9EttbEEZZNS1_14partition_implILS5_9ELb0ES3_jN6thrust23THRUST_200600_302600_NS6detail15normal_iteratorINS9_10device_ptrItEEEESE_PNS0_10empty_typeENS0_5tupleIJSE_SF_EEENSH_IJSE_SG_EEENS0_18inequality_wrapperINS9_8equal_toItEEEEPmJSF_EEE10hipError_tPvRmT3_T4_T5_T6_T7_T9_mT8_P12ihipStream_tbDpT10_ENKUlT_T0_E_clISt17integral_constantIbLb1EES17_IbLb0EEEEDaS13_S14_EUlS13_E_NS1_11comp_targetILNS1_3genE9ELNS1_11target_archE1100ELNS1_3gpuE3ELNS1_3repE0EEENS1_30default_config_static_selectorELNS0_4arch9wavefront6targetE0EEEvT1_
; %bb.0:
	s_clause 0x4
	s_load_b128 s[4:7], s[0:1], 0x8
	s_load_b32 s12, s[0:1], 0x68
	s_load_b128 s[16:19], s[0:1], 0x40
	s_load_b64 s[2:3], s[0:1], 0x50
	s_load_b64 s[8:9], s[0:1], 0x18
	s_waitcnt lgkmcnt(0)
	s_lshl_b64 s[10:11], s[6:7], 1
	s_mul_i32 s13, s12, 0x600
	s_add_u32 s22, s4, s10
	s_addc_u32 s23, s5, s11
	s_add_i32 s4, s13, s6
	s_load_b64 s[18:19], s[18:19], 0x0
	s_sub_i32 s20, s2, s4
	s_add_i32 s12, s12, -1
	s_addk_i32 s20, 0x600
	s_add_u32 s4, s6, s13
	s_addc_u32 s5, s7, 0
	s_cmp_eq_u32 s15, s12
	v_cmp_ge_u64_e64 s4, s[4:5], s[2:3]
	s_cselect_b32 s13, -1, 0
	s_mov_b32 s3, 0
	s_mul_i32 s2, s15, 0x600
	s_delay_alu instid0(VALU_DEP_1)
	s_and_b32 s21, s13, s4
	s_lshl_b64 s[4:5], s[2:3], 1
	s_xor_b32 s14, s21, -1
	s_add_u32 s12, s22, s4
	s_addc_u32 s3, s23, s5
	s_and_b32 vcc_lo, exec_lo, s14
	s_mov_b32 s22, -1
	s_cbranch_vccz .LBB297_2
; %bb.1:
	v_lshlrev_b32_e32 v3, 1, v0
	s_mov_b32 s22, 0
	s_delay_alu instid0(VALU_DEP_1) | instskip(NEXT) | instid1(VALU_DEP_1)
	v_add_co_u32 v1, s2, s12, v3
	v_add_co_ci_u32_e64 v2, null, s3, 0, s2
	s_clause 0xb
	flat_load_u16 v4, v[1:2]
	flat_load_u16 v5, v[1:2] offset:256
	flat_load_u16 v6, v[1:2] offset:512
	flat_load_u16 v7, v[1:2] offset:768
	flat_load_u16 v8, v[1:2] offset:1024
	flat_load_u16 v9, v[1:2] offset:1280
	flat_load_u16 v10, v[1:2] offset:1536
	flat_load_u16 v11, v[1:2] offset:1792
	flat_load_u16 v12, v[1:2] offset:2048
	flat_load_u16 v13, v[1:2] offset:2304
	flat_load_u16 v14, v[1:2] offset:2560
	flat_load_u16 v1, v[1:2] offset:2816
	s_waitcnt vmcnt(11) lgkmcnt(0)
	ds_store_b16 v3, v4
	s_waitcnt vmcnt(10)
	ds_store_b16 v3, v5 offset:256
	s_waitcnt vmcnt(9)
	ds_store_b16 v3, v6 offset:512
	;; [unrolled: 2-line block ×11, first 2 shown]
	s_waitcnt lgkmcnt(0)
	s_barrier
.LBB297_2:
	v_cmp_gt_u32_e64 s2, s20, v0
	s_and_not1_b32 vcc_lo, exec_lo, s22
	s_cbranch_vccnz .LBB297_28
; %bb.3:
                                        ; implicit-def: $vgpr1_vgpr2_vgpr3_vgpr4_vgpr5_vgpr6_vgpr7_vgpr8
	s_delay_alu instid0(VALU_DEP_1)
	s_and_saveexec_b32 s22, s2
	s_cbranch_execz .LBB297_5
; %bb.4:
	v_lshlrev_b32_e32 v1, 1, v0
	s_delay_alu instid0(VALU_DEP_1) | instskip(NEXT) | instid1(VALU_DEP_1)
	v_add_co_u32 v1, s2, s12, v1
	v_add_co_ci_u32_e64 v2, null, s3, 0, s2
	flat_load_d16_b16 v1, v[1:2]
.LBB297_5:
	s_or_b32 exec_lo, exec_lo, s22
	v_or_b32_e32 v7, 0x80, v0
	s_mov_b32 s2, exec_lo
	s_delay_alu instid0(VALU_DEP_1)
	v_cmpx_gt_u32_e64 s20, v7
	s_cbranch_execz .LBB297_7
; %bb.6:
	v_lshlrev_b32_e32 v7, 1, v0
	s_delay_alu instid0(VALU_DEP_1) | instskip(NEXT) | instid1(VALU_DEP_1)
	v_add_co_u32 v7, s22, s12, v7
	v_add_co_ci_u32_e64 v8, null, s3, 0, s22
	s_waitcnt vmcnt(0) lgkmcnt(0)
	flat_load_d16_hi_b16 v1, v[7:8] offset:256
.LBB297_7:
	s_or_b32 exec_lo, exec_lo, s2
	v_or_b32_e32 v7, 0x100, v0
	s_mov_b32 s2, exec_lo
	s_delay_alu instid0(VALU_DEP_1)
	v_cmpx_gt_u32_e64 s20, v7
	s_cbranch_execz .LBB297_9
; %bb.8:
	v_lshlrev_b32_e32 v7, 1, v0
	s_delay_alu instid0(VALU_DEP_1) | instskip(NEXT) | instid1(VALU_DEP_1)
	v_add_co_u32 v7, s22, s12, v7
	v_add_co_ci_u32_e64 v8, null, s3, 0, s22
	flat_load_d16_b16 v2, v[7:8] offset:512
.LBB297_9:
	s_or_b32 exec_lo, exec_lo, s2
	v_or_b32_e32 v7, 0x180, v0
	s_mov_b32 s2, exec_lo
	s_delay_alu instid0(VALU_DEP_1)
	v_cmpx_gt_u32_e64 s20, v7
	s_cbranch_execz .LBB297_11
; %bb.10:
	v_lshlrev_b32_e32 v7, 1, v0
	s_delay_alu instid0(VALU_DEP_1) | instskip(NEXT) | instid1(VALU_DEP_1)
	v_add_co_u32 v7, s22, s12, v7
	v_add_co_ci_u32_e64 v8, null, s3, 0, s22
	s_waitcnt vmcnt(0) lgkmcnt(0)
	flat_load_d16_hi_b16 v2, v[7:8] offset:768
.LBB297_11:
	s_or_b32 exec_lo, exec_lo, s2
	v_or_b32_e32 v7, 0x200, v0
	s_mov_b32 s2, exec_lo
	s_delay_alu instid0(VALU_DEP_1)
	v_cmpx_gt_u32_e64 s20, v7
	s_cbranch_execz .LBB297_13
; %bb.12:
	v_lshlrev_b32_e32 v7, 1, v0
	s_delay_alu instid0(VALU_DEP_1) | instskip(NEXT) | instid1(VALU_DEP_1)
	v_add_co_u32 v7, s22, s12, v7
	v_add_co_ci_u32_e64 v8, null, s3, 0, s22
	flat_load_d16_b16 v3, v[7:8] offset:1024
.LBB297_13:
	s_or_b32 exec_lo, exec_lo, s2
	v_or_b32_e32 v7, 0x280, v0
	s_mov_b32 s2, exec_lo
	s_delay_alu instid0(VALU_DEP_1)
	v_cmpx_gt_u32_e64 s20, v7
	s_cbranch_execz .LBB297_15
; %bb.14:
	v_lshlrev_b32_e32 v7, 1, v0
	s_delay_alu instid0(VALU_DEP_1) | instskip(NEXT) | instid1(VALU_DEP_1)
	v_add_co_u32 v7, s22, s12, v7
	v_add_co_ci_u32_e64 v8, null, s3, 0, s22
	s_waitcnt vmcnt(0) lgkmcnt(0)
	flat_load_d16_hi_b16 v3, v[7:8] offset:1280
.LBB297_15:
	s_or_b32 exec_lo, exec_lo, s2
	v_or_b32_e32 v7, 0x300, v0
	s_mov_b32 s2, exec_lo
	s_delay_alu instid0(VALU_DEP_1)
	v_cmpx_gt_u32_e64 s20, v7
	s_cbranch_execz .LBB297_17
; %bb.16:
	v_lshlrev_b32_e32 v7, 1, v0
	s_delay_alu instid0(VALU_DEP_1) | instskip(NEXT) | instid1(VALU_DEP_1)
	v_add_co_u32 v7, s22, s12, v7
	v_add_co_ci_u32_e64 v8, null, s3, 0, s22
	flat_load_d16_b16 v4, v[7:8] offset:1536
.LBB297_17:
	s_or_b32 exec_lo, exec_lo, s2
	v_or_b32_e32 v7, 0x380, v0
	s_mov_b32 s2, exec_lo
	s_delay_alu instid0(VALU_DEP_1)
	v_cmpx_gt_u32_e64 s20, v7
	s_cbranch_execz .LBB297_19
; %bb.18:
	v_lshlrev_b32_e32 v7, 1, v0
	s_delay_alu instid0(VALU_DEP_1) | instskip(NEXT) | instid1(VALU_DEP_1)
	v_add_co_u32 v7, s22, s12, v7
	v_add_co_ci_u32_e64 v8, null, s3, 0, s22
	s_waitcnt vmcnt(0) lgkmcnt(0)
	flat_load_d16_hi_b16 v4, v[7:8] offset:1792
.LBB297_19:
	s_or_b32 exec_lo, exec_lo, s2
	v_or_b32_e32 v7, 0x400, v0
	s_mov_b32 s2, exec_lo
	s_delay_alu instid0(VALU_DEP_1)
	v_cmpx_gt_u32_e64 s20, v7
	s_cbranch_execz .LBB297_21
; %bb.20:
	v_lshlrev_b32_e32 v7, 1, v0
	s_delay_alu instid0(VALU_DEP_1) | instskip(NEXT) | instid1(VALU_DEP_1)
	v_add_co_u32 v7, s22, s12, v7
	v_add_co_ci_u32_e64 v8, null, s3, 0, s22
	flat_load_d16_b16 v5, v[7:8] offset:2048
.LBB297_21:
	s_or_b32 exec_lo, exec_lo, s2
	v_or_b32_e32 v7, 0x480, v0
	s_mov_b32 s2, exec_lo
	s_delay_alu instid0(VALU_DEP_1)
	v_cmpx_gt_u32_e64 s20, v7
	s_cbranch_execz .LBB297_23
; %bb.22:
	v_lshlrev_b32_e32 v7, 1, v0
	s_delay_alu instid0(VALU_DEP_1) | instskip(NEXT) | instid1(VALU_DEP_1)
	v_add_co_u32 v7, s22, s12, v7
	v_add_co_ci_u32_e64 v8, null, s3, 0, s22
	s_waitcnt vmcnt(0) lgkmcnt(0)
	flat_load_d16_hi_b16 v5, v[7:8] offset:2304
.LBB297_23:
	s_or_b32 exec_lo, exec_lo, s2
	v_or_b32_e32 v7, 0x500, v0
	s_mov_b32 s2, exec_lo
	s_delay_alu instid0(VALU_DEP_1)
	v_cmpx_gt_u32_e64 s20, v7
	s_cbranch_execz .LBB297_25
; %bb.24:
	v_lshlrev_b32_e32 v7, 1, v0
	s_delay_alu instid0(VALU_DEP_1) | instskip(NEXT) | instid1(VALU_DEP_1)
	v_add_co_u32 v7, s22, s12, v7
	v_add_co_ci_u32_e64 v8, null, s3, 0, s22
	flat_load_d16_b16 v6, v[7:8] offset:2560
.LBB297_25:
	s_or_b32 exec_lo, exec_lo, s2
	v_or_b32_e32 v7, 0x580, v0
	s_mov_b32 s2, exec_lo
	s_delay_alu instid0(VALU_DEP_1)
	v_cmpx_gt_u32_e64 s20, v7
	s_cbranch_execz .LBB297_27
; %bb.26:
	v_lshlrev_b32_e32 v7, 1, v0
	s_delay_alu instid0(VALU_DEP_1) | instskip(NEXT) | instid1(VALU_DEP_1)
	v_add_co_u32 v7, s22, s12, v7
	v_add_co_ci_u32_e64 v8, null, s3, 0, s22
	s_waitcnt vmcnt(0) lgkmcnt(0)
	flat_load_d16_hi_b16 v6, v[7:8] offset:2816
.LBB297_27:
	s_or_b32 exec_lo, exec_lo, s2
	v_lshlrev_b32_e32 v7, 1, v0
	s_waitcnt vmcnt(0) lgkmcnt(0)
	ds_store_b16 v7, v1
	ds_store_b16_d16_hi v7, v1 offset:256
	ds_store_b16 v7, v2 offset:512
	ds_store_b16_d16_hi v7, v2 offset:768
	ds_store_b16 v7, v3 offset:1024
	;; [unrolled: 2-line block ×5, first 2 shown]
	ds_store_b16_d16_hi v7, v6 offset:2816
	s_waitcnt lgkmcnt(0)
	s_barrier
.LBB297_28:
	v_mul_u32_u24_e32 v1, 12, v0
	s_waitcnt lgkmcnt(0)
	buffer_gl0_inv
	s_add_u32 s2, s8, s10
	s_addc_u32 s8, s9, s11
	s_add_u32 s2, s2, s4
	v_lshlrev_b32_e32 v8, 1, v1
	s_addc_u32 s4, s8, s5
	s_and_b32 vcc_lo, exec_lo, s14
	s_mov_b32 s5, -1
	ds_load_2addr_b64 v[18:21], v8 offset1:1
	ds_load_b64 v[27:28], v8 offset:16
	s_waitcnt lgkmcnt(0)
	s_barrier
	buffer_gl0_inv
	s_cbranch_vccz .LBB297_30
; %bb.29:
	v_lshlrev_b32_e32 v4, 1, v0
	s_delay_alu instid0(VALU_DEP_1) | instskip(NEXT) | instid1(VALU_DEP_1)
	v_add_co_u32 v2, s5, s2, v4
	v_add_co_ci_u32_e64 v3, null, s4, 0, s5
	s_mov_b32 s5, 0
	s_clause 0xb
	flat_load_u16 v5, v[2:3]
	flat_load_u16 v6, v[2:3] offset:256
	flat_load_u16 v7, v[2:3] offset:512
	;; [unrolled: 1-line block ×11, first 2 shown]
	s_waitcnt vmcnt(11) lgkmcnt(11)
	ds_store_b16 v4, v5
	s_waitcnt vmcnt(10) lgkmcnt(11)
	ds_store_b16 v4, v6 offset:256
	s_waitcnt vmcnt(9) lgkmcnt(11)
	ds_store_b16 v4, v7 offset:512
	;; [unrolled: 2-line block ×11, first 2 shown]
	s_waitcnt lgkmcnt(0)
	s_barrier
.LBB297_30:
	s_and_not1_b32 vcc_lo, exec_lo, s5
	s_cbranch_vccnz .LBB297_56
; %bb.31:
	s_mov_b32 s5, exec_lo
                                        ; implicit-def: $vgpr2
	v_cmpx_gt_u32_e64 s20, v0
	s_cbranch_execz .LBB297_33
; %bb.32:
	v_lshlrev_b32_e32 v2, 1, v0
	s_delay_alu instid0(VALU_DEP_1) | instskip(NEXT) | instid1(VALU_DEP_1)
	v_add_co_u32 v2, s8, s2, v2
	v_add_co_ci_u32_e64 v3, null, s4, 0, s8
	flat_load_u16 v2, v[2:3]
.LBB297_33:
	s_or_b32 exec_lo, exec_lo, s5
	v_or_b32_e32 v3, 0x80, v0
	s_delay_alu instid0(VALU_DEP_1)
	v_cmp_gt_u32_e32 vcc_lo, s20, v3
                                        ; implicit-def: $vgpr3
	s_and_saveexec_b32 s5, vcc_lo
	s_cbranch_execz .LBB297_35
; %bb.34:
	v_lshlrev_b32_e32 v3, 1, v0
	s_delay_alu instid0(VALU_DEP_1) | instskip(NEXT) | instid1(VALU_DEP_1)
	v_add_co_u32 v3, s8, s2, v3
	v_add_co_ci_u32_e64 v4, null, s4, 0, s8
	flat_load_u16 v3, v[3:4] offset:256
.LBB297_35:
	s_or_b32 exec_lo, exec_lo, s5
	v_or_b32_e32 v4, 0x100, v0
	s_delay_alu instid0(VALU_DEP_1)
	v_cmp_gt_u32_e32 vcc_lo, s20, v4
                                        ; implicit-def: $vgpr4
	s_and_saveexec_b32 s5, vcc_lo
	s_cbranch_execz .LBB297_37
; %bb.36:
	v_lshlrev_b32_e32 v4, 1, v0
	s_delay_alu instid0(VALU_DEP_1) | instskip(NEXT) | instid1(VALU_DEP_1)
	v_add_co_u32 v4, s8, s2, v4
	v_add_co_ci_u32_e64 v5, null, s4, 0, s8
	flat_load_u16 v4, v[4:5] offset:512
.LBB297_37:
	s_or_b32 exec_lo, exec_lo, s5
	v_or_b32_e32 v5, 0x180, v0
	s_delay_alu instid0(VALU_DEP_1)
	v_cmp_gt_u32_e32 vcc_lo, s20, v5
                                        ; implicit-def: $vgpr5
	s_and_saveexec_b32 s5, vcc_lo
	s_cbranch_execz .LBB297_39
; %bb.38:
	v_lshlrev_b32_e32 v5, 1, v0
	s_delay_alu instid0(VALU_DEP_1) | instskip(NEXT) | instid1(VALU_DEP_1)
	v_add_co_u32 v5, s8, s2, v5
	v_add_co_ci_u32_e64 v6, null, s4, 0, s8
	flat_load_u16 v5, v[5:6] offset:768
.LBB297_39:
	s_or_b32 exec_lo, exec_lo, s5
	v_or_b32_e32 v6, 0x200, v0
	s_delay_alu instid0(VALU_DEP_1)
	v_cmp_gt_u32_e32 vcc_lo, s20, v6
                                        ; implicit-def: $vgpr6
	s_and_saveexec_b32 s5, vcc_lo
	s_cbranch_execz .LBB297_41
; %bb.40:
	v_lshlrev_b32_e32 v6, 1, v0
	s_delay_alu instid0(VALU_DEP_1) | instskip(NEXT) | instid1(VALU_DEP_1)
	v_add_co_u32 v6, s8, s2, v6
	v_add_co_ci_u32_e64 v7, null, s4, 0, s8
	flat_load_u16 v6, v[6:7] offset:1024
.LBB297_41:
	s_or_b32 exec_lo, exec_lo, s5
	v_or_b32_e32 v7, 0x280, v0
	s_delay_alu instid0(VALU_DEP_1)
	v_cmp_gt_u32_e32 vcc_lo, s20, v7
                                        ; implicit-def: $vgpr7
	s_and_saveexec_b32 s5, vcc_lo
	s_cbranch_execz .LBB297_43
; %bb.42:
	v_lshlrev_b32_e32 v7, 1, v0
	s_delay_alu instid0(VALU_DEP_1) | instskip(NEXT) | instid1(VALU_DEP_1)
	v_add_co_u32 v9, s8, s2, v7
	v_add_co_ci_u32_e64 v10, null, s4, 0, s8
	flat_load_u16 v7, v[9:10] offset:1280
.LBB297_43:
	s_or_b32 exec_lo, exec_lo, s5
	v_or_b32_e32 v9, 0x300, v0
	s_delay_alu instid0(VALU_DEP_1)
	v_cmp_gt_u32_e32 vcc_lo, s20, v9
                                        ; implicit-def: $vgpr9
	s_and_saveexec_b32 s5, vcc_lo
	s_cbranch_execz .LBB297_45
; %bb.44:
	v_lshlrev_b32_e32 v9, 1, v0
	s_delay_alu instid0(VALU_DEP_1) | instskip(NEXT) | instid1(VALU_DEP_1)
	v_add_co_u32 v9, s8, s2, v9
	v_add_co_ci_u32_e64 v10, null, s4, 0, s8
	flat_load_u16 v9, v[9:10] offset:1536
.LBB297_45:
	s_or_b32 exec_lo, exec_lo, s5
	v_or_b32_e32 v10, 0x380, v0
	s_delay_alu instid0(VALU_DEP_1)
	v_cmp_gt_u32_e32 vcc_lo, s20, v10
                                        ; implicit-def: $vgpr10
	s_and_saveexec_b32 s5, vcc_lo
	s_cbranch_execz .LBB297_47
; %bb.46:
	v_lshlrev_b32_e32 v10, 1, v0
	s_delay_alu instid0(VALU_DEP_1) | instskip(NEXT) | instid1(VALU_DEP_1)
	v_add_co_u32 v10, s8, s2, v10
	v_add_co_ci_u32_e64 v11, null, s4, 0, s8
	flat_load_u16 v10, v[10:11] offset:1792
.LBB297_47:
	s_or_b32 exec_lo, exec_lo, s5
	v_or_b32_e32 v11, 0x400, v0
	s_delay_alu instid0(VALU_DEP_1)
	v_cmp_gt_u32_e32 vcc_lo, s20, v11
                                        ; implicit-def: $vgpr11
	s_and_saveexec_b32 s5, vcc_lo
	s_cbranch_execz .LBB297_49
; %bb.48:
	v_lshlrev_b32_e32 v11, 1, v0
	s_delay_alu instid0(VALU_DEP_1) | instskip(NEXT) | instid1(VALU_DEP_1)
	v_add_co_u32 v11, s8, s2, v11
	v_add_co_ci_u32_e64 v12, null, s4, 0, s8
	flat_load_u16 v11, v[11:12] offset:2048
.LBB297_49:
	s_or_b32 exec_lo, exec_lo, s5
	v_or_b32_e32 v12, 0x480, v0
	s_delay_alu instid0(VALU_DEP_1)
	v_cmp_gt_u32_e32 vcc_lo, s20, v12
                                        ; implicit-def: $vgpr12
	s_and_saveexec_b32 s5, vcc_lo
	s_cbranch_execz .LBB297_51
; %bb.50:
	v_lshlrev_b32_e32 v12, 1, v0
	s_delay_alu instid0(VALU_DEP_1) | instskip(NEXT) | instid1(VALU_DEP_1)
	v_add_co_u32 v12, s8, s2, v12
	v_add_co_ci_u32_e64 v13, null, s4, 0, s8
	flat_load_u16 v12, v[12:13] offset:2304
.LBB297_51:
	s_or_b32 exec_lo, exec_lo, s5
	v_or_b32_e32 v13, 0x500, v0
	s_delay_alu instid0(VALU_DEP_1)
	v_cmp_gt_u32_e32 vcc_lo, s20, v13
                                        ; implicit-def: $vgpr13
	s_and_saveexec_b32 s5, vcc_lo
	s_cbranch_execz .LBB297_53
; %bb.52:
	v_lshlrev_b32_e32 v13, 1, v0
	s_delay_alu instid0(VALU_DEP_1) | instskip(NEXT) | instid1(VALU_DEP_1)
	v_add_co_u32 v13, s8, s2, v13
	v_add_co_ci_u32_e64 v14, null, s4, 0, s8
	flat_load_u16 v13, v[13:14] offset:2560
.LBB297_53:
	s_or_b32 exec_lo, exec_lo, s5
	v_or_b32_e32 v14, 0x580, v0
	s_delay_alu instid0(VALU_DEP_1)
	v_cmp_gt_u32_e32 vcc_lo, s20, v14
                                        ; implicit-def: $vgpr14
	s_and_saveexec_b32 s5, vcc_lo
	s_cbranch_execz .LBB297_55
; %bb.54:
	v_lshlrev_b32_e32 v14, 1, v0
	s_delay_alu instid0(VALU_DEP_1) | instskip(NEXT) | instid1(VALU_DEP_1)
	v_add_co_u32 v14, s2, s2, v14
	v_add_co_ci_u32_e64 v15, null, s4, 0, s2
	flat_load_u16 v14, v[14:15] offset:2816
.LBB297_55:
	s_or_b32 exec_lo, exec_lo, s5
	v_mad_i32_i24 v15, 0xffffffea, v0, v8
	s_waitcnt vmcnt(0) lgkmcnt(0)
	ds_store_b16 v15, v2
	ds_store_b16 v15, v3 offset:256
	ds_store_b16 v15, v4 offset:512
	;; [unrolled: 1-line block ×11, first 2 shown]
	s_waitcnt lgkmcnt(0)
	s_barrier
.LBB297_56:
	buffer_gl0_inv
	ds_load_2addr_b64 v[14:17], v8 offset1:1
	ds_load_b64 v[25:26], v8 offset:16
	s_cmp_lg_u32 s15, 0
	v_lshrrev_b32_e32 v41, 16, v18
	s_cselect_b32 s22, -1, 0
	s_cmp_lg_u64 s[6:7], 0
	v_lshrrev_b32_e32 v40, 16, v19
	s_cselect_b32 s2, -1, 0
	v_lshrrev_b32_e32 v39, 16, v20
	v_lshrrev_b32_e32 v38, 16, v21
	v_or_b32_e32 v12, 1, v1
	v_or_b32_e32 v6, 2, v1
	;; [unrolled: 1-line block ×3, first 2 shown]
	v_add_nc_u32_e32 v7, 4, v1
	v_add_nc_u32_e32 v5, 5, v1
	;; [unrolled: 1-line block ×5, first 2 shown]
	v_lshrrev_b32_e32 v37, 16, v27
	v_lshrrev_b32_e32 v31, 16, v28
	v_add_nc_u32_e32 v10, 9, v1
	v_add_nc_u32_e32 v8, 10, v1
	;; [unrolled: 1-line block ×3, first 2 shown]
	s_or_b32 s2, s22, s2
	s_mov_b32 s23, 0
	s_and_b32 vcc_lo, exec_lo, s2
	s_waitcnt lgkmcnt(0)
	s_barrier
	buffer_gl0_inv
	s_cbranch_vccz .LBB297_61
; %bb.57:
	v_add_co_u32 v22, s2, -2, s12
	s_delay_alu instid0(VALU_DEP_1)
	v_add_co_ci_u32_e64 v23, null, -1, s3, s2
	v_lshlrev_b32_e32 v29, 1, v0
	s_mov_b32 s3, -1
	s_and_b32 vcc_lo, exec_lo, s14
	flat_load_u16 v13, v[22:23]
	ds_store_b16 v29, v31
	s_cbranch_vccz .LBB297_62
; %bb.58:
	s_waitcnt vmcnt(0) lgkmcnt(1)
	v_mov_b32_e32 v22, v13
	s_mov_b32 s3, 0
	s_mov_b32 s2, exec_lo
	s_waitcnt lgkmcnt(0)
	s_barrier
	buffer_gl0_inv
	v_cmpx_ne_u32_e32 0, v0
	s_cbranch_execz .LBB297_60
; %bb.59:
	v_add_nc_u32_e32 v22, -2, v29
	ds_load_u16 v22, v22
.LBB297_60:
	s_or_b32 exec_lo, exec_lo, s2
	v_cmp_ne_u16_e32 vcc_lo, v28, v31
	s_waitcnt lgkmcnt(0)
	v_cmp_ne_u16_e64 s2, v22, v18
	v_cndmask_b32_e64 v23, 0, 1, vcc_lo
	v_cmp_ne_u16_e32 vcc_lo, v37, v28
	s_delay_alu instid0(VALU_DEP_2) | instskip(SKIP_2) | instid1(VALU_DEP_2)
	v_lshlrev_b16 v23, 8, v23
	v_cndmask_b32_e64 v24, 0, 1, vcc_lo
	v_cmp_ne_u16_e32 vcc_lo, v27, v37
	v_or_b32_e32 v23, v24, v23
	v_cndmask_b32_e64 v30, 0, 1, vcc_lo
	v_cmp_ne_u16_e32 vcc_lo, v38, v27
	s_delay_alu instid0(VALU_DEP_2) | instskip(SKIP_2) | instid1(VALU_DEP_2)
	v_lshlrev_b16 v30, 8, v30
	v_cndmask_b32_e64 v32, 0, 1, vcc_lo
	v_cmp_ne_u16_e32 vcc_lo, v19, v40
	v_or_b32_e32 v30, v32, v30
	v_cndmask_b32_e64 v33, 0, 1, vcc_lo
	v_cmp_ne_u16_e32 vcc_lo, v21, v38
	s_delay_alu instid0(VALU_DEP_3) | instskip(NEXT) | instid1(VALU_DEP_3)
	v_and_b32_e32 v30, 0xffff, v30
	v_lshlrev_b16 v33, 8, v33
	v_cndmask_b32_e64 v34, 0, 1, vcc_lo
	v_cmp_ne_u16_e32 vcc_lo, v41, v19
	s_delay_alu instid0(VALU_DEP_2) | instskip(SKIP_2) | instid1(VALU_DEP_2)
	v_lshlrev_b16 v34, 8, v34
	v_cndmask_b32_e64 v35, 0, 1, vcc_lo
	v_cmp_ne_u16_e32 vcc_lo, v39, v21
	v_or_b32_e32 v33, v35, v33
	v_cndmask_b32_e64 v36, 0, 1, vcc_lo
	v_cmp_ne_u16_e32 vcc_lo, v20, v39
	s_delay_alu instid0(VALU_DEP_3) | instskip(NEXT) | instid1(VALU_DEP_3)
	v_lshlrev_b32_e32 v33, 16, v33
	v_or_b32_e32 v34, v36, v34
	v_cndmask_b32_e64 v42, 0, 1, vcc_lo
	v_cmp_ne_u16_e32 vcc_lo, v40, v20
	s_delay_alu instid0(VALU_DEP_3) | instskip(NEXT) | instid1(VALU_DEP_3)
	v_lshlrev_b32_e32 v34, 16, v34
	v_lshlrev_b16 v42, 8, v42
	v_cndmask_b32_e64 v35, 0, 1, vcc_lo
	v_cmp_ne_u16_e32 vcc_lo, v18, v41
	s_delay_alu instid0(VALU_DEP_2) | instskip(SKIP_1) | instid1(VALU_DEP_2)
	v_or_b32_e32 v35, v35, v42
	v_cndmask_b32_e64 v43, 0, 1, vcc_lo
	v_and_b32_e32 v32, 0xffff, v35
	s_delay_alu instid0(VALU_DEP_2) | instskip(SKIP_1) | instid1(VALU_DEP_3)
	v_lshlrev_b16 v43, 8, v43
	v_lshlrev_b32_e32 v35, 16, v23
	v_or_b32_e32 v23, v32, v34
	s_delay_alu instid0(VALU_DEP_3) | instskip(NEXT) | instid1(VALU_DEP_3)
	v_and_b32_e32 v24, 0xffff, v43
	v_or_b32_e32 v36, v30, v35
	s_delay_alu instid0(VALU_DEP_2)
	v_or_b32_e32 v22, v24, v33
	s_and_b32 vcc_lo, exec_lo, s3
	s_cbranch_vccnz .LBB297_63
	s_branch .LBB297_66
.LBB297_61:
                                        ; implicit-def: $sgpr2
                                        ; implicit-def: $vgpr36
                                        ; implicit-def: $vgpr22_vgpr23_vgpr24
	s_branch .LBB297_67
.LBB297_62:
                                        ; implicit-def: $sgpr2
                                        ; implicit-def: $vgpr36
                                        ; implicit-def: $vgpr22_vgpr23_vgpr24
	s_and_b32 vcc_lo, exec_lo, s3
	s_cbranch_vccz .LBB297_66
.LBB297_63:
	s_mov_b32 s2, exec_lo
	s_waitcnt vmcnt(0) lgkmcnt(0)
	s_barrier
	buffer_gl0_inv
	v_cmpx_ne_u32_e32 0, v0
	s_cbranch_execz .LBB297_65
; %bb.64:
	v_add_nc_u32_e32 v13, -2, v29
	ds_load_u16 v13, v13
.LBB297_65:
	s_or_b32 exec_lo, exec_lo, s2
	v_cmp_gt_u32_e32 vcc_lo, s20, v9
	v_cmp_ne_u16_e64 s2, v28, v31
	v_cmp_gt_u32_e64 s3, s20, v8
	v_cmp_ne_u16_e64 s4, v37, v28
	v_cmp_gt_u32_e64 s5, s20, v10
	v_cmp_ne_u16_e64 s6, v27, v37
	s_and_b32 s2, vcc_lo, s2
	v_cmp_gt_u32_e32 vcc_lo, s20, v11
	v_cndmask_b32_e64 v22, 0, 1, s2
	s_and_b32 s2, s3, s4
	v_cmp_gt_u32_e64 s3, s20, v2
	v_cndmask_b32_e64 v23, 0, 1, s2
	s_and_b32 s2, s5, s6
	v_cmp_ne_u16_e64 s4, v21, v38
	v_cndmask_b32_e64 v24, 0, 1, s2
	v_cmp_ne_u16_e64 s2, v38, v27
	v_cmp_gt_u32_e64 s5, s20, v3
	v_cmp_ne_u16_e64 s6, v39, v21
	v_lshlrev_b16 v22, 8, v22
	v_lshlrev_b16 v24, 8, v24
	s_and_b32 s2, vcc_lo, s2
	v_cmp_gt_u32_e32 vcc_lo, s20, v4
	v_cndmask_b32_e64 v29, 0, 1, s2
	s_and_b32 s2, s3, s4
	v_cmp_gt_u32_e64 s3, s20, v5
	v_cndmask_b32_e64 v30, 0, 1, s2
	s_and_b32 s2, s5, s6
	v_cmp_gt_u32_e64 s5, s20, v6
	v_cndmask_b32_e64 v32, 0, 1, s2
	v_cmp_ne_u16_e64 s2, v19, v40
	v_cmp_ne_u16_e64 s6, v41, v19
	;; [unrolled: 1-line block ×3, first 2 shown]
	v_lshlrev_b16 v30, 8, v30
	v_or_b32_e32 v24, v29, v24
	s_and_b32 s2, vcc_lo, s2
	v_cmp_gt_u32_e32 vcc_lo, s20, v7
	v_cndmask_b32_e64 v33, 0, 1, s2
	v_cmp_ne_u16_e64 s2, v40, v20
	s_and_b32 s5, s5, s6
	v_cmp_ne_u16_e64 s6, v18, v41
	v_cndmask_b32_e64 v34, 0, 1, s5
	v_lshlrev_b16 v33, 8, v33
	v_cmp_gt_u32_e64 s5, s20, v12
	s_and_b32 s3, s3, s4
	s_and_b32 s2, vcc_lo, s2
	v_cndmask_b32_e64 v35, 0, 1, s3
	v_or_b32_e32 v33, v34, v33
	v_cndmask_b32_e64 v34, 0, 1, s2
	s_and_b32 s2, s5, s6
	v_or_b32_e32 v30, v32, v30
	v_cndmask_b32_e64 v36, 0, 1, s2
	v_lshlrev_b16 v35, 8, v35
	v_or_b32_e32 v22, v23, v22
	v_lshlrev_b32_e32 v33, 16, v33
	v_lshlrev_b32_e32 v30, 16, v30
	v_lshlrev_b16 v36, 8, v36
	v_or_b32_e32 v34, v34, v35
	v_and_b32_e32 v24, 0xffff, v24
	v_lshlrev_b32_e32 v32, 16, v22
	v_cmp_gt_u32_e32 vcc_lo, s20, v1
	v_and_b32_e32 v23, 0xffff, v36
	v_and_b32_e32 v29, 0xffff, v34
	s_waitcnt lgkmcnt(0)
	v_cmp_ne_u16_e64 s2, v13, v18
	v_or_b32_e32 v36, v24, v32
	v_or_b32_e32 v22, v23, v33
	;; [unrolled: 1-line block ×3, first 2 shown]
	s_delay_alu instid0(VALU_DEP_4)
	s_and_b32 s2, vcc_lo, s2
.LBB297_66:
	s_mov_b32 s23, -1
	s_cbranch_execnz .LBB297_75
.LBB297_67:
	s_waitcnt vmcnt(0) lgkmcnt(1)
	v_lshlrev_b32_e32 v13, 1, v0
	v_cmp_ne_u16_e64 s8, v28, v31
	v_cmp_ne_u16_e64 s9, v37, v28
	;; [unrolled: 1-line block ×11, first 2 shown]
	s_and_b32 vcc_lo, exec_lo, s14
	ds_store_b16 v13, v31
	s_cbranch_vccz .LBB297_71
; %bb.68:
	v_cndmask_b32_e64 v22, 0, 1, s12
	v_cndmask_b32_e64 v23, 0, 1, s8
	;; [unrolled: 1-line block ×5, first 2 shown]
	v_lshlrev_b16 v22, 8, v22
	v_cndmask_b32_e64 v35, 0, 1, s7
	v_cndmask_b32_e64 v36, 0, 1, s3
	;; [unrolled: 1-line block ×5, first 2 shown]
	v_or_b32_e32 v22, v29, v22
	v_cndmask_b32_e64 v29, 0, 1, s2
	v_lshlrev_b16 v23, 8, v23
	v_lshlrev_b16 v33, 8, v33
	v_lshlrev_b16 v30, 8, v30
	v_lshlrev_b16 v35, 8, v35
	v_lshlrev_b16 v36, 8, v36
	v_or_b32_e32 v23, v24, v23
	v_or_b32_e32 v24, v34, v33
	;; [unrolled: 1-line block ×5, first 2 shown]
	v_and_b32_e32 v22, 0xffff, v22
	v_lshlrev_b32_e32 v23, 16, v23
	v_and_b32_e32 v24, 0xffff, v24
	v_lshlrev_b32_e32 v30, 16, v30
	v_lshlrev_b32_e32 v29, 16, v29
	v_and_b32_e32 v32, 0xffff, v32
	v_or_b32_e32 v36, v22, v23
	s_mov_b32 s3, 0
	v_or_b32_e32 v23, v24, v30
	s_mov_b32 s4, exec_lo
	v_or_b32_e32 v22, v32, v29
	s_waitcnt lgkmcnt(0)
	s_barrier
	buffer_gl0_inv
                                        ; implicit-def: $sgpr2
	v_cmpx_ne_u32_e32 0, v0
	s_xor_b32 s4, exec_lo, s4
	s_cbranch_execz .LBB297_70
; %bb.69:
	v_add_nc_u32_e32 v24, -2, v13
	s_or_b32 s23, s23, exec_lo
	ds_load_u16 v24, v24
	s_waitcnt lgkmcnt(0)
	v_cmp_ne_u16_e32 vcc_lo, v24, v18
	s_and_b32 s2, vcc_lo, exec_lo
.LBB297_70:
	s_or_b32 exec_lo, exec_lo, s4
	s_delay_alu instid0(SALU_CYCLE_1)
	s_and_b32 vcc_lo, exec_lo, s3
	s_cbranch_vccnz .LBB297_72
	s_branch .LBB297_75
.LBB297_71:
                                        ; implicit-def: $sgpr2
                                        ; implicit-def: $vgpr36
                                        ; implicit-def: $vgpr22_vgpr23_vgpr24
	s_cbranch_execz .LBB297_75
.LBB297_72:
	v_cmp_gt_u32_e32 vcc_lo, s20, v9
	v_cmp_ne_u16_e64 s2, v28, v31
	v_cmp_gt_u32_e64 s3, s20, v8
	v_cmp_ne_u16_e64 s4, v37, v28
	v_cmp_gt_u32_e64 s5, s20, v2
	v_cmp_ne_u16_e64 s6, v21, v38
	s_and_b32 s2, vcc_lo, s2
	v_cmp_gt_u32_e32 vcc_lo, s20, v10
	v_cndmask_b32_e64 v22, 0, 1, s2
	s_and_b32 s2, s3, s4
	v_cmp_gt_u32_e64 s3, s20, v11
	v_cndmask_b32_e64 v23, 0, 1, s2
	v_cmp_ne_u16_e64 s2, v27, v37
	v_cmp_ne_u16_e64 s4, v38, v27
	v_lshlrev_b16 v22, 8, v22
	s_waitcnt lgkmcnt(0)
	s_barrier
	s_and_b32 s2, vcc_lo, s2
	v_cmp_gt_u32_e32 vcc_lo, s20, v3
	v_cndmask_b32_e64 v24, 0, 1, s2
	s_and_b32 s2, s3, s4
	v_cmp_gt_u32_e64 s3, s20, v5
	v_cndmask_b32_e64 v29, 0, 1, s2
	s_and_b32 s2, s5, s6
	v_cmp_ne_u16_e64 s4, v20, v39
	v_cndmask_b32_e64 v30, 0, 1, s2
	v_cmp_ne_u16_e64 s2, v39, v21
	v_cmp_gt_u32_e64 s5, s20, v7
	v_cmp_ne_u16_e64 s6, v40, v20
	v_lshlrev_b16 v24, 8, v24
	v_lshlrev_b16 v30, 8, v30
	s_and_b32 s2, vcc_lo, s2
	v_cmp_gt_u32_e32 vcc_lo, s20, v4
	v_cndmask_b32_e64 v32, 0, 1, s2
	s_and_b32 s2, s3, s4
	v_cmp_gt_u32_e64 s3, s20, v6
	v_cndmask_b32_e64 v33, 0, 1, s2
	s_and_b32 s2, s5, s6
	v_cmp_ne_u16_e64 s4, v41, v19
	v_cndmask_b32_e64 v34, 0, 1, s2
	v_cmp_ne_u16_e64 s2, v19, v40
	v_cmp_gt_u32_e64 s5, s20, v12
	v_cmp_ne_u16_e64 s6, v18, v41
	v_or_b32_e32 v24, v29, v24
	v_lshlrev_b16 v33, 8, v33
	s_and_b32 s2, vcc_lo, s2
	v_or_b32_e32 v22, v23, v22
	v_cndmask_b32_e64 v35, 0, 1, s2
	s_and_b32 s2, s3, s4
	v_or_b32_e32 v23, v34, v33
	v_cndmask_b32_e64 v29, 0, 1, s2
	s_and_b32 s2, s5, s6
	v_lshlrev_b16 v35, 8, v35
	v_cndmask_b32_e64 v36, 0, 1, s2
	v_or_b32_e32 v30, v32, v30
	v_and_b32_e32 v24, 0xffff, v24
	v_lshlrev_b32_e32 v22, 16, v22
	v_or_b32_e32 v29, v29, v35
	v_lshlrev_b16 v36, 8, v36
	v_and_b32_e32 v23, 0xffff, v23
	v_lshlrev_b32_e32 v30, 16, v30
	s_mov_b32 s3, exec_lo
	v_lshlrev_b32_e32 v29, 16, v29
	v_or_b32_e32 v32, 1, v36
	v_or_b32_e32 v36, v24, v22
	;; [unrolled: 1-line block ×3, first 2 shown]
	buffer_gl0_inv
                                        ; implicit-def: $sgpr2
	v_and_b32_e32 v32, 0xffff, v32
	s_delay_alu instid0(VALU_DEP_1)
	v_or_b32_e32 v22, v32, v29
	v_cmpx_ne_u32_e32 0, v0
	s_cbranch_execz .LBB297_74
; %bb.73:
	v_add_nc_u32_e32 v13, -2, v13
	v_cmp_gt_u32_e32 vcc_lo, s20, v1
	s_or_b32 s23, s23, exec_lo
	ds_load_u16 v13, v13
	s_waitcnt lgkmcnt(0)
	v_cmp_ne_u16_e64 s2, v13, v18
	s_delay_alu instid0(VALU_DEP_1) | instskip(NEXT) | instid1(SALU_CYCLE_1)
	s_and_b32 s2, vcc_lo, s2
	s_and_b32 s2, s2, exec_lo
.LBB297_74:
	s_or_b32 exec_lo, exec_lo, s3
.LBB297_75:
	s_and_saveexec_b32 s3, s23
	s_cbranch_execz .LBB297_77
; %bb.76:
	s_waitcnt vmcnt(0) lgkmcnt(1)
	v_and_b32_e32 v13, 0xffffff00, v22
	v_cndmask_b32_e64 v24, 0, 1, s2
	s_delay_alu instid0(VALU_DEP_1) | instskip(NEXT) | instid1(VALU_DEP_1)
	v_or_b32_e32 v13, v24, v13
	v_and_b32_e32 v13, 0xffff, v13
	s_delay_alu instid0(VALU_DEP_1)
	v_and_or_b32 v22, 0xffff0000, v22, v13
.LBB297_77:
	s_or_b32 exec_lo, exec_lo, s3
	s_load_b64 s[10:11], s[0:1], 0x60
	s_and_not1_b32 vcc_lo, exec_lo, s21
	s_cbranch_vccnz .LBB297_79
; %bb.78:
	v_cmp_gt_u32_e32 vcc_lo, s20, v1
	v_cmp_gt_u32_e64 s3, s20, v6
	v_cmp_gt_u32_e64 s5, s20, v4
	v_cmp_gt_u32_e64 s2, s20, v7
	v_cmp_gt_u32_e64 s4, s20, v5
	v_cndmask_b32_e32 v1, 0, v22, vcc_lo
	v_cmp_gt_u32_e32 vcc_lo, s20, v12
	v_and_b32_e32 v12, 0xffffff00, v23
	v_cmp_gt_u32_e64 s6, s20, v3
	s_delay_alu instid0(VALU_DEP_4) | instskip(NEXT) | instid1(VALU_DEP_3)
	v_and_b32_e32 v1, 0xff, v1
	v_cndmask_b32_e64 v7, v12, v23, s2
	s_delay_alu instid0(VALU_DEP_2) | instskip(SKIP_1) | instid1(VALU_DEP_3)
	v_cndmask_b32_e32 v1, v1, v22, vcc_lo
	v_cmp_gt_u32_e32 vcc_lo, s20, v11
	v_and_b32_e32 v7, 0xffff00ff, v7
	s_delay_alu instid0(VALU_DEP_3) | instskip(SKIP_1) | instid1(VALU_DEP_3)
	v_and_b32_e32 v1, 0xffff, v1
	v_cndmask_b32_e32 v11, 0, v36, vcc_lo
	v_cndmask_b32_e64 v5, v7, v23, s4
	s_delay_alu instid0(VALU_DEP_3) | instskip(SKIP_1) | instid1(VALU_DEP_3)
	v_cndmask_b32_e64 v1, v1, v22, s3
	v_cmp_gt_u32_e64 s3, s20, v10
	v_and_b32_e32 v5, 0xff00ffff, v5
	s_delay_alu instid0(VALU_DEP_3) | instskip(NEXT) | instid1(VALU_DEP_2)
	v_and_b32_e32 v1, 0xffffff, v1
	v_cndmask_b32_e64 v3, v5, v23, s6
	s_delay_alu instid0(VALU_DEP_2) | instskip(SKIP_1) | instid1(VALU_DEP_2)
	v_cndmask_b32_e64 v1, v1, v22, s5
	v_cmp_gt_u32_e64 s5, s20, v8
	v_cndmask_b32_e64 v1, v1, v22, s2
	v_cmp_gt_u32_e64 s2, s20, v9
	s_delay_alu instid0(VALU_DEP_2) | instskip(SKIP_2) | instid1(VALU_DEP_3)
	v_cndmask_b32_e64 v1, v1, v22, s4
	v_cmp_gt_u32_e64 s4, s20, v2
	v_and_b32_e32 v2, 0xffffff, v3
	v_cndmask_b32_e64 v1, v1, v22, s6
	v_and_b32_e32 v11, 0xff, v11
	s_delay_alu instid0(VALU_DEP_1) | instskip(NEXT) | instid1(VALU_DEP_1)
	v_cndmask_b32_e64 v6, v11, v36, s3
	v_and_b32_e32 v6, 0xffff, v6
	s_delay_alu instid0(VALU_DEP_1) | instskip(NEXT) | instid1(VALU_DEP_1)
	v_cndmask_b32_e64 v4, v6, v36, s5
	v_and_b32_e32 v4, 0xffffff, v4
	s_delay_alu instid0(VALU_DEP_1) | instskip(SKIP_1) | instid1(SALU_CYCLE_1)
	v_cndmask_b32_e64 v36, v4, v36, s2
	s_or_b32 s2, s2, s5
	s_or_b32 s2, s2, s3
	s_delay_alu instid0(SALU_CYCLE_1) | instskip(NEXT) | instid1(SALU_CYCLE_1)
	s_or_b32 s2, s2, vcc_lo
	s_or_b32 vcc_lo, s2, s4
	v_dual_cndmask_b32 v22, v1, v22 :: v_dual_cndmask_b32 v23, v2, v23
.LBB297_79:
	s_delay_alu instid0(VALU_DEP_1) | instskip(NEXT) | instid1(VALU_DEP_2)
	v_and_b32_e32 v42, 0xff, v22
	v_alignbit_b32 v1, v23, v22, 24
	v_bfe_u32 v43, v22, 8, 8
	v_bfe_u32 v44, v22, 16, 8
	v_and_b32_e32 v46, 0xff, v23
	v_bfe_u32 v47, v23, 8, 8
	v_and_b32_e32 v45, 0xff, v1
	v_dual_mov_b32 v1, v36 :: v_dual_add_nc_u32 v2, v43, v42
	v_bfe_u32 v48, v23, 16, 8
	v_lshrrev_b32_e32 v24, 24, v23
	v_and_b32_e32 v49, 0xff, v36
	v_mbcnt_lo_u32_b32 v52, -1, 0
	v_add3_u32 v2, v2, v44, v45
	v_bfe_u32 v50, v36, 8, 8
	v_alignbit_b32 v3, s0, v36, 24
	v_bfe_u32 v51, v36, 16, 8
	v_and_b32_e32 v4, 15, v52
	v_add3_u32 v2, v2, v46, v47
	v_or_b32_e32 v5, 31, v0
	v_and_b32_e32 v3, 0xff, v3
	v_and_b32_e32 v6, 16, v52
	v_cmp_eq_u32_e64 s7, 0, v4
	v_add3_u32 v2, v2, v48, v24
	v_cmp_lt_u32_e64 s6, 1, v4
	v_cmp_lt_u32_e64 s5, 3, v4
	;; [unrolled: 1-line block ×3, first 2 shown]
	v_cmp_eq_u32_e64 s3, 0, v6
	v_add3_u32 v2, v2, v49, v50
	v_lshrrev_b32_e32 v53, 5, v0
	v_cmp_eq_u32_e64 s2, v5, v0
	s_and_b32 vcc_lo, exec_lo, s22
	s_mov_b32 s8, -1
	v_add3_u32 v54, v2, v51, v3
	s_waitcnt vmcnt(0) lgkmcnt(0)
	s_barrier
	buffer_gl0_inv
	s_cbranch_vccz .LBB297_110
; %bb.80:
	v_mov_b32_dpp v2, v54 row_shr:1 row_mask:0xf bank_mask:0xf
	s_delay_alu instid0(VALU_DEP_1) | instskip(NEXT) | instid1(VALU_DEP_1)
	v_cndmask_b32_e64 v2, v2, 0, s7
	v_add_nc_u32_e32 v2, v2, v54
	s_delay_alu instid0(VALU_DEP_1) | instskip(NEXT) | instid1(VALU_DEP_1)
	v_mov_b32_dpp v3, v2 row_shr:2 row_mask:0xf bank_mask:0xf
	v_cndmask_b32_e64 v3, 0, v3, s6
	s_delay_alu instid0(VALU_DEP_1) | instskip(NEXT) | instid1(VALU_DEP_1)
	v_add_nc_u32_e32 v2, v2, v3
	v_mov_b32_dpp v3, v2 row_shr:4 row_mask:0xf bank_mask:0xf
	s_delay_alu instid0(VALU_DEP_1) | instskip(NEXT) | instid1(VALU_DEP_1)
	v_cndmask_b32_e64 v3, 0, v3, s5
	v_add_nc_u32_e32 v2, v2, v3
	s_delay_alu instid0(VALU_DEP_1) | instskip(NEXT) | instid1(VALU_DEP_1)
	v_mov_b32_dpp v3, v2 row_shr:8 row_mask:0xf bank_mask:0xf
	v_cndmask_b32_e64 v3, 0, v3, s4
	s_delay_alu instid0(VALU_DEP_1) | instskip(SKIP_3) | instid1(VALU_DEP_1)
	v_add_nc_u32_e32 v2, v2, v3
	ds_swizzle_b32 v3, v2 offset:swizzle(BROADCAST,32,15)
	s_waitcnt lgkmcnt(0)
	v_cndmask_b32_e64 v3, v3, 0, s3
	v_add_nc_u32_e32 v2, v2, v3
	s_and_saveexec_b32 s8, s2
	s_cbranch_execz .LBB297_82
; %bb.81:
	v_lshlrev_b32_e32 v3, 2, v53
	ds_store_b32 v3, v2
.LBB297_82:
	s_or_b32 exec_lo, exec_lo, s8
	s_delay_alu instid0(SALU_CYCLE_1)
	s_mov_b32 s8, exec_lo
	s_waitcnt lgkmcnt(0)
	s_barrier
	buffer_gl0_inv
	v_cmpx_gt_u32_e32 4, v0
	s_cbranch_execz .LBB297_84
; %bb.83:
	v_and_b32_e32 v5, 3, v52
	s_delay_alu instid0(VALU_DEP_1) | instskip(SKIP_4) | instid1(VALU_DEP_1)
	v_cmp_ne_u32_e32 vcc_lo, 0, v5
	v_lshlrev_b32_e32 v3, 2, v0
	ds_load_b32 v4, v3
	s_waitcnt lgkmcnt(0)
	v_mov_b32_dpp v6, v4 row_shr:1 row_mask:0xf bank_mask:0xf
	v_cndmask_b32_e32 v6, 0, v6, vcc_lo
	v_cmp_lt_u32_e32 vcc_lo, 1, v5
	s_delay_alu instid0(VALU_DEP_2) | instskip(NEXT) | instid1(VALU_DEP_1)
	v_add_nc_u32_e32 v4, v6, v4
	v_mov_b32_dpp v6, v4 row_shr:2 row_mask:0xf bank_mask:0xf
	s_delay_alu instid0(VALU_DEP_1) | instskip(NEXT) | instid1(VALU_DEP_1)
	v_cndmask_b32_e32 v5, 0, v6, vcc_lo
	v_add_nc_u32_e32 v4, v4, v5
	ds_store_b32 v3, v4
.LBB297_84:
	s_or_b32 exec_lo, exec_lo, s8
	v_cmp_gt_u32_e32 vcc_lo, 32, v0
	s_mov_b32 s9, exec_lo
	s_waitcnt lgkmcnt(0)
	s_barrier
	buffer_gl0_inv
                                        ; implicit-def: $vgpr10
	v_cmpx_lt_u32_e32 31, v0
	s_cbranch_execz .LBB297_86
; %bb.85:
	v_lshl_add_u32 v3, v53, 2, -4
	ds_load_b32 v10, v3
	s_waitcnt lgkmcnt(0)
	v_add_nc_u32_e32 v2, v10, v2
.LBB297_86:
	s_or_b32 exec_lo, exec_lo, s9
	v_add_nc_u32_e32 v3, -1, v52
	s_delay_alu instid0(VALU_DEP_1) | instskip(NEXT) | instid1(VALU_DEP_1)
	v_cmp_gt_i32_e64 s8, 0, v3
	v_cndmask_b32_e64 v3, v3, v52, s8
	v_cmp_eq_u32_e64 s8, 0, v52
	s_delay_alu instid0(VALU_DEP_2)
	v_lshlrev_b32_e32 v3, 2, v3
	ds_bpermute_b32 v11, v3, v2
	s_and_saveexec_b32 s9, vcc_lo
	s_cbranch_execz .LBB297_109
; %bb.87:
	v_mov_b32_e32 v6, 0
	ds_load_b32 v2, v6 offset:12
	s_and_saveexec_b32 s12, s8
	s_cbranch_execz .LBB297_89
; %bb.88:
	s_add_i32 s20, s15, 32
	s_mov_b32 s21, 0
	v_mov_b32_e32 v3, 1
	s_lshl_b64 s[20:21], s[20:21], 3
	s_delay_alu instid0(SALU_CYCLE_1)
	s_add_u32 s20, s10, s20
	s_addc_u32 s21, s11, s21
	s_waitcnt lgkmcnt(0)
	global_store_b64 v6, v[2:3], s[20:21]
.LBB297_89:
	s_or_b32 exec_lo, exec_lo, s12
	v_xad_u32 v4, v52, -1, s15
	s_mov_b32 s20, 0
	s_mov_b32 s12, exec_lo
	s_delay_alu instid0(VALU_DEP_1) | instskip(NEXT) | instid1(VALU_DEP_1)
	v_add_nc_u32_e32 v5, 32, v4
	v_lshlrev_b64 v[5:6], 3, v[5:6]
	s_delay_alu instid0(VALU_DEP_1) | instskip(NEXT) | instid1(VALU_DEP_2)
	v_add_co_u32 v8, vcc_lo, s10, v5
	v_add_co_ci_u32_e32 v9, vcc_lo, s11, v6, vcc_lo
	global_load_b64 v[6:7], v[8:9], off glc
	s_waitcnt vmcnt(0)
	v_and_b32_e32 v3, 0xff, v7
	s_delay_alu instid0(VALU_DEP_1)
	v_cmpx_eq_u16_e32 0, v3
	s_cbranch_execz .LBB297_95
; %bb.90:
	s_mov_b32 s21, 1
	.p2align	6
.LBB297_91:                             ; =>This Loop Header: Depth=1
                                        ;     Child Loop BB297_92 Depth 2
	s_delay_alu instid0(SALU_CYCLE_1)
	s_max_u32 s22, s21, 1
.LBB297_92:                             ;   Parent Loop BB297_91 Depth=1
                                        ; =>  This Inner Loop Header: Depth=2
	s_delay_alu instid0(SALU_CYCLE_1)
	s_add_i32 s22, s22, -1
	s_sleep 1
	s_cmp_eq_u32 s22, 0
	s_cbranch_scc0 .LBB297_92
; %bb.93:                               ;   in Loop: Header=BB297_91 Depth=1
	global_load_b64 v[6:7], v[8:9], off glc
	s_cmp_lt_u32 s21, 32
	s_cselect_b32 s22, -1, 0
	s_delay_alu instid0(SALU_CYCLE_1) | instskip(SKIP_3) | instid1(VALU_DEP_1)
	s_cmp_lg_u32 s22, 0
	s_addc_u32 s21, s21, 0
	s_waitcnt vmcnt(0)
	v_and_b32_e32 v3, 0xff, v7
	v_cmp_ne_u16_e32 vcc_lo, 0, v3
	s_or_b32 s20, vcc_lo, s20
	s_delay_alu instid0(SALU_CYCLE_1)
	s_and_not1_b32 exec_lo, exec_lo, s20
	s_cbranch_execnz .LBB297_91
; %bb.94:
	s_or_b32 exec_lo, exec_lo, s20
.LBB297_95:
	s_delay_alu instid0(SALU_CYCLE_1)
	s_or_b32 exec_lo, exec_lo, s12
	v_cmp_ne_u32_e32 vcc_lo, 31, v52
	v_lshlrev_b32_e64 v13, v52, -1
	v_add_nc_u32_e32 v30, 2, v52
	v_add_nc_u32_e32 v56, 16, v52
	v_add_co_ci_u32_e32 v3, vcc_lo, 0, v52, vcc_lo
	s_delay_alu instid0(VALU_DEP_1)
	v_lshlrev_b32_e32 v12, 2, v3
	v_and_b32_e32 v3, 0xff, v7
	ds_bpermute_b32 v5, v12, v6
	v_cmp_eq_u16_e32 vcc_lo, 2, v3
	v_and_or_b32 v3, vcc_lo, v13, 0x80000000
	v_cmp_gt_u32_e32 vcc_lo, 30, v52
	s_delay_alu instid0(VALU_DEP_2) | instskip(SKIP_1) | instid1(VALU_DEP_2)
	v_ctz_i32_b32_e32 v3, v3
	v_cndmask_b32_e64 v8, 0, 1, vcc_lo
	v_cmp_lt_u32_e32 vcc_lo, v52, v3
	s_waitcnt lgkmcnt(0)
	s_delay_alu instid0(VALU_DEP_2) | instskip(NEXT) | instid1(VALU_DEP_1)
	v_dual_cndmask_b32 v5, 0, v5 :: v_dual_lshlrev_b32 v8, 1, v8
	v_add_lshl_u32 v29, v8, v52, 2
	v_cmp_gt_u32_e32 vcc_lo, 28, v52
	s_delay_alu instid0(VALU_DEP_3) | instskip(SKIP_4) | instid1(VALU_DEP_1)
	v_add_nc_u32_e32 v5, v5, v6
	v_cndmask_b32_e64 v8, 0, 1, vcc_lo
	v_cmp_le_u32_e32 vcc_lo, v30, v3
	ds_bpermute_b32 v6, v29, v5
	v_lshlrev_b32_e32 v8, 2, v8
	v_add_lshl_u32 v32, v8, v52, 2
	s_waitcnt lgkmcnt(0)
	v_cndmask_b32_e32 v6, 0, v6, vcc_lo
	v_cmp_gt_u32_e32 vcc_lo, 24, v52
	s_delay_alu instid0(VALU_DEP_2) | instskip(SKIP_4) | instid1(VALU_DEP_2)
	v_add_nc_u32_e32 v5, v5, v6
	v_cndmask_b32_e64 v8, 0, 1, vcc_lo
	ds_bpermute_b32 v6, v32, v5
	v_add_nc_u32_e32 v33, 4, v52
	v_lshlrev_b32_e32 v8, 3, v8
	v_cmp_le_u32_e32 vcc_lo, v33, v3
	s_delay_alu instid0(VALU_DEP_2) | instskip(SKIP_3) | instid1(VALU_DEP_2)
	v_add_lshl_u32 v34, v8, v52, 2
	s_waitcnt lgkmcnt(0)
	v_cndmask_b32_e32 v6, 0, v6, vcc_lo
	v_cmp_gt_u32_e32 vcc_lo, 16, v52
	v_add_nc_u32_e32 v5, v5, v6
	v_cndmask_b32_e64 v8, 0, 1, vcc_lo
	ds_bpermute_b32 v6, v34, v5
	v_add_nc_u32_e32 v35, 8, v52
	v_lshlrev_b32_e32 v8, 4, v8
	s_delay_alu instid0(VALU_DEP_2) | instskip(NEXT) | instid1(VALU_DEP_2)
	v_cmp_le_u32_e32 vcc_lo, v35, v3
	v_add_lshl_u32 v55, v8, v52, 2
	s_waitcnt lgkmcnt(0)
	v_cndmask_b32_e32 v6, 0, v6, vcc_lo
	v_cmp_le_u32_e32 vcc_lo, v56, v3
	s_delay_alu instid0(VALU_DEP_2) | instskip(SKIP_3) | instid1(VALU_DEP_1)
	v_add_nc_u32_e32 v5, v5, v6
	ds_bpermute_b32 v6, v55, v5
	s_waitcnt lgkmcnt(0)
	v_cndmask_b32_e32 v3, 0, v6, vcc_lo
	v_dual_mov_b32 v5, 0 :: v_dual_add_nc_u32 v6, v5, v3
	s_branch .LBB297_97
.LBB297_96:                             ;   in Loop: Header=BB297_97 Depth=1
	s_or_b32 exec_lo, exec_lo, s12
	ds_bpermute_b32 v9, v12, v6
	v_and_b32_e32 v8, 0xff, v7
	v_subrev_nc_u32_e32 v4, 32, v4
	s_delay_alu instid0(VALU_DEP_2) | instskip(SKIP_1) | instid1(VALU_DEP_1)
	v_cmp_eq_u16_e32 vcc_lo, 2, v8
	v_and_or_b32 v8, vcc_lo, v13, 0x80000000
	v_ctz_i32_b32_e32 v8, v8
	s_delay_alu instid0(VALU_DEP_1) | instskip(SKIP_3) | instid1(VALU_DEP_2)
	v_cmp_lt_u32_e32 vcc_lo, v52, v8
	s_waitcnt lgkmcnt(0)
	v_cndmask_b32_e32 v9, 0, v9, vcc_lo
	v_cmp_le_u32_e32 vcc_lo, v30, v8
	v_add_nc_u32_e32 v6, v9, v6
	ds_bpermute_b32 v9, v29, v6
	s_waitcnt lgkmcnt(0)
	v_cndmask_b32_e32 v9, 0, v9, vcc_lo
	v_cmp_le_u32_e32 vcc_lo, v33, v8
	s_delay_alu instid0(VALU_DEP_2) | instskip(SKIP_4) | instid1(VALU_DEP_2)
	v_add_nc_u32_e32 v6, v6, v9
	ds_bpermute_b32 v9, v32, v6
	s_waitcnt lgkmcnt(0)
	v_cndmask_b32_e32 v9, 0, v9, vcc_lo
	v_cmp_le_u32_e32 vcc_lo, v35, v8
	v_add_nc_u32_e32 v6, v6, v9
	ds_bpermute_b32 v9, v34, v6
	s_waitcnt lgkmcnt(0)
	v_cndmask_b32_e32 v9, 0, v9, vcc_lo
	v_cmp_le_u32_e32 vcc_lo, v56, v8
	s_delay_alu instid0(VALU_DEP_2) | instskip(SKIP_3) | instid1(VALU_DEP_1)
	v_add_nc_u32_e32 v6, v6, v9
	ds_bpermute_b32 v9, v55, v6
	s_waitcnt lgkmcnt(0)
	v_cndmask_b32_e32 v8, 0, v9, vcc_lo
	v_add3_u32 v6, v8, v3, v6
.LBB297_97:                             ; =>This Loop Header: Depth=1
                                        ;     Child Loop BB297_100 Depth 2
                                        ;       Child Loop BB297_101 Depth 3
	v_and_b32_e32 v3, 0xff, v7
	s_delay_alu instid0(VALU_DEP_1) | instskip(SKIP_2) | instid1(VALU_DEP_1)
	v_cmp_ne_u16_e32 vcc_lo, 2, v3
	v_cndmask_b32_e64 v3, 0, 1, vcc_lo
	;;#ASMSTART
	;;#ASMEND
	v_cmp_ne_u32_e32 vcc_lo, 0, v3
	v_mov_b32_e32 v3, v6
	s_cmp_lg_u32 vcc_lo, exec_lo
	s_cbranch_scc1 .LBB297_104
; %bb.98:                               ;   in Loop: Header=BB297_97 Depth=1
	v_lshlrev_b64 v[6:7], 3, v[4:5]
	s_mov_b32 s12, exec_lo
	s_delay_alu instid0(VALU_DEP_1) | instskip(NEXT) | instid1(VALU_DEP_2)
	v_add_co_u32 v8, vcc_lo, s10, v6
	v_add_co_ci_u32_e32 v9, vcc_lo, s11, v7, vcc_lo
	global_load_b64 v[6:7], v[8:9], off glc
	s_waitcnt vmcnt(0)
	v_and_b32_e32 v57, 0xff, v7
	s_delay_alu instid0(VALU_DEP_1)
	v_cmpx_eq_u16_e32 0, v57
	s_cbranch_execz .LBB297_96
; %bb.99:                               ;   in Loop: Header=BB297_97 Depth=1
	s_mov_b32 s21, 1
	s_mov_b32 s20, 0
	.p2align	6
.LBB297_100:                            ;   Parent Loop BB297_97 Depth=1
                                        ; =>  This Loop Header: Depth=2
                                        ;       Child Loop BB297_101 Depth 3
	s_max_u32 s22, s21, 1
.LBB297_101:                            ;   Parent Loop BB297_97 Depth=1
                                        ;     Parent Loop BB297_100 Depth=2
                                        ; =>    This Inner Loop Header: Depth=3
	s_delay_alu instid0(SALU_CYCLE_1)
	s_add_i32 s22, s22, -1
	s_sleep 1
	s_cmp_eq_u32 s22, 0
	s_cbranch_scc0 .LBB297_101
; %bb.102:                              ;   in Loop: Header=BB297_100 Depth=2
	global_load_b64 v[6:7], v[8:9], off glc
	s_cmp_lt_u32 s21, 32
	s_cselect_b32 s22, -1, 0
	s_delay_alu instid0(SALU_CYCLE_1) | instskip(SKIP_3) | instid1(VALU_DEP_1)
	s_cmp_lg_u32 s22, 0
	s_addc_u32 s21, s21, 0
	s_waitcnt vmcnt(0)
	v_and_b32_e32 v57, 0xff, v7
	v_cmp_ne_u16_e32 vcc_lo, 0, v57
	s_or_b32 s20, vcc_lo, s20
	s_delay_alu instid0(SALU_CYCLE_1)
	s_and_not1_b32 exec_lo, exec_lo, s20
	s_cbranch_execnz .LBB297_100
; %bb.103:                              ;   in Loop: Header=BB297_97 Depth=1
	s_or_b32 exec_lo, exec_lo, s20
	s_branch .LBB297_96
.LBB297_104:                            ;   in Loop: Header=BB297_97 Depth=1
                                        ; implicit-def: $vgpr6
                                        ; implicit-def: $vgpr7
	s_cbranch_execz .LBB297_97
; %bb.105:
	s_and_saveexec_b32 s12, s8
	s_cbranch_execz .LBB297_107
; %bb.106:
	s_add_i32 s20, s15, 32
	s_mov_b32 s21, 0
	v_dual_mov_b32 v5, 2 :: v_dual_add_nc_u32 v4, v3, v2
	s_lshl_b64 s[20:21], s[20:21], 3
	v_mov_b32_e32 v6, 0
	s_add_u32 s20, s10, s20
	s_addc_u32 s21, s11, s21
	global_store_b64 v6, v[4:5], s[20:21]
	ds_store_b64 v6, v[2:3] offset:3072
.LBB297_107:
	s_or_b32 exec_lo, exec_lo, s12
	v_cmp_eq_u32_e32 vcc_lo, 0, v0
	s_and_b32 exec_lo, exec_lo, vcc_lo
	s_cbranch_execz .LBB297_109
; %bb.108:
	v_mov_b32_e32 v2, 0
	ds_store_b32 v2, v3 offset:12
.LBB297_109:
	s_or_b32 exec_lo, exec_lo, s9
	s_waitcnt lgkmcnt(0)
	v_cndmask_b32_e64 v3, v11, v10, s8
	v_cmp_ne_u32_e32 vcc_lo, 0, v0
	v_mov_b32_e32 v12, 0
	s_waitcnt_vscnt null, 0x0
	s_barrier
	buffer_gl0_inv
	v_cndmask_b32_e32 v3, 0, v3, vcc_lo
	ds_load_b32 v2, v12 offset:12
	s_waitcnt lgkmcnt(0)
	s_barrier
	buffer_gl0_inv
	ds_load_b64 v[29:30], v12 offset:3072
	v_add_nc_u32_e32 v2, v2, v3
	s_delay_alu instid0(VALU_DEP_1) | instskip(NEXT) | instid1(VALU_DEP_1)
	v_add_nc_u32_e32 v3, v2, v42
	v_add_nc_u32_e32 v4, v3, v43
	s_delay_alu instid0(VALU_DEP_1) | instskip(NEXT) | instid1(VALU_DEP_1)
	v_add_nc_u32_e32 v5, v4, v44
	;; [unrolled: 3-line block ×5, first 2 shown]
	v_add_nc_u32_e32 v12, v11, v50
	s_delay_alu instid0(VALU_DEP_1)
	v_add_nc_u32_e32 v13, v12, v51
	v_lshrrev_b64 v[34:35], 24, v[22:23]
	v_lshrrev_b64 v[32:33], 24, v[1:2]
	s_branch .LBB297_120
.LBB297_110:
                                        ; implicit-def: $vgpr30
                                        ; implicit-def: $vgpr2_vgpr3_vgpr4_vgpr5_vgpr6_vgpr7_vgpr8_vgpr9_vgpr10_vgpr11_vgpr12_vgpr13
                                        ; implicit-def: $vgpr29
	v_lshrrev_b64 v[34:35], 24, v[22:23]
	v_lshrrev_b64 v[32:33], 24, v[1:2]
	s_and_b32 vcc_lo, exec_lo, s8
	s_cbranch_vccz .LBB297_120
; %bb.111:
	v_mov_b32_dpp v1, v54 row_shr:1 row_mask:0xf bank_mask:0xf
	s_delay_alu instid0(VALU_DEP_1) | instskip(NEXT) | instid1(VALU_DEP_1)
	v_cndmask_b32_e64 v1, v1, 0, s7
	v_add_nc_u32_e32 v1, v1, v54
	s_delay_alu instid0(VALU_DEP_1) | instskip(NEXT) | instid1(VALU_DEP_1)
	v_mov_b32_dpp v2, v1 row_shr:2 row_mask:0xf bank_mask:0xf
	v_cndmask_b32_e64 v2, 0, v2, s6
	s_delay_alu instid0(VALU_DEP_1) | instskip(NEXT) | instid1(VALU_DEP_1)
	v_add_nc_u32_e32 v1, v1, v2
	v_mov_b32_dpp v2, v1 row_shr:4 row_mask:0xf bank_mask:0xf
	s_delay_alu instid0(VALU_DEP_1) | instskip(NEXT) | instid1(VALU_DEP_1)
	v_cndmask_b32_e64 v2, 0, v2, s5
	v_add_nc_u32_e32 v1, v1, v2
	s_delay_alu instid0(VALU_DEP_1) | instskip(NEXT) | instid1(VALU_DEP_1)
	v_mov_b32_dpp v2, v1 row_shr:8 row_mask:0xf bank_mask:0xf
	v_cndmask_b32_e64 v2, 0, v2, s4
	s_delay_alu instid0(VALU_DEP_1) | instskip(SKIP_3) | instid1(VALU_DEP_1)
	v_add_nc_u32_e32 v1, v1, v2
	ds_swizzle_b32 v2, v1 offset:swizzle(BROADCAST,32,15)
	s_waitcnt lgkmcnt(0)
	v_cndmask_b32_e64 v2, v2, 0, s3
	v_add_nc_u32_e32 v1, v1, v2
	s_and_saveexec_b32 s3, s2
	s_cbranch_execz .LBB297_113
; %bb.112:
	v_lshlrev_b32_e32 v2, 2, v53
	ds_store_b32 v2, v1
.LBB297_113:
	s_or_b32 exec_lo, exec_lo, s3
	s_delay_alu instid0(SALU_CYCLE_1)
	s_mov_b32 s2, exec_lo
	s_waitcnt lgkmcnt(0)
	s_barrier
	buffer_gl0_inv
	v_cmpx_gt_u32_e32 4, v0
	s_cbranch_execz .LBB297_115
; %bb.114:
	v_and_b32_e32 v4, 3, v52
	s_delay_alu instid0(VALU_DEP_1) | instskip(SKIP_4) | instid1(VALU_DEP_1)
	v_cmp_ne_u32_e32 vcc_lo, 0, v4
	v_lshlrev_b32_e32 v2, 2, v0
	ds_load_b32 v3, v2
	s_waitcnt lgkmcnt(0)
	v_mov_b32_dpp v5, v3 row_shr:1 row_mask:0xf bank_mask:0xf
	v_cndmask_b32_e32 v5, 0, v5, vcc_lo
	v_cmp_lt_u32_e32 vcc_lo, 1, v4
	s_delay_alu instid0(VALU_DEP_2) | instskip(NEXT) | instid1(VALU_DEP_1)
	v_add_nc_u32_e32 v3, v5, v3
	v_mov_b32_dpp v5, v3 row_shr:2 row_mask:0xf bank_mask:0xf
	s_delay_alu instid0(VALU_DEP_1) | instskip(NEXT) | instid1(VALU_DEP_1)
	v_cndmask_b32_e32 v4, 0, v5, vcc_lo
	v_add_nc_u32_e32 v3, v3, v4
	ds_store_b32 v2, v3
.LBB297_115:
	s_or_b32 exec_lo, exec_lo, s2
	v_dual_mov_b32 v3, 0 :: v_dual_mov_b32 v2, 0
	s_mov_b32 s2, exec_lo
	s_waitcnt lgkmcnt(0)
	s_barrier
	buffer_gl0_inv
	v_cmpx_lt_u32_e32 31, v0
	s_cbranch_execz .LBB297_117
; %bb.116:
	v_lshl_add_u32 v2, v53, 2, -4
	ds_load_b32 v2, v2
.LBB297_117:
	s_or_b32 exec_lo, exec_lo, s2
	v_add_nc_u32_e32 v4, -1, v52
	ds_load_b32 v29, v3 offset:12
	s_waitcnt lgkmcnt(1)
	v_add_nc_u32_e32 v1, v2, v1
	v_cmp_gt_i32_e32 vcc_lo, 0, v4
	v_cndmask_b32_e32 v4, v4, v52, vcc_lo
	v_cmp_eq_u32_e32 vcc_lo, 0, v0
	s_delay_alu instid0(VALU_DEP_2)
	v_lshlrev_b32_e32 v4, 2, v4
	ds_bpermute_b32 v1, v4, v1
	s_and_saveexec_b32 s2, vcc_lo
	s_cbranch_execz .LBB297_119
; %bb.118:
	v_dual_mov_b32 v3, 0 :: v_dual_mov_b32 v30, 2
	s_waitcnt lgkmcnt(1)
	global_store_b64 v3, v[29:30], s[10:11] offset:256
.LBB297_119:
	s_or_b32 exec_lo, exec_lo, s2
	v_cmp_eq_u32_e64 s2, 0, v52
	s_waitcnt lgkmcnt(0)
	s_waitcnt_vscnt null, 0x0
	s_barrier
	buffer_gl0_inv
	v_mov_b32_e32 v30, 0
	v_cndmask_b32_e64 v1, v1, v2, s2
	s_delay_alu instid0(VALU_DEP_1) | instskip(NEXT) | instid1(VALU_DEP_1)
	v_cndmask_b32_e64 v2, v1, 0, vcc_lo
	v_add_nc_u32_e32 v3, v2, v42
	s_delay_alu instid0(VALU_DEP_1) | instskip(NEXT) | instid1(VALU_DEP_1)
	v_add_nc_u32_e32 v4, v3, v43
	v_add_nc_u32_e32 v5, v4, v44
	s_delay_alu instid0(VALU_DEP_1) | instskip(NEXT) | instid1(VALU_DEP_1)
	v_add_nc_u32_e32 v6, v5, v45
	;; [unrolled: 3-line block ×5, first 2 shown]
	v_add_nc_u32_e32 v13, v12, v51
.LBB297_120:
	s_load_b128 s[4:7], s[0:1], 0x28
	s_waitcnt lgkmcnt(0)
	v_add_nc_u32_e32 v46, v30, v29
	v_cmp_gt_u32_e64 s0, 0x81, v29
	v_lshrrev_b32_e32 v33, 16, v36
	v_lshrrev_b32_e32 v44, 16, v22
	;; [unrolled: 1-line block ×6, first 2 shown]
	v_cmp_lt_u32_e64 s1, v2, v46
	s_and_b32 vcc_lo, exec_lo, s0
	s_mov_b32 s2, -1
	s_cbranch_vccz .LBB297_158
; %bb.121:
	s_lshl_b64 s[2:3], s[18:19], 1
	s_delay_alu instid0(SALU_CYCLE_1) | instskip(SKIP_2) | instid1(SALU_CYCLE_1)
	s_add_u32 s2, s4, s2
	s_addc_u32 s3, s5, s3
	s_or_b32 s8, s14, s1
	s_and_saveexec_b32 s1, s8
	s_cbranch_execz .LBB297_124
; %bb.122:
	v_and_b32_e32 v1, 1, v22
	s_delay_alu instid0(VALU_DEP_1)
	v_cmp_eq_u32_e32 vcc_lo, 1, v1
	s_and_b32 exec_lo, exec_lo, vcc_lo
	s_cbranch_execz .LBB297_124
; %bb.123:
	v_dual_mov_b32 v48, 0 :: v_dual_mov_b32 v47, v2
	s_delay_alu instid0(VALU_DEP_1) | instskip(NEXT) | instid1(VALU_DEP_1)
	v_lshlrev_b64 v[47:48], 1, v[47:48]
	v_add_co_u32 v47, vcc_lo, s2, v47
	s_delay_alu instid0(VALU_DEP_2)
	v_add_co_ci_u32_e32 v48, vcc_lo, s3, v48, vcc_lo
	global_store_b16 v[47:48], v18, off
.LBB297_124:
	s_or_b32 exec_lo, exec_lo, s1
	v_cmp_lt_u32_e32 vcc_lo, v3, v46
	s_or_b32 s8, s14, vcc_lo
	s_delay_alu instid0(SALU_CYCLE_1)
	s_and_saveexec_b32 s1, s8
	s_cbranch_execz .LBB297_127
; %bb.125:
	v_and_b32_e32 v1, 1, v45
	s_delay_alu instid0(VALU_DEP_1)
	v_cmp_eq_u32_e32 vcc_lo, 1, v1
	s_and_b32 exec_lo, exec_lo, vcc_lo
	s_cbranch_execz .LBB297_127
; %bb.126:
	v_dual_mov_b32 v48, 0 :: v_dual_mov_b32 v47, v3
	s_delay_alu instid0(VALU_DEP_1) | instskip(NEXT) | instid1(VALU_DEP_1)
	v_lshlrev_b64 v[47:48], 1, v[47:48]
	v_add_co_u32 v47, vcc_lo, s2, v47
	s_delay_alu instid0(VALU_DEP_2)
	v_add_co_ci_u32_e32 v48, vcc_lo, s3, v48, vcc_lo
	global_store_b16 v[47:48], v41, off
.LBB297_127:
	s_or_b32 exec_lo, exec_lo, s1
	v_cmp_lt_u32_e32 vcc_lo, v4, v46
	s_or_b32 s8, s14, vcc_lo
	s_delay_alu instid0(SALU_CYCLE_1)
	;; [unrolled: 21-line block ×11, first 2 shown]
	s_and_saveexec_b32 s1, s8
	s_cbranch_execz .LBB297_157
; %bb.155:
	v_and_b32_e32 v1, 1, v32
	s_delay_alu instid0(VALU_DEP_1)
	v_cmp_eq_u32_e32 vcc_lo, 1, v1
	s_and_b32 exec_lo, exec_lo, vcc_lo
	s_cbranch_execz .LBB297_157
; %bb.156:
	v_dual_mov_b32 v48, 0 :: v_dual_mov_b32 v47, v13
	s_delay_alu instid0(VALU_DEP_1) | instskip(NEXT) | instid1(VALU_DEP_1)
	v_lshlrev_b64 v[47:48], 1, v[47:48]
	v_add_co_u32 v47, vcc_lo, s2, v47
	s_delay_alu instid0(VALU_DEP_2)
	v_add_co_ci_u32_e32 v48, vcc_lo, s3, v48, vcc_lo
	global_store_b16 v[47:48], v31, off
.LBB297_157:
	s_or_b32 exec_lo, exec_lo, s1
	s_mov_b32 s2, 0
.LBB297_158:
	v_and_b32_e32 v22, 1, v22
	s_and_b32 vcc_lo, exec_lo, s2
	s_delay_alu instid0(VALU_DEP_1)
	v_cmp_eq_u32_e64 s1, 1, v22
	s_cbranch_vccz .LBB297_199
; %bb.159:
	s_delay_alu instid0(VALU_DEP_1)
	s_and_saveexec_b32 s2, s1
	s_cbranch_execz .LBB297_161
; %bb.160:
	v_sub_nc_u32_e32 v1, v2, v30
	s_delay_alu instid0(VALU_DEP_1)
	v_lshlrev_b32_e32 v1, 1, v1
	ds_store_b16 v1, v18
.LBB297_161:
	s_or_b32 exec_lo, exec_lo, s2
	v_and_b32_e32 v1, 1, v45
	s_mov_b32 s1, exec_lo
	s_delay_alu instid0(VALU_DEP_1)
	v_cmpx_eq_u32_e32 1, v1
	s_cbranch_execz .LBB297_163
; %bb.162:
	v_sub_nc_u32_e32 v1, v3, v30
	s_delay_alu instid0(VALU_DEP_1)
	v_lshlrev_b32_e32 v1, 1, v1
	ds_store_b16 v1, v41
.LBB297_163:
	s_or_b32 exec_lo, exec_lo, s1
	v_and_b32_e32 v1, 1, v44
	s_mov_b32 s1, exec_lo
	s_delay_alu instid0(VALU_DEP_1)
	v_cmpx_eq_u32_e32 1, v1
	;; [unrolled: 12-line block ×11, first 2 shown]
	s_cbranch_execz .LBB297_183
; %bb.182:
	v_sub_nc_u32_e32 v1, v13, v30
	s_delay_alu instid0(VALU_DEP_1)
	v_lshlrev_b32_e32 v1, 1, v1
	ds_store_b16 v1, v31
.LBB297_183:
	s_or_b32 exec_lo, exec_lo, s1
	s_delay_alu instid0(SALU_CYCLE_1)
	s_mov_b32 s3, exec_lo
	s_waitcnt lgkmcnt(0)
	s_waitcnt_vscnt null, 0x0
	s_barrier
	buffer_gl0_inv
	v_cmpx_lt_u32_e64 v0, v29
	s_cbranch_execz .LBB297_198
; %bb.184:
	v_mov_b32_e32 v31, 0
	s_lshl_b64 s[8:9], s[18:19], 1
	v_xad_u32 v1, v0, -1, v29
	s_add_u32 s2, s4, s8
	s_addc_u32 s4, s5, s9
	v_lshlrev_b64 v[18:19], 1, v[30:31]
	s_delay_alu instid0(VALU_DEP_2) | instskip(NEXT) | instid1(VALU_DEP_2)
	v_cmp_gt_u32_e32 vcc_lo, 0xc80, v1
	v_add_co_u32 v27, s2, s2, v18
	v_mov_b32_e32 v18, v0
	s_delay_alu instid0(VALU_DEP_4)
	v_add_co_ci_u32_e64 v28, s2, s4, v19, s2
	s_mov_b32 s2, -1
	s_mov_b32 s4, exec_lo
	v_cmpx_lt_u32_e32 0xc7f, v1
	s_cbranch_execz .LBB297_195
; %bb.185:
	v_sub_nc_u32_e32 v18, v0, v29
	s_delay_alu instid0(VALU_DEP_1) | instskip(NEXT) | instid1(VALU_DEP_1)
	v_or_b32_e32 v18, 0x7f, v18
	v_cmp_ge_u32_e64 s1, v18, v0
	v_mov_b32_e32 v18, v0
	s_delay_alu instid0(VALU_DEP_2)
	s_and_saveexec_b32 s5, s1
	s_cbranch_execz .LBB297_194
; %bb.186:
	v_lshrrev_b32_e32 v31, 7, v1
	v_or_b32_e32 v1, 0x80, v0
	s_delay_alu instid0(VALU_DEP_2) | instskip(NEXT) | instid1(VALU_DEP_1)
	v_add_nc_u32_e32 v18, -1, v31
	v_lshrrev_b32_e32 v19, 1, v18
	v_mov_b32_e32 v40, 0
	v_cmp_lt_u32_e64 s1, 13, v18
	s_delay_alu instid0(VALU_DEP_3) | instskip(SKIP_1) | instid1(VALU_DEP_3)
	v_add_nc_u32_e32 v37, 1, v19
	v_dual_mov_b32 v19, v1 :: v_dual_mov_b32 v18, v0
	s_and_saveexec_b32 s2, s1
	s_cbranch_execz .LBB297_190
; %bb.187:
	s_delay_alu instid0(VALU_DEP_2)
	v_dual_mov_b32 v19, v1 :: v_dual_and_b32 v38, -8, v37
	v_mov_b32_e32 v21, 0
	v_dual_mov_b32 v18, v0 :: v_dual_lshlrev_b32 v39, 1, v0
	s_mov_b32 s8, 0
	s_mov_b32 s9, 0
.LBB297_188:                            ; =>This Inner Loop Header: Depth=1
	s_delay_alu instid0(VALU_DEP_1) | instskip(SKIP_2) | instid1(VALU_DEP_3)
	v_dual_mov_b32 v20, v18 :: v_dual_add_nc_u32 v47, 0x100, v19
	v_add_nc_u32_e32 v38, -8, v38
	v_dual_mov_b32 v48, v21 :: v_dual_add_nc_u32 v49, 0x200, v19
	v_lshlrev_b64 v[61:62], 1, v[20:21]
	v_dual_mov_b32 v50, v21 :: v_dual_add_nc_u32 v51, 0x300, v19
	s_delay_alu instid0(VALU_DEP_4) | instskip(NEXT) | instid1(VALU_DEP_4)
	v_cmp_eq_u32_e64 s1, 0, v38
	v_lshlrev_b64 v[47:48], 1, v[47:48]
	v_dual_mov_b32 v52, v21 :: v_dual_add_nc_u32 v53, 0x400, v19
	s_add_i32 s9, s9, 16
	v_lshlrev_b64 v[49:50], 1, v[49:50]
	s_or_b32 s8, s1, s8
	v_add_co_u32 v61, s1, v27, v61
	v_dual_mov_b32 v54, v21 :: v_dual_add_nc_u32 v55, 0x500, v19
	v_add_co_ci_u32_e64 v62, s1, v28, v62, s1
	v_lshlrev_b64 v[51:52], 1, v[51:52]
	v_add_co_u32 v47, s1, v27, v47
	v_dual_mov_b32 v56, v21 :: v_dual_add_nc_u32 v57, 0x600, v19
	v_add_co_ci_u32_e64 v48, s1, v28, v48, s1
	v_lshlrev_b64 v[53:54], 1, v[53:54]
	;; [unrolled: 4-line block ×3, first 2 shown]
	v_add_co_u32 v51, s1, v27, v51
	v_mov_b32_e32 v60, v21
	v_mov_b32_e32 v20, v19
	v_add_co_ci_u32_e64 v52, s1, v28, v52, s1
	v_lshlrev_b64 v[57:58], 1, v[57:58]
	v_add_co_u32 v53, s1, v27, v53
	ds_load_u16 v1, v39
	ds_load_u16 v41, v39 offset:256
	ds_load_u16 v67, v39 offset:512
	;; [unrolled: 1-line block ×7, first 2 shown]
	v_add_co_ci_u32_e64 v54, s1, v28, v54, s1
	ds_load_u16 v73, v39 offset:2048
	ds_load_u16 v74, v39 offset:2304
	;; [unrolled: 1-line block ×8, first 2 shown]
	v_add_nc_u32_e32 v39, 0x1000, v39
	v_lshlrev_b64 v[59:60], 1, v[59:60]
	v_add_co_u32 v55, s1, v27, v55
	v_lshlrev_b64 v[63:64], 1, v[20:21]
	v_add_nc_u32_e32 v20, 0x100, v18
	v_add_co_ci_u32_e64 v56, s1, v28, v56, s1
	v_add_co_u32 v57, s1, v27, v57
	s_delay_alu instid0(VALU_DEP_1)
	v_add_co_ci_u32_e64 v58, s1, v28, v58, s1
	v_add_co_u32 v59, s1, v27, v59
	v_lshlrev_b64 v[65:66], 1, v[20:21]
	v_add_nc_u32_e32 v20, 0x200, v18
	v_add_co_ci_u32_e64 v60, s1, v28, v60, s1
	v_add_co_u32 v63, s1, v27, v63
	s_delay_alu instid0(VALU_DEP_1)
	v_add_co_ci_u32_e64 v64, s1, v28, v64, s1
	s_waitcnt lgkmcnt(15)
	global_store_b16 v[61:62], v1, off
	v_lshlrev_b64 v[61:62], 1, v[20:21]
	v_add_nc_u32_e32 v20, 0x300, v18
	v_add_co_u32 v65, s1, v27, v65
	s_delay_alu instid0(VALU_DEP_1)
	v_add_co_ci_u32_e64 v66, s1, v28, v66, s1
	s_waitcnt lgkmcnt(14)
	global_store_b16 v[63:64], v41, off
	v_lshlrev_b64 v[63:64], 1, v[20:21]
	v_add_nc_u32_e32 v20, 0x400, v18
	s_waitcnt lgkmcnt(13)
	global_store_b16 v[65:66], v67, off
	s_waitcnt lgkmcnt(12)
	global_store_b16 v[47:48], v68, off
	v_add_co_u32 v47, s1, v27, v61
	s_delay_alu instid0(VALU_DEP_1) | instskip(SKIP_3) | instid1(VALU_DEP_1)
	v_add_co_ci_u32_e64 v48, s1, v28, v62, s1
	v_lshlrev_b64 v[61:62], 1, v[20:21]
	v_add_nc_u32_e32 v20, 0x500, v18
	v_add_co_u32 v63, s1, v27, v63
	v_add_co_ci_u32_e64 v64, s1, v28, v64, s1
	s_waitcnt lgkmcnt(11)
	global_store_b16 v[47:48], v69, off
	s_waitcnt lgkmcnt(10)
	global_store_b16 v[49:50], v70, off
	v_lshlrev_b64 v[47:48], 1, v[20:21]
	v_add_nc_u32_e32 v20, 0x600, v18
	v_add_co_u32 v49, s1, v27, v61
	s_waitcnt lgkmcnt(9)
	global_store_b16 v[63:64], v71, off
	s_waitcnt lgkmcnt(8)
	global_store_b16 v[51:52], v72, off
	v_add_co_ci_u32_e64 v50, s1, v28, v62, s1
	v_lshlrev_b64 v[51:52], 1, v[20:21]
	v_add_nc_u32_e32 v20, 0x700, v18
	v_add_co_u32 v47, s1, v27, v47
	s_delay_alu instid0(VALU_DEP_1)
	v_add_co_ci_u32_e64 v48, s1, v28, v48, s1
	s_waitcnt lgkmcnt(7)
	global_store_b16 v[49:50], v73, off
	s_waitcnt lgkmcnt(6)
	global_store_b16 v[53:54], v74, off
	v_lshlrev_b64 v[49:50], 1, v[20:21]
	v_dual_mov_b32 v40, s9 :: v_dual_add_nc_u32 v19, 0x800, v19
	s_waitcnt lgkmcnt(5)
	global_store_b16 v[47:48], v75, off
	v_add_co_u32 v47, s1, v27, v51
	v_add_nc_u32_e32 v18, 0x800, v18
	v_add_co_ci_u32_e64 v48, s1, v28, v52, s1
	v_add_co_u32 v49, s1, v27, v49
	s_delay_alu instid0(VALU_DEP_1)
	v_add_co_ci_u32_e64 v50, s1, v28, v50, s1
	s_waitcnt lgkmcnt(4)
	global_store_b16 v[55:56], v76, off
	s_waitcnt lgkmcnt(3)
	global_store_b16 v[47:48], v77, off
	;; [unrolled: 2-line block ×5, first 2 shown]
	s_and_not1_b32 exec_lo, exec_lo, s8
	s_cbranch_execnz .LBB297_188
; %bb.189:
	s_or_b32 exec_lo, exec_lo, s8
.LBB297_190:
	s_delay_alu instid0(SALU_CYCLE_1) | instskip(SKIP_3) | instid1(VALU_DEP_1)
	s_or_b32 exec_lo, exec_lo, s2
	v_and_b32_e32 v1, 7, v37
	s_mov_b32 s9, 0
	s_mov_b32 s8, exec_lo
	v_cmpx_ne_u32_e32 0, v1
	s_cbranch_execz .LBB297_193
; %bb.191:
	v_dual_mov_b32 v21, 0 :: v_dual_lshlrev_b32 v20, 1, v0
	s_delay_alu instid0(VALU_DEP_1)
	v_lshl_or_b32 v37, v40, 8, v20
	s_set_inst_prefetch_distance 0x1
	.p2align	6
.LBB297_192:                            ; =>This Inner Loop Header: Depth=1
	v_dual_mov_b32 v20, v18 :: v_dual_add_nc_u32 v1, -1, v1
	ds_load_u16 v47, v37
	ds_load_u16 v48, v37 offset:256
	v_add_nc_u32_e32 v18, 0x100, v18
	v_add_nc_u32_e32 v37, 0x200, v37
	v_lshlrev_b64 v[38:39], 1, v[20:21]
	v_mov_b32_e32 v20, v19
	v_cmp_eq_u32_e64 s1, 0, v1
	v_add_nc_u32_e32 v19, 0x100, v19
	s_delay_alu instid0(VALU_DEP_3) | instskip(SKIP_1) | instid1(VALU_DEP_1)
	v_lshlrev_b64 v[40:41], 1, v[20:21]
	v_add_co_u32 v38, s2, v27, v38
	v_add_co_ci_u32_e64 v39, s2, v28, v39, s2
	s_or_b32 s9, s1, s9
	s_delay_alu instid0(VALU_DEP_3) | instskip(NEXT) | instid1(VALU_DEP_1)
	v_add_co_u32 v40, s2, v27, v40
	v_add_co_ci_u32_e64 v41, s2, v28, v41, s2
	s_waitcnt lgkmcnt(1)
	global_store_b16 v[38:39], v47, off
	s_waitcnt lgkmcnt(0)
	global_store_b16 v[40:41], v48, off
	s_and_not1_b32 exec_lo, exec_lo, s9
	s_cbranch_execnz .LBB297_192
.LBB297_193:
	s_set_inst_prefetch_distance 0x2
	s_or_b32 exec_lo, exec_lo, s8
	v_add_nc_u32_e32 v1, 1, v31
	s_delay_alu instid0(VALU_DEP_1) | instskip(NEXT) | instid1(VALU_DEP_1)
	v_and_b32_e32 v18, 0x3fffffe, v1
	v_cmp_ne_u32_e64 s1, v1, v18
	v_lshl_or_b32 v18, v18, 7, v0
	s_delay_alu instid0(VALU_DEP_2)
	s_or_not1_b32 s2, s1, exec_lo
.LBB297_194:
	s_or_b32 exec_lo, exec_lo, s5
	s_delay_alu instid0(SALU_CYCLE_1) | instskip(SKIP_1) | instid1(SALU_CYCLE_1)
	s_and_not1_b32 s1, vcc_lo, exec_lo
	s_and_b32 s2, s2, exec_lo
	s_or_b32 vcc_lo, s1, s2
.LBB297_195:
	s_or_b32 exec_lo, exec_lo, s4
	s_delay_alu instid0(SALU_CYCLE_1)
	s_and_b32 exec_lo, exec_lo, vcc_lo
	s_cbranch_execz .LBB297_198
; %bb.196:
	v_lshlrev_b32_e32 v1, 1, v18
	v_mov_b32_e32 v19, 0
	s_mov_b32 s2, 0
	.p2align	6
.LBB297_197:                            ; =>This Inner Loop Header: Depth=1
	ds_load_u16 v31, v1
	v_lshlrev_b64 v[20:21], 1, v[18:19]
	v_add_nc_u32_e32 v18, 0x80, v18
	v_add_nc_u32_e32 v1, 0x100, v1
	s_delay_alu instid0(VALU_DEP_2) | instskip(NEXT) | instid1(VALU_DEP_4)
	v_cmp_ge_u32_e32 vcc_lo, v18, v29
	v_add_co_u32 v20, s1, v27, v20
	s_delay_alu instid0(VALU_DEP_1)
	v_add_co_ci_u32_e64 v21, s1, v28, v21, s1
	s_or_b32 s2, vcc_lo, s2
	s_waitcnt lgkmcnt(0)
	global_store_b16 v[20:21], v31, off
	s_and_not1_b32 exec_lo, exec_lo, s2
	s_cbranch_execnz .LBB297_197
.LBB297_198:
	s_or_b32 exec_lo, exec_lo, s3
.LBB297_199:
	v_lshrrev_b32_e32 v27, 16, v14
	v_lshrrev_b32_e32 v21, 16, v15
	;; [unrolled: 1-line block ×6, first 2 shown]
	s_and_b32 vcc_lo, exec_lo, s0
	s_mov_b32 s0, -1
	s_waitcnt_vscnt null, 0x0
	s_barrier
	buffer_gl0_inv
	s_cbranch_vccnz .LBB297_203
; %bb.200:
	s_and_b32 vcc_lo, exec_lo, s0
	s_cbranch_vccnz .LBB297_240
.LBB297_201:
	v_cmp_eq_u32_e32 vcc_lo, 0, v0
	s_and_b32 s0, vcc_lo, s13
	s_delay_alu instid0(SALU_CYCLE_1)
	s_and_saveexec_b32 s1, s0
	s_cbranch_execnz .LBB297_280
.LBB297_202:
	s_nop 0
	s_sendmsg sendmsg(MSG_DEALLOC_VGPRS)
	s_endpgm
.LBB297_203:
	v_cmp_lt_u32_e32 vcc_lo, v2, v46
	s_lshl_b64 s[0:1], s[18:19], 1
	s_delay_alu instid0(SALU_CYCLE_1) | instskip(SKIP_2) | instid1(SALU_CYCLE_1)
	s_add_u32 s0, s6, s0
	s_addc_u32 s1, s7, s1
	s_or_b32 s3, s14, vcc_lo
	s_and_saveexec_b32 s2, s3
	s_cbranch_execz .LBB297_206
; %bb.204:
	v_cmp_eq_u32_e32 vcc_lo, 1, v22
	s_and_b32 exec_lo, exec_lo, vcc_lo
	s_cbranch_execz .LBB297_206
; %bb.205:
	v_dual_mov_b32 v38, 0 :: v_dual_mov_b32 v37, v2
	s_delay_alu instid0(VALU_DEP_1) | instskip(NEXT) | instid1(VALU_DEP_1)
	v_lshlrev_b64 v[37:38], 1, v[37:38]
	v_add_co_u32 v37, vcc_lo, s0, v37
	s_delay_alu instid0(VALU_DEP_2)
	v_add_co_ci_u32_e32 v38, vcc_lo, s1, v38, vcc_lo
	global_store_b16 v[37:38], v14, off
.LBB297_206:
	s_or_b32 exec_lo, exec_lo, s2
	v_cmp_lt_u32_e32 vcc_lo, v3, v46
	s_or_b32 s3, s14, vcc_lo
	s_delay_alu instid0(SALU_CYCLE_1)
	s_and_saveexec_b32 s2, s3
	s_cbranch_execz .LBB297_209
; %bb.207:
	v_and_b32_e32 v28, 1, v45
	s_delay_alu instid0(VALU_DEP_1)
	v_cmp_eq_u32_e32 vcc_lo, 1, v28
	s_and_b32 exec_lo, exec_lo, vcc_lo
	s_cbranch_execz .LBB297_209
; %bb.208:
	v_dual_mov_b32 v38, 0 :: v_dual_mov_b32 v37, v3
	s_delay_alu instid0(VALU_DEP_1) | instskip(NEXT) | instid1(VALU_DEP_1)
	v_lshlrev_b64 v[37:38], 1, v[37:38]
	v_add_co_u32 v37, vcc_lo, s0, v37
	s_delay_alu instid0(VALU_DEP_2)
	v_add_co_ci_u32_e32 v38, vcc_lo, s1, v38, vcc_lo
	global_store_b16 v[37:38], v27, off
.LBB297_209:
	s_or_b32 exec_lo, exec_lo, s2
	v_cmp_lt_u32_e32 vcc_lo, v4, v46
	s_or_b32 s3, s14, vcc_lo
	s_delay_alu instid0(SALU_CYCLE_1)
	s_and_saveexec_b32 s2, s3
	s_cbranch_execz .LBB297_212
; %bb.210:
	v_and_b32_e32 v28, 1, v44
	s_delay_alu instid0(VALU_DEP_1)
	v_cmp_eq_u32_e32 vcc_lo, 1, v28
	s_and_b32 exec_lo, exec_lo, vcc_lo
	s_cbranch_execz .LBB297_212
; %bb.211:
	v_dual_mov_b32 v38, 0 :: v_dual_mov_b32 v37, v4
	s_delay_alu instid0(VALU_DEP_1) | instskip(NEXT) | instid1(VALU_DEP_1)
	v_lshlrev_b64 v[37:38], 1, v[37:38]
	v_add_co_u32 v37, vcc_lo, s0, v37
	s_delay_alu instid0(VALU_DEP_2)
	v_add_co_ci_u32_e32 v38, vcc_lo, s1, v38, vcc_lo
	global_store_b16 v[37:38], v15, off
.LBB297_212:
	;; [unrolled: 21-line block ×11, first 2 shown]
	s_or_b32 exec_lo, exec_lo, s2
	s_branch .LBB297_201
.LBB297_240:
	s_mov_b32 s0, exec_lo
	v_cmpx_eq_u32_e32 1, v22
	s_cbranch_execz .LBB297_242
; %bb.241:
	v_sub_nc_u32_e32 v2, v2, v30
	s_delay_alu instid0(VALU_DEP_1)
	v_lshlrev_b32_e32 v2, 1, v2
	ds_store_b16 v2, v14
.LBB297_242:
	s_or_b32 exec_lo, exec_lo, s0
	v_and_b32_e32 v2, 1, v45
	s_mov_b32 s0, exec_lo
	s_delay_alu instid0(VALU_DEP_1)
	v_cmpx_eq_u32_e32 1, v2
	s_cbranch_execz .LBB297_244
; %bb.243:
	v_sub_nc_u32_e32 v2, v3, v30
	s_delay_alu instid0(VALU_DEP_1)
	v_lshlrev_b32_e32 v2, 1, v2
	ds_store_b16 v2, v27
.LBB297_244:
	s_or_b32 exec_lo, exec_lo, s0
	v_and_b32_e32 v2, 1, v44
	s_mov_b32 s0, exec_lo
	s_delay_alu instid0(VALU_DEP_1)
	;; [unrolled: 12-line block ×11, first 2 shown]
	v_cmpx_eq_u32_e32 1, v2
	s_cbranch_execz .LBB297_264
; %bb.263:
	v_sub_nc_u32_e32 v2, v13, v30
	s_delay_alu instid0(VALU_DEP_1)
	v_lshlrev_b32_e32 v2, 1, v2
	ds_store_b16 v2, v1
.LBB297_264:
	s_or_b32 exec_lo, exec_lo, s0
	s_delay_alu instid0(SALU_CYCLE_1)
	s_mov_b32 s2, exec_lo
	s_waitcnt lgkmcnt(0)
	s_waitcnt_vscnt null, 0x0
	s_barrier
	buffer_gl0_inv
	v_cmpx_lt_u32_e64 v0, v29
	s_cbranch_execz .LBB297_279
; %bb.265:
	v_mov_b32_e32 v31, 0
	s_lshl_b64 s[0:1], s[18:19], 1
	v_xad_u32 v2, v0, -1, v29
	s_add_u32 s3, s6, s0
	s_addc_u32 s4, s7, s1
	v_lshlrev_b64 v[3:4], 1, v[30:31]
	v_mov_b32_e32 v1, v0
	v_cmp_gt_u32_e32 vcc_lo, 0xc80, v2
	s_delay_alu instid0(VALU_DEP_3) | instskip(NEXT) | instid1(VALU_DEP_1)
	v_add_co_u32 v6, s1, s3, v3
	v_add_co_ci_u32_e64 v7, s1, s4, v4, s1
	s_mov_b32 s1, -1
	s_mov_b32 s3, exec_lo
	v_cmpx_lt_u32_e32 0xc7f, v2
	s_cbranch_execz .LBB297_276
; %bb.266:
	v_sub_nc_u32_e32 v1, v0, v29
	s_delay_alu instid0(VALU_DEP_1) | instskip(NEXT) | instid1(VALU_DEP_1)
	v_or_b32_e32 v1, 0x7f, v1
	v_cmp_ge_u32_e64 s0, v1, v0
	v_mov_b32_e32 v1, v0
	s_delay_alu instid0(VALU_DEP_2)
	s_and_saveexec_b32 s4, s0
	s_cbranch_execz .LBB297_275
; %bb.267:
	v_lshrrev_b32_e32 v8, 7, v2
	v_or_b32_e32 v1, 0x80, v0
	v_lshlrev_b32_e32 v9, 1, v0
	s_delay_alu instid0(VALU_DEP_3) | instskip(NEXT) | instid1(VALU_DEP_1)
	v_dual_mov_b32 v13, 0 :: v_dual_add_nc_u32 v2, -1, v8
	v_lshrrev_b32_e32 v3, 1, v2
	v_cmp_lt_u32_e64 s0, 13, v2
	s_delay_alu instid0(VALU_DEP_2) | instskip(SKIP_1) | instid1(VALU_DEP_3)
	v_dual_mov_b32 v3, v1 :: v_dual_add_nc_u32 v10, 1, v3
	v_mov_b32_e32 v2, v0
	s_and_saveexec_b32 s1, s0
	s_cbranch_execz .LBB297_271
; %bb.268:
	v_mov_b32_e32 v3, v1
	v_dual_mov_b32 v12, v9 :: v_dual_and_b32 v11, -8, v10
	v_dual_mov_b32 v5, 0 :: v_dual_mov_b32 v2, v0
	s_mov_b32 s5, 0
	s_mov_b32 s6, 0
.LBB297_269:                            ; =>This Inner Loop Header: Depth=1
	s_delay_alu instid0(VALU_DEP_1) | instskip(SKIP_2) | instid1(VALU_DEP_3)
	v_dual_mov_b32 v4, v2 :: v_dual_mov_b32 v15, v5
	v_add_nc_u32_e32 v11, -8, v11
	v_dual_mov_b32 v17, v5 :: v_dual_add_nc_u32 v14, 0x100, v3
	v_lshlrev_b64 v[31:32], 1, v[4:5]
	v_dual_mov_b32 v19, v5 :: v_dual_add_nc_u32 v16, 0x200, v3
	v_mov_b32_e32 v4, v3
	v_cmp_eq_u32_e64 s0, 0, v11
	v_lshlrev_b64 v[14:15], 1, v[14:15]
	v_dual_mov_b32 v21, v5 :: v_dual_add_nc_u32 v18, 0x300, v3
	s_add_i32 s6, s6, 16
	v_lshlrev_b64 v[16:17], 1, v[16:17]
	s_or_b32 s5, s0, s5
	v_add_co_u32 v31, s0, v6, v31
	v_dual_mov_b32 v23, v5 :: v_dual_add_nc_u32 v20, 0x400, v3
	v_add_co_ci_u32_e64 v32, s0, v7, v32, s0
	v_lshlrev_b64 v[18:19], 1, v[18:19]
	v_add_co_u32 v14, s0, v6, v14
	v_dual_mov_b32 v25, v5 :: v_dual_add_nc_u32 v22, 0x500, v3
	v_add_co_ci_u32_e64 v15, s0, v7, v15, s0
	v_lshlrev_b64 v[20:21], 1, v[20:21]
	;; [unrolled: 4-line block ×4, first 2 shown]
	v_add_co_u32 v20, s0, v6, v20
	ds_load_u16 v1, v12
	ds_load_u16 v28, v12 offset:256
	ds_load_u16 v37, v12 offset:512
	;; [unrolled: 1-line block ×7, first 2 shown]
	v_add_co_ci_u32_e64 v21, s0, v7, v21, s0
	v_lshlrev_b64 v[26:27], 1, v[26:27]
	v_add_co_u32 v22, s0, v6, v22
	v_lshlrev_b64 v[33:34], 1, v[4:5]
	v_add_nc_u32_e32 v4, 0x100, v2
	v_add_co_ci_u32_e64 v23, s0, v7, v23, s0
	v_add_co_u32 v24, s0, v6, v24
	s_delay_alu instid0(VALU_DEP_1)
	v_add_co_ci_u32_e64 v25, s0, v7, v25, s0
	v_add_co_u32 v26, s0, v6, v26
	v_lshlrev_b64 v[35:36], 1, v[4:5]
	v_add_nc_u32_e32 v4, 0x200, v2
	v_add_co_ci_u32_e64 v27, s0, v7, v27, s0
	v_add_co_u32 v33, s0, v6, v33
	ds_load_u16 v43, v12 offset:2048
	ds_load_u16 v44, v12 offset:2304
	;; [unrolled: 1-line block ×8, first 2 shown]
	v_add_co_ci_u32_e64 v34, s0, v7, v34, s0
	s_waitcnt lgkmcnt(15)
	global_store_b16 v[31:32], v1, off
	v_lshlrev_b64 v[31:32], 1, v[4:5]
	v_add_nc_u32_e32 v4, 0x300, v2
	v_add_co_u32 v35, s0, v6, v35
	s_delay_alu instid0(VALU_DEP_1)
	v_add_co_ci_u32_e64 v36, s0, v7, v36, s0
	s_waitcnt lgkmcnt(14)
	global_store_b16 v[33:34], v28, off
	v_lshlrev_b64 v[33:34], 1, v[4:5]
	v_add_nc_u32_e32 v4, 0x400, v2
	s_waitcnt lgkmcnt(13)
	global_store_b16 v[35:36], v37, off
	s_waitcnt lgkmcnt(12)
	global_store_b16 v[14:15], v38, off
	v_add_co_u32 v14, s0, v6, v31
	s_delay_alu instid0(VALU_DEP_1) | instskip(SKIP_3) | instid1(VALU_DEP_1)
	v_add_co_ci_u32_e64 v15, s0, v7, v32, s0
	v_lshlrev_b64 v[31:32], 1, v[4:5]
	v_add_nc_u32_e32 v4, 0x500, v2
	v_add_co_u32 v33, s0, v6, v33
	v_add_co_ci_u32_e64 v34, s0, v7, v34, s0
	s_waitcnt lgkmcnt(11)
	global_store_b16 v[14:15], v39, off
	s_waitcnt lgkmcnt(10)
	global_store_b16 v[16:17], v40, off
	v_lshlrev_b64 v[14:15], 1, v[4:5]
	v_add_nc_u32_e32 v4, 0x600, v2
	v_add_co_u32 v16, s0, v6, v31
	s_waitcnt lgkmcnt(9)
	global_store_b16 v[33:34], v41, off
	s_waitcnt lgkmcnt(8)
	global_store_b16 v[18:19], v42, off
	v_add_co_ci_u32_e64 v17, s0, v7, v32, s0
	v_lshlrev_b64 v[18:19], 1, v[4:5]
	v_add_nc_u32_e32 v4, 0x700, v2
	v_add_co_u32 v14, s0, v6, v14
	s_delay_alu instid0(VALU_DEP_1)
	v_add_co_ci_u32_e64 v15, s0, v7, v15, s0
	s_waitcnt lgkmcnt(7)
	global_store_b16 v[16:17], v43, off
	s_waitcnt lgkmcnt(6)
	global_store_b16 v[20:21], v44, off
	v_lshlrev_b64 v[16:17], 1, v[4:5]
	v_add_nc_u32_e32 v12, 0x1000, v12
	s_waitcnt lgkmcnt(5)
	global_store_b16 v[14:15], v45, off
	v_add_co_u32 v14, s0, v6, v18
	v_add_nc_u32_e32 v3, 0x800, v3
	v_add_nc_u32_e32 v2, 0x800, v2
	v_add_co_ci_u32_e64 v15, s0, v7, v19, s0
	v_add_co_u32 v16, s0, v6, v16
	s_delay_alu instid0(VALU_DEP_1)
	v_add_co_ci_u32_e64 v17, s0, v7, v17, s0
	s_waitcnt lgkmcnt(4)
	global_store_b16 v[22:23], v46, off
	s_waitcnt lgkmcnt(3)
	global_store_b16 v[14:15], v47, off
	;; [unrolled: 2-line block ×5, first 2 shown]
	s_and_not1_b32 exec_lo, exec_lo, s5
	s_cbranch_execnz .LBB297_269
; %bb.270:
	s_or_b32 exec_lo, exec_lo, s5
.LBB297_271:
	s_delay_alu instid0(SALU_CYCLE_1) | instskip(SKIP_3) | instid1(VALU_DEP_1)
	s_or_b32 exec_lo, exec_lo, s1
	v_and_b32_e32 v1, 7, v10
	s_mov_b32 s6, 0
	s_mov_b32 s5, exec_lo
	v_cmpx_ne_u32_e32 0, v1
	s_cbranch_execz .LBB297_274
; %bb.272:
	v_lshl_or_b32 v9, v13, 8, v9
	v_mov_b32_e32 v5, 0
	s_set_inst_prefetch_distance 0x1
	.p2align	6
.LBB297_273:                            ; =>This Inner Loop Header: Depth=1
	v_dual_mov_b32 v4, v2 :: v_dual_add_nc_u32 v1, -1, v1
	ds_load_u16 v14, v9
	ds_load_u16 v15, v9 offset:256
	v_add_nc_u32_e32 v2, 0x100, v2
	v_add_nc_u32_e32 v9, 0x200, v9
	v_lshlrev_b64 v[10:11], 1, v[4:5]
	v_mov_b32_e32 v4, v3
	v_cmp_eq_u32_e64 s0, 0, v1
	v_add_nc_u32_e32 v3, 0x100, v3
	s_delay_alu instid0(VALU_DEP_3) | instskip(SKIP_1) | instid1(VALU_DEP_1)
	v_lshlrev_b64 v[12:13], 1, v[4:5]
	v_add_co_u32 v10, s1, v6, v10
	v_add_co_ci_u32_e64 v11, s1, v7, v11, s1
	s_or_b32 s6, s0, s6
	s_delay_alu instid0(VALU_DEP_3) | instskip(NEXT) | instid1(VALU_DEP_1)
	v_add_co_u32 v12, s1, v6, v12
	v_add_co_ci_u32_e64 v13, s1, v7, v13, s1
	s_waitcnt lgkmcnt(1)
	global_store_b16 v[10:11], v14, off
	s_waitcnt lgkmcnt(0)
	global_store_b16 v[12:13], v15, off
	s_and_not1_b32 exec_lo, exec_lo, s6
	s_cbranch_execnz .LBB297_273
.LBB297_274:
	s_set_inst_prefetch_distance 0x2
	s_or_b32 exec_lo, exec_lo, s5
	v_add_nc_u32_e32 v1, 1, v8
	s_delay_alu instid0(VALU_DEP_1) | instskip(NEXT) | instid1(VALU_DEP_1)
	v_and_b32_e32 v2, 0x3fffffe, v1
	v_cmp_ne_u32_e64 s0, v1, v2
	v_lshl_or_b32 v1, v2, 7, v0
	s_delay_alu instid0(VALU_DEP_2)
	s_or_not1_b32 s1, s0, exec_lo
.LBB297_275:
	s_or_b32 exec_lo, exec_lo, s4
	s_delay_alu instid0(SALU_CYCLE_1) | instskip(SKIP_1) | instid1(SALU_CYCLE_1)
	s_and_not1_b32 s0, vcc_lo, exec_lo
	s_and_b32 s1, s1, exec_lo
	s_or_b32 vcc_lo, s0, s1
.LBB297_276:
	s_or_b32 exec_lo, exec_lo, s3
	s_delay_alu instid0(SALU_CYCLE_1)
	s_and_b32 exec_lo, exec_lo, vcc_lo
	s_cbranch_execz .LBB297_279
; %bb.277:
	v_dual_mov_b32 v2, 0 :: v_dual_lshlrev_b32 v3, 1, v1
	s_mov_b32 s1, 0
	.p2align	6
.LBB297_278:                            ; =>This Inner Loop Header: Depth=1
	ds_load_u16 v8, v3
	v_lshlrev_b64 v[4:5], 1, v[1:2]
	v_add_nc_u32_e32 v1, 0x80, v1
	v_add_nc_u32_e32 v3, 0x100, v3
	s_delay_alu instid0(VALU_DEP_2) | instskip(NEXT) | instid1(VALU_DEP_4)
	v_cmp_ge_u32_e32 vcc_lo, v1, v29
	v_add_co_u32 v4, s0, v6, v4
	s_delay_alu instid0(VALU_DEP_1)
	v_add_co_ci_u32_e64 v5, s0, v7, v5, s0
	s_or_b32 s1, vcc_lo, s1
	s_waitcnt lgkmcnt(0)
	global_store_b16 v[4:5], v8, off
	s_and_not1_b32 exec_lo, exec_lo, s1
	s_cbranch_execnz .LBB297_278
.LBB297_279:
	s_or_b32 exec_lo, exec_lo, s2
	v_cmp_eq_u32_e32 vcc_lo, 0, v0
	s_and_b32 s0, vcc_lo, s13
	s_delay_alu instid0(SALU_CYCLE_1)
	s_and_saveexec_b32 s1, s0
	s_cbranch_execz .LBB297_202
.LBB297_280:
	v_add_co_u32 v0, s0, s18, v29
	s_delay_alu instid0(VALU_DEP_1) | instskip(SKIP_1) | instid1(VALU_DEP_3)
	v_add_co_ci_u32_e64 v1, null, s19, 0, s0
	v_mov_b32_e32 v2, 0
	v_add_co_u32 v0, vcc_lo, v0, v30
	s_delay_alu instid0(VALU_DEP_3)
	v_add_co_ci_u32_e32 v1, vcc_lo, 0, v1, vcc_lo
	global_store_b64 v2, v[0:1], s[16:17]
	s_nop 0
	s_sendmsg sendmsg(MSG_DEALLOC_VGPRS)
	s_endpgm
	.section	.rodata,"a",@progbits
	.p2align	6, 0x0
	.amdhsa_kernel _ZN7rocprim17ROCPRIM_400000_NS6detail17trampoline_kernelINS0_14default_configENS1_25partition_config_selectorILNS1_17partition_subalgoE9EttbEEZZNS1_14partition_implILS5_9ELb0ES3_jN6thrust23THRUST_200600_302600_NS6detail15normal_iteratorINS9_10device_ptrItEEEESE_PNS0_10empty_typeENS0_5tupleIJSE_SF_EEENSH_IJSE_SG_EEENS0_18inequality_wrapperINS9_8equal_toItEEEEPmJSF_EEE10hipError_tPvRmT3_T4_T5_T6_T7_T9_mT8_P12ihipStream_tbDpT10_ENKUlT_T0_E_clISt17integral_constantIbLb1EES17_IbLb0EEEEDaS13_S14_EUlS13_E_NS1_11comp_targetILNS1_3genE9ELNS1_11target_archE1100ELNS1_3gpuE3ELNS1_3repE0EEENS1_30default_config_static_selectorELNS0_4arch9wavefront6targetE0EEEvT1_
		.amdhsa_group_segment_fixed_size 3080
		.amdhsa_private_segment_fixed_size 0
		.amdhsa_kernarg_size 112
		.amdhsa_user_sgpr_count 15
		.amdhsa_user_sgpr_dispatch_ptr 0
		.amdhsa_user_sgpr_queue_ptr 0
		.amdhsa_user_sgpr_kernarg_segment_ptr 1
		.amdhsa_user_sgpr_dispatch_id 0
		.amdhsa_user_sgpr_private_segment_size 0
		.amdhsa_wavefront_size32 1
		.amdhsa_uses_dynamic_stack 0
		.amdhsa_enable_private_segment 0
		.amdhsa_system_sgpr_workgroup_id_x 1
		.amdhsa_system_sgpr_workgroup_id_y 0
		.amdhsa_system_sgpr_workgroup_id_z 0
		.amdhsa_system_sgpr_workgroup_info 0
		.amdhsa_system_vgpr_workitem_id 0
		.amdhsa_next_free_vgpr 81
		.amdhsa_next_free_sgpr 24
		.amdhsa_reserve_vcc 1
		.amdhsa_float_round_mode_32 0
		.amdhsa_float_round_mode_16_64 0
		.amdhsa_float_denorm_mode_32 3
		.amdhsa_float_denorm_mode_16_64 3
		.amdhsa_dx10_clamp 1
		.amdhsa_ieee_mode 1
		.amdhsa_fp16_overflow 0
		.amdhsa_workgroup_processor_mode 1
		.amdhsa_memory_ordered 1
		.amdhsa_forward_progress 0
		.amdhsa_shared_vgpr_count 0
		.amdhsa_exception_fp_ieee_invalid_op 0
		.amdhsa_exception_fp_denorm_src 0
		.amdhsa_exception_fp_ieee_div_zero 0
		.amdhsa_exception_fp_ieee_overflow 0
		.amdhsa_exception_fp_ieee_underflow 0
		.amdhsa_exception_fp_ieee_inexact 0
		.amdhsa_exception_int_div_zero 0
	.end_amdhsa_kernel
	.section	.text._ZN7rocprim17ROCPRIM_400000_NS6detail17trampoline_kernelINS0_14default_configENS1_25partition_config_selectorILNS1_17partition_subalgoE9EttbEEZZNS1_14partition_implILS5_9ELb0ES3_jN6thrust23THRUST_200600_302600_NS6detail15normal_iteratorINS9_10device_ptrItEEEESE_PNS0_10empty_typeENS0_5tupleIJSE_SF_EEENSH_IJSE_SG_EEENS0_18inequality_wrapperINS9_8equal_toItEEEEPmJSF_EEE10hipError_tPvRmT3_T4_T5_T6_T7_T9_mT8_P12ihipStream_tbDpT10_ENKUlT_T0_E_clISt17integral_constantIbLb1EES17_IbLb0EEEEDaS13_S14_EUlS13_E_NS1_11comp_targetILNS1_3genE9ELNS1_11target_archE1100ELNS1_3gpuE3ELNS1_3repE0EEENS1_30default_config_static_selectorELNS0_4arch9wavefront6targetE0EEEvT1_,"axG",@progbits,_ZN7rocprim17ROCPRIM_400000_NS6detail17trampoline_kernelINS0_14default_configENS1_25partition_config_selectorILNS1_17partition_subalgoE9EttbEEZZNS1_14partition_implILS5_9ELb0ES3_jN6thrust23THRUST_200600_302600_NS6detail15normal_iteratorINS9_10device_ptrItEEEESE_PNS0_10empty_typeENS0_5tupleIJSE_SF_EEENSH_IJSE_SG_EEENS0_18inequality_wrapperINS9_8equal_toItEEEEPmJSF_EEE10hipError_tPvRmT3_T4_T5_T6_T7_T9_mT8_P12ihipStream_tbDpT10_ENKUlT_T0_E_clISt17integral_constantIbLb1EES17_IbLb0EEEEDaS13_S14_EUlS13_E_NS1_11comp_targetILNS1_3genE9ELNS1_11target_archE1100ELNS1_3gpuE3ELNS1_3repE0EEENS1_30default_config_static_selectorELNS0_4arch9wavefront6targetE0EEEvT1_,comdat
.Lfunc_end297:
	.size	_ZN7rocprim17ROCPRIM_400000_NS6detail17trampoline_kernelINS0_14default_configENS1_25partition_config_selectorILNS1_17partition_subalgoE9EttbEEZZNS1_14partition_implILS5_9ELb0ES3_jN6thrust23THRUST_200600_302600_NS6detail15normal_iteratorINS9_10device_ptrItEEEESE_PNS0_10empty_typeENS0_5tupleIJSE_SF_EEENSH_IJSE_SG_EEENS0_18inequality_wrapperINS9_8equal_toItEEEEPmJSF_EEE10hipError_tPvRmT3_T4_T5_T6_T7_T9_mT8_P12ihipStream_tbDpT10_ENKUlT_T0_E_clISt17integral_constantIbLb1EES17_IbLb0EEEEDaS13_S14_EUlS13_E_NS1_11comp_targetILNS1_3genE9ELNS1_11target_archE1100ELNS1_3gpuE3ELNS1_3repE0EEENS1_30default_config_static_selectorELNS0_4arch9wavefront6targetE0EEEvT1_, .Lfunc_end297-_ZN7rocprim17ROCPRIM_400000_NS6detail17trampoline_kernelINS0_14default_configENS1_25partition_config_selectorILNS1_17partition_subalgoE9EttbEEZZNS1_14partition_implILS5_9ELb0ES3_jN6thrust23THRUST_200600_302600_NS6detail15normal_iteratorINS9_10device_ptrItEEEESE_PNS0_10empty_typeENS0_5tupleIJSE_SF_EEENSH_IJSE_SG_EEENS0_18inequality_wrapperINS9_8equal_toItEEEEPmJSF_EEE10hipError_tPvRmT3_T4_T5_T6_T7_T9_mT8_P12ihipStream_tbDpT10_ENKUlT_T0_E_clISt17integral_constantIbLb1EES17_IbLb0EEEEDaS13_S14_EUlS13_E_NS1_11comp_targetILNS1_3genE9ELNS1_11target_archE1100ELNS1_3gpuE3ELNS1_3repE0EEENS1_30default_config_static_selectorELNS0_4arch9wavefront6targetE0EEEvT1_
                                        ; -- End function
	.section	.AMDGPU.csdata,"",@progbits
; Kernel info:
; codeLenInByte = 13908
; NumSgprs: 26
; NumVgprs: 81
; ScratchSize: 0
; MemoryBound: 0
; FloatMode: 240
; IeeeMode: 1
; LDSByteSize: 3080 bytes/workgroup (compile time only)
; SGPRBlocks: 3
; VGPRBlocks: 10
; NumSGPRsForWavesPerEU: 26
; NumVGPRsForWavesPerEU: 81
; Occupancy: 16
; WaveLimiterHint : 1
; COMPUTE_PGM_RSRC2:SCRATCH_EN: 0
; COMPUTE_PGM_RSRC2:USER_SGPR: 15
; COMPUTE_PGM_RSRC2:TRAP_HANDLER: 0
; COMPUTE_PGM_RSRC2:TGID_X_EN: 1
; COMPUTE_PGM_RSRC2:TGID_Y_EN: 0
; COMPUTE_PGM_RSRC2:TGID_Z_EN: 0
; COMPUTE_PGM_RSRC2:TIDIG_COMP_CNT: 0
	.section	.text._ZN7rocprim17ROCPRIM_400000_NS6detail17trampoline_kernelINS0_14default_configENS1_25partition_config_selectorILNS1_17partition_subalgoE9EttbEEZZNS1_14partition_implILS5_9ELb0ES3_jN6thrust23THRUST_200600_302600_NS6detail15normal_iteratorINS9_10device_ptrItEEEESE_PNS0_10empty_typeENS0_5tupleIJSE_SF_EEENSH_IJSE_SG_EEENS0_18inequality_wrapperINS9_8equal_toItEEEEPmJSF_EEE10hipError_tPvRmT3_T4_T5_T6_T7_T9_mT8_P12ihipStream_tbDpT10_ENKUlT_T0_E_clISt17integral_constantIbLb1EES17_IbLb0EEEEDaS13_S14_EUlS13_E_NS1_11comp_targetILNS1_3genE8ELNS1_11target_archE1030ELNS1_3gpuE2ELNS1_3repE0EEENS1_30default_config_static_selectorELNS0_4arch9wavefront6targetE0EEEvT1_,"axG",@progbits,_ZN7rocprim17ROCPRIM_400000_NS6detail17trampoline_kernelINS0_14default_configENS1_25partition_config_selectorILNS1_17partition_subalgoE9EttbEEZZNS1_14partition_implILS5_9ELb0ES3_jN6thrust23THRUST_200600_302600_NS6detail15normal_iteratorINS9_10device_ptrItEEEESE_PNS0_10empty_typeENS0_5tupleIJSE_SF_EEENSH_IJSE_SG_EEENS0_18inequality_wrapperINS9_8equal_toItEEEEPmJSF_EEE10hipError_tPvRmT3_T4_T5_T6_T7_T9_mT8_P12ihipStream_tbDpT10_ENKUlT_T0_E_clISt17integral_constantIbLb1EES17_IbLb0EEEEDaS13_S14_EUlS13_E_NS1_11comp_targetILNS1_3genE8ELNS1_11target_archE1030ELNS1_3gpuE2ELNS1_3repE0EEENS1_30default_config_static_selectorELNS0_4arch9wavefront6targetE0EEEvT1_,comdat
	.protected	_ZN7rocprim17ROCPRIM_400000_NS6detail17trampoline_kernelINS0_14default_configENS1_25partition_config_selectorILNS1_17partition_subalgoE9EttbEEZZNS1_14partition_implILS5_9ELb0ES3_jN6thrust23THRUST_200600_302600_NS6detail15normal_iteratorINS9_10device_ptrItEEEESE_PNS0_10empty_typeENS0_5tupleIJSE_SF_EEENSH_IJSE_SG_EEENS0_18inequality_wrapperINS9_8equal_toItEEEEPmJSF_EEE10hipError_tPvRmT3_T4_T5_T6_T7_T9_mT8_P12ihipStream_tbDpT10_ENKUlT_T0_E_clISt17integral_constantIbLb1EES17_IbLb0EEEEDaS13_S14_EUlS13_E_NS1_11comp_targetILNS1_3genE8ELNS1_11target_archE1030ELNS1_3gpuE2ELNS1_3repE0EEENS1_30default_config_static_selectorELNS0_4arch9wavefront6targetE0EEEvT1_ ; -- Begin function _ZN7rocprim17ROCPRIM_400000_NS6detail17trampoline_kernelINS0_14default_configENS1_25partition_config_selectorILNS1_17partition_subalgoE9EttbEEZZNS1_14partition_implILS5_9ELb0ES3_jN6thrust23THRUST_200600_302600_NS6detail15normal_iteratorINS9_10device_ptrItEEEESE_PNS0_10empty_typeENS0_5tupleIJSE_SF_EEENSH_IJSE_SG_EEENS0_18inequality_wrapperINS9_8equal_toItEEEEPmJSF_EEE10hipError_tPvRmT3_T4_T5_T6_T7_T9_mT8_P12ihipStream_tbDpT10_ENKUlT_T0_E_clISt17integral_constantIbLb1EES17_IbLb0EEEEDaS13_S14_EUlS13_E_NS1_11comp_targetILNS1_3genE8ELNS1_11target_archE1030ELNS1_3gpuE2ELNS1_3repE0EEENS1_30default_config_static_selectorELNS0_4arch9wavefront6targetE0EEEvT1_
	.globl	_ZN7rocprim17ROCPRIM_400000_NS6detail17trampoline_kernelINS0_14default_configENS1_25partition_config_selectorILNS1_17partition_subalgoE9EttbEEZZNS1_14partition_implILS5_9ELb0ES3_jN6thrust23THRUST_200600_302600_NS6detail15normal_iteratorINS9_10device_ptrItEEEESE_PNS0_10empty_typeENS0_5tupleIJSE_SF_EEENSH_IJSE_SG_EEENS0_18inequality_wrapperINS9_8equal_toItEEEEPmJSF_EEE10hipError_tPvRmT3_T4_T5_T6_T7_T9_mT8_P12ihipStream_tbDpT10_ENKUlT_T0_E_clISt17integral_constantIbLb1EES17_IbLb0EEEEDaS13_S14_EUlS13_E_NS1_11comp_targetILNS1_3genE8ELNS1_11target_archE1030ELNS1_3gpuE2ELNS1_3repE0EEENS1_30default_config_static_selectorELNS0_4arch9wavefront6targetE0EEEvT1_
	.p2align	8
	.type	_ZN7rocprim17ROCPRIM_400000_NS6detail17trampoline_kernelINS0_14default_configENS1_25partition_config_selectorILNS1_17partition_subalgoE9EttbEEZZNS1_14partition_implILS5_9ELb0ES3_jN6thrust23THRUST_200600_302600_NS6detail15normal_iteratorINS9_10device_ptrItEEEESE_PNS0_10empty_typeENS0_5tupleIJSE_SF_EEENSH_IJSE_SG_EEENS0_18inequality_wrapperINS9_8equal_toItEEEEPmJSF_EEE10hipError_tPvRmT3_T4_T5_T6_T7_T9_mT8_P12ihipStream_tbDpT10_ENKUlT_T0_E_clISt17integral_constantIbLb1EES17_IbLb0EEEEDaS13_S14_EUlS13_E_NS1_11comp_targetILNS1_3genE8ELNS1_11target_archE1030ELNS1_3gpuE2ELNS1_3repE0EEENS1_30default_config_static_selectorELNS0_4arch9wavefront6targetE0EEEvT1_,@function
_ZN7rocprim17ROCPRIM_400000_NS6detail17trampoline_kernelINS0_14default_configENS1_25partition_config_selectorILNS1_17partition_subalgoE9EttbEEZZNS1_14partition_implILS5_9ELb0ES3_jN6thrust23THRUST_200600_302600_NS6detail15normal_iteratorINS9_10device_ptrItEEEESE_PNS0_10empty_typeENS0_5tupleIJSE_SF_EEENSH_IJSE_SG_EEENS0_18inequality_wrapperINS9_8equal_toItEEEEPmJSF_EEE10hipError_tPvRmT3_T4_T5_T6_T7_T9_mT8_P12ihipStream_tbDpT10_ENKUlT_T0_E_clISt17integral_constantIbLb1EES17_IbLb0EEEEDaS13_S14_EUlS13_E_NS1_11comp_targetILNS1_3genE8ELNS1_11target_archE1030ELNS1_3gpuE2ELNS1_3repE0EEENS1_30default_config_static_selectorELNS0_4arch9wavefront6targetE0EEEvT1_: ; @_ZN7rocprim17ROCPRIM_400000_NS6detail17trampoline_kernelINS0_14default_configENS1_25partition_config_selectorILNS1_17partition_subalgoE9EttbEEZZNS1_14partition_implILS5_9ELb0ES3_jN6thrust23THRUST_200600_302600_NS6detail15normal_iteratorINS9_10device_ptrItEEEESE_PNS0_10empty_typeENS0_5tupleIJSE_SF_EEENSH_IJSE_SG_EEENS0_18inequality_wrapperINS9_8equal_toItEEEEPmJSF_EEE10hipError_tPvRmT3_T4_T5_T6_T7_T9_mT8_P12ihipStream_tbDpT10_ENKUlT_T0_E_clISt17integral_constantIbLb1EES17_IbLb0EEEEDaS13_S14_EUlS13_E_NS1_11comp_targetILNS1_3genE8ELNS1_11target_archE1030ELNS1_3gpuE2ELNS1_3repE0EEENS1_30default_config_static_selectorELNS0_4arch9wavefront6targetE0EEEvT1_
; %bb.0:
	.section	.rodata,"a",@progbits
	.p2align	6, 0x0
	.amdhsa_kernel _ZN7rocprim17ROCPRIM_400000_NS6detail17trampoline_kernelINS0_14default_configENS1_25partition_config_selectorILNS1_17partition_subalgoE9EttbEEZZNS1_14partition_implILS5_9ELb0ES3_jN6thrust23THRUST_200600_302600_NS6detail15normal_iteratorINS9_10device_ptrItEEEESE_PNS0_10empty_typeENS0_5tupleIJSE_SF_EEENSH_IJSE_SG_EEENS0_18inequality_wrapperINS9_8equal_toItEEEEPmJSF_EEE10hipError_tPvRmT3_T4_T5_T6_T7_T9_mT8_P12ihipStream_tbDpT10_ENKUlT_T0_E_clISt17integral_constantIbLb1EES17_IbLb0EEEEDaS13_S14_EUlS13_E_NS1_11comp_targetILNS1_3genE8ELNS1_11target_archE1030ELNS1_3gpuE2ELNS1_3repE0EEENS1_30default_config_static_selectorELNS0_4arch9wavefront6targetE0EEEvT1_
		.amdhsa_group_segment_fixed_size 0
		.amdhsa_private_segment_fixed_size 0
		.amdhsa_kernarg_size 112
		.amdhsa_user_sgpr_count 15
		.amdhsa_user_sgpr_dispatch_ptr 0
		.amdhsa_user_sgpr_queue_ptr 0
		.amdhsa_user_sgpr_kernarg_segment_ptr 1
		.amdhsa_user_sgpr_dispatch_id 0
		.amdhsa_user_sgpr_private_segment_size 0
		.amdhsa_wavefront_size32 1
		.amdhsa_uses_dynamic_stack 0
		.amdhsa_enable_private_segment 0
		.amdhsa_system_sgpr_workgroup_id_x 1
		.amdhsa_system_sgpr_workgroup_id_y 0
		.amdhsa_system_sgpr_workgroup_id_z 0
		.amdhsa_system_sgpr_workgroup_info 0
		.amdhsa_system_vgpr_workitem_id 0
		.amdhsa_next_free_vgpr 1
		.amdhsa_next_free_sgpr 1
		.amdhsa_reserve_vcc 0
		.amdhsa_float_round_mode_32 0
		.amdhsa_float_round_mode_16_64 0
		.amdhsa_float_denorm_mode_32 3
		.amdhsa_float_denorm_mode_16_64 3
		.amdhsa_dx10_clamp 1
		.amdhsa_ieee_mode 1
		.amdhsa_fp16_overflow 0
		.amdhsa_workgroup_processor_mode 1
		.amdhsa_memory_ordered 1
		.amdhsa_forward_progress 0
		.amdhsa_shared_vgpr_count 0
		.amdhsa_exception_fp_ieee_invalid_op 0
		.amdhsa_exception_fp_denorm_src 0
		.amdhsa_exception_fp_ieee_div_zero 0
		.amdhsa_exception_fp_ieee_overflow 0
		.amdhsa_exception_fp_ieee_underflow 0
		.amdhsa_exception_fp_ieee_inexact 0
		.amdhsa_exception_int_div_zero 0
	.end_amdhsa_kernel
	.section	.text._ZN7rocprim17ROCPRIM_400000_NS6detail17trampoline_kernelINS0_14default_configENS1_25partition_config_selectorILNS1_17partition_subalgoE9EttbEEZZNS1_14partition_implILS5_9ELb0ES3_jN6thrust23THRUST_200600_302600_NS6detail15normal_iteratorINS9_10device_ptrItEEEESE_PNS0_10empty_typeENS0_5tupleIJSE_SF_EEENSH_IJSE_SG_EEENS0_18inequality_wrapperINS9_8equal_toItEEEEPmJSF_EEE10hipError_tPvRmT3_T4_T5_T6_T7_T9_mT8_P12ihipStream_tbDpT10_ENKUlT_T0_E_clISt17integral_constantIbLb1EES17_IbLb0EEEEDaS13_S14_EUlS13_E_NS1_11comp_targetILNS1_3genE8ELNS1_11target_archE1030ELNS1_3gpuE2ELNS1_3repE0EEENS1_30default_config_static_selectorELNS0_4arch9wavefront6targetE0EEEvT1_,"axG",@progbits,_ZN7rocprim17ROCPRIM_400000_NS6detail17trampoline_kernelINS0_14default_configENS1_25partition_config_selectorILNS1_17partition_subalgoE9EttbEEZZNS1_14partition_implILS5_9ELb0ES3_jN6thrust23THRUST_200600_302600_NS6detail15normal_iteratorINS9_10device_ptrItEEEESE_PNS0_10empty_typeENS0_5tupleIJSE_SF_EEENSH_IJSE_SG_EEENS0_18inequality_wrapperINS9_8equal_toItEEEEPmJSF_EEE10hipError_tPvRmT3_T4_T5_T6_T7_T9_mT8_P12ihipStream_tbDpT10_ENKUlT_T0_E_clISt17integral_constantIbLb1EES17_IbLb0EEEEDaS13_S14_EUlS13_E_NS1_11comp_targetILNS1_3genE8ELNS1_11target_archE1030ELNS1_3gpuE2ELNS1_3repE0EEENS1_30default_config_static_selectorELNS0_4arch9wavefront6targetE0EEEvT1_,comdat
.Lfunc_end298:
	.size	_ZN7rocprim17ROCPRIM_400000_NS6detail17trampoline_kernelINS0_14default_configENS1_25partition_config_selectorILNS1_17partition_subalgoE9EttbEEZZNS1_14partition_implILS5_9ELb0ES3_jN6thrust23THRUST_200600_302600_NS6detail15normal_iteratorINS9_10device_ptrItEEEESE_PNS0_10empty_typeENS0_5tupleIJSE_SF_EEENSH_IJSE_SG_EEENS0_18inequality_wrapperINS9_8equal_toItEEEEPmJSF_EEE10hipError_tPvRmT3_T4_T5_T6_T7_T9_mT8_P12ihipStream_tbDpT10_ENKUlT_T0_E_clISt17integral_constantIbLb1EES17_IbLb0EEEEDaS13_S14_EUlS13_E_NS1_11comp_targetILNS1_3genE8ELNS1_11target_archE1030ELNS1_3gpuE2ELNS1_3repE0EEENS1_30default_config_static_selectorELNS0_4arch9wavefront6targetE0EEEvT1_, .Lfunc_end298-_ZN7rocprim17ROCPRIM_400000_NS6detail17trampoline_kernelINS0_14default_configENS1_25partition_config_selectorILNS1_17partition_subalgoE9EttbEEZZNS1_14partition_implILS5_9ELb0ES3_jN6thrust23THRUST_200600_302600_NS6detail15normal_iteratorINS9_10device_ptrItEEEESE_PNS0_10empty_typeENS0_5tupleIJSE_SF_EEENSH_IJSE_SG_EEENS0_18inequality_wrapperINS9_8equal_toItEEEEPmJSF_EEE10hipError_tPvRmT3_T4_T5_T6_T7_T9_mT8_P12ihipStream_tbDpT10_ENKUlT_T0_E_clISt17integral_constantIbLb1EES17_IbLb0EEEEDaS13_S14_EUlS13_E_NS1_11comp_targetILNS1_3genE8ELNS1_11target_archE1030ELNS1_3gpuE2ELNS1_3repE0EEENS1_30default_config_static_selectorELNS0_4arch9wavefront6targetE0EEEvT1_
                                        ; -- End function
	.section	.AMDGPU.csdata,"",@progbits
; Kernel info:
; codeLenInByte = 0
; NumSgprs: 0
; NumVgprs: 0
; ScratchSize: 0
; MemoryBound: 0
; FloatMode: 240
; IeeeMode: 1
; LDSByteSize: 0 bytes/workgroup (compile time only)
; SGPRBlocks: 0
; VGPRBlocks: 0
; NumSGPRsForWavesPerEU: 1
; NumVGPRsForWavesPerEU: 1
; Occupancy: 15
; WaveLimiterHint : 0
; COMPUTE_PGM_RSRC2:SCRATCH_EN: 0
; COMPUTE_PGM_RSRC2:USER_SGPR: 15
; COMPUTE_PGM_RSRC2:TRAP_HANDLER: 0
; COMPUTE_PGM_RSRC2:TGID_X_EN: 1
; COMPUTE_PGM_RSRC2:TGID_Y_EN: 0
; COMPUTE_PGM_RSRC2:TGID_Z_EN: 0
; COMPUTE_PGM_RSRC2:TIDIG_COMP_CNT: 0
	.section	.text._ZN7rocprim17ROCPRIM_400000_NS6detail17trampoline_kernelINS0_14default_configENS1_25partition_config_selectorILNS1_17partition_subalgoE9EttbEEZZNS1_14partition_implILS5_9ELb0ES3_jN6thrust23THRUST_200600_302600_NS6detail15normal_iteratorINS9_10device_ptrItEEEESE_PNS0_10empty_typeENS0_5tupleIJSE_SF_EEENSH_IJSE_SG_EEENS0_18inequality_wrapperINS9_8equal_toItEEEEPmJSF_EEE10hipError_tPvRmT3_T4_T5_T6_T7_T9_mT8_P12ihipStream_tbDpT10_ENKUlT_T0_E_clISt17integral_constantIbLb0EES17_IbLb1EEEEDaS13_S14_EUlS13_E_NS1_11comp_targetILNS1_3genE0ELNS1_11target_archE4294967295ELNS1_3gpuE0ELNS1_3repE0EEENS1_30default_config_static_selectorELNS0_4arch9wavefront6targetE0EEEvT1_,"axG",@progbits,_ZN7rocprim17ROCPRIM_400000_NS6detail17trampoline_kernelINS0_14default_configENS1_25partition_config_selectorILNS1_17partition_subalgoE9EttbEEZZNS1_14partition_implILS5_9ELb0ES3_jN6thrust23THRUST_200600_302600_NS6detail15normal_iteratorINS9_10device_ptrItEEEESE_PNS0_10empty_typeENS0_5tupleIJSE_SF_EEENSH_IJSE_SG_EEENS0_18inequality_wrapperINS9_8equal_toItEEEEPmJSF_EEE10hipError_tPvRmT3_T4_T5_T6_T7_T9_mT8_P12ihipStream_tbDpT10_ENKUlT_T0_E_clISt17integral_constantIbLb0EES17_IbLb1EEEEDaS13_S14_EUlS13_E_NS1_11comp_targetILNS1_3genE0ELNS1_11target_archE4294967295ELNS1_3gpuE0ELNS1_3repE0EEENS1_30default_config_static_selectorELNS0_4arch9wavefront6targetE0EEEvT1_,comdat
	.protected	_ZN7rocprim17ROCPRIM_400000_NS6detail17trampoline_kernelINS0_14default_configENS1_25partition_config_selectorILNS1_17partition_subalgoE9EttbEEZZNS1_14partition_implILS5_9ELb0ES3_jN6thrust23THRUST_200600_302600_NS6detail15normal_iteratorINS9_10device_ptrItEEEESE_PNS0_10empty_typeENS0_5tupleIJSE_SF_EEENSH_IJSE_SG_EEENS0_18inequality_wrapperINS9_8equal_toItEEEEPmJSF_EEE10hipError_tPvRmT3_T4_T5_T6_T7_T9_mT8_P12ihipStream_tbDpT10_ENKUlT_T0_E_clISt17integral_constantIbLb0EES17_IbLb1EEEEDaS13_S14_EUlS13_E_NS1_11comp_targetILNS1_3genE0ELNS1_11target_archE4294967295ELNS1_3gpuE0ELNS1_3repE0EEENS1_30default_config_static_selectorELNS0_4arch9wavefront6targetE0EEEvT1_ ; -- Begin function _ZN7rocprim17ROCPRIM_400000_NS6detail17trampoline_kernelINS0_14default_configENS1_25partition_config_selectorILNS1_17partition_subalgoE9EttbEEZZNS1_14partition_implILS5_9ELb0ES3_jN6thrust23THRUST_200600_302600_NS6detail15normal_iteratorINS9_10device_ptrItEEEESE_PNS0_10empty_typeENS0_5tupleIJSE_SF_EEENSH_IJSE_SG_EEENS0_18inequality_wrapperINS9_8equal_toItEEEEPmJSF_EEE10hipError_tPvRmT3_T4_T5_T6_T7_T9_mT8_P12ihipStream_tbDpT10_ENKUlT_T0_E_clISt17integral_constantIbLb0EES17_IbLb1EEEEDaS13_S14_EUlS13_E_NS1_11comp_targetILNS1_3genE0ELNS1_11target_archE4294967295ELNS1_3gpuE0ELNS1_3repE0EEENS1_30default_config_static_selectorELNS0_4arch9wavefront6targetE0EEEvT1_
	.globl	_ZN7rocprim17ROCPRIM_400000_NS6detail17trampoline_kernelINS0_14default_configENS1_25partition_config_selectorILNS1_17partition_subalgoE9EttbEEZZNS1_14partition_implILS5_9ELb0ES3_jN6thrust23THRUST_200600_302600_NS6detail15normal_iteratorINS9_10device_ptrItEEEESE_PNS0_10empty_typeENS0_5tupleIJSE_SF_EEENSH_IJSE_SG_EEENS0_18inequality_wrapperINS9_8equal_toItEEEEPmJSF_EEE10hipError_tPvRmT3_T4_T5_T6_T7_T9_mT8_P12ihipStream_tbDpT10_ENKUlT_T0_E_clISt17integral_constantIbLb0EES17_IbLb1EEEEDaS13_S14_EUlS13_E_NS1_11comp_targetILNS1_3genE0ELNS1_11target_archE4294967295ELNS1_3gpuE0ELNS1_3repE0EEENS1_30default_config_static_selectorELNS0_4arch9wavefront6targetE0EEEvT1_
	.p2align	8
	.type	_ZN7rocprim17ROCPRIM_400000_NS6detail17trampoline_kernelINS0_14default_configENS1_25partition_config_selectorILNS1_17partition_subalgoE9EttbEEZZNS1_14partition_implILS5_9ELb0ES3_jN6thrust23THRUST_200600_302600_NS6detail15normal_iteratorINS9_10device_ptrItEEEESE_PNS0_10empty_typeENS0_5tupleIJSE_SF_EEENSH_IJSE_SG_EEENS0_18inequality_wrapperINS9_8equal_toItEEEEPmJSF_EEE10hipError_tPvRmT3_T4_T5_T6_T7_T9_mT8_P12ihipStream_tbDpT10_ENKUlT_T0_E_clISt17integral_constantIbLb0EES17_IbLb1EEEEDaS13_S14_EUlS13_E_NS1_11comp_targetILNS1_3genE0ELNS1_11target_archE4294967295ELNS1_3gpuE0ELNS1_3repE0EEENS1_30default_config_static_selectorELNS0_4arch9wavefront6targetE0EEEvT1_,@function
_ZN7rocprim17ROCPRIM_400000_NS6detail17trampoline_kernelINS0_14default_configENS1_25partition_config_selectorILNS1_17partition_subalgoE9EttbEEZZNS1_14partition_implILS5_9ELb0ES3_jN6thrust23THRUST_200600_302600_NS6detail15normal_iteratorINS9_10device_ptrItEEEESE_PNS0_10empty_typeENS0_5tupleIJSE_SF_EEENSH_IJSE_SG_EEENS0_18inequality_wrapperINS9_8equal_toItEEEEPmJSF_EEE10hipError_tPvRmT3_T4_T5_T6_T7_T9_mT8_P12ihipStream_tbDpT10_ENKUlT_T0_E_clISt17integral_constantIbLb0EES17_IbLb1EEEEDaS13_S14_EUlS13_E_NS1_11comp_targetILNS1_3genE0ELNS1_11target_archE4294967295ELNS1_3gpuE0ELNS1_3repE0EEENS1_30default_config_static_selectorELNS0_4arch9wavefront6targetE0EEEvT1_: ; @_ZN7rocprim17ROCPRIM_400000_NS6detail17trampoline_kernelINS0_14default_configENS1_25partition_config_selectorILNS1_17partition_subalgoE9EttbEEZZNS1_14partition_implILS5_9ELb0ES3_jN6thrust23THRUST_200600_302600_NS6detail15normal_iteratorINS9_10device_ptrItEEEESE_PNS0_10empty_typeENS0_5tupleIJSE_SF_EEENSH_IJSE_SG_EEENS0_18inequality_wrapperINS9_8equal_toItEEEEPmJSF_EEE10hipError_tPvRmT3_T4_T5_T6_T7_T9_mT8_P12ihipStream_tbDpT10_ENKUlT_T0_E_clISt17integral_constantIbLb0EES17_IbLb1EEEEDaS13_S14_EUlS13_E_NS1_11comp_targetILNS1_3genE0ELNS1_11target_archE4294967295ELNS1_3gpuE0ELNS1_3repE0EEENS1_30default_config_static_selectorELNS0_4arch9wavefront6targetE0EEEvT1_
; %bb.0:
	.section	.rodata,"a",@progbits
	.p2align	6, 0x0
	.amdhsa_kernel _ZN7rocprim17ROCPRIM_400000_NS6detail17trampoline_kernelINS0_14default_configENS1_25partition_config_selectorILNS1_17partition_subalgoE9EttbEEZZNS1_14partition_implILS5_9ELb0ES3_jN6thrust23THRUST_200600_302600_NS6detail15normal_iteratorINS9_10device_ptrItEEEESE_PNS0_10empty_typeENS0_5tupleIJSE_SF_EEENSH_IJSE_SG_EEENS0_18inequality_wrapperINS9_8equal_toItEEEEPmJSF_EEE10hipError_tPvRmT3_T4_T5_T6_T7_T9_mT8_P12ihipStream_tbDpT10_ENKUlT_T0_E_clISt17integral_constantIbLb0EES17_IbLb1EEEEDaS13_S14_EUlS13_E_NS1_11comp_targetILNS1_3genE0ELNS1_11target_archE4294967295ELNS1_3gpuE0ELNS1_3repE0EEENS1_30default_config_static_selectorELNS0_4arch9wavefront6targetE0EEEvT1_
		.amdhsa_group_segment_fixed_size 0
		.amdhsa_private_segment_fixed_size 0
		.amdhsa_kernarg_size 128
		.amdhsa_user_sgpr_count 15
		.amdhsa_user_sgpr_dispatch_ptr 0
		.amdhsa_user_sgpr_queue_ptr 0
		.amdhsa_user_sgpr_kernarg_segment_ptr 1
		.amdhsa_user_sgpr_dispatch_id 0
		.amdhsa_user_sgpr_private_segment_size 0
		.amdhsa_wavefront_size32 1
		.amdhsa_uses_dynamic_stack 0
		.amdhsa_enable_private_segment 0
		.amdhsa_system_sgpr_workgroup_id_x 1
		.amdhsa_system_sgpr_workgroup_id_y 0
		.amdhsa_system_sgpr_workgroup_id_z 0
		.amdhsa_system_sgpr_workgroup_info 0
		.amdhsa_system_vgpr_workitem_id 0
		.amdhsa_next_free_vgpr 1
		.amdhsa_next_free_sgpr 1
		.amdhsa_reserve_vcc 0
		.amdhsa_float_round_mode_32 0
		.amdhsa_float_round_mode_16_64 0
		.amdhsa_float_denorm_mode_32 3
		.amdhsa_float_denorm_mode_16_64 3
		.amdhsa_dx10_clamp 1
		.amdhsa_ieee_mode 1
		.amdhsa_fp16_overflow 0
		.amdhsa_workgroup_processor_mode 1
		.amdhsa_memory_ordered 1
		.amdhsa_forward_progress 0
		.amdhsa_shared_vgpr_count 0
		.amdhsa_exception_fp_ieee_invalid_op 0
		.amdhsa_exception_fp_denorm_src 0
		.amdhsa_exception_fp_ieee_div_zero 0
		.amdhsa_exception_fp_ieee_overflow 0
		.amdhsa_exception_fp_ieee_underflow 0
		.amdhsa_exception_fp_ieee_inexact 0
		.amdhsa_exception_int_div_zero 0
	.end_amdhsa_kernel
	.section	.text._ZN7rocprim17ROCPRIM_400000_NS6detail17trampoline_kernelINS0_14default_configENS1_25partition_config_selectorILNS1_17partition_subalgoE9EttbEEZZNS1_14partition_implILS5_9ELb0ES3_jN6thrust23THRUST_200600_302600_NS6detail15normal_iteratorINS9_10device_ptrItEEEESE_PNS0_10empty_typeENS0_5tupleIJSE_SF_EEENSH_IJSE_SG_EEENS0_18inequality_wrapperINS9_8equal_toItEEEEPmJSF_EEE10hipError_tPvRmT3_T4_T5_T6_T7_T9_mT8_P12ihipStream_tbDpT10_ENKUlT_T0_E_clISt17integral_constantIbLb0EES17_IbLb1EEEEDaS13_S14_EUlS13_E_NS1_11comp_targetILNS1_3genE0ELNS1_11target_archE4294967295ELNS1_3gpuE0ELNS1_3repE0EEENS1_30default_config_static_selectorELNS0_4arch9wavefront6targetE0EEEvT1_,"axG",@progbits,_ZN7rocprim17ROCPRIM_400000_NS6detail17trampoline_kernelINS0_14default_configENS1_25partition_config_selectorILNS1_17partition_subalgoE9EttbEEZZNS1_14partition_implILS5_9ELb0ES3_jN6thrust23THRUST_200600_302600_NS6detail15normal_iteratorINS9_10device_ptrItEEEESE_PNS0_10empty_typeENS0_5tupleIJSE_SF_EEENSH_IJSE_SG_EEENS0_18inequality_wrapperINS9_8equal_toItEEEEPmJSF_EEE10hipError_tPvRmT3_T4_T5_T6_T7_T9_mT8_P12ihipStream_tbDpT10_ENKUlT_T0_E_clISt17integral_constantIbLb0EES17_IbLb1EEEEDaS13_S14_EUlS13_E_NS1_11comp_targetILNS1_3genE0ELNS1_11target_archE4294967295ELNS1_3gpuE0ELNS1_3repE0EEENS1_30default_config_static_selectorELNS0_4arch9wavefront6targetE0EEEvT1_,comdat
.Lfunc_end299:
	.size	_ZN7rocprim17ROCPRIM_400000_NS6detail17trampoline_kernelINS0_14default_configENS1_25partition_config_selectorILNS1_17partition_subalgoE9EttbEEZZNS1_14partition_implILS5_9ELb0ES3_jN6thrust23THRUST_200600_302600_NS6detail15normal_iteratorINS9_10device_ptrItEEEESE_PNS0_10empty_typeENS0_5tupleIJSE_SF_EEENSH_IJSE_SG_EEENS0_18inequality_wrapperINS9_8equal_toItEEEEPmJSF_EEE10hipError_tPvRmT3_T4_T5_T6_T7_T9_mT8_P12ihipStream_tbDpT10_ENKUlT_T0_E_clISt17integral_constantIbLb0EES17_IbLb1EEEEDaS13_S14_EUlS13_E_NS1_11comp_targetILNS1_3genE0ELNS1_11target_archE4294967295ELNS1_3gpuE0ELNS1_3repE0EEENS1_30default_config_static_selectorELNS0_4arch9wavefront6targetE0EEEvT1_, .Lfunc_end299-_ZN7rocprim17ROCPRIM_400000_NS6detail17trampoline_kernelINS0_14default_configENS1_25partition_config_selectorILNS1_17partition_subalgoE9EttbEEZZNS1_14partition_implILS5_9ELb0ES3_jN6thrust23THRUST_200600_302600_NS6detail15normal_iteratorINS9_10device_ptrItEEEESE_PNS0_10empty_typeENS0_5tupleIJSE_SF_EEENSH_IJSE_SG_EEENS0_18inequality_wrapperINS9_8equal_toItEEEEPmJSF_EEE10hipError_tPvRmT3_T4_T5_T6_T7_T9_mT8_P12ihipStream_tbDpT10_ENKUlT_T0_E_clISt17integral_constantIbLb0EES17_IbLb1EEEEDaS13_S14_EUlS13_E_NS1_11comp_targetILNS1_3genE0ELNS1_11target_archE4294967295ELNS1_3gpuE0ELNS1_3repE0EEENS1_30default_config_static_selectorELNS0_4arch9wavefront6targetE0EEEvT1_
                                        ; -- End function
	.section	.AMDGPU.csdata,"",@progbits
; Kernel info:
; codeLenInByte = 0
; NumSgprs: 0
; NumVgprs: 0
; ScratchSize: 0
; MemoryBound: 0
; FloatMode: 240
; IeeeMode: 1
; LDSByteSize: 0 bytes/workgroup (compile time only)
; SGPRBlocks: 0
; VGPRBlocks: 0
; NumSGPRsForWavesPerEU: 1
; NumVGPRsForWavesPerEU: 1
; Occupancy: 16
; WaveLimiterHint : 0
; COMPUTE_PGM_RSRC2:SCRATCH_EN: 0
; COMPUTE_PGM_RSRC2:USER_SGPR: 15
; COMPUTE_PGM_RSRC2:TRAP_HANDLER: 0
; COMPUTE_PGM_RSRC2:TGID_X_EN: 1
; COMPUTE_PGM_RSRC2:TGID_Y_EN: 0
; COMPUTE_PGM_RSRC2:TGID_Z_EN: 0
; COMPUTE_PGM_RSRC2:TIDIG_COMP_CNT: 0
	.section	.text._ZN7rocprim17ROCPRIM_400000_NS6detail17trampoline_kernelINS0_14default_configENS1_25partition_config_selectorILNS1_17partition_subalgoE9EttbEEZZNS1_14partition_implILS5_9ELb0ES3_jN6thrust23THRUST_200600_302600_NS6detail15normal_iteratorINS9_10device_ptrItEEEESE_PNS0_10empty_typeENS0_5tupleIJSE_SF_EEENSH_IJSE_SG_EEENS0_18inequality_wrapperINS9_8equal_toItEEEEPmJSF_EEE10hipError_tPvRmT3_T4_T5_T6_T7_T9_mT8_P12ihipStream_tbDpT10_ENKUlT_T0_E_clISt17integral_constantIbLb0EES17_IbLb1EEEEDaS13_S14_EUlS13_E_NS1_11comp_targetILNS1_3genE5ELNS1_11target_archE942ELNS1_3gpuE9ELNS1_3repE0EEENS1_30default_config_static_selectorELNS0_4arch9wavefront6targetE0EEEvT1_,"axG",@progbits,_ZN7rocprim17ROCPRIM_400000_NS6detail17trampoline_kernelINS0_14default_configENS1_25partition_config_selectorILNS1_17partition_subalgoE9EttbEEZZNS1_14partition_implILS5_9ELb0ES3_jN6thrust23THRUST_200600_302600_NS6detail15normal_iteratorINS9_10device_ptrItEEEESE_PNS0_10empty_typeENS0_5tupleIJSE_SF_EEENSH_IJSE_SG_EEENS0_18inequality_wrapperINS9_8equal_toItEEEEPmJSF_EEE10hipError_tPvRmT3_T4_T5_T6_T7_T9_mT8_P12ihipStream_tbDpT10_ENKUlT_T0_E_clISt17integral_constantIbLb0EES17_IbLb1EEEEDaS13_S14_EUlS13_E_NS1_11comp_targetILNS1_3genE5ELNS1_11target_archE942ELNS1_3gpuE9ELNS1_3repE0EEENS1_30default_config_static_selectorELNS0_4arch9wavefront6targetE0EEEvT1_,comdat
	.protected	_ZN7rocprim17ROCPRIM_400000_NS6detail17trampoline_kernelINS0_14default_configENS1_25partition_config_selectorILNS1_17partition_subalgoE9EttbEEZZNS1_14partition_implILS5_9ELb0ES3_jN6thrust23THRUST_200600_302600_NS6detail15normal_iteratorINS9_10device_ptrItEEEESE_PNS0_10empty_typeENS0_5tupleIJSE_SF_EEENSH_IJSE_SG_EEENS0_18inequality_wrapperINS9_8equal_toItEEEEPmJSF_EEE10hipError_tPvRmT3_T4_T5_T6_T7_T9_mT8_P12ihipStream_tbDpT10_ENKUlT_T0_E_clISt17integral_constantIbLb0EES17_IbLb1EEEEDaS13_S14_EUlS13_E_NS1_11comp_targetILNS1_3genE5ELNS1_11target_archE942ELNS1_3gpuE9ELNS1_3repE0EEENS1_30default_config_static_selectorELNS0_4arch9wavefront6targetE0EEEvT1_ ; -- Begin function _ZN7rocprim17ROCPRIM_400000_NS6detail17trampoline_kernelINS0_14default_configENS1_25partition_config_selectorILNS1_17partition_subalgoE9EttbEEZZNS1_14partition_implILS5_9ELb0ES3_jN6thrust23THRUST_200600_302600_NS6detail15normal_iteratorINS9_10device_ptrItEEEESE_PNS0_10empty_typeENS0_5tupleIJSE_SF_EEENSH_IJSE_SG_EEENS0_18inequality_wrapperINS9_8equal_toItEEEEPmJSF_EEE10hipError_tPvRmT3_T4_T5_T6_T7_T9_mT8_P12ihipStream_tbDpT10_ENKUlT_T0_E_clISt17integral_constantIbLb0EES17_IbLb1EEEEDaS13_S14_EUlS13_E_NS1_11comp_targetILNS1_3genE5ELNS1_11target_archE942ELNS1_3gpuE9ELNS1_3repE0EEENS1_30default_config_static_selectorELNS0_4arch9wavefront6targetE0EEEvT1_
	.globl	_ZN7rocprim17ROCPRIM_400000_NS6detail17trampoline_kernelINS0_14default_configENS1_25partition_config_selectorILNS1_17partition_subalgoE9EttbEEZZNS1_14partition_implILS5_9ELb0ES3_jN6thrust23THRUST_200600_302600_NS6detail15normal_iteratorINS9_10device_ptrItEEEESE_PNS0_10empty_typeENS0_5tupleIJSE_SF_EEENSH_IJSE_SG_EEENS0_18inequality_wrapperINS9_8equal_toItEEEEPmJSF_EEE10hipError_tPvRmT3_T4_T5_T6_T7_T9_mT8_P12ihipStream_tbDpT10_ENKUlT_T0_E_clISt17integral_constantIbLb0EES17_IbLb1EEEEDaS13_S14_EUlS13_E_NS1_11comp_targetILNS1_3genE5ELNS1_11target_archE942ELNS1_3gpuE9ELNS1_3repE0EEENS1_30default_config_static_selectorELNS0_4arch9wavefront6targetE0EEEvT1_
	.p2align	8
	.type	_ZN7rocprim17ROCPRIM_400000_NS6detail17trampoline_kernelINS0_14default_configENS1_25partition_config_selectorILNS1_17partition_subalgoE9EttbEEZZNS1_14partition_implILS5_9ELb0ES3_jN6thrust23THRUST_200600_302600_NS6detail15normal_iteratorINS9_10device_ptrItEEEESE_PNS0_10empty_typeENS0_5tupleIJSE_SF_EEENSH_IJSE_SG_EEENS0_18inequality_wrapperINS9_8equal_toItEEEEPmJSF_EEE10hipError_tPvRmT3_T4_T5_T6_T7_T9_mT8_P12ihipStream_tbDpT10_ENKUlT_T0_E_clISt17integral_constantIbLb0EES17_IbLb1EEEEDaS13_S14_EUlS13_E_NS1_11comp_targetILNS1_3genE5ELNS1_11target_archE942ELNS1_3gpuE9ELNS1_3repE0EEENS1_30default_config_static_selectorELNS0_4arch9wavefront6targetE0EEEvT1_,@function
_ZN7rocprim17ROCPRIM_400000_NS6detail17trampoline_kernelINS0_14default_configENS1_25partition_config_selectorILNS1_17partition_subalgoE9EttbEEZZNS1_14partition_implILS5_9ELb0ES3_jN6thrust23THRUST_200600_302600_NS6detail15normal_iteratorINS9_10device_ptrItEEEESE_PNS0_10empty_typeENS0_5tupleIJSE_SF_EEENSH_IJSE_SG_EEENS0_18inequality_wrapperINS9_8equal_toItEEEEPmJSF_EEE10hipError_tPvRmT3_T4_T5_T6_T7_T9_mT8_P12ihipStream_tbDpT10_ENKUlT_T0_E_clISt17integral_constantIbLb0EES17_IbLb1EEEEDaS13_S14_EUlS13_E_NS1_11comp_targetILNS1_3genE5ELNS1_11target_archE942ELNS1_3gpuE9ELNS1_3repE0EEENS1_30default_config_static_selectorELNS0_4arch9wavefront6targetE0EEEvT1_: ; @_ZN7rocprim17ROCPRIM_400000_NS6detail17trampoline_kernelINS0_14default_configENS1_25partition_config_selectorILNS1_17partition_subalgoE9EttbEEZZNS1_14partition_implILS5_9ELb0ES3_jN6thrust23THRUST_200600_302600_NS6detail15normal_iteratorINS9_10device_ptrItEEEESE_PNS0_10empty_typeENS0_5tupleIJSE_SF_EEENSH_IJSE_SG_EEENS0_18inequality_wrapperINS9_8equal_toItEEEEPmJSF_EEE10hipError_tPvRmT3_T4_T5_T6_T7_T9_mT8_P12ihipStream_tbDpT10_ENKUlT_T0_E_clISt17integral_constantIbLb0EES17_IbLb1EEEEDaS13_S14_EUlS13_E_NS1_11comp_targetILNS1_3genE5ELNS1_11target_archE942ELNS1_3gpuE9ELNS1_3repE0EEENS1_30default_config_static_selectorELNS0_4arch9wavefront6targetE0EEEvT1_
; %bb.0:
	.section	.rodata,"a",@progbits
	.p2align	6, 0x0
	.amdhsa_kernel _ZN7rocprim17ROCPRIM_400000_NS6detail17trampoline_kernelINS0_14default_configENS1_25partition_config_selectorILNS1_17partition_subalgoE9EttbEEZZNS1_14partition_implILS5_9ELb0ES3_jN6thrust23THRUST_200600_302600_NS6detail15normal_iteratorINS9_10device_ptrItEEEESE_PNS0_10empty_typeENS0_5tupleIJSE_SF_EEENSH_IJSE_SG_EEENS0_18inequality_wrapperINS9_8equal_toItEEEEPmJSF_EEE10hipError_tPvRmT3_T4_T5_T6_T7_T9_mT8_P12ihipStream_tbDpT10_ENKUlT_T0_E_clISt17integral_constantIbLb0EES17_IbLb1EEEEDaS13_S14_EUlS13_E_NS1_11comp_targetILNS1_3genE5ELNS1_11target_archE942ELNS1_3gpuE9ELNS1_3repE0EEENS1_30default_config_static_selectorELNS0_4arch9wavefront6targetE0EEEvT1_
		.amdhsa_group_segment_fixed_size 0
		.amdhsa_private_segment_fixed_size 0
		.amdhsa_kernarg_size 128
		.amdhsa_user_sgpr_count 15
		.amdhsa_user_sgpr_dispatch_ptr 0
		.amdhsa_user_sgpr_queue_ptr 0
		.amdhsa_user_sgpr_kernarg_segment_ptr 1
		.amdhsa_user_sgpr_dispatch_id 0
		.amdhsa_user_sgpr_private_segment_size 0
		.amdhsa_wavefront_size32 1
		.amdhsa_uses_dynamic_stack 0
		.amdhsa_enable_private_segment 0
		.amdhsa_system_sgpr_workgroup_id_x 1
		.amdhsa_system_sgpr_workgroup_id_y 0
		.amdhsa_system_sgpr_workgroup_id_z 0
		.amdhsa_system_sgpr_workgroup_info 0
		.amdhsa_system_vgpr_workitem_id 0
		.amdhsa_next_free_vgpr 1
		.amdhsa_next_free_sgpr 1
		.amdhsa_reserve_vcc 0
		.amdhsa_float_round_mode_32 0
		.amdhsa_float_round_mode_16_64 0
		.amdhsa_float_denorm_mode_32 3
		.amdhsa_float_denorm_mode_16_64 3
		.amdhsa_dx10_clamp 1
		.amdhsa_ieee_mode 1
		.amdhsa_fp16_overflow 0
		.amdhsa_workgroup_processor_mode 1
		.amdhsa_memory_ordered 1
		.amdhsa_forward_progress 0
		.amdhsa_shared_vgpr_count 0
		.amdhsa_exception_fp_ieee_invalid_op 0
		.amdhsa_exception_fp_denorm_src 0
		.amdhsa_exception_fp_ieee_div_zero 0
		.amdhsa_exception_fp_ieee_overflow 0
		.amdhsa_exception_fp_ieee_underflow 0
		.amdhsa_exception_fp_ieee_inexact 0
		.amdhsa_exception_int_div_zero 0
	.end_amdhsa_kernel
	.section	.text._ZN7rocprim17ROCPRIM_400000_NS6detail17trampoline_kernelINS0_14default_configENS1_25partition_config_selectorILNS1_17partition_subalgoE9EttbEEZZNS1_14partition_implILS5_9ELb0ES3_jN6thrust23THRUST_200600_302600_NS6detail15normal_iteratorINS9_10device_ptrItEEEESE_PNS0_10empty_typeENS0_5tupleIJSE_SF_EEENSH_IJSE_SG_EEENS0_18inequality_wrapperINS9_8equal_toItEEEEPmJSF_EEE10hipError_tPvRmT3_T4_T5_T6_T7_T9_mT8_P12ihipStream_tbDpT10_ENKUlT_T0_E_clISt17integral_constantIbLb0EES17_IbLb1EEEEDaS13_S14_EUlS13_E_NS1_11comp_targetILNS1_3genE5ELNS1_11target_archE942ELNS1_3gpuE9ELNS1_3repE0EEENS1_30default_config_static_selectorELNS0_4arch9wavefront6targetE0EEEvT1_,"axG",@progbits,_ZN7rocprim17ROCPRIM_400000_NS6detail17trampoline_kernelINS0_14default_configENS1_25partition_config_selectorILNS1_17partition_subalgoE9EttbEEZZNS1_14partition_implILS5_9ELb0ES3_jN6thrust23THRUST_200600_302600_NS6detail15normal_iteratorINS9_10device_ptrItEEEESE_PNS0_10empty_typeENS0_5tupleIJSE_SF_EEENSH_IJSE_SG_EEENS0_18inequality_wrapperINS9_8equal_toItEEEEPmJSF_EEE10hipError_tPvRmT3_T4_T5_T6_T7_T9_mT8_P12ihipStream_tbDpT10_ENKUlT_T0_E_clISt17integral_constantIbLb0EES17_IbLb1EEEEDaS13_S14_EUlS13_E_NS1_11comp_targetILNS1_3genE5ELNS1_11target_archE942ELNS1_3gpuE9ELNS1_3repE0EEENS1_30default_config_static_selectorELNS0_4arch9wavefront6targetE0EEEvT1_,comdat
.Lfunc_end300:
	.size	_ZN7rocprim17ROCPRIM_400000_NS6detail17trampoline_kernelINS0_14default_configENS1_25partition_config_selectorILNS1_17partition_subalgoE9EttbEEZZNS1_14partition_implILS5_9ELb0ES3_jN6thrust23THRUST_200600_302600_NS6detail15normal_iteratorINS9_10device_ptrItEEEESE_PNS0_10empty_typeENS0_5tupleIJSE_SF_EEENSH_IJSE_SG_EEENS0_18inequality_wrapperINS9_8equal_toItEEEEPmJSF_EEE10hipError_tPvRmT3_T4_T5_T6_T7_T9_mT8_P12ihipStream_tbDpT10_ENKUlT_T0_E_clISt17integral_constantIbLb0EES17_IbLb1EEEEDaS13_S14_EUlS13_E_NS1_11comp_targetILNS1_3genE5ELNS1_11target_archE942ELNS1_3gpuE9ELNS1_3repE0EEENS1_30default_config_static_selectorELNS0_4arch9wavefront6targetE0EEEvT1_, .Lfunc_end300-_ZN7rocprim17ROCPRIM_400000_NS6detail17trampoline_kernelINS0_14default_configENS1_25partition_config_selectorILNS1_17partition_subalgoE9EttbEEZZNS1_14partition_implILS5_9ELb0ES3_jN6thrust23THRUST_200600_302600_NS6detail15normal_iteratorINS9_10device_ptrItEEEESE_PNS0_10empty_typeENS0_5tupleIJSE_SF_EEENSH_IJSE_SG_EEENS0_18inequality_wrapperINS9_8equal_toItEEEEPmJSF_EEE10hipError_tPvRmT3_T4_T5_T6_T7_T9_mT8_P12ihipStream_tbDpT10_ENKUlT_T0_E_clISt17integral_constantIbLb0EES17_IbLb1EEEEDaS13_S14_EUlS13_E_NS1_11comp_targetILNS1_3genE5ELNS1_11target_archE942ELNS1_3gpuE9ELNS1_3repE0EEENS1_30default_config_static_selectorELNS0_4arch9wavefront6targetE0EEEvT1_
                                        ; -- End function
	.section	.AMDGPU.csdata,"",@progbits
; Kernel info:
; codeLenInByte = 0
; NumSgprs: 0
; NumVgprs: 0
; ScratchSize: 0
; MemoryBound: 0
; FloatMode: 240
; IeeeMode: 1
; LDSByteSize: 0 bytes/workgroup (compile time only)
; SGPRBlocks: 0
; VGPRBlocks: 0
; NumSGPRsForWavesPerEU: 1
; NumVGPRsForWavesPerEU: 1
; Occupancy: 16
; WaveLimiterHint : 0
; COMPUTE_PGM_RSRC2:SCRATCH_EN: 0
; COMPUTE_PGM_RSRC2:USER_SGPR: 15
; COMPUTE_PGM_RSRC2:TRAP_HANDLER: 0
; COMPUTE_PGM_RSRC2:TGID_X_EN: 1
; COMPUTE_PGM_RSRC2:TGID_Y_EN: 0
; COMPUTE_PGM_RSRC2:TGID_Z_EN: 0
; COMPUTE_PGM_RSRC2:TIDIG_COMP_CNT: 0
	.section	.text._ZN7rocprim17ROCPRIM_400000_NS6detail17trampoline_kernelINS0_14default_configENS1_25partition_config_selectorILNS1_17partition_subalgoE9EttbEEZZNS1_14partition_implILS5_9ELb0ES3_jN6thrust23THRUST_200600_302600_NS6detail15normal_iteratorINS9_10device_ptrItEEEESE_PNS0_10empty_typeENS0_5tupleIJSE_SF_EEENSH_IJSE_SG_EEENS0_18inequality_wrapperINS9_8equal_toItEEEEPmJSF_EEE10hipError_tPvRmT3_T4_T5_T6_T7_T9_mT8_P12ihipStream_tbDpT10_ENKUlT_T0_E_clISt17integral_constantIbLb0EES17_IbLb1EEEEDaS13_S14_EUlS13_E_NS1_11comp_targetILNS1_3genE4ELNS1_11target_archE910ELNS1_3gpuE8ELNS1_3repE0EEENS1_30default_config_static_selectorELNS0_4arch9wavefront6targetE0EEEvT1_,"axG",@progbits,_ZN7rocprim17ROCPRIM_400000_NS6detail17trampoline_kernelINS0_14default_configENS1_25partition_config_selectorILNS1_17partition_subalgoE9EttbEEZZNS1_14partition_implILS5_9ELb0ES3_jN6thrust23THRUST_200600_302600_NS6detail15normal_iteratorINS9_10device_ptrItEEEESE_PNS0_10empty_typeENS0_5tupleIJSE_SF_EEENSH_IJSE_SG_EEENS0_18inequality_wrapperINS9_8equal_toItEEEEPmJSF_EEE10hipError_tPvRmT3_T4_T5_T6_T7_T9_mT8_P12ihipStream_tbDpT10_ENKUlT_T0_E_clISt17integral_constantIbLb0EES17_IbLb1EEEEDaS13_S14_EUlS13_E_NS1_11comp_targetILNS1_3genE4ELNS1_11target_archE910ELNS1_3gpuE8ELNS1_3repE0EEENS1_30default_config_static_selectorELNS0_4arch9wavefront6targetE0EEEvT1_,comdat
	.protected	_ZN7rocprim17ROCPRIM_400000_NS6detail17trampoline_kernelINS0_14default_configENS1_25partition_config_selectorILNS1_17partition_subalgoE9EttbEEZZNS1_14partition_implILS5_9ELb0ES3_jN6thrust23THRUST_200600_302600_NS6detail15normal_iteratorINS9_10device_ptrItEEEESE_PNS0_10empty_typeENS0_5tupleIJSE_SF_EEENSH_IJSE_SG_EEENS0_18inequality_wrapperINS9_8equal_toItEEEEPmJSF_EEE10hipError_tPvRmT3_T4_T5_T6_T7_T9_mT8_P12ihipStream_tbDpT10_ENKUlT_T0_E_clISt17integral_constantIbLb0EES17_IbLb1EEEEDaS13_S14_EUlS13_E_NS1_11comp_targetILNS1_3genE4ELNS1_11target_archE910ELNS1_3gpuE8ELNS1_3repE0EEENS1_30default_config_static_selectorELNS0_4arch9wavefront6targetE0EEEvT1_ ; -- Begin function _ZN7rocprim17ROCPRIM_400000_NS6detail17trampoline_kernelINS0_14default_configENS1_25partition_config_selectorILNS1_17partition_subalgoE9EttbEEZZNS1_14partition_implILS5_9ELb0ES3_jN6thrust23THRUST_200600_302600_NS6detail15normal_iteratorINS9_10device_ptrItEEEESE_PNS0_10empty_typeENS0_5tupleIJSE_SF_EEENSH_IJSE_SG_EEENS0_18inequality_wrapperINS9_8equal_toItEEEEPmJSF_EEE10hipError_tPvRmT3_T4_T5_T6_T7_T9_mT8_P12ihipStream_tbDpT10_ENKUlT_T0_E_clISt17integral_constantIbLb0EES17_IbLb1EEEEDaS13_S14_EUlS13_E_NS1_11comp_targetILNS1_3genE4ELNS1_11target_archE910ELNS1_3gpuE8ELNS1_3repE0EEENS1_30default_config_static_selectorELNS0_4arch9wavefront6targetE0EEEvT1_
	.globl	_ZN7rocprim17ROCPRIM_400000_NS6detail17trampoline_kernelINS0_14default_configENS1_25partition_config_selectorILNS1_17partition_subalgoE9EttbEEZZNS1_14partition_implILS5_9ELb0ES3_jN6thrust23THRUST_200600_302600_NS6detail15normal_iteratorINS9_10device_ptrItEEEESE_PNS0_10empty_typeENS0_5tupleIJSE_SF_EEENSH_IJSE_SG_EEENS0_18inequality_wrapperINS9_8equal_toItEEEEPmJSF_EEE10hipError_tPvRmT3_T4_T5_T6_T7_T9_mT8_P12ihipStream_tbDpT10_ENKUlT_T0_E_clISt17integral_constantIbLb0EES17_IbLb1EEEEDaS13_S14_EUlS13_E_NS1_11comp_targetILNS1_3genE4ELNS1_11target_archE910ELNS1_3gpuE8ELNS1_3repE0EEENS1_30default_config_static_selectorELNS0_4arch9wavefront6targetE0EEEvT1_
	.p2align	8
	.type	_ZN7rocprim17ROCPRIM_400000_NS6detail17trampoline_kernelINS0_14default_configENS1_25partition_config_selectorILNS1_17partition_subalgoE9EttbEEZZNS1_14partition_implILS5_9ELb0ES3_jN6thrust23THRUST_200600_302600_NS6detail15normal_iteratorINS9_10device_ptrItEEEESE_PNS0_10empty_typeENS0_5tupleIJSE_SF_EEENSH_IJSE_SG_EEENS0_18inequality_wrapperINS9_8equal_toItEEEEPmJSF_EEE10hipError_tPvRmT3_T4_T5_T6_T7_T9_mT8_P12ihipStream_tbDpT10_ENKUlT_T0_E_clISt17integral_constantIbLb0EES17_IbLb1EEEEDaS13_S14_EUlS13_E_NS1_11comp_targetILNS1_3genE4ELNS1_11target_archE910ELNS1_3gpuE8ELNS1_3repE0EEENS1_30default_config_static_selectorELNS0_4arch9wavefront6targetE0EEEvT1_,@function
_ZN7rocprim17ROCPRIM_400000_NS6detail17trampoline_kernelINS0_14default_configENS1_25partition_config_selectorILNS1_17partition_subalgoE9EttbEEZZNS1_14partition_implILS5_9ELb0ES3_jN6thrust23THRUST_200600_302600_NS6detail15normal_iteratorINS9_10device_ptrItEEEESE_PNS0_10empty_typeENS0_5tupleIJSE_SF_EEENSH_IJSE_SG_EEENS0_18inequality_wrapperINS9_8equal_toItEEEEPmJSF_EEE10hipError_tPvRmT3_T4_T5_T6_T7_T9_mT8_P12ihipStream_tbDpT10_ENKUlT_T0_E_clISt17integral_constantIbLb0EES17_IbLb1EEEEDaS13_S14_EUlS13_E_NS1_11comp_targetILNS1_3genE4ELNS1_11target_archE910ELNS1_3gpuE8ELNS1_3repE0EEENS1_30default_config_static_selectorELNS0_4arch9wavefront6targetE0EEEvT1_: ; @_ZN7rocprim17ROCPRIM_400000_NS6detail17trampoline_kernelINS0_14default_configENS1_25partition_config_selectorILNS1_17partition_subalgoE9EttbEEZZNS1_14partition_implILS5_9ELb0ES3_jN6thrust23THRUST_200600_302600_NS6detail15normal_iteratorINS9_10device_ptrItEEEESE_PNS0_10empty_typeENS0_5tupleIJSE_SF_EEENSH_IJSE_SG_EEENS0_18inequality_wrapperINS9_8equal_toItEEEEPmJSF_EEE10hipError_tPvRmT3_T4_T5_T6_T7_T9_mT8_P12ihipStream_tbDpT10_ENKUlT_T0_E_clISt17integral_constantIbLb0EES17_IbLb1EEEEDaS13_S14_EUlS13_E_NS1_11comp_targetILNS1_3genE4ELNS1_11target_archE910ELNS1_3gpuE8ELNS1_3repE0EEENS1_30default_config_static_selectorELNS0_4arch9wavefront6targetE0EEEvT1_
; %bb.0:
	.section	.rodata,"a",@progbits
	.p2align	6, 0x0
	.amdhsa_kernel _ZN7rocprim17ROCPRIM_400000_NS6detail17trampoline_kernelINS0_14default_configENS1_25partition_config_selectorILNS1_17partition_subalgoE9EttbEEZZNS1_14partition_implILS5_9ELb0ES3_jN6thrust23THRUST_200600_302600_NS6detail15normal_iteratorINS9_10device_ptrItEEEESE_PNS0_10empty_typeENS0_5tupleIJSE_SF_EEENSH_IJSE_SG_EEENS0_18inequality_wrapperINS9_8equal_toItEEEEPmJSF_EEE10hipError_tPvRmT3_T4_T5_T6_T7_T9_mT8_P12ihipStream_tbDpT10_ENKUlT_T0_E_clISt17integral_constantIbLb0EES17_IbLb1EEEEDaS13_S14_EUlS13_E_NS1_11comp_targetILNS1_3genE4ELNS1_11target_archE910ELNS1_3gpuE8ELNS1_3repE0EEENS1_30default_config_static_selectorELNS0_4arch9wavefront6targetE0EEEvT1_
		.amdhsa_group_segment_fixed_size 0
		.amdhsa_private_segment_fixed_size 0
		.amdhsa_kernarg_size 128
		.amdhsa_user_sgpr_count 15
		.amdhsa_user_sgpr_dispatch_ptr 0
		.amdhsa_user_sgpr_queue_ptr 0
		.amdhsa_user_sgpr_kernarg_segment_ptr 1
		.amdhsa_user_sgpr_dispatch_id 0
		.amdhsa_user_sgpr_private_segment_size 0
		.amdhsa_wavefront_size32 1
		.amdhsa_uses_dynamic_stack 0
		.amdhsa_enable_private_segment 0
		.amdhsa_system_sgpr_workgroup_id_x 1
		.amdhsa_system_sgpr_workgroup_id_y 0
		.amdhsa_system_sgpr_workgroup_id_z 0
		.amdhsa_system_sgpr_workgroup_info 0
		.amdhsa_system_vgpr_workitem_id 0
		.amdhsa_next_free_vgpr 1
		.amdhsa_next_free_sgpr 1
		.amdhsa_reserve_vcc 0
		.amdhsa_float_round_mode_32 0
		.amdhsa_float_round_mode_16_64 0
		.amdhsa_float_denorm_mode_32 3
		.amdhsa_float_denorm_mode_16_64 3
		.amdhsa_dx10_clamp 1
		.amdhsa_ieee_mode 1
		.amdhsa_fp16_overflow 0
		.amdhsa_workgroup_processor_mode 1
		.amdhsa_memory_ordered 1
		.amdhsa_forward_progress 0
		.amdhsa_shared_vgpr_count 0
		.amdhsa_exception_fp_ieee_invalid_op 0
		.amdhsa_exception_fp_denorm_src 0
		.amdhsa_exception_fp_ieee_div_zero 0
		.amdhsa_exception_fp_ieee_overflow 0
		.amdhsa_exception_fp_ieee_underflow 0
		.amdhsa_exception_fp_ieee_inexact 0
		.amdhsa_exception_int_div_zero 0
	.end_amdhsa_kernel
	.section	.text._ZN7rocprim17ROCPRIM_400000_NS6detail17trampoline_kernelINS0_14default_configENS1_25partition_config_selectorILNS1_17partition_subalgoE9EttbEEZZNS1_14partition_implILS5_9ELb0ES3_jN6thrust23THRUST_200600_302600_NS6detail15normal_iteratorINS9_10device_ptrItEEEESE_PNS0_10empty_typeENS0_5tupleIJSE_SF_EEENSH_IJSE_SG_EEENS0_18inequality_wrapperINS9_8equal_toItEEEEPmJSF_EEE10hipError_tPvRmT3_T4_T5_T6_T7_T9_mT8_P12ihipStream_tbDpT10_ENKUlT_T0_E_clISt17integral_constantIbLb0EES17_IbLb1EEEEDaS13_S14_EUlS13_E_NS1_11comp_targetILNS1_3genE4ELNS1_11target_archE910ELNS1_3gpuE8ELNS1_3repE0EEENS1_30default_config_static_selectorELNS0_4arch9wavefront6targetE0EEEvT1_,"axG",@progbits,_ZN7rocprim17ROCPRIM_400000_NS6detail17trampoline_kernelINS0_14default_configENS1_25partition_config_selectorILNS1_17partition_subalgoE9EttbEEZZNS1_14partition_implILS5_9ELb0ES3_jN6thrust23THRUST_200600_302600_NS6detail15normal_iteratorINS9_10device_ptrItEEEESE_PNS0_10empty_typeENS0_5tupleIJSE_SF_EEENSH_IJSE_SG_EEENS0_18inequality_wrapperINS9_8equal_toItEEEEPmJSF_EEE10hipError_tPvRmT3_T4_T5_T6_T7_T9_mT8_P12ihipStream_tbDpT10_ENKUlT_T0_E_clISt17integral_constantIbLb0EES17_IbLb1EEEEDaS13_S14_EUlS13_E_NS1_11comp_targetILNS1_3genE4ELNS1_11target_archE910ELNS1_3gpuE8ELNS1_3repE0EEENS1_30default_config_static_selectorELNS0_4arch9wavefront6targetE0EEEvT1_,comdat
.Lfunc_end301:
	.size	_ZN7rocprim17ROCPRIM_400000_NS6detail17trampoline_kernelINS0_14default_configENS1_25partition_config_selectorILNS1_17partition_subalgoE9EttbEEZZNS1_14partition_implILS5_9ELb0ES3_jN6thrust23THRUST_200600_302600_NS6detail15normal_iteratorINS9_10device_ptrItEEEESE_PNS0_10empty_typeENS0_5tupleIJSE_SF_EEENSH_IJSE_SG_EEENS0_18inequality_wrapperINS9_8equal_toItEEEEPmJSF_EEE10hipError_tPvRmT3_T4_T5_T6_T7_T9_mT8_P12ihipStream_tbDpT10_ENKUlT_T0_E_clISt17integral_constantIbLb0EES17_IbLb1EEEEDaS13_S14_EUlS13_E_NS1_11comp_targetILNS1_3genE4ELNS1_11target_archE910ELNS1_3gpuE8ELNS1_3repE0EEENS1_30default_config_static_selectorELNS0_4arch9wavefront6targetE0EEEvT1_, .Lfunc_end301-_ZN7rocprim17ROCPRIM_400000_NS6detail17trampoline_kernelINS0_14default_configENS1_25partition_config_selectorILNS1_17partition_subalgoE9EttbEEZZNS1_14partition_implILS5_9ELb0ES3_jN6thrust23THRUST_200600_302600_NS6detail15normal_iteratorINS9_10device_ptrItEEEESE_PNS0_10empty_typeENS0_5tupleIJSE_SF_EEENSH_IJSE_SG_EEENS0_18inequality_wrapperINS9_8equal_toItEEEEPmJSF_EEE10hipError_tPvRmT3_T4_T5_T6_T7_T9_mT8_P12ihipStream_tbDpT10_ENKUlT_T0_E_clISt17integral_constantIbLb0EES17_IbLb1EEEEDaS13_S14_EUlS13_E_NS1_11comp_targetILNS1_3genE4ELNS1_11target_archE910ELNS1_3gpuE8ELNS1_3repE0EEENS1_30default_config_static_selectorELNS0_4arch9wavefront6targetE0EEEvT1_
                                        ; -- End function
	.section	.AMDGPU.csdata,"",@progbits
; Kernel info:
; codeLenInByte = 0
; NumSgprs: 0
; NumVgprs: 0
; ScratchSize: 0
; MemoryBound: 0
; FloatMode: 240
; IeeeMode: 1
; LDSByteSize: 0 bytes/workgroup (compile time only)
; SGPRBlocks: 0
; VGPRBlocks: 0
; NumSGPRsForWavesPerEU: 1
; NumVGPRsForWavesPerEU: 1
; Occupancy: 16
; WaveLimiterHint : 0
; COMPUTE_PGM_RSRC2:SCRATCH_EN: 0
; COMPUTE_PGM_RSRC2:USER_SGPR: 15
; COMPUTE_PGM_RSRC2:TRAP_HANDLER: 0
; COMPUTE_PGM_RSRC2:TGID_X_EN: 1
; COMPUTE_PGM_RSRC2:TGID_Y_EN: 0
; COMPUTE_PGM_RSRC2:TGID_Z_EN: 0
; COMPUTE_PGM_RSRC2:TIDIG_COMP_CNT: 0
	.section	.text._ZN7rocprim17ROCPRIM_400000_NS6detail17trampoline_kernelINS0_14default_configENS1_25partition_config_selectorILNS1_17partition_subalgoE9EttbEEZZNS1_14partition_implILS5_9ELb0ES3_jN6thrust23THRUST_200600_302600_NS6detail15normal_iteratorINS9_10device_ptrItEEEESE_PNS0_10empty_typeENS0_5tupleIJSE_SF_EEENSH_IJSE_SG_EEENS0_18inequality_wrapperINS9_8equal_toItEEEEPmJSF_EEE10hipError_tPvRmT3_T4_T5_T6_T7_T9_mT8_P12ihipStream_tbDpT10_ENKUlT_T0_E_clISt17integral_constantIbLb0EES17_IbLb1EEEEDaS13_S14_EUlS13_E_NS1_11comp_targetILNS1_3genE3ELNS1_11target_archE908ELNS1_3gpuE7ELNS1_3repE0EEENS1_30default_config_static_selectorELNS0_4arch9wavefront6targetE0EEEvT1_,"axG",@progbits,_ZN7rocprim17ROCPRIM_400000_NS6detail17trampoline_kernelINS0_14default_configENS1_25partition_config_selectorILNS1_17partition_subalgoE9EttbEEZZNS1_14partition_implILS5_9ELb0ES3_jN6thrust23THRUST_200600_302600_NS6detail15normal_iteratorINS9_10device_ptrItEEEESE_PNS0_10empty_typeENS0_5tupleIJSE_SF_EEENSH_IJSE_SG_EEENS0_18inequality_wrapperINS9_8equal_toItEEEEPmJSF_EEE10hipError_tPvRmT3_T4_T5_T6_T7_T9_mT8_P12ihipStream_tbDpT10_ENKUlT_T0_E_clISt17integral_constantIbLb0EES17_IbLb1EEEEDaS13_S14_EUlS13_E_NS1_11comp_targetILNS1_3genE3ELNS1_11target_archE908ELNS1_3gpuE7ELNS1_3repE0EEENS1_30default_config_static_selectorELNS0_4arch9wavefront6targetE0EEEvT1_,comdat
	.protected	_ZN7rocprim17ROCPRIM_400000_NS6detail17trampoline_kernelINS0_14default_configENS1_25partition_config_selectorILNS1_17partition_subalgoE9EttbEEZZNS1_14partition_implILS5_9ELb0ES3_jN6thrust23THRUST_200600_302600_NS6detail15normal_iteratorINS9_10device_ptrItEEEESE_PNS0_10empty_typeENS0_5tupleIJSE_SF_EEENSH_IJSE_SG_EEENS0_18inequality_wrapperINS9_8equal_toItEEEEPmJSF_EEE10hipError_tPvRmT3_T4_T5_T6_T7_T9_mT8_P12ihipStream_tbDpT10_ENKUlT_T0_E_clISt17integral_constantIbLb0EES17_IbLb1EEEEDaS13_S14_EUlS13_E_NS1_11comp_targetILNS1_3genE3ELNS1_11target_archE908ELNS1_3gpuE7ELNS1_3repE0EEENS1_30default_config_static_selectorELNS0_4arch9wavefront6targetE0EEEvT1_ ; -- Begin function _ZN7rocprim17ROCPRIM_400000_NS6detail17trampoline_kernelINS0_14default_configENS1_25partition_config_selectorILNS1_17partition_subalgoE9EttbEEZZNS1_14partition_implILS5_9ELb0ES3_jN6thrust23THRUST_200600_302600_NS6detail15normal_iteratorINS9_10device_ptrItEEEESE_PNS0_10empty_typeENS0_5tupleIJSE_SF_EEENSH_IJSE_SG_EEENS0_18inequality_wrapperINS9_8equal_toItEEEEPmJSF_EEE10hipError_tPvRmT3_T4_T5_T6_T7_T9_mT8_P12ihipStream_tbDpT10_ENKUlT_T0_E_clISt17integral_constantIbLb0EES17_IbLb1EEEEDaS13_S14_EUlS13_E_NS1_11comp_targetILNS1_3genE3ELNS1_11target_archE908ELNS1_3gpuE7ELNS1_3repE0EEENS1_30default_config_static_selectorELNS0_4arch9wavefront6targetE0EEEvT1_
	.globl	_ZN7rocprim17ROCPRIM_400000_NS6detail17trampoline_kernelINS0_14default_configENS1_25partition_config_selectorILNS1_17partition_subalgoE9EttbEEZZNS1_14partition_implILS5_9ELb0ES3_jN6thrust23THRUST_200600_302600_NS6detail15normal_iteratorINS9_10device_ptrItEEEESE_PNS0_10empty_typeENS0_5tupleIJSE_SF_EEENSH_IJSE_SG_EEENS0_18inequality_wrapperINS9_8equal_toItEEEEPmJSF_EEE10hipError_tPvRmT3_T4_T5_T6_T7_T9_mT8_P12ihipStream_tbDpT10_ENKUlT_T0_E_clISt17integral_constantIbLb0EES17_IbLb1EEEEDaS13_S14_EUlS13_E_NS1_11comp_targetILNS1_3genE3ELNS1_11target_archE908ELNS1_3gpuE7ELNS1_3repE0EEENS1_30default_config_static_selectorELNS0_4arch9wavefront6targetE0EEEvT1_
	.p2align	8
	.type	_ZN7rocprim17ROCPRIM_400000_NS6detail17trampoline_kernelINS0_14default_configENS1_25partition_config_selectorILNS1_17partition_subalgoE9EttbEEZZNS1_14partition_implILS5_9ELb0ES3_jN6thrust23THRUST_200600_302600_NS6detail15normal_iteratorINS9_10device_ptrItEEEESE_PNS0_10empty_typeENS0_5tupleIJSE_SF_EEENSH_IJSE_SG_EEENS0_18inequality_wrapperINS9_8equal_toItEEEEPmJSF_EEE10hipError_tPvRmT3_T4_T5_T6_T7_T9_mT8_P12ihipStream_tbDpT10_ENKUlT_T0_E_clISt17integral_constantIbLb0EES17_IbLb1EEEEDaS13_S14_EUlS13_E_NS1_11comp_targetILNS1_3genE3ELNS1_11target_archE908ELNS1_3gpuE7ELNS1_3repE0EEENS1_30default_config_static_selectorELNS0_4arch9wavefront6targetE0EEEvT1_,@function
_ZN7rocprim17ROCPRIM_400000_NS6detail17trampoline_kernelINS0_14default_configENS1_25partition_config_selectorILNS1_17partition_subalgoE9EttbEEZZNS1_14partition_implILS5_9ELb0ES3_jN6thrust23THRUST_200600_302600_NS6detail15normal_iteratorINS9_10device_ptrItEEEESE_PNS0_10empty_typeENS0_5tupleIJSE_SF_EEENSH_IJSE_SG_EEENS0_18inequality_wrapperINS9_8equal_toItEEEEPmJSF_EEE10hipError_tPvRmT3_T4_T5_T6_T7_T9_mT8_P12ihipStream_tbDpT10_ENKUlT_T0_E_clISt17integral_constantIbLb0EES17_IbLb1EEEEDaS13_S14_EUlS13_E_NS1_11comp_targetILNS1_3genE3ELNS1_11target_archE908ELNS1_3gpuE7ELNS1_3repE0EEENS1_30default_config_static_selectorELNS0_4arch9wavefront6targetE0EEEvT1_: ; @_ZN7rocprim17ROCPRIM_400000_NS6detail17trampoline_kernelINS0_14default_configENS1_25partition_config_selectorILNS1_17partition_subalgoE9EttbEEZZNS1_14partition_implILS5_9ELb0ES3_jN6thrust23THRUST_200600_302600_NS6detail15normal_iteratorINS9_10device_ptrItEEEESE_PNS0_10empty_typeENS0_5tupleIJSE_SF_EEENSH_IJSE_SG_EEENS0_18inequality_wrapperINS9_8equal_toItEEEEPmJSF_EEE10hipError_tPvRmT3_T4_T5_T6_T7_T9_mT8_P12ihipStream_tbDpT10_ENKUlT_T0_E_clISt17integral_constantIbLb0EES17_IbLb1EEEEDaS13_S14_EUlS13_E_NS1_11comp_targetILNS1_3genE3ELNS1_11target_archE908ELNS1_3gpuE7ELNS1_3repE0EEENS1_30default_config_static_selectorELNS0_4arch9wavefront6targetE0EEEvT1_
; %bb.0:
	.section	.rodata,"a",@progbits
	.p2align	6, 0x0
	.amdhsa_kernel _ZN7rocprim17ROCPRIM_400000_NS6detail17trampoline_kernelINS0_14default_configENS1_25partition_config_selectorILNS1_17partition_subalgoE9EttbEEZZNS1_14partition_implILS5_9ELb0ES3_jN6thrust23THRUST_200600_302600_NS6detail15normal_iteratorINS9_10device_ptrItEEEESE_PNS0_10empty_typeENS0_5tupleIJSE_SF_EEENSH_IJSE_SG_EEENS0_18inequality_wrapperINS9_8equal_toItEEEEPmJSF_EEE10hipError_tPvRmT3_T4_T5_T6_T7_T9_mT8_P12ihipStream_tbDpT10_ENKUlT_T0_E_clISt17integral_constantIbLb0EES17_IbLb1EEEEDaS13_S14_EUlS13_E_NS1_11comp_targetILNS1_3genE3ELNS1_11target_archE908ELNS1_3gpuE7ELNS1_3repE0EEENS1_30default_config_static_selectorELNS0_4arch9wavefront6targetE0EEEvT1_
		.amdhsa_group_segment_fixed_size 0
		.amdhsa_private_segment_fixed_size 0
		.amdhsa_kernarg_size 128
		.amdhsa_user_sgpr_count 15
		.amdhsa_user_sgpr_dispatch_ptr 0
		.amdhsa_user_sgpr_queue_ptr 0
		.amdhsa_user_sgpr_kernarg_segment_ptr 1
		.amdhsa_user_sgpr_dispatch_id 0
		.amdhsa_user_sgpr_private_segment_size 0
		.amdhsa_wavefront_size32 1
		.amdhsa_uses_dynamic_stack 0
		.amdhsa_enable_private_segment 0
		.amdhsa_system_sgpr_workgroup_id_x 1
		.amdhsa_system_sgpr_workgroup_id_y 0
		.amdhsa_system_sgpr_workgroup_id_z 0
		.amdhsa_system_sgpr_workgroup_info 0
		.amdhsa_system_vgpr_workitem_id 0
		.amdhsa_next_free_vgpr 1
		.amdhsa_next_free_sgpr 1
		.amdhsa_reserve_vcc 0
		.amdhsa_float_round_mode_32 0
		.amdhsa_float_round_mode_16_64 0
		.amdhsa_float_denorm_mode_32 3
		.amdhsa_float_denorm_mode_16_64 3
		.amdhsa_dx10_clamp 1
		.amdhsa_ieee_mode 1
		.amdhsa_fp16_overflow 0
		.amdhsa_workgroup_processor_mode 1
		.amdhsa_memory_ordered 1
		.amdhsa_forward_progress 0
		.amdhsa_shared_vgpr_count 0
		.amdhsa_exception_fp_ieee_invalid_op 0
		.amdhsa_exception_fp_denorm_src 0
		.amdhsa_exception_fp_ieee_div_zero 0
		.amdhsa_exception_fp_ieee_overflow 0
		.amdhsa_exception_fp_ieee_underflow 0
		.amdhsa_exception_fp_ieee_inexact 0
		.amdhsa_exception_int_div_zero 0
	.end_amdhsa_kernel
	.section	.text._ZN7rocprim17ROCPRIM_400000_NS6detail17trampoline_kernelINS0_14default_configENS1_25partition_config_selectorILNS1_17partition_subalgoE9EttbEEZZNS1_14partition_implILS5_9ELb0ES3_jN6thrust23THRUST_200600_302600_NS6detail15normal_iteratorINS9_10device_ptrItEEEESE_PNS0_10empty_typeENS0_5tupleIJSE_SF_EEENSH_IJSE_SG_EEENS0_18inequality_wrapperINS9_8equal_toItEEEEPmJSF_EEE10hipError_tPvRmT3_T4_T5_T6_T7_T9_mT8_P12ihipStream_tbDpT10_ENKUlT_T0_E_clISt17integral_constantIbLb0EES17_IbLb1EEEEDaS13_S14_EUlS13_E_NS1_11comp_targetILNS1_3genE3ELNS1_11target_archE908ELNS1_3gpuE7ELNS1_3repE0EEENS1_30default_config_static_selectorELNS0_4arch9wavefront6targetE0EEEvT1_,"axG",@progbits,_ZN7rocprim17ROCPRIM_400000_NS6detail17trampoline_kernelINS0_14default_configENS1_25partition_config_selectorILNS1_17partition_subalgoE9EttbEEZZNS1_14partition_implILS5_9ELb0ES3_jN6thrust23THRUST_200600_302600_NS6detail15normal_iteratorINS9_10device_ptrItEEEESE_PNS0_10empty_typeENS0_5tupleIJSE_SF_EEENSH_IJSE_SG_EEENS0_18inequality_wrapperINS9_8equal_toItEEEEPmJSF_EEE10hipError_tPvRmT3_T4_T5_T6_T7_T9_mT8_P12ihipStream_tbDpT10_ENKUlT_T0_E_clISt17integral_constantIbLb0EES17_IbLb1EEEEDaS13_S14_EUlS13_E_NS1_11comp_targetILNS1_3genE3ELNS1_11target_archE908ELNS1_3gpuE7ELNS1_3repE0EEENS1_30default_config_static_selectorELNS0_4arch9wavefront6targetE0EEEvT1_,comdat
.Lfunc_end302:
	.size	_ZN7rocprim17ROCPRIM_400000_NS6detail17trampoline_kernelINS0_14default_configENS1_25partition_config_selectorILNS1_17partition_subalgoE9EttbEEZZNS1_14partition_implILS5_9ELb0ES3_jN6thrust23THRUST_200600_302600_NS6detail15normal_iteratorINS9_10device_ptrItEEEESE_PNS0_10empty_typeENS0_5tupleIJSE_SF_EEENSH_IJSE_SG_EEENS0_18inequality_wrapperINS9_8equal_toItEEEEPmJSF_EEE10hipError_tPvRmT3_T4_T5_T6_T7_T9_mT8_P12ihipStream_tbDpT10_ENKUlT_T0_E_clISt17integral_constantIbLb0EES17_IbLb1EEEEDaS13_S14_EUlS13_E_NS1_11comp_targetILNS1_3genE3ELNS1_11target_archE908ELNS1_3gpuE7ELNS1_3repE0EEENS1_30default_config_static_selectorELNS0_4arch9wavefront6targetE0EEEvT1_, .Lfunc_end302-_ZN7rocprim17ROCPRIM_400000_NS6detail17trampoline_kernelINS0_14default_configENS1_25partition_config_selectorILNS1_17partition_subalgoE9EttbEEZZNS1_14partition_implILS5_9ELb0ES3_jN6thrust23THRUST_200600_302600_NS6detail15normal_iteratorINS9_10device_ptrItEEEESE_PNS0_10empty_typeENS0_5tupleIJSE_SF_EEENSH_IJSE_SG_EEENS0_18inequality_wrapperINS9_8equal_toItEEEEPmJSF_EEE10hipError_tPvRmT3_T4_T5_T6_T7_T9_mT8_P12ihipStream_tbDpT10_ENKUlT_T0_E_clISt17integral_constantIbLb0EES17_IbLb1EEEEDaS13_S14_EUlS13_E_NS1_11comp_targetILNS1_3genE3ELNS1_11target_archE908ELNS1_3gpuE7ELNS1_3repE0EEENS1_30default_config_static_selectorELNS0_4arch9wavefront6targetE0EEEvT1_
                                        ; -- End function
	.section	.AMDGPU.csdata,"",@progbits
; Kernel info:
; codeLenInByte = 0
; NumSgprs: 0
; NumVgprs: 0
; ScratchSize: 0
; MemoryBound: 0
; FloatMode: 240
; IeeeMode: 1
; LDSByteSize: 0 bytes/workgroup (compile time only)
; SGPRBlocks: 0
; VGPRBlocks: 0
; NumSGPRsForWavesPerEU: 1
; NumVGPRsForWavesPerEU: 1
; Occupancy: 16
; WaveLimiterHint : 0
; COMPUTE_PGM_RSRC2:SCRATCH_EN: 0
; COMPUTE_PGM_RSRC2:USER_SGPR: 15
; COMPUTE_PGM_RSRC2:TRAP_HANDLER: 0
; COMPUTE_PGM_RSRC2:TGID_X_EN: 1
; COMPUTE_PGM_RSRC2:TGID_Y_EN: 0
; COMPUTE_PGM_RSRC2:TGID_Z_EN: 0
; COMPUTE_PGM_RSRC2:TIDIG_COMP_CNT: 0
	.section	.text._ZN7rocprim17ROCPRIM_400000_NS6detail17trampoline_kernelINS0_14default_configENS1_25partition_config_selectorILNS1_17partition_subalgoE9EttbEEZZNS1_14partition_implILS5_9ELb0ES3_jN6thrust23THRUST_200600_302600_NS6detail15normal_iteratorINS9_10device_ptrItEEEESE_PNS0_10empty_typeENS0_5tupleIJSE_SF_EEENSH_IJSE_SG_EEENS0_18inequality_wrapperINS9_8equal_toItEEEEPmJSF_EEE10hipError_tPvRmT3_T4_T5_T6_T7_T9_mT8_P12ihipStream_tbDpT10_ENKUlT_T0_E_clISt17integral_constantIbLb0EES17_IbLb1EEEEDaS13_S14_EUlS13_E_NS1_11comp_targetILNS1_3genE2ELNS1_11target_archE906ELNS1_3gpuE6ELNS1_3repE0EEENS1_30default_config_static_selectorELNS0_4arch9wavefront6targetE0EEEvT1_,"axG",@progbits,_ZN7rocprim17ROCPRIM_400000_NS6detail17trampoline_kernelINS0_14default_configENS1_25partition_config_selectorILNS1_17partition_subalgoE9EttbEEZZNS1_14partition_implILS5_9ELb0ES3_jN6thrust23THRUST_200600_302600_NS6detail15normal_iteratorINS9_10device_ptrItEEEESE_PNS0_10empty_typeENS0_5tupleIJSE_SF_EEENSH_IJSE_SG_EEENS0_18inequality_wrapperINS9_8equal_toItEEEEPmJSF_EEE10hipError_tPvRmT3_T4_T5_T6_T7_T9_mT8_P12ihipStream_tbDpT10_ENKUlT_T0_E_clISt17integral_constantIbLb0EES17_IbLb1EEEEDaS13_S14_EUlS13_E_NS1_11comp_targetILNS1_3genE2ELNS1_11target_archE906ELNS1_3gpuE6ELNS1_3repE0EEENS1_30default_config_static_selectorELNS0_4arch9wavefront6targetE0EEEvT1_,comdat
	.protected	_ZN7rocprim17ROCPRIM_400000_NS6detail17trampoline_kernelINS0_14default_configENS1_25partition_config_selectorILNS1_17partition_subalgoE9EttbEEZZNS1_14partition_implILS5_9ELb0ES3_jN6thrust23THRUST_200600_302600_NS6detail15normal_iteratorINS9_10device_ptrItEEEESE_PNS0_10empty_typeENS0_5tupleIJSE_SF_EEENSH_IJSE_SG_EEENS0_18inequality_wrapperINS9_8equal_toItEEEEPmJSF_EEE10hipError_tPvRmT3_T4_T5_T6_T7_T9_mT8_P12ihipStream_tbDpT10_ENKUlT_T0_E_clISt17integral_constantIbLb0EES17_IbLb1EEEEDaS13_S14_EUlS13_E_NS1_11comp_targetILNS1_3genE2ELNS1_11target_archE906ELNS1_3gpuE6ELNS1_3repE0EEENS1_30default_config_static_selectorELNS0_4arch9wavefront6targetE0EEEvT1_ ; -- Begin function _ZN7rocprim17ROCPRIM_400000_NS6detail17trampoline_kernelINS0_14default_configENS1_25partition_config_selectorILNS1_17partition_subalgoE9EttbEEZZNS1_14partition_implILS5_9ELb0ES3_jN6thrust23THRUST_200600_302600_NS6detail15normal_iteratorINS9_10device_ptrItEEEESE_PNS0_10empty_typeENS0_5tupleIJSE_SF_EEENSH_IJSE_SG_EEENS0_18inequality_wrapperINS9_8equal_toItEEEEPmJSF_EEE10hipError_tPvRmT3_T4_T5_T6_T7_T9_mT8_P12ihipStream_tbDpT10_ENKUlT_T0_E_clISt17integral_constantIbLb0EES17_IbLb1EEEEDaS13_S14_EUlS13_E_NS1_11comp_targetILNS1_3genE2ELNS1_11target_archE906ELNS1_3gpuE6ELNS1_3repE0EEENS1_30default_config_static_selectorELNS0_4arch9wavefront6targetE0EEEvT1_
	.globl	_ZN7rocprim17ROCPRIM_400000_NS6detail17trampoline_kernelINS0_14default_configENS1_25partition_config_selectorILNS1_17partition_subalgoE9EttbEEZZNS1_14partition_implILS5_9ELb0ES3_jN6thrust23THRUST_200600_302600_NS6detail15normal_iteratorINS9_10device_ptrItEEEESE_PNS0_10empty_typeENS0_5tupleIJSE_SF_EEENSH_IJSE_SG_EEENS0_18inequality_wrapperINS9_8equal_toItEEEEPmJSF_EEE10hipError_tPvRmT3_T4_T5_T6_T7_T9_mT8_P12ihipStream_tbDpT10_ENKUlT_T0_E_clISt17integral_constantIbLb0EES17_IbLb1EEEEDaS13_S14_EUlS13_E_NS1_11comp_targetILNS1_3genE2ELNS1_11target_archE906ELNS1_3gpuE6ELNS1_3repE0EEENS1_30default_config_static_selectorELNS0_4arch9wavefront6targetE0EEEvT1_
	.p2align	8
	.type	_ZN7rocprim17ROCPRIM_400000_NS6detail17trampoline_kernelINS0_14default_configENS1_25partition_config_selectorILNS1_17partition_subalgoE9EttbEEZZNS1_14partition_implILS5_9ELb0ES3_jN6thrust23THRUST_200600_302600_NS6detail15normal_iteratorINS9_10device_ptrItEEEESE_PNS0_10empty_typeENS0_5tupleIJSE_SF_EEENSH_IJSE_SG_EEENS0_18inequality_wrapperINS9_8equal_toItEEEEPmJSF_EEE10hipError_tPvRmT3_T4_T5_T6_T7_T9_mT8_P12ihipStream_tbDpT10_ENKUlT_T0_E_clISt17integral_constantIbLb0EES17_IbLb1EEEEDaS13_S14_EUlS13_E_NS1_11comp_targetILNS1_3genE2ELNS1_11target_archE906ELNS1_3gpuE6ELNS1_3repE0EEENS1_30default_config_static_selectorELNS0_4arch9wavefront6targetE0EEEvT1_,@function
_ZN7rocprim17ROCPRIM_400000_NS6detail17trampoline_kernelINS0_14default_configENS1_25partition_config_selectorILNS1_17partition_subalgoE9EttbEEZZNS1_14partition_implILS5_9ELb0ES3_jN6thrust23THRUST_200600_302600_NS6detail15normal_iteratorINS9_10device_ptrItEEEESE_PNS0_10empty_typeENS0_5tupleIJSE_SF_EEENSH_IJSE_SG_EEENS0_18inequality_wrapperINS9_8equal_toItEEEEPmJSF_EEE10hipError_tPvRmT3_T4_T5_T6_T7_T9_mT8_P12ihipStream_tbDpT10_ENKUlT_T0_E_clISt17integral_constantIbLb0EES17_IbLb1EEEEDaS13_S14_EUlS13_E_NS1_11comp_targetILNS1_3genE2ELNS1_11target_archE906ELNS1_3gpuE6ELNS1_3repE0EEENS1_30default_config_static_selectorELNS0_4arch9wavefront6targetE0EEEvT1_: ; @_ZN7rocprim17ROCPRIM_400000_NS6detail17trampoline_kernelINS0_14default_configENS1_25partition_config_selectorILNS1_17partition_subalgoE9EttbEEZZNS1_14partition_implILS5_9ELb0ES3_jN6thrust23THRUST_200600_302600_NS6detail15normal_iteratorINS9_10device_ptrItEEEESE_PNS0_10empty_typeENS0_5tupleIJSE_SF_EEENSH_IJSE_SG_EEENS0_18inequality_wrapperINS9_8equal_toItEEEEPmJSF_EEE10hipError_tPvRmT3_T4_T5_T6_T7_T9_mT8_P12ihipStream_tbDpT10_ENKUlT_T0_E_clISt17integral_constantIbLb0EES17_IbLb1EEEEDaS13_S14_EUlS13_E_NS1_11comp_targetILNS1_3genE2ELNS1_11target_archE906ELNS1_3gpuE6ELNS1_3repE0EEENS1_30default_config_static_selectorELNS0_4arch9wavefront6targetE0EEEvT1_
; %bb.0:
	.section	.rodata,"a",@progbits
	.p2align	6, 0x0
	.amdhsa_kernel _ZN7rocprim17ROCPRIM_400000_NS6detail17trampoline_kernelINS0_14default_configENS1_25partition_config_selectorILNS1_17partition_subalgoE9EttbEEZZNS1_14partition_implILS5_9ELb0ES3_jN6thrust23THRUST_200600_302600_NS6detail15normal_iteratorINS9_10device_ptrItEEEESE_PNS0_10empty_typeENS0_5tupleIJSE_SF_EEENSH_IJSE_SG_EEENS0_18inequality_wrapperINS9_8equal_toItEEEEPmJSF_EEE10hipError_tPvRmT3_T4_T5_T6_T7_T9_mT8_P12ihipStream_tbDpT10_ENKUlT_T0_E_clISt17integral_constantIbLb0EES17_IbLb1EEEEDaS13_S14_EUlS13_E_NS1_11comp_targetILNS1_3genE2ELNS1_11target_archE906ELNS1_3gpuE6ELNS1_3repE0EEENS1_30default_config_static_selectorELNS0_4arch9wavefront6targetE0EEEvT1_
		.amdhsa_group_segment_fixed_size 0
		.amdhsa_private_segment_fixed_size 0
		.amdhsa_kernarg_size 128
		.amdhsa_user_sgpr_count 15
		.amdhsa_user_sgpr_dispatch_ptr 0
		.amdhsa_user_sgpr_queue_ptr 0
		.amdhsa_user_sgpr_kernarg_segment_ptr 1
		.amdhsa_user_sgpr_dispatch_id 0
		.amdhsa_user_sgpr_private_segment_size 0
		.amdhsa_wavefront_size32 1
		.amdhsa_uses_dynamic_stack 0
		.amdhsa_enable_private_segment 0
		.amdhsa_system_sgpr_workgroup_id_x 1
		.amdhsa_system_sgpr_workgroup_id_y 0
		.amdhsa_system_sgpr_workgroup_id_z 0
		.amdhsa_system_sgpr_workgroup_info 0
		.amdhsa_system_vgpr_workitem_id 0
		.amdhsa_next_free_vgpr 1
		.amdhsa_next_free_sgpr 1
		.amdhsa_reserve_vcc 0
		.amdhsa_float_round_mode_32 0
		.amdhsa_float_round_mode_16_64 0
		.amdhsa_float_denorm_mode_32 3
		.amdhsa_float_denorm_mode_16_64 3
		.amdhsa_dx10_clamp 1
		.amdhsa_ieee_mode 1
		.amdhsa_fp16_overflow 0
		.amdhsa_workgroup_processor_mode 1
		.amdhsa_memory_ordered 1
		.amdhsa_forward_progress 0
		.amdhsa_shared_vgpr_count 0
		.amdhsa_exception_fp_ieee_invalid_op 0
		.amdhsa_exception_fp_denorm_src 0
		.amdhsa_exception_fp_ieee_div_zero 0
		.amdhsa_exception_fp_ieee_overflow 0
		.amdhsa_exception_fp_ieee_underflow 0
		.amdhsa_exception_fp_ieee_inexact 0
		.amdhsa_exception_int_div_zero 0
	.end_amdhsa_kernel
	.section	.text._ZN7rocprim17ROCPRIM_400000_NS6detail17trampoline_kernelINS0_14default_configENS1_25partition_config_selectorILNS1_17partition_subalgoE9EttbEEZZNS1_14partition_implILS5_9ELb0ES3_jN6thrust23THRUST_200600_302600_NS6detail15normal_iteratorINS9_10device_ptrItEEEESE_PNS0_10empty_typeENS0_5tupleIJSE_SF_EEENSH_IJSE_SG_EEENS0_18inequality_wrapperINS9_8equal_toItEEEEPmJSF_EEE10hipError_tPvRmT3_T4_T5_T6_T7_T9_mT8_P12ihipStream_tbDpT10_ENKUlT_T0_E_clISt17integral_constantIbLb0EES17_IbLb1EEEEDaS13_S14_EUlS13_E_NS1_11comp_targetILNS1_3genE2ELNS1_11target_archE906ELNS1_3gpuE6ELNS1_3repE0EEENS1_30default_config_static_selectorELNS0_4arch9wavefront6targetE0EEEvT1_,"axG",@progbits,_ZN7rocprim17ROCPRIM_400000_NS6detail17trampoline_kernelINS0_14default_configENS1_25partition_config_selectorILNS1_17partition_subalgoE9EttbEEZZNS1_14partition_implILS5_9ELb0ES3_jN6thrust23THRUST_200600_302600_NS6detail15normal_iteratorINS9_10device_ptrItEEEESE_PNS0_10empty_typeENS0_5tupleIJSE_SF_EEENSH_IJSE_SG_EEENS0_18inequality_wrapperINS9_8equal_toItEEEEPmJSF_EEE10hipError_tPvRmT3_T4_T5_T6_T7_T9_mT8_P12ihipStream_tbDpT10_ENKUlT_T0_E_clISt17integral_constantIbLb0EES17_IbLb1EEEEDaS13_S14_EUlS13_E_NS1_11comp_targetILNS1_3genE2ELNS1_11target_archE906ELNS1_3gpuE6ELNS1_3repE0EEENS1_30default_config_static_selectorELNS0_4arch9wavefront6targetE0EEEvT1_,comdat
.Lfunc_end303:
	.size	_ZN7rocprim17ROCPRIM_400000_NS6detail17trampoline_kernelINS0_14default_configENS1_25partition_config_selectorILNS1_17partition_subalgoE9EttbEEZZNS1_14partition_implILS5_9ELb0ES3_jN6thrust23THRUST_200600_302600_NS6detail15normal_iteratorINS9_10device_ptrItEEEESE_PNS0_10empty_typeENS0_5tupleIJSE_SF_EEENSH_IJSE_SG_EEENS0_18inequality_wrapperINS9_8equal_toItEEEEPmJSF_EEE10hipError_tPvRmT3_T4_T5_T6_T7_T9_mT8_P12ihipStream_tbDpT10_ENKUlT_T0_E_clISt17integral_constantIbLb0EES17_IbLb1EEEEDaS13_S14_EUlS13_E_NS1_11comp_targetILNS1_3genE2ELNS1_11target_archE906ELNS1_3gpuE6ELNS1_3repE0EEENS1_30default_config_static_selectorELNS0_4arch9wavefront6targetE0EEEvT1_, .Lfunc_end303-_ZN7rocprim17ROCPRIM_400000_NS6detail17trampoline_kernelINS0_14default_configENS1_25partition_config_selectorILNS1_17partition_subalgoE9EttbEEZZNS1_14partition_implILS5_9ELb0ES3_jN6thrust23THRUST_200600_302600_NS6detail15normal_iteratorINS9_10device_ptrItEEEESE_PNS0_10empty_typeENS0_5tupleIJSE_SF_EEENSH_IJSE_SG_EEENS0_18inequality_wrapperINS9_8equal_toItEEEEPmJSF_EEE10hipError_tPvRmT3_T4_T5_T6_T7_T9_mT8_P12ihipStream_tbDpT10_ENKUlT_T0_E_clISt17integral_constantIbLb0EES17_IbLb1EEEEDaS13_S14_EUlS13_E_NS1_11comp_targetILNS1_3genE2ELNS1_11target_archE906ELNS1_3gpuE6ELNS1_3repE0EEENS1_30default_config_static_selectorELNS0_4arch9wavefront6targetE0EEEvT1_
                                        ; -- End function
	.section	.AMDGPU.csdata,"",@progbits
; Kernel info:
; codeLenInByte = 0
; NumSgprs: 0
; NumVgprs: 0
; ScratchSize: 0
; MemoryBound: 0
; FloatMode: 240
; IeeeMode: 1
; LDSByteSize: 0 bytes/workgroup (compile time only)
; SGPRBlocks: 0
; VGPRBlocks: 0
; NumSGPRsForWavesPerEU: 1
; NumVGPRsForWavesPerEU: 1
; Occupancy: 16
; WaveLimiterHint : 0
; COMPUTE_PGM_RSRC2:SCRATCH_EN: 0
; COMPUTE_PGM_RSRC2:USER_SGPR: 15
; COMPUTE_PGM_RSRC2:TRAP_HANDLER: 0
; COMPUTE_PGM_RSRC2:TGID_X_EN: 1
; COMPUTE_PGM_RSRC2:TGID_Y_EN: 0
; COMPUTE_PGM_RSRC2:TGID_Z_EN: 0
; COMPUTE_PGM_RSRC2:TIDIG_COMP_CNT: 0
	.section	.text._ZN7rocprim17ROCPRIM_400000_NS6detail17trampoline_kernelINS0_14default_configENS1_25partition_config_selectorILNS1_17partition_subalgoE9EttbEEZZNS1_14partition_implILS5_9ELb0ES3_jN6thrust23THRUST_200600_302600_NS6detail15normal_iteratorINS9_10device_ptrItEEEESE_PNS0_10empty_typeENS0_5tupleIJSE_SF_EEENSH_IJSE_SG_EEENS0_18inequality_wrapperINS9_8equal_toItEEEEPmJSF_EEE10hipError_tPvRmT3_T4_T5_T6_T7_T9_mT8_P12ihipStream_tbDpT10_ENKUlT_T0_E_clISt17integral_constantIbLb0EES17_IbLb1EEEEDaS13_S14_EUlS13_E_NS1_11comp_targetILNS1_3genE10ELNS1_11target_archE1200ELNS1_3gpuE4ELNS1_3repE0EEENS1_30default_config_static_selectorELNS0_4arch9wavefront6targetE0EEEvT1_,"axG",@progbits,_ZN7rocprim17ROCPRIM_400000_NS6detail17trampoline_kernelINS0_14default_configENS1_25partition_config_selectorILNS1_17partition_subalgoE9EttbEEZZNS1_14partition_implILS5_9ELb0ES3_jN6thrust23THRUST_200600_302600_NS6detail15normal_iteratorINS9_10device_ptrItEEEESE_PNS0_10empty_typeENS0_5tupleIJSE_SF_EEENSH_IJSE_SG_EEENS0_18inequality_wrapperINS9_8equal_toItEEEEPmJSF_EEE10hipError_tPvRmT3_T4_T5_T6_T7_T9_mT8_P12ihipStream_tbDpT10_ENKUlT_T0_E_clISt17integral_constantIbLb0EES17_IbLb1EEEEDaS13_S14_EUlS13_E_NS1_11comp_targetILNS1_3genE10ELNS1_11target_archE1200ELNS1_3gpuE4ELNS1_3repE0EEENS1_30default_config_static_selectorELNS0_4arch9wavefront6targetE0EEEvT1_,comdat
	.protected	_ZN7rocprim17ROCPRIM_400000_NS6detail17trampoline_kernelINS0_14default_configENS1_25partition_config_selectorILNS1_17partition_subalgoE9EttbEEZZNS1_14partition_implILS5_9ELb0ES3_jN6thrust23THRUST_200600_302600_NS6detail15normal_iteratorINS9_10device_ptrItEEEESE_PNS0_10empty_typeENS0_5tupleIJSE_SF_EEENSH_IJSE_SG_EEENS0_18inequality_wrapperINS9_8equal_toItEEEEPmJSF_EEE10hipError_tPvRmT3_T4_T5_T6_T7_T9_mT8_P12ihipStream_tbDpT10_ENKUlT_T0_E_clISt17integral_constantIbLb0EES17_IbLb1EEEEDaS13_S14_EUlS13_E_NS1_11comp_targetILNS1_3genE10ELNS1_11target_archE1200ELNS1_3gpuE4ELNS1_3repE0EEENS1_30default_config_static_selectorELNS0_4arch9wavefront6targetE0EEEvT1_ ; -- Begin function _ZN7rocprim17ROCPRIM_400000_NS6detail17trampoline_kernelINS0_14default_configENS1_25partition_config_selectorILNS1_17partition_subalgoE9EttbEEZZNS1_14partition_implILS5_9ELb0ES3_jN6thrust23THRUST_200600_302600_NS6detail15normal_iteratorINS9_10device_ptrItEEEESE_PNS0_10empty_typeENS0_5tupleIJSE_SF_EEENSH_IJSE_SG_EEENS0_18inequality_wrapperINS9_8equal_toItEEEEPmJSF_EEE10hipError_tPvRmT3_T4_T5_T6_T7_T9_mT8_P12ihipStream_tbDpT10_ENKUlT_T0_E_clISt17integral_constantIbLb0EES17_IbLb1EEEEDaS13_S14_EUlS13_E_NS1_11comp_targetILNS1_3genE10ELNS1_11target_archE1200ELNS1_3gpuE4ELNS1_3repE0EEENS1_30default_config_static_selectorELNS0_4arch9wavefront6targetE0EEEvT1_
	.globl	_ZN7rocprim17ROCPRIM_400000_NS6detail17trampoline_kernelINS0_14default_configENS1_25partition_config_selectorILNS1_17partition_subalgoE9EttbEEZZNS1_14partition_implILS5_9ELb0ES3_jN6thrust23THRUST_200600_302600_NS6detail15normal_iteratorINS9_10device_ptrItEEEESE_PNS0_10empty_typeENS0_5tupleIJSE_SF_EEENSH_IJSE_SG_EEENS0_18inequality_wrapperINS9_8equal_toItEEEEPmJSF_EEE10hipError_tPvRmT3_T4_T5_T6_T7_T9_mT8_P12ihipStream_tbDpT10_ENKUlT_T0_E_clISt17integral_constantIbLb0EES17_IbLb1EEEEDaS13_S14_EUlS13_E_NS1_11comp_targetILNS1_3genE10ELNS1_11target_archE1200ELNS1_3gpuE4ELNS1_3repE0EEENS1_30default_config_static_selectorELNS0_4arch9wavefront6targetE0EEEvT1_
	.p2align	8
	.type	_ZN7rocprim17ROCPRIM_400000_NS6detail17trampoline_kernelINS0_14default_configENS1_25partition_config_selectorILNS1_17partition_subalgoE9EttbEEZZNS1_14partition_implILS5_9ELb0ES3_jN6thrust23THRUST_200600_302600_NS6detail15normal_iteratorINS9_10device_ptrItEEEESE_PNS0_10empty_typeENS0_5tupleIJSE_SF_EEENSH_IJSE_SG_EEENS0_18inequality_wrapperINS9_8equal_toItEEEEPmJSF_EEE10hipError_tPvRmT3_T4_T5_T6_T7_T9_mT8_P12ihipStream_tbDpT10_ENKUlT_T0_E_clISt17integral_constantIbLb0EES17_IbLb1EEEEDaS13_S14_EUlS13_E_NS1_11comp_targetILNS1_3genE10ELNS1_11target_archE1200ELNS1_3gpuE4ELNS1_3repE0EEENS1_30default_config_static_selectorELNS0_4arch9wavefront6targetE0EEEvT1_,@function
_ZN7rocprim17ROCPRIM_400000_NS6detail17trampoline_kernelINS0_14default_configENS1_25partition_config_selectorILNS1_17partition_subalgoE9EttbEEZZNS1_14partition_implILS5_9ELb0ES3_jN6thrust23THRUST_200600_302600_NS6detail15normal_iteratorINS9_10device_ptrItEEEESE_PNS0_10empty_typeENS0_5tupleIJSE_SF_EEENSH_IJSE_SG_EEENS0_18inequality_wrapperINS9_8equal_toItEEEEPmJSF_EEE10hipError_tPvRmT3_T4_T5_T6_T7_T9_mT8_P12ihipStream_tbDpT10_ENKUlT_T0_E_clISt17integral_constantIbLb0EES17_IbLb1EEEEDaS13_S14_EUlS13_E_NS1_11comp_targetILNS1_3genE10ELNS1_11target_archE1200ELNS1_3gpuE4ELNS1_3repE0EEENS1_30default_config_static_selectorELNS0_4arch9wavefront6targetE0EEEvT1_: ; @_ZN7rocprim17ROCPRIM_400000_NS6detail17trampoline_kernelINS0_14default_configENS1_25partition_config_selectorILNS1_17partition_subalgoE9EttbEEZZNS1_14partition_implILS5_9ELb0ES3_jN6thrust23THRUST_200600_302600_NS6detail15normal_iteratorINS9_10device_ptrItEEEESE_PNS0_10empty_typeENS0_5tupleIJSE_SF_EEENSH_IJSE_SG_EEENS0_18inequality_wrapperINS9_8equal_toItEEEEPmJSF_EEE10hipError_tPvRmT3_T4_T5_T6_T7_T9_mT8_P12ihipStream_tbDpT10_ENKUlT_T0_E_clISt17integral_constantIbLb0EES17_IbLb1EEEEDaS13_S14_EUlS13_E_NS1_11comp_targetILNS1_3genE10ELNS1_11target_archE1200ELNS1_3gpuE4ELNS1_3repE0EEENS1_30default_config_static_selectorELNS0_4arch9wavefront6targetE0EEEvT1_
; %bb.0:
	.section	.rodata,"a",@progbits
	.p2align	6, 0x0
	.amdhsa_kernel _ZN7rocprim17ROCPRIM_400000_NS6detail17trampoline_kernelINS0_14default_configENS1_25partition_config_selectorILNS1_17partition_subalgoE9EttbEEZZNS1_14partition_implILS5_9ELb0ES3_jN6thrust23THRUST_200600_302600_NS6detail15normal_iteratorINS9_10device_ptrItEEEESE_PNS0_10empty_typeENS0_5tupleIJSE_SF_EEENSH_IJSE_SG_EEENS0_18inequality_wrapperINS9_8equal_toItEEEEPmJSF_EEE10hipError_tPvRmT3_T4_T5_T6_T7_T9_mT8_P12ihipStream_tbDpT10_ENKUlT_T0_E_clISt17integral_constantIbLb0EES17_IbLb1EEEEDaS13_S14_EUlS13_E_NS1_11comp_targetILNS1_3genE10ELNS1_11target_archE1200ELNS1_3gpuE4ELNS1_3repE0EEENS1_30default_config_static_selectorELNS0_4arch9wavefront6targetE0EEEvT1_
		.amdhsa_group_segment_fixed_size 0
		.amdhsa_private_segment_fixed_size 0
		.amdhsa_kernarg_size 128
		.amdhsa_user_sgpr_count 15
		.amdhsa_user_sgpr_dispatch_ptr 0
		.amdhsa_user_sgpr_queue_ptr 0
		.amdhsa_user_sgpr_kernarg_segment_ptr 1
		.amdhsa_user_sgpr_dispatch_id 0
		.amdhsa_user_sgpr_private_segment_size 0
		.amdhsa_wavefront_size32 1
		.amdhsa_uses_dynamic_stack 0
		.amdhsa_enable_private_segment 0
		.amdhsa_system_sgpr_workgroup_id_x 1
		.amdhsa_system_sgpr_workgroup_id_y 0
		.amdhsa_system_sgpr_workgroup_id_z 0
		.amdhsa_system_sgpr_workgroup_info 0
		.amdhsa_system_vgpr_workitem_id 0
		.amdhsa_next_free_vgpr 1
		.amdhsa_next_free_sgpr 1
		.amdhsa_reserve_vcc 0
		.amdhsa_float_round_mode_32 0
		.amdhsa_float_round_mode_16_64 0
		.amdhsa_float_denorm_mode_32 3
		.amdhsa_float_denorm_mode_16_64 3
		.amdhsa_dx10_clamp 1
		.amdhsa_ieee_mode 1
		.amdhsa_fp16_overflow 0
		.amdhsa_workgroup_processor_mode 1
		.amdhsa_memory_ordered 1
		.amdhsa_forward_progress 0
		.amdhsa_shared_vgpr_count 0
		.amdhsa_exception_fp_ieee_invalid_op 0
		.amdhsa_exception_fp_denorm_src 0
		.amdhsa_exception_fp_ieee_div_zero 0
		.amdhsa_exception_fp_ieee_overflow 0
		.amdhsa_exception_fp_ieee_underflow 0
		.amdhsa_exception_fp_ieee_inexact 0
		.amdhsa_exception_int_div_zero 0
	.end_amdhsa_kernel
	.section	.text._ZN7rocprim17ROCPRIM_400000_NS6detail17trampoline_kernelINS0_14default_configENS1_25partition_config_selectorILNS1_17partition_subalgoE9EttbEEZZNS1_14partition_implILS5_9ELb0ES3_jN6thrust23THRUST_200600_302600_NS6detail15normal_iteratorINS9_10device_ptrItEEEESE_PNS0_10empty_typeENS0_5tupleIJSE_SF_EEENSH_IJSE_SG_EEENS0_18inequality_wrapperINS9_8equal_toItEEEEPmJSF_EEE10hipError_tPvRmT3_T4_T5_T6_T7_T9_mT8_P12ihipStream_tbDpT10_ENKUlT_T0_E_clISt17integral_constantIbLb0EES17_IbLb1EEEEDaS13_S14_EUlS13_E_NS1_11comp_targetILNS1_3genE10ELNS1_11target_archE1200ELNS1_3gpuE4ELNS1_3repE0EEENS1_30default_config_static_selectorELNS0_4arch9wavefront6targetE0EEEvT1_,"axG",@progbits,_ZN7rocprim17ROCPRIM_400000_NS6detail17trampoline_kernelINS0_14default_configENS1_25partition_config_selectorILNS1_17partition_subalgoE9EttbEEZZNS1_14partition_implILS5_9ELb0ES3_jN6thrust23THRUST_200600_302600_NS6detail15normal_iteratorINS9_10device_ptrItEEEESE_PNS0_10empty_typeENS0_5tupleIJSE_SF_EEENSH_IJSE_SG_EEENS0_18inequality_wrapperINS9_8equal_toItEEEEPmJSF_EEE10hipError_tPvRmT3_T4_T5_T6_T7_T9_mT8_P12ihipStream_tbDpT10_ENKUlT_T0_E_clISt17integral_constantIbLb0EES17_IbLb1EEEEDaS13_S14_EUlS13_E_NS1_11comp_targetILNS1_3genE10ELNS1_11target_archE1200ELNS1_3gpuE4ELNS1_3repE0EEENS1_30default_config_static_selectorELNS0_4arch9wavefront6targetE0EEEvT1_,comdat
.Lfunc_end304:
	.size	_ZN7rocprim17ROCPRIM_400000_NS6detail17trampoline_kernelINS0_14default_configENS1_25partition_config_selectorILNS1_17partition_subalgoE9EttbEEZZNS1_14partition_implILS5_9ELb0ES3_jN6thrust23THRUST_200600_302600_NS6detail15normal_iteratorINS9_10device_ptrItEEEESE_PNS0_10empty_typeENS0_5tupleIJSE_SF_EEENSH_IJSE_SG_EEENS0_18inequality_wrapperINS9_8equal_toItEEEEPmJSF_EEE10hipError_tPvRmT3_T4_T5_T6_T7_T9_mT8_P12ihipStream_tbDpT10_ENKUlT_T0_E_clISt17integral_constantIbLb0EES17_IbLb1EEEEDaS13_S14_EUlS13_E_NS1_11comp_targetILNS1_3genE10ELNS1_11target_archE1200ELNS1_3gpuE4ELNS1_3repE0EEENS1_30default_config_static_selectorELNS0_4arch9wavefront6targetE0EEEvT1_, .Lfunc_end304-_ZN7rocprim17ROCPRIM_400000_NS6detail17trampoline_kernelINS0_14default_configENS1_25partition_config_selectorILNS1_17partition_subalgoE9EttbEEZZNS1_14partition_implILS5_9ELb0ES3_jN6thrust23THRUST_200600_302600_NS6detail15normal_iteratorINS9_10device_ptrItEEEESE_PNS0_10empty_typeENS0_5tupleIJSE_SF_EEENSH_IJSE_SG_EEENS0_18inequality_wrapperINS9_8equal_toItEEEEPmJSF_EEE10hipError_tPvRmT3_T4_T5_T6_T7_T9_mT8_P12ihipStream_tbDpT10_ENKUlT_T0_E_clISt17integral_constantIbLb0EES17_IbLb1EEEEDaS13_S14_EUlS13_E_NS1_11comp_targetILNS1_3genE10ELNS1_11target_archE1200ELNS1_3gpuE4ELNS1_3repE0EEENS1_30default_config_static_selectorELNS0_4arch9wavefront6targetE0EEEvT1_
                                        ; -- End function
	.section	.AMDGPU.csdata,"",@progbits
; Kernel info:
; codeLenInByte = 0
; NumSgprs: 0
; NumVgprs: 0
; ScratchSize: 0
; MemoryBound: 0
; FloatMode: 240
; IeeeMode: 1
; LDSByteSize: 0 bytes/workgroup (compile time only)
; SGPRBlocks: 0
; VGPRBlocks: 0
; NumSGPRsForWavesPerEU: 1
; NumVGPRsForWavesPerEU: 1
; Occupancy: 16
; WaveLimiterHint : 0
; COMPUTE_PGM_RSRC2:SCRATCH_EN: 0
; COMPUTE_PGM_RSRC2:USER_SGPR: 15
; COMPUTE_PGM_RSRC2:TRAP_HANDLER: 0
; COMPUTE_PGM_RSRC2:TGID_X_EN: 1
; COMPUTE_PGM_RSRC2:TGID_Y_EN: 0
; COMPUTE_PGM_RSRC2:TGID_Z_EN: 0
; COMPUTE_PGM_RSRC2:TIDIG_COMP_CNT: 0
	.section	.text._ZN7rocprim17ROCPRIM_400000_NS6detail17trampoline_kernelINS0_14default_configENS1_25partition_config_selectorILNS1_17partition_subalgoE9EttbEEZZNS1_14partition_implILS5_9ELb0ES3_jN6thrust23THRUST_200600_302600_NS6detail15normal_iteratorINS9_10device_ptrItEEEESE_PNS0_10empty_typeENS0_5tupleIJSE_SF_EEENSH_IJSE_SG_EEENS0_18inequality_wrapperINS9_8equal_toItEEEEPmJSF_EEE10hipError_tPvRmT3_T4_T5_T6_T7_T9_mT8_P12ihipStream_tbDpT10_ENKUlT_T0_E_clISt17integral_constantIbLb0EES17_IbLb1EEEEDaS13_S14_EUlS13_E_NS1_11comp_targetILNS1_3genE9ELNS1_11target_archE1100ELNS1_3gpuE3ELNS1_3repE0EEENS1_30default_config_static_selectorELNS0_4arch9wavefront6targetE0EEEvT1_,"axG",@progbits,_ZN7rocprim17ROCPRIM_400000_NS6detail17trampoline_kernelINS0_14default_configENS1_25partition_config_selectorILNS1_17partition_subalgoE9EttbEEZZNS1_14partition_implILS5_9ELb0ES3_jN6thrust23THRUST_200600_302600_NS6detail15normal_iteratorINS9_10device_ptrItEEEESE_PNS0_10empty_typeENS0_5tupleIJSE_SF_EEENSH_IJSE_SG_EEENS0_18inequality_wrapperINS9_8equal_toItEEEEPmJSF_EEE10hipError_tPvRmT3_T4_T5_T6_T7_T9_mT8_P12ihipStream_tbDpT10_ENKUlT_T0_E_clISt17integral_constantIbLb0EES17_IbLb1EEEEDaS13_S14_EUlS13_E_NS1_11comp_targetILNS1_3genE9ELNS1_11target_archE1100ELNS1_3gpuE3ELNS1_3repE0EEENS1_30default_config_static_selectorELNS0_4arch9wavefront6targetE0EEEvT1_,comdat
	.protected	_ZN7rocprim17ROCPRIM_400000_NS6detail17trampoline_kernelINS0_14default_configENS1_25partition_config_selectorILNS1_17partition_subalgoE9EttbEEZZNS1_14partition_implILS5_9ELb0ES3_jN6thrust23THRUST_200600_302600_NS6detail15normal_iteratorINS9_10device_ptrItEEEESE_PNS0_10empty_typeENS0_5tupleIJSE_SF_EEENSH_IJSE_SG_EEENS0_18inequality_wrapperINS9_8equal_toItEEEEPmJSF_EEE10hipError_tPvRmT3_T4_T5_T6_T7_T9_mT8_P12ihipStream_tbDpT10_ENKUlT_T0_E_clISt17integral_constantIbLb0EES17_IbLb1EEEEDaS13_S14_EUlS13_E_NS1_11comp_targetILNS1_3genE9ELNS1_11target_archE1100ELNS1_3gpuE3ELNS1_3repE0EEENS1_30default_config_static_selectorELNS0_4arch9wavefront6targetE0EEEvT1_ ; -- Begin function _ZN7rocprim17ROCPRIM_400000_NS6detail17trampoline_kernelINS0_14default_configENS1_25partition_config_selectorILNS1_17partition_subalgoE9EttbEEZZNS1_14partition_implILS5_9ELb0ES3_jN6thrust23THRUST_200600_302600_NS6detail15normal_iteratorINS9_10device_ptrItEEEESE_PNS0_10empty_typeENS0_5tupleIJSE_SF_EEENSH_IJSE_SG_EEENS0_18inequality_wrapperINS9_8equal_toItEEEEPmJSF_EEE10hipError_tPvRmT3_T4_T5_T6_T7_T9_mT8_P12ihipStream_tbDpT10_ENKUlT_T0_E_clISt17integral_constantIbLb0EES17_IbLb1EEEEDaS13_S14_EUlS13_E_NS1_11comp_targetILNS1_3genE9ELNS1_11target_archE1100ELNS1_3gpuE3ELNS1_3repE0EEENS1_30default_config_static_selectorELNS0_4arch9wavefront6targetE0EEEvT1_
	.globl	_ZN7rocprim17ROCPRIM_400000_NS6detail17trampoline_kernelINS0_14default_configENS1_25partition_config_selectorILNS1_17partition_subalgoE9EttbEEZZNS1_14partition_implILS5_9ELb0ES3_jN6thrust23THRUST_200600_302600_NS6detail15normal_iteratorINS9_10device_ptrItEEEESE_PNS0_10empty_typeENS0_5tupleIJSE_SF_EEENSH_IJSE_SG_EEENS0_18inequality_wrapperINS9_8equal_toItEEEEPmJSF_EEE10hipError_tPvRmT3_T4_T5_T6_T7_T9_mT8_P12ihipStream_tbDpT10_ENKUlT_T0_E_clISt17integral_constantIbLb0EES17_IbLb1EEEEDaS13_S14_EUlS13_E_NS1_11comp_targetILNS1_3genE9ELNS1_11target_archE1100ELNS1_3gpuE3ELNS1_3repE0EEENS1_30default_config_static_selectorELNS0_4arch9wavefront6targetE0EEEvT1_
	.p2align	8
	.type	_ZN7rocprim17ROCPRIM_400000_NS6detail17trampoline_kernelINS0_14default_configENS1_25partition_config_selectorILNS1_17partition_subalgoE9EttbEEZZNS1_14partition_implILS5_9ELb0ES3_jN6thrust23THRUST_200600_302600_NS6detail15normal_iteratorINS9_10device_ptrItEEEESE_PNS0_10empty_typeENS0_5tupleIJSE_SF_EEENSH_IJSE_SG_EEENS0_18inequality_wrapperINS9_8equal_toItEEEEPmJSF_EEE10hipError_tPvRmT3_T4_T5_T6_T7_T9_mT8_P12ihipStream_tbDpT10_ENKUlT_T0_E_clISt17integral_constantIbLb0EES17_IbLb1EEEEDaS13_S14_EUlS13_E_NS1_11comp_targetILNS1_3genE9ELNS1_11target_archE1100ELNS1_3gpuE3ELNS1_3repE0EEENS1_30default_config_static_selectorELNS0_4arch9wavefront6targetE0EEEvT1_,@function
_ZN7rocprim17ROCPRIM_400000_NS6detail17trampoline_kernelINS0_14default_configENS1_25partition_config_selectorILNS1_17partition_subalgoE9EttbEEZZNS1_14partition_implILS5_9ELb0ES3_jN6thrust23THRUST_200600_302600_NS6detail15normal_iteratorINS9_10device_ptrItEEEESE_PNS0_10empty_typeENS0_5tupleIJSE_SF_EEENSH_IJSE_SG_EEENS0_18inequality_wrapperINS9_8equal_toItEEEEPmJSF_EEE10hipError_tPvRmT3_T4_T5_T6_T7_T9_mT8_P12ihipStream_tbDpT10_ENKUlT_T0_E_clISt17integral_constantIbLb0EES17_IbLb1EEEEDaS13_S14_EUlS13_E_NS1_11comp_targetILNS1_3genE9ELNS1_11target_archE1100ELNS1_3gpuE3ELNS1_3repE0EEENS1_30default_config_static_selectorELNS0_4arch9wavefront6targetE0EEEvT1_: ; @_ZN7rocprim17ROCPRIM_400000_NS6detail17trampoline_kernelINS0_14default_configENS1_25partition_config_selectorILNS1_17partition_subalgoE9EttbEEZZNS1_14partition_implILS5_9ELb0ES3_jN6thrust23THRUST_200600_302600_NS6detail15normal_iteratorINS9_10device_ptrItEEEESE_PNS0_10empty_typeENS0_5tupleIJSE_SF_EEENSH_IJSE_SG_EEENS0_18inequality_wrapperINS9_8equal_toItEEEEPmJSF_EEE10hipError_tPvRmT3_T4_T5_T6_T7_T9_mT8_P12ihipStream_tbDpT10_ENKUlT_T0_E_clISt17integral_constantIbLb0EES17_IbLb1EEEEDaS13_S14_EUlS13_E_NS1_11comp_targetILNS1_3genE9ELNS1_11target_archE1100ELNS1_3gpuE3ELNS1_3repE0EEENS1_30default_config_static_selectorELNS0_4arch9wavefront6targetE0EEEvT1_
; %bb.0:
	s_clause 0x4
	s_load_b128 s[4:7], s[0:1], 0x8
	s_load_b64 s[8:9], s[0:1], 0x18
	s_load_b128 s[16:19], s[0:1], 0x40
	s_load_b64 s[12:13], s[0:1], 0x50
	s_load_b64 s[24:25], s[0:1], 0x60
	v_cmp_ne_u32_e64 s3, 0, v0
	v_cmp_eq_u32_e64 s2, 0, v0
	s_delay_alu instid0(VALU_DEP_1)
	s_and_saveexec_b32 s10, s2
	s_cbranch_execz .LBB305_4
; %bb.1:
	s_mov_b32 s14, exec_lo
	s_mov_b32 s11, exec_lo
	v_mbcnt_lo_u32_b32 v1, s14, 0
                                        ; implicit-def: $vgpr2
	s_delay_alu instid0(VALU_DEP_1)
	v_cmpx_eq_u32_e32 0, v1
	s_cbranch_execz .LBB305_3
; %bb.2:
	s_load_b64 s[20:21], s[0:1], 0x70
	s_bcnt1_i32_b32 s14, s14
	s_delay_alu instid0(SALU_CYCLE_1)
	v_dual_mov_b32 v2, 0 :: v_dual_mov_b32 v3, s14
	s_waitcnt lgkmcnt(0)
	global_atomic_add_u32 v2, v2, v3, s[20:21] glc
.LBB305_3:
	s_or_b32 exec_lo, exec_lo, s11
	s_waitcnt vmcnt(0)
	v_readfirstlane_b32 s11, v2
	s_delay_alu instid0(VALU_DEP_1)
	v_dual_mov_b32 v2, 0 :: v_dual_add_nc_u32 v1, s11, v1
	ds_store_b32 v2, v1
.LBB305_4:
	s_or_b32 exec_lo, exec_lo, s10
	v_mov_b32_e32 v1, 0
	s_clause 0x1
	s_load_b128 s[20:23], s[0:1], 0x28
	s_load_b32 s0, s[0:1], 0x68
	s_waitcnt lgkmcnt(0)
	s_barrier
	buffer_gl0_inv
	ds_load_b32 v3, v1
	s_waitcnt lgkmcnt(0)
	s_barrier
	buffer_gl0_inv
	global_load_b64 v[1:2], v1, s[18:19]
	s_lshl_b64 s[10:11], s[6:7], 1
	s_mov_b32 s28, -1
	s_add_u32 s14, s4, s10
	s_addc_u32 s15, s5, s11
	s_mul_i32 s1, s0, 0x600
	s_delay_alu instid0(SALU_CYCLE_1) | instskip(NEXT) | instid1(SALU_CYCLE_1)
	s_add_i32 s4, s1, s6
	s_sub_i32 s26, s12, s4
	s_add_i32 s4, s0, -1
	s_addk_i32 s26, 0x600
	s_add_u32 s0, s6, s1
	v_readfirstlane_b32 s19, v3
	s_addc_u32 s1, s7, 0
	s_delay_alu instid0(SALU_CYCLE_1) | instskip(SKIP_1) | instid1(VALU_DEP_2)
	v_cmp_ge_u64_e64 s5, s[0:1], s[12:13]
	s_mov_b32 s1, 0
	s_cmp_eq_u32 s19, s4
	s_mul_i32 s0, s19, 0x600
	s_cselect_b32 s13, -1, 0
	s_delay_alu instid0(VALU_DEP_1) | instid1(SALU_CYCLE_1)
	s_and_b32 s27, s5, s13
	s_lshl_b64 s[4:5], s[0:1], 1
	s_xor_b32 s18, s27, -1
	s_add_u32 s12, s14, s4
	s_addc_u32 s1, s15, s5
	s_and_b32 vcc_lo, exec_lo, s18
	s_waitcnt vmcnt(0)
	v_readfirstlane_b32 s14, v1
	v_readfirstlane_b32 s15, v2
	s_cbranch_vccz .LBB305_6
; %bb.5:
	v_lshlrev_b32_e32 v3, 1, v0
	s_mov_b32 s28, 0
	s_delay_alu instid0(VALU_DEP_1) | instskip(NEXT) | instid1(VALU_DEP_1)
	v_add_co_u32 v1, s0, s12, v3
	v_add_co_ci_u32_e64 v2, null, s1, 0, s0
	s_clause 0xb
	flat_load_u16 v4, v[1:2]
	flat_load_u16 v5, v[1:2] offset:256
	flat_load_u16 v6, v[1:2] offset:512
	;; [unrolled: 1-line block ×11, first 2 shown]
	s_waitcnt vmcnt(11) lgkmcnt(11)
	ds_store_b16 v3, v4
	s_waitcnt vmcnt(10) lgkmcnt(11)
	ds_store_b16 v3, v5 offset:256
	s_waitcnt vmcnt(9) lgkmcnt(11)
	ds_store_b16 v3, v6 offset:512
	;; [unrolled: 2-line block ×11, first 2 shown]
	s_waitcnt lgkmcnt(0)
	s_barrier
.LBB305_6:
	v_cmp_gt_u32_e64 s0, s26, v0
	s_and_not1_b32 vcc_lo, exec_lo, s28
	s_cbranch_vccnz .LBB305_32
; %bb.7:
                                        ; implicit-def: $vgpr1_vgpr2_vgpr3_vgpr4_vgpr5_vgpr6_vgpr7_vgpr8
	s_delay_alu instid0(VALU_DEP_1)
	s_and_saveexec_b32 s28, s0
	s_cbranch_execz .LBB305_9
; %bb.8:
	v_lshlrev_b32_e32 v1, 1, v0
	s_delay_alu instid0(VALU_DEP_1) | instskip(NEXT) | instid1(VALU_DEP_1)
	v_add_co_u32 v1, s0, s12, v1
	v_add_co_ci_u32_e64 v2, null, s1, 0, s0
	flat_load_d16_b16 v1, v[1:2]
.LBB305_9:
	s_or_b32 exec_lo, exec_lo, s28
	v_or_b32_e32 v7, 0x80, v0
	s_mov_b32 s0, exec_lo
	s_delay_alu instid0(VALU_DEP_1)
	v_cmpx_gt_u32_e64 s26, v7
	s_cbranch_execz .LBB305_11
; %bb.10:
	v_lshlrev_b32_e32 v7, 1, v0
	s_delay_alu instid0(VALU_DEP_1) | instskip(NEXT) | instid1(VALU_DEP_1)
	v_add_co_u32 v7, s28, s12, v7
	v_add_co_ci_u32_e64 v8, null, s1, 0, s28
	s_waitcnt vmcnt(0) lgkmcnt(0)
	flat_load_d16_hi_b16 v1, v[7:8] offset:256
.LBB305_11:
	s_or_b32 exec_lo, exec_lo, s0
	v_or_b32_e32 v7, 0x100, v0
	s_mov_b32 s0, exec_lo
	s_delay_alu instid0(VALU_DEP_1)
	v_cmpx_gt_u32_e64 s26, v7
	s_cbranch_execz .LBB305_13
; %bb.12:
	v_lshlrev_b32_e32 v7, 1, v0
	s_delay_alu instid0(VALU_DEP_1) | instskip(NEXT) | instid1(VALU_DEP_1)
	v_add_co_u32 v7, s28, s12, v7
	v_add_co_ci_u32_e64 v8, null, s1, 0, s28
	flat_load_d16_b16 v2, v[7:8] offset:512
.LBB305_13:
	s_or_b32 exec_lo, exec_lo, s0
	v_or_b32_e32 v7, 0x180, v0
	s_mov_b32 s0, exec_lo
	s_delay_alu instid0(VALU_DEP_1)
	v_cmpx_gt_u32_e64 s26, v7
	s_cbranch_execz .LBB305_15
; %bb.14:
	v_lshlrev_b32_e32 v7, 1, v0
	s_delay_alu instid0(VALU_DEP_1) | instskip(NEXT) | instid1(VALU_DEP_1)
	v_add_co_u32 v7, s28, s12, v7
	v_add_co_ci_u32_e64 v8, null, s1, 0, s28
	s_waitcnt vmcnt(0) lgkmcnt(0)
	flat_load_d16_hi_b16 v2, v[7:8] offset:768
.LBB305_15:
	s_or_b32 exec_lo, exec_lo, s0
	v_or_b32_e32 v7, 0x200, v0
	s_mov_b32 s0, exec_lo
	s_delay_alu instid0(VALU_DEP_1)
	v_cmpx_gt_u32_e64 s26, v7
	s_cbranch_execz .LBB305_17
; %bb.16:
	v_lshlrev_b32_e32 v7, 1, v0
	s_delay_alu instid0(VALU_DEP_1) | instskip(NEXT) | instid1(VALU_DEP_1)
	v_add_co_u32 v7, s28, s12, v7
	v_add_co_ci_u32_e64 v8, null, s1, 0, s28
	flat_load_d16_b16 v3, v[7:8] offset:1024
.LBB305_17:
	;; [unrolled: 27-line block ×5, first 2 shown]
	s_or_b32 exec_lo, exec_lo, s0
	v_or_b32_e32 v7, 0x580, v0
	s_mov_b32 s0, exec_lo
	s_delay_alu instid0(VALU_DEP_1)
	v_cmpx_gt_u32_e64 s26, v7
	s_cbranch_execz .LBB305_31
; %bb.30:
	v_lshlrev_b32_e32 v7, 1, v0
	s_delay_alu instid0(VALU_DEP_1) | instskip(NEXT) | instid1(VALU_DEP_1)
	v_add_co_u32 v7, s28, s12, v7
	v_add_co_ci_u32_e64 v8, null, s1, 0, s28
	s_waitcnt vmcnt(0) lgkmcnt(0)
	flat_load_d16_hi_b16 v6, v[7:8] offset:2816
.LBB305_31:
	s_or_b32 exec_lo, exec_lo, s0
	v_lshlrev_b32_e32 v7, 1, v0
	s_waitcnt vmcnt(0) lgkmcnt(0)
	ds_store_b16 v7, v1
	ds_store_b16_d16_hi v7, v1 offset:256
	ds_store_b16 v7, v2 offset:512
	ds_store_b16_d16_hi v7, v2 offset:768
	ds_store_b16 v7, v3 offset:1024
	;; [unrolled: 2-line block ×5, first 2 shown]
	ds_store_b16_d16_hi v7, v6 offset:2816
	s_waitcnt lgkmcnt(0)
	s_barrier
.LBB305_32:
	v_mul_u32_u24_e32 v1, 12, v0
	buffer_gl0_inv
	s_add_u32 s0, s8, s10
	s_addc_u32 s8, s9, s11
	s_add_u32 s0, s0, s4
	v_lshlrev_b32_e32 v8, 1, v1
	s_addc_u32 s4, s8, s5
	s_and_b32 vcc_lo, exec_lo, s18
	s_mov_b32 s5, -1
	ds_load_2addr_b64 v[18:21], v8 offset1:1
	ds_load_b64 v[27:28], v8 offset:16
	s_waitcnt lgkmcnt(0)
	s_barrier
	buffer_gl0_inv
	s_cbranch_vccz .LBB305_34
; %bb.33:
	v_lshlrev_b32_e32 v4, 1, v0
	s_delay_alu instid0(VALU_DEP_1) | instskip(NEXT) | instid1(VALU_DEP_1)
	v_add_co_u32 v2, s5, s0, v4
	v_add_co_ci_u32_e64 v3, null, s4, 0, s5
	s_mov_b32 s5, 0
	s_clause 0xb
	flat_load_u16 v5, v[2:3]
	flat_load_u16 v6, v[2:3] offset:256
	flat_load_u16 v7, v[2:3] offset:512
	;; [unrolled: 1-line block ×11, first 2 shown]
	s_waitcnt vmcnt(11) lgkmcnt(11)
	ds_store_b16 v4, v5
	s_waitcnt vmcnt(10) lgkmcnt(11)
	ds_store_b16 v4, v6 offset:256
	s_waitcnt vmcnt(9) lgkmcnt(11)
	ds_store_b16 v4, v7 offset:512
	;; [unrolled: 2-line block ×11, first 2 shown]
	s_waitcnt lgkmcnt(0)
	s_barrier
.LBB305_34:
	s_and_not1_b32 vcc_lo, exec_lo, s5
	s_cbranch_vccnz .LBB305_60
; %bb.35:
	s_mov_b32 s5, exec_lo
                                        ; implicit-def: $vgpr2
	v_cmpx_gt_u32_e64 s26, v0
	s_cbranch_execz .LBB305_37
; %bb.36:
	v_lshlrev_b32_e32 v2, 1, v0
	s_delay_alu instid0(VALU_DEP_1) | instskip(NEXT) | instid1(VALU_DEP_1)
	v_add_co_u32 v2, s8, s0, v2
	v_add_co_ci_u32_e64 v3, null, s4, 0, s8
	flat_load_u16 v2, v[2:3]
.LBB305_37:
	s_or_b32 exec_lo, exec_lo, s5
	v_or_b32_e32 v3, 0x80, v0
	s_delay_alu instid0(VALU_DEP_1)
	v_cmp_gt_u32_e32 vcc_lo, s26, v3
                                        ; implicit-def: $vgpr3
	s_and_saveexec_b32 s5, vcc_lo
	s_cbranch_execz .LBB305_39
; %bb.38:
	v_lshlrev_b32_e32 v3, 1, v0
	s_delay_alu instid0(VALU_DEP_1) | instskip(NEXT) | instid1(VALU_DEP_1)
	v_add_co_u32 v3, s8, s0, v3
	v_add_co_ci_u32_e64 v4, null, s4, 0, s8
	flat_load_u16 v3, v[3:4] offset:256
.LBB305_39:
	s_or_b32 exec_lo, exec_lo, s5
	v_or_b32_e32 v4, 0x100, v0
	s_delay_alu instid0(VALU_DEP_1)
	v_cmp_gt_u32_e32 vcc_lo, s26, v4
                                        ; implicit-def: $vgpr4
	s_and_saveexec_b32 s5, vcc_lo
	s_cbranch_execz .LBB305_41
; %bb.40:
	v_lshlrev_b32_e32 v4, 1, v0
	s_delay_alu instid0(VALU_DEP_1) | instskip(NEXT) | instid1(VALU_DEP_1)
	v_add_co_u32 v4, s8, s0, v4
	v_add_co_ci_u32_e64 v5, null, s4, 0, s8
	flat_load_u16 v4, v[4:5] offset:512
.LBB305_41:
	s_or_b32 exec_lo, exec_lo, s5
	v_or_b32_e32 v5, 0x180, v0
	s_delay_alu instid0(VALU_DEP_1)
	v_cmp_gt_u32_e32 vcc_lo, s26, v5
                                        ; implicit-def: $vgpr5
	s_and_saveexec_b32 s5, vcc_lo
	s_cbranch_execz .LBB305_43
; %bb.42:
	v_lshlrev_b32_e32 v5, 1, v0
	s_delay_alu instid0(VALU_DEP_1) | instskip(NEXT) | instid1(VALU_DEP_1)
	v_add_co_u32 v5, s8, s0, v5
	v_add_co_ci_u32_e64 v6, null, s4, 0, s8
	flat_load_u16 v5, v[5:6] offset:768
.LBB305_43:
	s_or_b32 exec_lo, exec_lo, s5
	v_or_b32_e32 v6, 0x200, v0
	s_delay_alu instid0(VALU_DEP_1)
	v_cmp_gt_u32_e32 vcc_lo, s26, v6
                                        ; implicit-def: $vgpr6
	s_and_saveexec_b32 s5, vcc_lo
	s_cbranch_execz .LBB305_45
; %bb.44:
	v_lshlrev_b32_e32 v6, 1, v0
	s_delay_alu instid0(VALU_DEP_1) | instskip(NEXT) | instid1(VALU_DEP_1)
	v_add_co_u32 v6, s8, s0, v6
	v_add_co_ci_u32_e64 v7, null, s4, 0, s8
	flat_load_u16 v6, v[6:7] offset:1024
.LBB305_45:
	s_or_b32 exec_lo, exec_lo, s5
	v_or_b32_e32 v7, 0x280, v0
	s_delay_alu instid0(VALU_DEP_1)
	v_cmp_gt_u32_e32 vcc_lo, s26, v7
                                        ; implicit-def: $vgpr7
	s_and_saveexec_b32 s5, vcc_lo
	s_cbranch_execz .LBB305_47
; %bb.46:
	v_lshlrev_b32_e32 v7, 1, v0
	s_delay_alu instid0(VALU_DEP_1) | instskip(NEXT) | instid1(VALU_DEP_1)
	v_add_co_u32 v9, s8, s0, v7
	v_add_co_ci_u32_e64 v10, null, s4, 0, s8
	flat_load_u16 v7, v[9:10] offset:1280
.LBB305_47:
	s_or_b32 exec_lo, exec_lo, s5
	v_or_b32_e32 v9, 0x300, v0
	s_delay_alu instid0(VALU_DEP_1)
	v_cmp_gt_u32_e32 vcc_lo, s26, v9
                                        ; implicit-def: $vgpr9
	s_and_saveexec_b32 s5, vcc_lo
	s_cbranch_execz .LBB305_49
; %bb.48:
	v_lshlrev_b32_e32 v9, 1, v0
	s_delay_alu instid0(VALU_DEP_1) | instskip(NEXT) | instid1(VALU_DEP_1)
	v_add_co_u32 v9, s8, s0, v9
	v_add_co_ci_u32_e64 v10, null, s4, 0, s8
	flat_load_u16 v9, v[9:10] offset:1536
.LBB305_49:
	s_or_b32 exec_lo, exec_lo, s5
	v_or_b32_e32 v10, 0x380, v0
	s_delay_alu instid0(VALU_DEP_1)
	v_cmp_gt_u32_e32 vcc_lo, s26, v10
                                        ; implicit-def: $vgpr10
	s_and_saveexec_b32 s5, vcc_lo
	s_cbranch_execz .LBB305_51
; %bb.50:
	v_lshlrev_b32_e32 v10, 1, v0
	s_delay_alu instid0(VALU_DEP_1) | instskip(NEXT) | instid1(VALU_DEP_1)
	v_add_co_u32 v10, s8, s0, v10
	v_add_co_ci_u32_e64 v11, null, s4, 0, s8
	flat_load_u16 v10, v[10:11] offset:1792
.LBB305_51:
	s_or_b32 exec_lo, exec_lo, s5
	v_or_b32_e32 v11, 0x400, v0
	s_delay_alu instid0(VALU_DEP_1)
	v_cmp_gt_u32_e32 vcc_lo, s26, v11
                                        ; implicit-def: $vgpr11
	s_and_saveexec_b32 s5, vcc_lo
	s_cbranch_execz .LBB305_53
; %bb.52:
	v_lshlrev_b32_e32 v11, 1, v0
	s_delay_alu instid0(VALU_DEP_1) | instskip(NEXT) | instid1(VALU_DEP_1)
	v_add_co_u32 v11, s8, s0, v11
	v_add_co_ci_u32_e64 v12, null, s4, 0, s8
	flat_load_u16 v11, v[11:12] offset:2048
.LBB305_53:
	s_or_b32 exec_lo, exec_lo, s5
	v_or_b32_e32 v12, 0x480, v0
	s_delay_alu instid0(VALU_DEP_1)
	v_cmp_gt_u32_e32 vcc_lo, s26, v12
                                        ; implicit-def: $vgpr12
	s_and_saveexec_b32 s5, vcc_lo
	s_cbranch_execz .LBB305_55
; %bb.54:
	v_lshlrev_b32_e32 v12, 1, v0
	s_delay_alu instid0(VALU_DEP_1) | instskip(NEXT) | instid1(VALU_DEP_1)
	v_add_co_u32 v12, s8, s0, v12
	v_add_co_ci_u32_e64 v13, null, s4, 0, s8
	flat_load_u16 v12, v[12:13] offset:2304
.LBB305_55:
	s_or_b32 exec_lo, exec_lo, s5
	v_or_b32_e32 v13, 0x500, v0
	s_delay_alu instid0(VALU_DEP_1)
	v_cmp_gt_u32_e32 vcc_lo, s26, v13
                                        ; implicit-def: $vgpr13
	s_and_saveexec_b32 s5, vcc_lo
	s_cbranch_execz .LBB305_57
; %bb.56:
	v_lshlrev_b32_e32 v13, 1, v0
	s_delay_alu instid0(VALU_DEP_1) | instskip(NEXT) | instid1(VALU_DEP_1)
	v_add_co_u32 v13, s8, s0, v13
	v_add_co_ci_u32_e64 v14, null, s4, 0, s8
	flat_load_u16 v13, v[13:14] offset:2560
.LBB305_57:
	s_or_b32 exec_lo, exec_lo, s5
	v_or_b32_e32 v14, 0x580, v0
	s_delay_alu instid0(VALU_DEP_1)
	v_cmp_gt_u32_e32 vcc_lo, s26, v14
                                        ; implicit-def: $vgpr14
	s_and_saveexec_b32 s5, vcc_lo
	s_cbranch_execz .LBB305_59
; %bb.58:
	v_lshlrev_b32_e32 v14, 1, v0
	s_delay_alu instid0(VALU_DEP_1) | instskip(NEXT) | instid1(VALU_DEP_1)
	v_add_co_u32 v14, s0, s0, v14
	v_add_co_ci_u32_e64 v15, null, s4, 0, s0
	flat_load_u16 v14, v[14:15] offset:2816
.LBB305_59:
	s_or_b32 exec_lo, exec_lo, s5
	v_mad_i32_i24 v15, 0xffffffea, v0, v8
	s_waitcnt vmcnt(0) lgkmcnt(0)
	ds_store_b16 v15, v2
	ds_store_b16 v15, v3 offset:256
	ds_store_b16 v15, v4 offset:512
	;; [unrolled: 1-line block ×11, first 2 shown]
	s_waitcnt lgkmcnt(0)
	s_barrier
.LBB305_60:
	buffer_gl0_inv
	ds_load_2addr_b64 v[14:17], v8 offset1:1
	ds_load_b64 v[25:26], v8 offset:16
	s_cmp_lg_u32 s19, 0
	v_lshrrev_b32_e32 v41, 16, v18
	s_cselect_b32 s28, -1, 0
	s_cmp_lg_u64 s[6:7], 0
	v_lshrrev_b32_e32 v40, 16, v19
	s_cselect_b32 s0, -1, 0
	v_lshrrev_b32_e32 v39, 16, v20
	v_lshrrev_b32_e32 v38, 16, v21
	v_or_b32_e32 v12, 1, v1
	v_or_b32_e32 v6, 2, v1
	v_or_b32_e32 v4, 3, v1
	v_add_nc_u32_e32 v7, 4, v1
	v_add_nc_u32_e32 v5, 5, v1
	;; [unrolled: 1-line block ×5, first 2 shown]
	v_lshrrev_b32_e32 v37, 16, v27
	v_lshrrev_b32_e32 v31, 16, v28
	v_add_nc_u32_e32 v10, 9, v1
	v_add_nc_u32_e32 v8, 10, v1
	;; [unrolled: 1-line block ×3, first 2 shown]
	s_or_b32 s0, s0, s28
	s_mov_b32 s29, 0
	s_and_b32 vcc_lo, exec_lo, s0
	s_waitcnt lgkmcnt(0)
	s_barrier
	buffer_gl0_inv
	s_cbranch_vccz .LBB305_65
; %bb.61:
	v_add_co_u32 v22, s0, -2, s12
	s_delay_alu instid0(VALU_DEP_1)
	v_add_co_ci_u32_e64 v23, null, -1, s1, s0
	v_lshlrev_b32_e32 v29, 1, v0
	s_mov_b32 s1, -1
	s_and_b32 vcc_lo, exec_lo, s18
	flat_load_u16 v13, v[22:23]
	ds_store_b16 v29, v31
	s_cbranch_vccz .LBB305_66
; %bb.62:
	s_waitcnt vmcnt(0) lgkmcnt(1)
	v_mov_b32_e32 v22, v13
	s_waitcnt lgkmcnt(0)
	s_barrier
	buffer_gl0_inv
	s_and_saveexec_b32 s0, s3
	s_cbranch_execz .LBB305_64
; %bb.63:
	v_add_nc_u32_e32 v22, -2, v29
	ds_load_u16 v22, v22
.LBB305_64:
	s_or_b32 exec_lo, exec_lo, s0
	v_cmp_ne_u16_e32 vcc_lo, v28, v31
	s_waitcnt lgkmcnt(0)
	v_cmp_ne_u16_e64 s0, v22, v18
	v_cndmask_b32_e64 v23, 0, 1, vcc_lo
	v_cmp_ne_u16_e32 vcc_lo, v37, v28
	s_delay_alu instid0(VALU_DEP_2) | instskip(SKIP_2) | instid1(VALU_DEP_2)
	v_lshlrev_b16 v23, 8, v23
	v_cndmask_b32_e64 v24, 0, 1, vcc_lo
	v_cmp_ne_u16_e32 vcc_lo, v27, v37
	v_or_b32_e32 v23, v24, v23
	v_cndmask_b32_e64 v30, 0, 1, vcc_lo
	v_cmp_ne_u16_e32 vcc_lo, v38, v27
	s_delay_alu instid0(VALU_DEP_2) | instskip(SKIP_2) | instid1(VALU_DEP_2)
	v_lshlrev_b16 v30, 8, v30
	v_cndmask_b32_e64 v32, 0, 1, vcc_lo
	v_cmp_ne_u16_e32 vcc_lo, v19, v40
	v_or_b32_e32 v30, v32, v30
	v_cndmask_b32_e64 v33, 0, 1, vcc_lo
	v_cmp_ne_u16_e32 vcc_lo, v21, v38
	s_delay_alu instid0(VALU_DEP_3) | instskip(NEXT) | instid1(VALU_DEP_3)
	v_and_b32_e32 v30, 0xffff, v30
	v_lshlrev_b16 v33, 8, v33
	v_cndmask_b32_e64 v34, 0, 1, vcc_lo
	v_cmp_ne_u16_e32 vcc_lo, v41, v19
	s_delay_alu instid0(VALU_DEP_2) | instskip(SKIP_2) | instid1(VALU_DEP_2)
	v_lshlrev_b16 v34, 8, v34
	v_cndmask_b32_e64 v35, 0, 1, vcc_lo
	v_cmp_ne_u16_e32 vcc_lo, v39, v21
	v_or_b32_e32 v33, v35, v33
	v_cndmask_b32_e64 v36, 0, 1, vcc_lo
	v_cmp_ne_u16_e32 vcc_lo, v20, v39
	s_delay_alu instid0(VALU_DEP_3) | instskip(NEXT) | instid1(VALU_DEP_3)
	v_lshlrev_b32_e32 v33, 16, v33
	v_or_b32_e32 v34, v36, v34
	v_cndmask_b32_e64 v42, 0, 1, vcc_lo
	v_cmp_ne_u16_e32 vcc_lo, v40, v20
	s_delay_alu instid0(VALU_DEP_3) | instskip(NEXT) | instid1(VALU_DEP_3)
	v_lshlrev_b32_e32 v34, 16, v34
	v_lshlrev_b16 v42, 8, v42
	v_cndmask_b32_e64 v35, 0, 1, vcc_lo
	v_cmp_ne_u16_e32 vcc_lo, v18, v41
	s_delay_alu instid0(VALU_DEP_2) | instskip(SKIP_1) | instid1(VALU_DEP_2)
	v_or_b32_e32 v35, v35, v42
	v_cndmask_b32_e64 v43, 0, 1, vcc_lo
	v_and_b32_e32 v32, 0xffff, v35
	s_delay_alu instid0(VALU_DEP_2) | instskip(SKIP_1) | instid1(VALU_DEP_3)
	v_lshlrev_b16 v43, 8, v43
	v_lshlrev_b32_e32 v35, 16, v23
	v_or_b32_e32 v23, v32, v34
	s_delay_alu instid0(VALU_DEP_3) | instskip(NEXT) | instid1(VALU_DEP_3)
	v_and_b32_e32 v24, 0xffff, v43
	v_or_b32_e32 v36, v30, v35
	s_delay_alu instid0(VALU_DEP_2)
	v_or_b32_e32 v22, v24, v33
	s_branch .LBB305_70
.LBB305_65:
                                        ; implicit-def: $sgpr0
                                        ; implicit-def: $vgpr36
                                        ; implicit-def: $vgpr22_vgpr23_vgpr24
	s_branch .LBB305_71
.LBB305_66:
                                        ; implicit-def: $sgpr0
                                        ; implicit-def: $vgpr36
                                        ; implicit-def: $vgpr22_vgpr23_vgpr24
	s_and_b32 vcc_lo, exec_lo, s1
	s_cbranch_vccz .LBB305_70
; %bb.67:
	s_waitcnt vmcnt(0) lgkmcnt(0)
	s_barrier
	buffer_gl0_inv
	s_and_saveexec_b32 s0, s3
	s_cbranch_execz .LBB305_69
; %bb.68:
	v_add_nc_u32_e32 v13, -2, v29
	ds_load_u16 v13, v13
.LBB305_69:
	s_or_b32 exec_lo, exec_lo, s0
	v_cmp_gt_u32_e32 vcc_lo, s26, v9
	v_cmp_ne_u16_e64 s0, v28, v31
	v_cmp_gt_u32_e64 s1, s26, v8
	v_cmp_ne_u16_e64 s4, v37, v28
	v_cmp_gt_u32_e64 s5, s26, v10
	v_cmp_ne_u16_e64 s6, v27, v37
	s_and_b32 s0, vcc_lo, s0
	v_cmp_gt_u32_e32 vcc_lo, s26, v11
	v_cndmask_b32_e64 v22, 0, 1, s0
	s_and_b32 s0, s1, s4
	v_cmp_gt_u32_e64 s1, s26, v2
	v_cndmask_b32_e64 v23, 0, 1, s0
	s_and_b32 s0, s5, s6
	v_cmp_ne_u16_e64 s4, v21, v38
	v_cndmask_b32_e64 v24, 0, 1, s0
	v_cmp_ne_u16_e64 s0, v38, v27
	v_cmp_gt_u32_e64 s5, s26, v3
	v_cmp_ne_u16_e64 s6, v39, v21
	v_lshlrev_b16 v22, 8, v22
	v_lshlrev_b16 v24, 8, v24
	s_and_b32 s0, vcc_lo, s0
	v_cmp_gt_u32_e32 vcc_lo, s26, v4
	v_cndmask_b32_e64 v29, 0, 1, s0
	s_and_b32 s0, s1, s4
	v_cmp_gt_u32_e64 s1, s26, v5
	v_cndmask_b32_e64 v30, 0, 1, s0
	s_and_b32 s0, s5, s6
	v_cmp_gt_u32_e64 s5, s26, v6
	v_cndmask_b32_e64 v32, 0, 1, s0
	v_cmp_ne_u16_e64 s0, v19, v40
	v_cmp_ne_u16_e64 s6, v41, v19
	;; [unrolled: 1-line block ×3, first 2 shown]
	v_lshlrev_b16 v30, 8, v30
	v_or_b32_e32 v24, v29, v24
	s_and_b32 s0, vcc_lo, s0
	v_cmp_gt_u32_e32 vcc_lo, s26, v7
	v_cndmask_b32_e64 v33, 0, 1, s0
	v_cmp_ne_u16_e64 s0, v40, v20
	s_and_b32 s5, s5, s6
	v_cmp_ne_u16_e64 s6, v18, v41
	v_cndmask_b32_e64 v34, 0, 1, s5
	v_lshlrev_b16 v33, 8, v33
	v_cmp_gt_u32_e64 s5, s26, v12
	s_and_b32 s1, s1, s4
	s_and_b32 s0, vcc_lo, s0
	v_cndmask_b32_e64 v35, 0, 1, s1
	v_or_b32_e32 v33, v34, v33
	v_cndmask_b32_e64 v34, 0, 1, s0
	s_and_b32 s0, s5, s6
	v_or_b32_e32 v30, v32, v30
	v_cndmask_b32_e64 v36, 0, 1, s0
	v_lshlrev_b16 v35, 8, v35
	v_or_b32_e32 v22, v23, v22
	v_lshlrev_b32_e32 v33, 16, v33
	v_lshlrev_b32_e32 v30, 16, v30
	v_lshlrev_b16 v36, 8, v36
	v_or_b32_e32 v34, v34, v35
	v_and_b32_e32 v24, 0xffff, v24
	v_lshlrev_b32_e32 v32, 16, v22
	v_cmp_gt_u32_e32 vcc_lo, s26, v1
	v_and_b32_e32 v23, 0xffff, v36
	v_and_b32_e32 v29, 0xffff, v34
	s_waitcnt lgkmcnt(0)
	v_cmp_ne_u16_e64 s0, v13, v18
	v_or_b32_e32 v36, v24, v32
	v_or_b32_e32 v22, v23, v33
	v_or_b32_e32 v23, v29, v30
	s_delay_alu instid0(VALU_DEP_4)
	s_and_b32 s0, vcc_lo, s0
.LBB305_70:
	s_mov_b32 s29, -1
	s_cbranch_execnz .LBB305_79
.LBB305_71:
	s_waitcnt vmcnt(0) lgkmcnt(1)
	v_lshlrev_b32_e32 v13, 1, v0
	v_cmp_ne_u16_e64 s8, v28, v31
	v_cmp_ne_u16_e64 s9, v37, v28
	;; [unrolled: 1-line block ×11, first 2 shown]
	s_and_b32 vcc_lo, exec_lo, s18
	ds_store_b16 v13, v31
	s_cbranch_vccz .LBB305_75
; %bb.72:
	v_cndmask_b32_e64 v22, 0, 1, s12
	v_cndmask_b32_e64 v23, 0, 1, s8
	;; [unrolled: 1-line block ×5, first 2 shown]
	v_lshlrev_b16 v22, 8, v22
	v_cndmask_b32_e64 v35, 0, 1, s7
	v_cndmask_b32_e64 v36, 0, 1, s1
	;; [unrolled: 1-line block ×5, first 2 shown]
	v_or_b32_e32 v22, v29, v22
	v_cndmask_b32_e64 v29, 0, 1, s0
	v_lshlrev_b16 v23, 8, v23
	v_lshlrev_b16 v33, 8, v33
	;; [unrolled: 1-line block ×5, first 2 shown]
	v_or_b32_e32 v23, v24, v23
	v_or_b32_e32 v24, v34, v33
	;; [unrolled: 1-line block ×5, first 2 shown]
	v_and_b32_e32 v22, 0xffff, v22
	v_lshlrev_b32_e32 v23, 16, v23
	v_and_b32_e32 v24, 0xffff, v24
	v_lshlrev_b32_e32 v30, 16, v30
	v_lshlrev_b32_e32 v29, 16, v29
	v_and_b32_e32 v32, 0xffff, v32
	v_or_b32_e32 v36, v22, v23
	s_waitcnt lgkmcnt(0)
	v_or_b32_e32 v23, v24, v30
	s_barrier
	v_or_b32_e32 v22, v32, v29
	buffer_gl0_inv
                                        ; implicit-def: $sgpr0
	s_and_saveexec_b32 s1, s3
	s_delay_alu instid0(SALU_CYCLE_1)
	s_xor_b32 s1, exec_lo, s1
	s_cbranch_execz .LBB305_74
; %bb.73:
	v_add_nc_u32_e32 v24, -2, v13
	s_or_b32 s29, s29, exec_lo
	ds_load_u16 v24, v24
	s_waitcnt lgkmcnt(0)
	v_cmp_ne_u16_e32 vcc_lo, v24, v18
	s_and_b32 s0, vcc_lo, exec_lo
.LBB305_74:
	s_or_b32 exec_lo, exec_lo, s1
	s_branch .LBB305_79
.LBB305_75:
                                        ; implicit-def: $sgpr0
                                        ; implicit-def: $vgpr36
                                        ; implicit-def: $vgpr22_vgpr23_vgpr24
	s_cbranch_execz .LBB305_79
; %bb.76:
	v_cmp_gt_u32_e32 vcc_lo, s26, v9
	v_cmp_ne_u16_e64 s0, v28, v31
	v_cmp_gt_u32_e64 s1, s26, v8
	v_cmp_ne_u16_e64 s4, v37, v28
	v_cmp_gt_u32_e64 s5, s26, v2
	v_cmp_ne_u16_e64 s6, v21, v38
	s_and_b32 s0, vcc_lo, s0
	v_cmp_gt_u32_e32 vcc_lo, s26, v10
	v_cndmask_b32_e64 v22, 0, 1, s0
	s_and_b32 s0, s1, s4
	v_cmp_gt_u32_e64 s1, s26, v11
	v_cndmask_b32_e64 v23, 0, 1, s0
	v_cmp_ne_u16_e64 s0, v27, v37
	v_cmp_ne_u16_e64 s4, v38, v27
	v_lshlrev_b16 v22, 8, v22
	s_waitcnt lgkmcnt(0)
	s_barrier
	s_and_b32 s0, vcc_lo, s0
	v_cmp_gt_u32_e32 vcc_lo, s26, v3
	v_cndmask_b32_e64 v24, 0, 1, s0
	s_and_b32 s0, s1, s4
	v_cmp_gt_u32_e64 s1, s26, v5
	v_cndmask_b32_e64 v29, 0, 1, s0
	s_and_b32 s0, s5, s6
	v_cmp_ne_u16_e64 s4, v20, v39
	v_cndmask_b32_e64 v30, 0, 1, s0
	v_cmp_ne_u16_e64 s0, v39, v21
	v_cmp_gt_u32_e64 s5, s26, v7
	v_cmp_ne_u16_e64 s6, v40, v20
	v_lshlrev_b16 v24, 8, v24
	v_lshlrev_b16 v30, 8, v30
	s_and_b32 s0, vcc_lo, s0
	v_cmp_gt_u32_e32 vcc_lo, s26, v4
	v_cndmask_b32_e64 v32, 0, 1, s0
	s_and_b32 s0, s1, s4
	v_cmp_gt_u32_e64 s1, s26, v6
	v_cndmask_b32_e64 v33, 0, 1, s0
	s_and_b32 s0, s5, s6
	v_cmp_ne_u16_e64 s4, v41, v19
	v_cndmask_b32_e64 v34, 0, 1, s0
	v_cmp_ne_u16_e64 s0, v19, v40
	v_cmp_gt_u32_e64 s5, s26, v12
	v_cmp_ne_u16_e64 s6, v18, v41
	v_or_b32_e32 v24, v29, v24
	v_lshlrev_b16 v33, 8, v33
	s_and_b32 s0, vcc_lo, s0
	v_or_b32_e32 v22, v23, v22
	v_cndmask_b32_e64 v35, 0, 1, s0
	s_and_b32 s0, s1, s4
	v_or_b32_e32 v23, v34, v33
	v_cndmask_b32_e64 v29, 0, 1, s0
	s_and_b32 s0, s5, s6
	v_lshlrev_b16 v35, 8, v35
	v_cndmask_b32_e64 v36, 0, 1, s0
	v_or_b32_e32 v30, v32, v30
	v_and_b32_e32 v24, 0xffff, v24
	v_lshlrev_b32_e32 v22, 16, v22
	v_or_b32_e32 v29, v29, v35
	v_lshlrev_b16 v36, 8, v36
	v_and_b32_e32 v23, 0xffff, v23
	v_lshlrev_b32_e32 v30, 16, v30
	buffer_gl0_inv
	v_lshlrev_b32_e32 v29, 16, v29
	v_or_b32_e32 v32, 1, v36
	v_or_b32_e32 v36, v24, v22
	;; [unrolled: 1-line block ×3, first 2 shown]
                                        ; implicit-def: $sgpr0
	s_delay_alu instid0(VALU_DEP_3) | instskip(NEXT) | instid1(VALU_DEP_1)
	v_and_b32_e32 v32, 0xffff, v32
	v_or_b32_e32 v22, v32, v29
	s_and_saveexec_b32 s1, s3
	s_cbranch_execz .LBB305_78
; %bb.77:
	v_add_nc_u32_e32 v13, -2, v13
	v_cmp_gt_u32_e32 vcc_lo, s26, v1
	s_or_b32 s29, s29, exec_lo
	ds_load_u16 v13, v13
	s_waitcnt lgkmcnt(0)
	v_cmp_ne_u16_e64 s0, v13, v18
	s_delay_alu instid0(VALU_DEP_1) | instskip(NEXT) | instid1(SALU_CYCLE_1)
	s_and_b32 s0, vcc_lo, s0
	s_and_b32 s0, s0, exec_lo
.LBB305_78:
	s_or_b32 exec_lo, exec_lo, s1
.LBB305_79:
	s_and_saveexec_b32 s1, s29
	s_cbranch_execz .LBB305_81
; %bb.80:
	s_waitcnt vmcnt(0) lgkmcnt(1)
	v_and_b32_e32 v13, 0xffffff00, v22
	v_cndmask_b32_e64 v24, 0, 1, s0
	s_delay_alu instid0(VALU_DEP_1) | instskip(NEXT) | instid1(VALU_DEP_1)
	v_or_b32_e32 v13, v24, v13
	v_and_b32_e32 v13, 0xffff, v13
	s_delay_alu instid0(VALU_DEP_1)
	v_and_or_b32 v22, 0xffff0000, v22, v13
.LBB305_81:
	s_or_b32 exec_lo, exec_lo, s1
	s_delay_alu instid0(SALU_CYCLE_1)
	s_and_not1_b32 vcc_lo, exec_lo, s27
	s_cbranch_vccnz .LBB305_83
; %bb.82:
	v_cmp_gt_u32_e32 vcc_lo, s26, v1
	v_cmp_gt_u32_e64 s1, s26, v6
	v_cmp_gt_u32_e64 s4, s26, v4
	;; [unrolled: 1-line block ×4, first 2 shown]
	v_cndmask_b32_e32 v1, 0, v22, vcc_lo
	v_cmp_gt_u32_e32 vcc_lo, s26, v12
	v_and_b32_e32 v12, 0xffffff00, v23
	v_cmp_gt_u32_e64 s5, s26, v3
	s_delay_alu instid0(VALU_DEP_4) | instskip(NEXT) | instid1(VALU_DEP_3)
	v_and_b32_e32 v1, 0xff, v1
	v_cndmask_b32_e64 v7, v12, v23, s0
	s_delay_alu instid0(VALU_DEP_2) | instskip(SKIP_1) | instid1(VALU_DEP_3)
	v_cndmask_b32_e32 v1, v1, v22, vcc_lo
	v_cmp_gt_u32_e32 vcc_lo, s26, v11
	v_and_b32_e32 v7, 0xffff00ff, v7
	s_delay_alu instid0(VALU_DEP_3) | instskip(SKIP_1) | instid1(VALU_DEP_3)
	v_and_b32_e32 v1, 0xffff, v1
	v_cndmask_b32_e32 v11, 0, v36, vcc_lo
	v_cndmask_b32_e64 v5, v7, v23, s3
	s_delay_alu instid0(VALU_DEP_3) | instskip(SKIP_1) | instid1(VALU_DEP_3)
	v_cndmask_b32_e64 v1, v1, v22, s1
	v_cmp_gt_u32_e64 s1, s26, v10
	v_and_b32_e32 v5, 0xff00ffff, v5
	s_delay_alu instid0(VALU_DEP_3) | instskip(NEXT) | instid1(VALU_DEP_2)
	v_and_b32_e32 v1, 0xffffff, v1
	v_cndmask_b32_e64 v3, v5, v23, s5
	s_delay_alu instid0(VALU_DEP_2) | instskip(SKIP_1) | instid1(VALU_DEP_2)
	v_cndmask_b32_e64 v1, v1, v22, s4
	v_cmp_gt_u32_e64 s4, s26, v8
	v_cndmask_b32_e64 v1, v1, v22, s0
	v_cmp_gt_u32_e64 s0, s26, v9
	s_delay_alu instid0(VALU_DEP_2) | instskip(SKIP_2) | instid1(VALU_DEP_3)
	v_cndmask_b32_e64 v1, v1, v22, s3
	v_cmp_gt_u32_e64 s3, s26, v2
	v_and_b32_e32 v2, 0xffffff, v3
	v_cndmask_b32_e64 v1, v1, v22, s5
	v_and_b32_e32 v11, 0xff, v11
	s_delay_alu instid0(VALU_DEP_1) | instskip(NEXT) | instid1(VALU_DEP_1)
	v_cndmask_b32_e64 v6, v11, v36, s1
	v_and_b32_e32 v6, 0xffff, v6
	s_delay_alu instid0(VALU_DEP_1) | instskip(NEXT) | instid1(VALU_DEP_1)
	v_cndmask_b32_e64 v4, v6, v36, s4
	v_and_b32_e32 v4, 0xffffff, v4
	s_delay_alu instid0(VALU_DEP_1) | instskip(SKIP_1) | instid1(SALU_CYCLE_1)
	v_cndmask_b32_e64 v36, v4, v36, s0
	s_or_b32 s0, s0, s4
	s_or_b32 s0, s0, s1
	s_delay_alu instid0(SALU_CYCLE_1) | instskip(NEXT) | instid1(SALU_CYCLE_1)
	s_or_b32 s0, s0, vcc_lo
	s_or_b32 vcc_lo, s0, s3
	v_dual_cndmask_b32 v22, v1, v22 :: v_dual_cndmask_b32 v23, v2, v23
.LBB305_83:
	s_delay_alu instid0(VALU_DEP_1) | instskip(NEXT) | instid1(VALU_DEP_2)
	v_and_b32_e32 v42, 0xff, v22
	v_alignbit_b32 v1, v23, v22, 24
	v_bfe_u32 v43, v22, 8, 8
	v_bfe_u32 v44, v22, 16, 8
	v_and_b32_e32 v46, 0xff, v23
	v_bfe_u32 v47, v23, 8, 8
	v_and_b32_e32 v45, 0xff, v1
	v_dual_mov_b32 v1, v36 :: v_dual_add_nc_u32 v2, v43, v42
	v_bfe_u32 v48, v23, 16, 8
	v_lshrrev_b32_e32 v24, 24, v23
	v_and_b32_e32 v49, 0xff, v36
	v_mbcnt_lo_u32_b32 v52, -1, 0
	v_add3_u32 v2, v2, v44, v45
	v_bfe_u32 v50, v36, 8, 8
	v_alignbit_b32 v3, s0, v36, 24
	v_bfe_u32 v51, v36, 16, 8
	v_and_b32_e32 v4, 15, v52
	v_add3_u32 v2, v2, v46, v47
	v_or_b32_e32 v5, 31, v0
	v_and_b32_e32 v3, 0xff, v3
	v_and_b32_e32 v6, 16, v52
	v_cmp_eq_u32_e64 s6, 0, v4
	v_add3_u32 v2, v2, v48, v24
	v_cmp_lt_u32_e64 s5, 1, v4
	v_cmp_lt_u32_e64 s4, 3, v4
	;; [unrolled: 1-line block ×3, first 2 shown]
	v_cmp_eq_u32_e64 s1, 0, v6
	v_add3_u32 v2, v2, v49, v50
	v_lshrrev_b32_e32 v53, 5, v0
	v_cmp_eq_u32_e64 s0, v5, v0
	s_and_b32 vcc_lo, exec_lo, s28
	s_mov_b32 s7, -1
	v_add3_u32 v54, v2, v51, v3
	s_waitcnt vmcnt(0) lgkmcnt(0)
	s_barrier
	buffer_gl0_inv
	s_cbranch_vccz .LBB305_109
; %bb.84:
	v_mov_b32_dpp v2, v54 row_shr:1 row_mask:0xf bank_mask:0xf
	s_delay_alu instid0(VALU_DEP_1) | instskip(NEXT) | instid1(VALU_DEP_1)
	v_cndmask_b32_e64 v2, v2, 0, s6
	v_add_nc_u32_e32 v2, v2, v54
	s_delay_alu instid0(VALU_DEP_1) | instskip(NEXT) | instid1(VALU_DEP_1)
	v_mov_b32_dpp v3, v2 row_shr:2 row_mask:0xf bank_mask:0xf
	v_cndmask_b32_e64 v3, 0, v3, s5
	s_delay_alu instid0(VALU_DEP_1) | instskip(NEXT) | instid1(VALU_DEP_1)
	v_add_nc_u32_e32 v2, v2, v3
	v_mov_b32_dpp v3, v2 row_shr:4 row_mask:0xf bank_mask:0xf
	s_delay_alu instid0(VALU_DEP_1) | instskip(NEXT) | instid1(VALU_DEP_1)
	v_cndmask_b32_e64 v3, 0, v3, s4
	v_add_nc_u32_e32 v2, v2, v3
	s_delay_alu instid0(VALU_DEP_1) | instskip(NEXT) | instid1(VALU_DEP_1)
	v_mov_b32_dpp v3, v2 row_shr:8 row_mask:0xf bank_mask:0xf
	v_cndmask_b32_e64 v3, 0, v3, s3
	s_delay_alu instid0(VALU_DEP_1) | instskip(SKIP_3) | instid1(VALU_DEP_1)
	v_add_nc_u32_e32 v2, v2, v3
	ds_swizzle_b32 v3, v2 offset:swizzle(BROADCAST,32,15)
	s_waitcnt lgkmcnt(0)
	v_cndmask_b32_e64 v3, v3, 0, s1
	v_add_nc_u32_e32 v2, v2, v3
	s_and_saveexec_b32 s7, s0
	s_cbranch_execz .LBB305_86
; %bb.85:
	v_lshlrev_b32_e32 v3, 2, v53
	ds_store_b32 v3, v2
.LBB305_86:
	s_or_b32 exec_lo, exec_lo, s7
	s_delay_alu instid0(SALU_CYCLE_1)
	s_mov_b32 s7, exec_lo
	s_waitcnt lgkmcnt(0)
	s_barrier
	buffer_gl0_inv
	v_cmpx_gt_u32_e32 4, v0
	s_cbranch_execz .LBB305_88
; %bb.87:
	v_and_b32_e32 v5, 3, v52
	s_delay_alu instid0(VALU_DEP_1) | instskip(SKIP_4) | instid1(VALU_DEP_1)
	v_cmp_ne_u32_e32 vcc_lo, 0, v5
	v_lshlrev_b32_e32 v3, 2, v0
	ds_load_b32 v4, v3
	s_waitcnt lgkmcnt(0)
	v_mov_b32_dpp v6, v4 row_shr:1 row_mask:0xf bank_mask:0xf
	v_cndmask_b32_e32 v6, 0, v6, vcc_lo
	v_cmp_lt_u32_e32 vcc_lo, 1, v5
	s_delay_alu instid0(VALU_DEP_2) | instskip(NEXT) | instid1(VALU_DEP_1)
	v_add_nc_u32_e32 v4, v6, v4
	v_mov_b32_dpp v6, v4 row_shr:2 row_mask:0xf bank_mask:0xf
	s_delay_alu instid0(VALU_DEP_1) | instskip(NEXT) | instid1(VALU_DEP_1)
	v_cndmask_b32_e32 v5, 0, v6, vcc_lo
	v_add_nc_u32_e32 v4, v4, v5
	ds_store_b32 v3, v4
.LBB305_88:
	s_or_b32 exec_lo, exec_lo, s7
	v_cmp_gt_u32_e32 vcc_lo, 32, v0
	s_mov_b32 s8, exec_lo
	s_waitcnt lgkmcnt(0)
	s_barrier
	buffer_gl0_inv
                                        ; implicit-def: $vgpr10
	v_cmpx_lt_u32_e32 31, v0
	s_cbranch_execz .LBB305_90
; %bb.89:
	v_lshl_add_u32 v3, v53, 2, -4
	ds_load_b32 v10, v3
	s_waitcnt lgkmcnt(0)
	v_add_nc_u32_e32 v2, v10, v2
.LBB305_90:
	s_or_b32 exec_lo, exec_lo, s8
	v_add_nc_u32_e32 v3, -1, v52
	s_delay_alu instid0(VALU_DEP_1) | instskip(NEXT) | instid1(VALU_DEP_1)
	v_cmp_gt_i32_e64 s7, 0, v3
	v_cndmask_b32_e64 v3, v3, v52, s7
	v_cmp_eq_u32_e64 s7, 0, v52
	s_delay_alu instid0(VALU_DEP_2)
	v_lshlrev_b32_e32 v3, 2, v3
	ds_bpermute_b32 v11, v3, v2
	s_and_saveexec_b32 s8, vcc_lo
	s_cbranch_execz .LBB305_108
; %bb.91:
	v_mov_b32_e32 v6, 0
	ds_load_b32 v2, v6 offset:12
	s_and_saveexec_b32 s9, s7
	s_cbranch_execz .LBB305_93
; %bb.92:
	s_add_i32 s10, s19, 32
	s_mov_b32 s11, 0
	v_mov_b32_e32 v3, 1
	s_lshl_b64 s[10:11], s[10:11], 3
	s_delay_alu instid0(SALU_CYCLE_1)
	s_add_u32 s10, s24, s10
	s_addc_u32 s11, s25, s11
	s_waitcnt lgkmcnt(0)
	global_store_b64 v6, v[2:3], s[10:11]
.LBB305_93:
	s_or_b32 exec_lo, exec_lo, s9
	v_xad_u32 v4, v52, -1, s19
	s_mov_b32 s10, 0
	s_mov_b32 s9, exec_lo
	s_delay_alu instid0(VALU_DEP_1) | instskip(NEXT) | instid1(VALU_DEP_1)
	v_add_nc_u32_e32 v5, 32, v4
	v_lshlrev_b64 v[5:6], 3, v[5:6]
	s_delay_alu instid0(VALU_DEP_1) | instskip(NEXT) | instid1(VALU_DEP_2)
	v_add_co_u32 v8, vcc_lo, s24, v5
	v_add_co_ci_u32_e32 v9, vcc_lo, s25, v6, vcc_lo
	global_load_b64 v[6:7], v[8:9], off glc
	s_waitcnt vmcnt(0)
	v_and_b32_e32 v3, 0xff, v7
	s_delay_alu instid0(VALU_DEP_1)
	v_cmpx_eq_u16_e32 0, v3
	s_cbranch_execz .LBB305_96
.LBB305_94:                             ; =>This Inner Loop Header: Depth=1
	global_load_b64 v[6:7], v[8:9], off glc
	s_waitcnt vmcnt(0)
	v_and_b32_e32 v3, 0xff, v7
	s_delay_alu instid0(VALU_DEP_1) | instskip(SKIP_1) | instid1(SALU_CYCLE_1)
	v_cmp_ne_u16_e32 vcc_lo, 0, v3
	s_or_b32 s10, vcc_lo, s10
	s_and_not1_b32 exec_lo, exec_lo, s10
	s_cbranch_execnz .LBB305_94
; %bb.95:
	s_or_b32 exec_lo, exec_lo, s10
.LBB305_96:
	s_delay_alu instid0(SALU_CYCLE_1)
	s_or_b32 exec_lo, exec_lo, s9
	v_cmp_ne_u32_e32 vcc_lo, 31, v52
	v_lshlrev_b32_e64 v13, v52, -1
	v_add_nc_u32_e32 v30, 2, v52
	v_add_nc_u32_e32 v56, 16, v52
	v_add_co_ci_u32_e32 v3, vcc_lo, 0, v52, vcc_lo
	s_delay_alu instid0(VALU_DEP_1)
	v_lshlrev_b32_e32 v12, 2, v3
	v_and_b32_e32 v3, 0xff, v7
	ds_bpermute_b32 v5, v12, v6
	v_cmp_eq_u16_e32 vcc_lo, 2, v3
	v_and_or_b32 v3, vcc_lo, v13, 0x80000000
	v_cmp_gt_u32_e32 vcc_lo, 30, v52
	s_delay_alu instid0(VALU_DEP_2) | instskip(SKIP_1) | instid1(VALU_DEP_2)
	v_ctz_i32_b32_e32 v3, v3
	v_cndmask_b32_e64 v8, 0, 1, vcc_lo
	v_cmp_lt_u32_e32 vcc_lo, v52, v3
	s_waitcnt lgkmcnt(0)
	s_delay_alu instid0(VALU_DEP_2) | instskip(NEXT) | instid1(VALU_DEP_1)
	v_dual_cndmask_b32 v5, 0, v5 :: v_dual_lshlrev_b32 v8, 1, v8
	v_add_lshl_u32 v29, v8, v52, 2
	v_cmp_gt_u32_e32 vcc_lo, 28, v52
	s_delay_alu instid0(VALU_DEP_3) | instskip(SKIP_4) | instid1(VALU_DEP_1)
	v_add_nc_u32_e32 v5, v5, v6
	v_cndmask_b32_e64 v8, 0, 1, vcc_lo
	v_cmp_le_u32_e32 vcc_lo, v30, v3
	ds_bpermute_b32 v6, v29, v5
	v_lshlrev_b32_e32 v8, 2, v8
	v_add_lshl_u32 v32, v8, v52, 2
	s_waitcnt lgkmcnt(0)
	v_cndmask_b32_e32 v6, 0, v6, vcc_lo
	v_cmp_gt_u32_e32 vcc_lo, 24, v52
	s_delay_alu instid0(VALU_DEP_2) | instskip(SKIP_4) | instid1(VALU_DEP_2)
	v_add_nc_u32_e32 v5, v5, v6
	v_cndmask_b32_e64 v8, 0, 1, vcc_lo
	ds_bpermute_b32 v6, v32, v5
	v_add_nc_u32_e32 v33, 4, v52
	v_lshlrev_b32_e32 v8, 3, v8
	v_cmp_le_u32_e32 vcc_lo, v33, v3
	s_delay_alu instid0(VALU_DEP_2) | instskip(SKIP_3) | instid1(VALU_DEP_2)
	v_add_lshl_u32 v34, v8, v52, 2
	s_waitcnt lgkmcnt(0)
	v_cndmask_b32_e32 v6, 0, v6, vcc_lo
	v_cmp_gt_u32_e32 vcc_lo, 16, v52
	v_add_nc_u32_e32 v5, v5, v6
	v_cndmask_b32_e64 v8, 0, 1, vcc_lo
	ds_bpermute_b32 v6, v34, v5
	v_add_nc_u32_e32 v35, 8, v52
	v_lshlrev_b32_e32 v8, 4, v8
	s_delay_alu instid0(VALU_DEP_2) | instskip(NEXT) | instid1(VALU_DEP_2)
	v_cmp_le_u32_e32 vcc_lo, v35, v3
	v_add_lshl_u32 v55, v8, v52, 2
	s_waitcnt lgkmcnt(0)
	v_cndmask_b32_e32 v6, 0, v6, vcc_lo
	v_cmp_le_u32_e32 vcc_lo, v56, v3
	s_delay_alu instid0(VALU_DEP_2) | instskip(SKIP_3) | instid1(VALU_DEP_1)
	v_add_nc_u32_e32 v5, v5, v6
	ds_bpermute_b32 v6, v55, v5
	s_waitcnt lgkmcnt(0)
	v_cndmask_b32_e32 v3, 0, v6, vcc_lo
	v_dual_mov_b32 v5, 0 :: v_dual_add_nc_u32 v6, v5, v3
	s_branch .LBB305_98
.LBB305_97:                             ;   in Loop: Header=BB305_98 Depth=1
	s_or_b32 exec_lo, exec_lo, s9
	ds_bpermute_b32 v9, v12, v6
	v_and_b32_e32 v8, 0xff, v7
	v_subrev_nc_u32_e32 v4, 32, v4
	s_delay_alu instid0(VALU_DEP_2) | instskip(SKIP_1) | instid1(VALU_DEP_1)
	v_cmp_eq_u16_e32 vcc_lo, 2, v8
	v_and_or_b32 v8, vcc_lo, v13, 0x80000000
	v_ctz_i32_b32_e32 v8, v8
	s_delay_alu instid0(VALU_DEP_1) | instskip(SKIP_3) | instid1(VALU_DEP_2)
	v_cmp_lt_u32_e32 vcc_lo, v52, v8
	s_waitcnt lgkmcnt(0)
	v_cndmask_b32_e32 v9, 0, v9, vcc_lo
	v_cmp_le_u32_e32 vcc_lo, v30, v8
	v_add_nc_u32_e32 v6, v9, v6
	ds_bpermute_b32 v9, v29, v6
	s_waitcnt lgkmcnt(0)
	v_cndmask_b32_e32 v9, 0, v9, vcc_lo
	v_cmp_le_u32_e32 vcc_lo, v33, v8
	s_delay_alu instid0(VALU_DEP_2) | instskip(SKIP_4) | instid1(VALU_DEP_2)
	v_add_nc_u32_e32 v6, v6, v9
	ds_bpermute_b32 v9, v32, v6
	s_waitcnt lgkmcnt(0)
	v_cndmask_b32_e32 v9, 0, v9, vcc_lo
	v_cmp_le_u32_e32 vcc_lo, v35, v8
	v_add_nc_u32_e32 v6, v6, v9
	ds_bpermute_b32 v9, v34, v6
	s_waitcnt lgkmcnt(0)
	v_cndmask_b32_e32 v9, 0, v9, vcc_lo
	v_cmp_le_u32_e32 vcc_lo, v56, v8
	s_delay_alu instid0(VALU_DEP_2) | instskip(SKIP_3) | instid1(VALU_DEP_1)
	v_add_nc_u32_e32 v6, v6, v9
	ds_bpermute_b32 v9, v55, v6
	s_waitcnt lgkmcnt(0)
	v_cndmask_b32_e32 v8, 0, v9, vcc_lo
	v_add3_u32 v6, v8, v3, v6
.LBB305_98:                             ; =>This Loop Header: Depth=1
                                        ;     Child Loop BB305_101 Depth 2
	v_and_b32_e32 v3, 0xff, v7
	s_delay_alu instid0(VALU_DEP_1) | instskip(SKIP_2) | instid1(VALU_DEP_1)
	v_cmp_ne_u16_e32 vcc_lo, 2, v3
	v_cndmask_b32_e64 v3, 0, 1, vcc_lo
	;;#ASMSTART
	;;#ASMEND
	v_cmp_ne_u32_e32 vcc_lo, 0, v3
	v_mov_b32_e32 v3, v6
	s_cmp_lg_u32 vcc_lo, exec_lo
	s_cbranch_scc1 .LBB305_103
; %bb.99:                               ;   in Loop: Header=BB305_98 Depth=1
	v_lshlrev_b64 v[6:7], 3, v[4:5]
	s_mov_b32 s9, exec_lo
	s_delay_alu instid0(VALU_DEP_1) | instskip(NEXT) | instid1(VALU_DEP_2)
	v_add_co_u32 v8, vcc_lo, s24, v6
	v_add_co_ci_u32_e32 v9, vcc_lo, s25, v7, vcc_lo
	global_load_b64 v[6:7], v[8:9], off glc
	s_waitcnt vmcnt(0)
	v_and_b32_e32 v57, 0xff, v7
	s_delay_alu instid0(VALU_DEP_1)
	v_cmpx_eq_u16_e32 0, v57
	s_cbranch_execz .LBB305_97
; %bb.100:                              ;   in Loop: Header=BB305_98 Depth=1
	s_mov_b32 s10, 0
.LBB305_101:                            ;   Parent Loop BB305_98 Depth=1
                                        ; =>  This Inner Loop Header: Depth=2
	global_load_b64 v[6:7], v[8:9], off glc
	s_waitcnt vmcnt(0)
	v_and_b32_e32 v57, 0xff, v7
	s_delay_alu instid0(VALU_DEP_1) | instskip(SKIP_1) | instid1(SALU_CYCLE_1)
	v_cmp_ne_u16_e32 vcc_lo, 0, v57
	s_or_b32 s10, vcc_lo, s10
	s_and_not1_b32 exec_lo, exec_lo, s10
	s_cbranch_execnz .LBB305_101
; %bb.102:                              ;   in Loop: Header=BB305_98 Depth=1
	s_or_b32 exec_lo, exec_lo, s10
	s_branch .LBB305_97
.LBB305_103:                            ;   in Loop: Header=BB305_98 Depth=1
                                        ; implicit-def: $vgpr6
                                        ; implicit-def: $vgpr7
	s_cbranch_execz .LBB305_98
; %bb.104:
	s_and_saveexec_b32 s9, s7
	s_cbranch_execz .LBB305_106
; %bb.105:
	s_add_i32 s10, s19, 32
	s_mov_b32 s11, 0
	v_dual_mov_b32 v5, 2 :: v_dual_add_nc_u32 v4, v3, v2
	s_lshl_b64 s[10:11], s[10:11], 3
	v_mov_b32_e32 v6, 0
	s_add_u32 s10, s24, s10
	s_addc_u32 s11, s25, s11
	global_store_b64 v6, v[4:5], s[10:11]
	ds_store_b64 v6, v[2:3] offset:3072
.LBB305_106:
	s_or_b32 exec_lo, exec_lo, s9
	s_delay_alu instid0(SALU_CYCLE_1)
	s_and_b32 exec_lo, exec_lo, s2
	s_cbranch_execz .LBB305_108
; %bb.107:
	v_mov_b32_e32 v2, 0
	ds_store_b32 v2, v3 offset:12
.LBB305_108:
	s_or_b32 exec_lo, exec_lo, s8
	v_mov_b32_e32 v12, 0
	s_waitcnt lgkmcnt(0)
	s_waitcnt_vscnt null, 0x0
	s_barrier
	buffer_gl0_inv
	v_cndmask_b32_e64 v3, v11, v10, s7
	ds_load_b32 v2, v12 offset:12
	s_waitcnt lgkmcnt(0)
	s_barrier
	buffer_gl0_inv
	v_cndmask_b32_e64 v3, v3, 0, s2
	s_delay_alu instid0(VALU_DEP_1) | instskip(NEXT) | instid1(VALU_DEP_1)
	v_add_nc_u32_e32 v2, v2, v3
	v_add_nc_u32_e32 v3, v2, v42
	ds_load_b64 v[29:30], v12 offset:3072
	v_add_nc_u32_e32 v4, v3, v43
	s_delay_alu instid0(VALU_DEP_1) | instskip(NEXT) | instid1(VALU_DEP_1)
	v_add_nc_u32_e32 v5, v4, v44
	v_add_nc_u32_e32 v6, v5, v45
	s_delay_alu instid0(VALU_DEP_1) | instskip(NEXT) | instid1(VALU_DEP_1)
	v_add_nc_u32_e32 v7, v6, v46
	;; [unrolled: 3-line block ×4, first 2 shown]
	v_add_nc_u32_e32 v12, v11, v50
	s_delay_alu instid0(VALU_DEP_1)
	v_add_nc_u32_e32 v13, v12, v51
	v_lshrrev_b64 v[34:35], 24, v[22:23]
	v_lshrrev_b64 v[32:33], 24, v[1:2]
	s_branch .LBB305_119
.LBB305_109:
                                        ; implicit-def: $vgpr30
                                        ; implicit-def: $vgpr2_vgpr3_vgpr4_vgpr5_vgpr6_vgpr7_vgpr8_vgpr9_vgpr10_vgpr11_vgpr12_vgpr13
                                        ; implicit-def: $vgpr29
	v_lshrrev_b64 v[34:35], 24, v[22:23]
	v_lshrrev_b64 v[32:33], 24, v[1:2]
	s_and_b32 vcc_lo, exec_lo, s7
	s_cbranch_vccz .LBB305_119
; %bb.110:
	v_mov_b32_dpp v1, v54 row_shr:1 row_mask:0xf bank_mask:0xf
	s_delay_alu instid0(VALU_DEP_1) | instskip(NEXT) | instid1(VALU_DEP_1)
	v_cndmask_b32_e64 v1, v1, 0, s6
	v_add_nc_u32_e32 v1, v1, v54
	s_delay_alu instid0(VALU_DEP_1) | instskip(NEXT) | instid1(VALU_DEP_1)
	v_mov_b32_dpp v2, v1 row_shr:2 row_mask:0xf bank_mask:0xf
	v_cndmask_b32_e64 v2, 0, v2, s5
	s_delay_alu instid0(VALU_DEP_1) | instskip(NEXT) | instid1(VALU_DEP_1)
	v_add_nc_u32_e32 v1, v1, v2
	v_mov_b32_dpp v2, v1 row_shr:4 row_mask:0xf bank_mask:0xf
	s_delay_alu instid0(VALU_DEP_1) | instskip(NEXT) | instid1(VALU_DEP_1)
	v_cndmask_b32_e64 v2, 0, v2, s4
	v_add_nc_u32_e32 v1, v1, v2
	s_delay_alu instid0(VALU_DEP_1) | instskip(NEXT) | instid1(VALU_DEP_1)
	v_mov_b32_dpp v2, v1 row_shr:8 row_mask:0xf bank_mask:0xf
	v_cndmask_b32_e64 v2, 0, v2, s3
	s_delay_alu instid0(VALU_DEP_1) | instskip(SKIP_3) | instid1(VALU_DEP_1)
	v_add_nc_u32_e32 v1, v1, v2
	ds_swizzle_b32 v2, v1 offset:swizzle(BROADCAST,32,15)
	s_waitcnt lgkmcnt(0)
	v_cndmask_b32_e64 v2, v2, 0, s1
	v_add_nc_u32_e32 v1, v1, v2
	s_and_saveexec_b32 s1, s0
	s_cbranch_execz .LBB305_112
; %bb.111:
	v_lshlrev_b32_e32 v2, 2, v53
	ds_store_b32 v2, v1
.LBB305_112:
	s_or_b32 exec_lo, exec_lo, s1
	s_delay_alu instid0(SALU_CYCLE_1)
	s_mov_b32 s0, exec_lo
	s_waitcnt lgkmcnt(0)
	s_barrier
	buffer_gl0_inv
	v_cmpx_gt_u32_e32 4, v0
	s_cbranch_execz .LBB305_114
; %bb.113:
	v_and_b32_e32 v4, 3, v52
	s_delay_alu instid0(VALU_DEP_1) | instskip(SKIP_4) | instid1(VALU_DEP_1)
	v_cmp_ne_u32_e32 vcc_lo, 0, v4
	v_lshlrev_b32_e32 v2, 2, v0
	ds_load_b32 v3, v2
	s_waitcnt lgkmcnt(0)
	v_mov_b32_dpp v5, v3 row_shr:1 row_mask:0xf bank_mask:0xf
	v_cndmask_b32_e32 v5, 0, v5, vcc_lo
	v_cmp_lt_u32_e32 vcc_lo, 1, v4
	s_delay_alu instid0(VALU_DEP_2) | instskip(NEXT) | instid1(VALU_DEP_1)
	v_add_nc_u32_e32 v3, v5, v3
	v_mov_b32_dpp v5, v3 row_shr:2 row_mask:0xf bank_mask:0xf
	s_delay_alu instid0(VALU_DEP_1) | instskip(NEXT) | instid1(VALU_DEP_1)
	v_cndmask_b32_e32 v4, 0, v5, vcc_lo
	v_add_nc_u32_e32 v3, v3, v4
	ds_store_b32 v2, v3
.LBB305_114:
	s_or_b32 exec_lo, exec_lo, s0
	v_dual_mov_b32 v3, 0 :: v_dual_mov_b32 v2, 0
	s_mov_b32 s0, exec_lo
	s_waitcnt lgkmcnt(0)
	s_barrier
	buffer_gl0_inv
	v_cmpx_lt_u32_e32 31, v0
	s_cbranch_execz .LBB305_116
; %bb.115:
	v_lshl_add_u32 v2, v53, 2, -4
	ds_load_b32 v2, v2
.LBB305_116:
	s_or_b32 exec_lo, exec_lo, s0
	v_add_nc_u32_e32 v4, -1, v52
	ds_load_b32 v29, v3 offset:12
	s_waitcnt lgkmcnt(1)
	v_add_nc_u32_e32 v1, v2, v1
	v_cmp_gt_i32_e32 vcc_lo, 0, v4
	v_cndmask_b32_e32 v4, v4, v52, vcc_lo
	s_delay_alu instid0(VALU_DEP_1)
	v_lshlrev_b32_e32 v4, 2, v4
	ds_bpermute_b32 v1, v4, v1
	s_and_saveexec_b32 s0, s2
	s_cbranch_execz .LBB305_118
; %bb.117:
	v_dual_mov_b32 v3, 0 :: v_dual_mov_b32 v30, 2
	s_waitcnt lgkmcnt(1)
	global_store_b64 v3, v[29:30], s[24:25] offset:256
.LBB305_118:
	s_or_b32 exec_lo, exec_lo, s0
	v_cmp_eq_u32_e32 vcc_lo, 0, v52
	s_waitcnt lgkmcnt(0)
	s_waitcnt_vscnt null, 0x0
	s_barrier
	buffer_gl0_inv
	v_dual_mov_b32 v30, 0 :: v_dual_cndmask_b32 v1, v1, v2
	s_delay_alu instid0(VALU_DEP_1) | instskip(NEXT) | instid1(VALU_DEP_1)
	v_cndmask_b32_e64 v2, v1, 0, s2
	v_add_nc_u32_e32 v3, v2, v42
	s_delay_alu instid0(VALU_DEP_1) | instskip(NEXT) | instid1(VALU_DEP_1)
	v_add_nc_u32_e32 v4, v3, v43
	v_add_nc_u32_e32 v5, v4, v44
	s_delay_alu instid0(VALU_DEP_1) | instskip(NEXT) | instid1(VALU_DEP_1)
	v_add_nc_u32_e32 v6, v5, v45
	;; [unrolled: 3-line block ×5, first 2 shown]
	v_add_nc_u32_e32 v13, v12, v51
.LBB305_119:
	s_waitcnt lgkmcnt(0)
	v_add_nc_u32_e32 v46, v30, v29
	v_cmp_gt_u32_e64 s0, 0x81, v29
	v_lshrrev_b32_e32 v33, 16, v36
	v_lshrrev_b32_e32 v44, 16, v22
	;; [unrolled: 1-line block ×6, first 2 shown]
	v_cmp_lt_u32_e64 s1, v2, v46
	s_and_b32 vcc_lo, exec_lo, s0
	s_mov_b32 s3, -1
	s_cbranch_vccz .LBB305_157
; %bb.120:
	s_lshl_b64 s[4:5], s[14:15], 1
	s_delay_alu instid0(SALU_CYCLE_1) | instskip(SKIP_2) | instid1(SALU_CYCLE_1)
	s_add_u32 s3, s20, s4
	s_addc_u32 s4, s21, s5
	s_or_b32 s5, s18, s1
	s_and_saveexec_b32 s1, s5
	s_cbranch_execz .LBB305_123
; %bb.121:
	v_and_b32_e32 v1, 1, v22
	s_delay_alu instid0(VALU_DEP_1)
	v_cmp_eq_u32_e32 vcc_lo, 1, v1
	s_and_b32 exec_lo, exec_lo, vcc_lo
	s_cbranch_execz .LBB305_123
; %bb.122:
	v_dual_mov_b32 v48, 0 :: v_dual_mov_b32 v47, v2
	s_delay_alu instid0(VALU_DEP_1) | instskip(NEXT) | instid1(VALU_DEP_1)
	v_lshlrev_b64 v[47:48], 1, v[47:48]
	v_add_co_u32 v47, vcc_lo, s3, v47
	s_delay_alu instid0(VALU_DEP_2)
	v_add_co_ci_u32_e32 v48, vcc_lo, s4, v48, vcc_lo
	global_store_b16 v[47:48], v18, off
.LBB305_123:
	s_or_b32 exec_lo, exec_lo, s1
	v_cmp_lt_u32_e32 vcc_lo, v3, v46
	s_or_b32 s5, s18, vcc_lo
	s_delay_alu instid0(SALU_CYCLE_1)
	s_and_saveexec_b32 s1, s5
	s_cbranch_execz .LBB305_126
; %bb.124:
	v_and_b32_e32 v1, 1, v45
	s_delay_alu instid0(VALU_DEP_1)
	v_cmp_eq_u32_e32 vcc_lo, 1, v1
	s_and_b32 exec_lo, exec_lo, vcc_lo
	s_cbranch_execz .LBB305_126
; %bb.125:
	v_dual_mov_b32 v48, 0 :: v_dual_mov_b32 v47, v3
	s_delay_alu instid0(VALU_DEP_1) | instskip(NEXT) | instid1(VALU_DEP_1)
	v_lshlrev_b64 v[47:48], 1, v[47:48]
	v_add_co_u32 v47, vcc_lo, s3, v47
	s_delay_alu instid0(VALU_DEP_2)
	v_add_co_ci_u32_e32 v48, vcc_lo, s4, v48, vcc_lo
	global_store_b16 v[47:48], v41, off
.LBB305_126:
	s_or_b32 exec_lo, exec_lo, s1
	v_cmp_lt_u32_e32 vcc_lo, v4, v46
	s_or_b32 s5, s18, vcc_lo
	s_delay_alu instid0(SALU_CYCLE_1)
	;; [unrolled: 21-line block ×11, first 2 shown]
	s_and_saveexec_b32 s1, s5
	s_cbranch_execz .LBB305_156
; %bb.154:
	v_and_b32_e32 v1, 1, v32
	s_delay_alu instid0(VALU_DEP_1)
	v_cmp_eq_u32_e32 vcc_lo, 1, v1
	s_and_b32 exec_lo, exec_lo, vcc_lo
	s_cbranch_execz .LBB305_156
; %bb.155:
	v_dual_mov_b32 v48, 0 :: v_dual_mov_b32 v47, v13
	s_delay_alu instid0(VALU_DEP_1) | instskip(NEXT) | instid1(VALU_DEP_1)
	v_lshlrev_b64 v[47:48], 1, v[47:48]
	v_add_co_u32 v47, vcc_lo, s3, v47
	s_delay_alu instid0(VALU_DEP_2)
	v_add_co_ci_u32_e32 v48, vcc_lo, s4, v48, vcc_lo
	global_store_b16 v[47:48], v31, off
.LBB305_156:
	s_or_b32 exec_lo, exec_lo, s1
	s_mov_b32 s3, 0
.LBB305_157:
	v_and_b32_e32 v22, 1, v22
	s_and_b32 vcc_lo, exec_lo, s3
	s_delay_alu instid0(VALU_DEP_1)
	v_cmp_eq_u32_e64 s1, 1, v22
	s_cbranch_vccz .LBB305_198
; %bb.158:
	s_delay_alu instid0(VALU_DEP_1)
	s_and_saveexec_b32 s3, s1
	s_cbranch_execz .LBB305_160
; %bb.159:
	v_sub_nc_u32_e32 v1, v2, v30
	s_delay_alu instid0(VALU_DEP_1)
	v_lshlrev_b32_e32 v1, 1, v1
	ds_store_b16 v1, v18
.LBB305_160:
	s_or_b32 exec_lo, exec_lo, s3
	v_and_b32_e32 v1, 1, v45
	s_mov_b32 s1, exec_lo
	s_delay_alu instid0(VALU_DEP_1)
	v_cmpx_eq_u32_e32 1, v1
	s_cbranch_execz .LBB305_162
; %bb.161:
	v_sub_nc_u32_e32 v1, v3, v30
	s_delay_alu instid0(VALU_DEP_1)
	v_lshlrev_b32_e32 v1, 1, v1
	ds_store_b16 v1, v41
.LBB305_162:
	s_or_b32 exec_lo, exec_lo, s1
	v_and_b32_e32 v1, 1, v44
	s_mov_b32 s1, exec_lo
	s_delay_alu instid0(VALU_DEP_1)
	v_cmpx_eq_u32_e32 1, v1
	;; [unrolled: 12-line block ×11, first 2 shown]
	s_cbranch_execz .LBB305_182
; %bb.181:
	v_sub_nc_u32_e32 v1, v13, v30
	s_delay_alu instid0(VALU_DEP_1)
	v_lshlrev_b32_e32 v1, 1, v1
	ds_store_b16 v1, v31
.LBB305_182:
	s_or_b32 exec_lo, exec_lo, s1
	s_delay_alu instid0(SALU_CYCLE_1)
	s_mov_b32 s4, exec_lo
	s_waitcnt lgkmcnt(0)
	s_waitcnt_vscnt null, 0x0
	s_barrier
	buffer_gl0_inv
	v_cmpx_lt_u32_e64 v0, v29
	s_cbranch_execz .LBB305_197
; %bb.183:
	v_mov_b32_e32 v31, 0
	s_lshl_b64 s[6:7], s[14:15], 1
	v_xad_u32 v1, v0, -1, v29
	s_add_u32 s3, s20, s6
	s_addc_u32 s5, s21, s7
	v_lshlrev_b64 v[18:19], 1, v[30:31]
	s_delay_alu instid0(VALU_DEP_2) | instskip(NEXT) | instid1(VALU_DEP_2)
	v_cmp_gt_u32_e32 vcc_lo, 0xc80, v1
	v_add_co_u32 v27, s3, s3, v18
	v_mov_b32_e32 v18, v0
	s_delay_alu instid0(VALU_DEP_4)
	v_add_co_ci_u32_e64 v28, s3, s5, v19, s3
	s_mov_b32 s3, -1
	s_mov_b32 s5, exec_lo
	v_cmpx_lt_u32_e32 0xc7f, v1
	s_cbranch_execz .LBB305_194
; %bb.184:
	v_sub_nc_u32_e32 v18, v0, v29
	s_delay_alu instid0(VALU_DEP_1) | instskip(NEXT) | instid1(VALU_DEP_1)
	v_or_b32_e32 v18, 0x7f, v18
	v_cmp_ge_u32_e64 s1, v18, v0
	v_mov_b32_e32 v18, v0
	s_delay_alu instid0(VALU_DEP_2)
	s_and_saveexec_b32 s6, s1
	s_cbranch_execz .LBB305_193
; %bb.185:
	v_lshrrev_b32_e32 v31, 7, v1
	v_or_b32_e32 v1, 0x80, v0
	s_delay_alu instid0(VALU_DEP_2) | instskip(NEXT) | instid1(VALU_DEP_1)
	v_add_nc_u32_e32 v18, -1, v31
	v_lshrrev_b32_e32 v19, 1, v18
	v_mov_b32_e32 v40, 0
	v_cmp_lt_u32_e64 s1, 13, v18
	s_delay_alu instid0(VALU_DEP_3) | instskip(SKIP_1) | instid1(VALU_DEP_3)
	v_add_nc_u32_e32 v37, 1, v19
	v_dual_mov_b32 v19, v1 :: v_dual_mov_b32 v18, v0
	s_and_saveexec_b32 s3, s1
	s_cbranch_execz .LBB305_189
; %bb.186:
	s_delay_alu instid0(VALU_DEP_2)
	v_dual_mov_b32 v19, v1 :: v_dual_and_b32 v38, -8, v37
	v_mov_b32_e32 v21, 0
	v_dual_mov_b32 v18, v0 :: v_dual_lshlrev_b32 v39, 1, v0
	s_mov_b32 s7, 0
	s_mov_b32 s8, 0
.LBB305_187:                            ; =>This Inner Loop Header: Depth=1
	s_delay_alu instid0(VALU_DEP_1) | instskip(SKIP_2) | instid1(VALU_DEP_3)
	v_dual_mov_b32 v20, v18 :: v_dual_add_nc_u32 v47, 0x100, v19
	v_add_nc_u32_e32 v38, -8, v38
	v_dual_mov_b32 v48, v21 :: v_dual_add_nc_u32 v49, 0x200, v19
	v_lshlrev_b64 v[61:62], 1, v[20:21]
	v_dual_mov_b32 v50, v21 :: v_dual_add_nc_u32 v51, 0x300, v19
	s_delay_alu instid0(VALU_DEP_4) | instskip(NEXT) | instid1(VALU_DEP_4)
	v_cmp_eq_u32_e64 s1, 0, v38
	v_lshlrev_b64 v[47:48], 1, v[47:48]
	v_dual_mov_b32 v52, v21 :: v_dual_add_nc_u32 v53, 0x400, v19
	s_add_i32 s8, s8, 16
	v_lshlrev_b64 v[49:50], 1, v[49:50]
	s_or_b32 s7, s1, s7
	v_add_co_u32 v61, s1, v27, v61
	v_dual_mov_b32 v54, v21 :: v_dual_add_nc_u32 v55, 0x500, v19
	v_add_co_ci_u32_e64 v62, s1, v28, v62, s1
	v_lshlrev_b64 v[51:52], 1, v[51:52]
	v_add_co_u32 v47, s1, v27, v47
	v_dual_mov_b32 v56, v21 :: v_dual_add_nc_u32 v57, 0x600, v19
	v_add_co_ci_u32_e64 v48, s1, v28, v48, s1
	v_lshlrev_b64 v[53:54], 1, v[53:54]
	;; [unrolled: 4-line block ×3, first 2 shown]
	v_add_co_u32 v51, s1, v27, v51
	v_mov_b32_e32 v60, v21
	v_mov_b32_e32 v20, v19
	v_add_co_ci_u32_e64 v52, s1, v28, v52, s1
	v_lshlrev_b64 v[57:58], 1, v[57:58]
	v_add_co_u32 v53, s1, v27, v53
	ds_load_u16 v1, v39
	ds_load_u16 v41, v39 offset:256
	ds_load_u16 v67, v39 offset:512
	;; [unrolled: 1-line block ×7, first 2 shown]
	v_add_co_ci_u32_e64 v54, s1, v28, v54, s1
	ds_load_u16 v73, v39 offset:2048
	ds_load_u16 v74, v39 offset:2304
	;; [unrolled: 1-line block ×8, first 2 shown]
	v_add_nc_u32_e32 v39, 0x1000, v39
	v_lshlrev_b64 v[59:60], 1, v[59:60]
	v_add_co_u32 v55, s1, v27, v55
	v_lshlrev_b64 v[63:64], 1, v[20:21]
	v_add_nc_u32_e32 v20, 0x100, v18
	v_add_co_ci_u32_e64 v56, s1, v28, v56, s1
	v_add_co_u32 v57, s1, v27, v57
	s_delay_alu instid0(VALU_DEP_1)
	v_add_co_ci_u32_e64 v58, s1, v28, v58, s1
	v_add_co_u32 v59, s1, v27, v59
	v_lshlrev_b64 v[65:66], 1, v[20:21]
	v_add_nc_u32_e32 v20, 0x200, v18
	v_add_co_ci_u32_e64 v60, s1, v28, v60, s1
	v_add_co_u32 v63, s1, v27, v63
	s_delay_alu instid0(VALU_DEP_1)
	v_add_co_ci_u32_e64 v64, s1, v28, v64, s1
	s_waitcnt lgkmcnt(15)
	global_store_b16 v[61:62], v1, off
	v_lshlrev_b64 v[61:62], 1, v[20:21]
	v_add_nc_u32_e32 v20, 0x300, v18
	v_add_co_u32 v65, s1, v27, v65
	s_delay_alu instid0(VALU_DEP_1)
	v_add_co_ci_u32_e64 v66, s1, v28, v66, s1
	s_waitcnt lgkmcnt(14)
	global_store_b16 v[63:64], v41, off
	v_lshlrev_b64 v[63:64], 1, v[20:21]
	v_add_nc_u32_e32 v20, 0x400, v18
	s_waitcnt lgkmcnt(13)
	global_store_b16 v[65:66], v67, off
	s_waitcnt lgkmcnt(12)
	global_store_b16 v[47:48], v68, off
	v_add_co_u32 v47, s1, v27, v61
	s_delay_alu instid0(VALU_DEP_1) | instskip(SKIP_3) | instid1(VALU_DEP_1)
	v_add_co_ci_u32_e64 v48, s1, v28, v62, s1
	v_lshlrev_b64 v[61:62], 1, v[20:21]
	v_add_nc_u32_e32 v20, 0x500, v18
	v_add_co_u32 v63, s1, v27, v63
	v_add_co_ci_u32_e64 v64, s1, v28, v64, s1
	s_waitcnt lgkmcnt(11)
	global_store_b16 v[47:48], v69, off
	s_waitcnt lgkmcnt(10)
	global_store_b16 v[49:50], v70, off
	v_lshlrev_b64 v[47:48], 1, v[20:21]
	v_add_nc_u32_e32 v20, 0x600, v18
	v_add_co_u32 v49, s1, v27, v61
	s_waitcnt lgkmcnt(9)
	global_store_b16 v[63:64], v71, off
	s_waitcnt lgkmcnt(8)
	global_store_b16 v[51:52], v72, off
	v_add_co_ci_u32_e64 v50, s1, v28, v62, s1
	v_lshlrev_b64 v[51:52], 1, v[20:21]
	v_add_nc_u32_e32 v20, 0x700, v18
	v_add_co_u32 v47, s1, v27, v47
	s_delay_alu instid0(VALU_DEP_1)
	v_add_co_ci_u32_e64 v48, s1, v28, v48, s1
	s_waitcnt lgkmcnt(7)
	global_store_b16 v[49:50], v73, off
	s_waitcnt lgkmcnt(6)
	global_store_b16 v[53:54], v74, off
	v_lshlrev_b64 v[49:50], 1, v[20:21]
	v_dual_mov_b32 v40, s8 :: v_dual_add_nc_u32 v19, 0x800, v19
	s_waitcnt lgkmcnt(5)
	global_store_b16 v[47:48], v75, off
	v_add_co_u32 v47, s1, v27, v51
	v_add_nc_u32_e32 v18, 0x800, v18
	v_add_co_ci_u32_e64 v48, s1, v28, v52, s1
	v_add_co_u32 v49, s1, v27, v49
	s_delay_alu instid0(VALU_DEP_1)
	v_add_co_ci_u32_e64 v50, s1, v28, v50, s1
	s_waitcnt lgkmcnt(4)
	global_store_b16 v[55:56], v76, off
	s_waitcnt lgkmcnt(3)
	global_store_b16 v[47:48], v77, off
	;; [unrolled: 2-line block ×5, first 2 shown]
	s_and_not1_b32 exec_lo, exec_lo, s7
	s_cbranch_execnz .LBB305_187
; %bb.188:
	s_or_b32 exec_lo, exec_lo, s7
.LBB305_189:
	s_delay_alu instid0(SALU_CYCLE_1) | instskip(SKIP_3) | instid1(VALU_DEP_1)
	s_or_b32 exec_lo, exec_lo, s3
	v_and_b32_e32 v1, 7, v37
	s_mov_b32 s8, 0
	s_mov_b32 s7, exec_lo
	v_cmpx_ne_u32_e32 0, v1
	s_cbranch_execz .LBB305_192
; %bb.190:
	v_dual_mov_b32 v21, 0 :: v_dual_lshlrev_b32 v20, 1, v0
	s_delay_alu instid0(VALU_DEP_1)
	v_lshl_or_b32 v37, v40, 8, v20
	s_set_inst_prefetch_distance 0x1
	.p2align	6
.LBB305_191:                            ; =>This Inner Loop Header: Depth=1
	v_dual_mov_b32 v20, v18 :: v_dual_add_nc_u32 v1, -1, v1
	ds_load_u16 v47, v37
	ds_load_u16 v48, v37 offset:256
	v_add_nc_u32_e32 v18, 0x100, v18
	v_add_nc_u32_e32 v37, 0x200, v37
	v_lshlrev_b64 v[38:39], 1, v[20:21]
	v_mov_b32_e32 v20, v19
	v_cmp_eq_u32_e64 s1, 0, v1
	v_add_nc_u32_e32 v19, 0x100, v19
	s_delay_alu instid0(VALU_DEP_3) | instskip(SKIP_1) | instid1(VALU_DEP_1)
	v_lshlrev_b64 v[40:41], 1, v[20:21]
	v_add_co_u32 v38, s3, v27, v38
	v_add_co_ci_u32_e64 v39, s3, v28, v39, s3
	s_or_b32 s8, s1, s8
	s_delay_alu instid0(VALU_DEP_3) | instskip(NEXT) | instid1(VALU_DEP_1)
	v_add_co_u32 v40, s3, v27, v40
	v_add_co_ci_u32_e64 v41, s3, v28, v41, s3
	s_waitcnt lgkmcnt(1)
	global_store_b16 v[38:39], v47, off
	s_waitcnt lgkmcnt(0)
	global_store_b16 v[40:41], v48, off
	s_and_not1_b32 exec_lo, exec_lo, s8
	s_cbranch_execnz .LBB305_191
.LBB305_192:
	s_set_inst_prefetch_distance 0x2
	s_or_b32 exec_lo, exec_lo, s7
	v_add_nc_u32_e32 v1, 1, v31
	s_delay_alu instid0(VALU_DEP_1) | instskip(NEXT) | instid1(VALU_DEP_1)
	v_and_b32_e32 v18, 0x3fffffe, v1
	v_cmp_ne_u32_e64 s1, v1, v18
	v_lshl_or_b32 v18, v18, 7, v0
	s_delay_alu instid0(VALU_DEP_2)
	s_or_not1_b32 s3, s1, exec_lo
.LBB305_193:
	s_or_b32 exec_lo, exec_lo, s6
	s_delay_alu instid0(SALU_CYCLE_1) | instskip(SKIP_1) | instid1(SALU_CYCLE_1)
	s_and_not1_b32 s1, vcc_lo, exec_lo
	s_and_b32 s3, s3, exec_lo
	s_or_b32 vcc_lo, s1, s3
.LBB305_194:
	s_or_b32 exec_lo, exec_lo, s5
	s_delay_alu instid0(SALU_CYCLE_1)
	s_and_b32 exec_lo, exec_lo, vcc_lo
	s_cbranch_execz .LBB305_197
; %bb.195:
	v_lshlrev_b32_e32 v1, 1, v18
	v_mov_b32_e32 v19, 0
	s_mov_b32 s3, 0
	.p2align	6
.LBB305_196:                            ; =>This Inner Loop Header: Depth=1
	ds_load_u16 v31, v1
	v_lshlrev_b64 v[20:21], 1, v[18:19]
	v_add_nc_u32_e32 v18, 0x80, v18
	v_add_nc_u32_e32 v1, 0x100, v1
	s_delay_alu instid0(VALU_DEP_2) | instskip(NEXT) | instid1(VALU_DEP_4)
	v_cmp_ge_u32_e32 vcc_lo, v18, v29
	v_add_co_u32 v20, s1, v27, v20
	s_delay_alu instid0(VALU_DEP_1)
	v_add_co_ci_u32_e64 v21, s1, v28, v21, s1
	s_or_b32 s3, vcc_lo, s3
	s_waitcnt lgkmcnt(0)
	global_store_b16 v[20:21], v31, off
	s_and_not1_b32 exec_lo, exec_lo, s3
	s_cbranch_execnz .LBB305_196
.LBB305_197:
	s_or_b32 exec_lo, exec_lo, s4
.LBB305_198:
	v_lshrrev_b32_e32 v27, 16, v14
	v_lshrrev_b32_e32 v21, 16, v15
	v_lshrrev_b32_e32 v20, 16, v16
	v_lshrrev_b32_e32 v19, 16, v17
	v_lshrrev_b32_e32 v18, 16, v25
	v_lshrrev_b32_e32 v1, 16, v26
	s_and_b32 vcc_lo, exec_lo, s0
	s_mov_b32 s0, -1
	s_waitcnt_vscnt null, 0x0
	s_barrier
	buffer_gl0_inv
	s_cbranch_vccnz .LBB305_202
; %bb.199:
	s_and_b32 vcc_lo, exec_lo, s0
	s_cbranch_vccnz .LBB305_239
.LBB305_200:
	s_and_b32 s0, s2, s13
	s_delay_alu instid0(SALU_CYCLE_1)
	s_and_saveexec_b32 s1, s0
	s_cbranch_execnz .LBB305_279
.LBB305_201:
	s_nop 0
	s_sendmsg sendmsg(MSG_DEALLOC_VGPRS)
	s_endpgm
.LBB305_202:
	v_cmp_lt_u32_e32 vcc_lo, v2, v46
	s_lshl_b64 s[0:1], s[14:15], 1
	s_delay_alu instid0(SALU_CYCLE_1) | instskip(SKIP_2) | instid1(SALU_CYCLE_1)
	s_add_u32 s0, s22, s0
	s_addc_u32 s1, s23, s1
	s_or_b32 s4, s18, vcc_lo
	s_and_saveexec_b32 s3, s4
	s_cbranch_execz .LBB305_205
; %bb.203:
	v_cmp_eq_u32_e32 vcc_lo, 1, v22
	s_and_b32 exec_lo, exec_lo, vcc_lo
	s_cbranch_execz .LBB305_205
; %bb.204:
	v_dual_mov_b32 v38, 0 :: v_dual_mov_b32 v37, v2
	s_delay_alu instid0(VALU_DEP_1) | instskip(NEXT) | instid1(VALU_DEP_1)
	v_lshlrev_b64 v[37:38], 1, v[37:38]
	v_add_co_u32 v37, vcc_lo, s0, v37
	s_delay_alu instid0(VALU_DEP_2)
	v_add_co_ci_u32_e32 v38, vcc_lo, s1, v38, vcc_lo
	global_store_b16 v[37:38], v14, off
.LBB305_205:
	s_or_b32 exec_lo, exec_lo, s3
	v_cmp_lt_u32_e32 vcc_lo, v3, v46
	s_or_b32 s4, s18, vcc_lo
	s_delay_alu instid0(SALU_CYCLE_1)
	s_and_saveexec_b32 s3, s4
	s_cbranch_execz .LBB305_208
; %bb.206:
	v_and_b32_e32 v28, 1, v45
	s_delay_alu instid0(VALU_DEP_1)
	v_cmp_eq_u32_e32 vcc_lo, 1, v28
	s_and_b32 exec_lo, exec_lo, vcc_lo
	s_cbranch_execz .LBB305_208
; %bb.207:
	v_dual_mov_b32 v38, 0 :: v_dual_mov_b32 v37, v3
	s_delay_alu instid0(VALU_DEP_1) | instskip(NEXT) | instid1(VALU_DEP_1)
	v_lshlrev_b64 v[37:38], 1, v[37:38]
	v_add_co_u32 v37, vcc_lo, s0, v37
	s_delay_alu instid0(VALU_DEP_2)
	v_add_co_ci_u32_e32 v38, vcc_lo, s1, v38, vcc_lo
	global_store_b16 v[37:38], v27, off
.LBB305_208:
	s_or_b32 exec_lo, exec_lo, s3
	v_cmp_lt_u32_e32 vcc_lo, v4, v46
	s_or_b32 s4, s18, vcc_lo
	s_delay_alu instid0(SALU_CYCLE_1)
	s_and_saveexec_b32 s3, s4
	s_cbranch_execz .LBB305_211
; %bb.209:
	v_and_b32_e32 v28, 1, v44
	s_delay_alu instid0(VALU_DEP_1)
	v_cmp_eq_u32_e32 vcc_lo, 1, v28
	s_and_b32 exec_lo, exec_lo, vcc_lo
	s_cbranch_execz .LBB305_211
; %bb.210:
	v_dual_mov_b32 v38, 0 :: v_dual_mov_b32 v37, v4
	s_delay_alu instid0(VALU_DEP_1) | instskip(NEXT) | instid1(VALU_DEP_1)
	v_lshlrev_b64 v[37:38], 1, v[37:38]
	v_add_co_u32 v37, vcc_lo, s0, v37
	s_delay_alu instid0(VALU_DEP_2)
	v_add_co_ci_u32_e32 v38, vcc_lo, s1, v38, vcc_lo
	global_store_b16 v[37:38], v15, off
.LBB305_211:
	;; [unrolled: 21-line block ×11, first 2 shown]
	s_or_b32 exec_lo, exec_lo, s3
	s_branch .LBB305_200
.LBB305_239:
	s_mov_b32 s0, exec_lo
	v_cmpx_eq_u32_e32 1, v22
	s_cbranch_execz .LBB305_241
; %bb.240:
	v_sub_nc_u32_e32 v2, v2, v30
	s_delay_alu instid0(VALU_DEP_1)
	v_lshlrev_b32_e32 v2, 1, v2
	ds_store_b16 v2, v14
.LBB305_241:
	s_or_b32 exec_lo, exec_lo, s0
	v_and_b32_e32 v2, 1, v45
	s_mov_b32 s0, exec_lo
	s_delay_alu instid0(VALU_DEP_1)
	v_cmpx_eq_u32_e32 1, v2
	s_cbranch_execz .LBB305_243
; %bb.242:
	v_sub_nc_u32_e32 v2, v3, v30
	s_delay_alu instid0(VALU_DEP_1)
	v_lshlrev_b32_e32 v2, 1, v2
	ds_store_b16 v2, v27
.LBB305_243:
	s_or_b32 exec_lo, exec_lo, s0
	v_and_b32_e32 v2, 1, v44
	s_mov_b32 s0, exec_lo
	s_delay_alu instid0(VALU_DEP_1)
	;; [unrolled: 12-line block ×11, first 2 shown]
	v_cmpx_eq_u32_e32 1, v2
	s_cbranch_execz .LBB305_263
; %bb.262:
	v_sub_nc_u32_e32 v2, v13, v30
	s_delay_alu instid0(VALU_DEP_1)
	v_lshlrev_b32_e32 v2, 1, v2
	ds_store_b16 v2, v1
.LBB305_263:
	s_or_b32 exec_lo, exec_lo, s0
	s_delay_alu instid0(SALU_CYCLE_1)
	s_mov_b32 s3, exec_lo
	s_waitcnt lgkmcnt(0)
	s_waitcnt_vscnt null, 0x0
	s_barrier
	buffer_gl0_inv
	v_cmpx_lt_u32_e64 v0, v29
	s_cbranch_execz .LBB305_278
; %bb.264:
	v_mov_b32_e32 v31, 0
	s_lshl_b64 s[0:1], s[14:15], 1
	v_xad_u32 v1, v0, -1, v29
	s_add_u32 s0, s22, s0
	s_addc_u32 s1, s23, s1
	v_lshlrev_b64 v[2:3], 1, v[30:31]
	s_mov_b32 s4, exec_lo
	v_cmp_gt_u32_e32 vcc_lo, 0xc80, v1
	s_delay_alu instid0(VALU_DEP_2) | instskip(NEXT) | instid1(VALU_DEP_1)
	v_add_co_u32 v6, s0, s0, v2
	v_add_co_ci_u32_e64 v7, s0, s1, v3, s0
	s_mov_b32 s1, -1
	v_cmpx_lt_u32_e32 0xc7f, v1
	s_cbranch_execz .LBB305_275
; %bb.265:
	v_sub_nc_u32_e32 v2, v0, v29
	s_mov_b32 s5, exec_lo
	s_delay_alu instid0(VALU_DEP_1) | instskip(NEXT) | instid1(VALU_DEP_1)
	v_or_b32_e32 v2, 0x7f, v2
	v_cmpx_ge_u32_e64 v2, v0
	s_cbranch_execz .LBB305_274
; %bb.266:
	v_lshrrev_b32_e32 v8, 7, v1
	v_or_b32_e32 v1, 0x80, v0
	v_lshlrev_b32_e32 v9, 1, v0
	s_delay_alu instid0(VALU_DEP_3) | instskip(NEXT) | instid1(VALU_DEP_1)
	v_dual_mov_b32 v13, 0 :: v_dual_add_nc_u32 v2, -1, v8
	v_lshrrev_b32_e32 v3, 1, v2
	v_cmp_lt_u32_e64 s0, 13, v2
	s_delay_alu instid0(VALU_DEP_2) | instskip(SKIP_1) | instid1(VALU_DEP_3)
	v_dual_mov_b32 v3, v1 :: v_dual_add_nc_u32 v10, 1, v3
	v_mov_b32_e32 v2, v0
	s_and_saveexec_b32 s1, s0
	s_cbranch_execz .LBB305_270
; %bb.267:
	v_mov_b32_e32 v3, v1
	v_dual_mov_b32 v12, v9 :: v_dual_and_b32 v11, -8, v10
	v_dual_mov_b32 v5, 0 :: v_dual_mov_b32 v2, v0
	s_mov_b32 s6, 0
	s_mov_b32 s7, 0
.LBB305_268:                            ; =>This Inner Loop Header: Depth=1
	s_delay_alu instid0(VALU_DEP_1) | instskip(SKIP_2) | instid1(VALU_DEP_3)
	v_dual_mov_b32 v4, v2 :: v_dual_mov_b32 v15, v5
	v_add_nc_u32_e32 v11, -8, v11
	v_dual_mov_b32 v17, v5 :: v_dual_add_nc_u32 v14, 0x100, v3
	v_lshlrev_b64 v[31:32], 1, v[4:5]
	v_dual_mov_b32 v19, v5 :: v_dual_add_nc_u32 v16, 0x200, v3
	v_mov_b32_e32 v4, v3
	v_cmp_eq_u32_e64 s0, 0, v11
	v_lshlrev_b64 v[14:15], 1, v[14:15]
	v_dual_mov_b32 v21, v5 :: v_dual_add_nc_u32 v18, 0x300, v3
	s_add_i32 s7, s7, 16
	v_lshlrev_b64 v[16:17], 1, v[16:17]
	s_or_b32 s6, s0, s6
	v_add_co_u32 v31, s0, v6, v31
	v_dual_mov_b32 v23, v5 :: v_dual_add_nc_u32 v20, 0x400, v3
	v_add_co_ci_u32_e64 v32, s0, v7, v32, s0
	v_lshlrev_b64 v[18:19], 1, v[18:19]
	v_add_co_u32 v14, s0, v6, v14
	v_dual_mov_b32 v25, v5 :: v_dual_add_nc_u32 v22, 0x500, v3
	v_add_co_ci_u32_e64 v15, s0, v7, v15, s0
	v_lshlrev_b64 v[20:21], 1, v[20:21]
	v_add_co_u32 v16, s0, v6, v16
	v_dual_mov_b32 v27, v5 :: v_dual_add_nc_u32 v24, 0x600, v3
	v_add_co_ci_u32_e64 v17, s0, v7, v17, s0
	v_lshlrev_b64 v[22:23], 1, v[22:23]
	v_add_co_u32 v18, s0, v6, v18
	v_dual_mov_b32 v13, s7 :: v_dual_add_nc_u32 v26, 0x700, v3
	v_add_co_ci_u32_e64 v19, s0, v7, v19, s0
	v_lshlrev_b64 v[24:25], 1, v[24:25]
	v_add_co_u32 v20, s0, v6, v20
	ds_load_u16 v1, v12
	ds_load_u16 v28, v12 offset:256
	ds_load_u16 v37, v12 offset:512
	;; [unrolled: 1-line block ×7, first 2 shown]
	v_add_co_ci_u32_e64 v21, s0, v7, v21, s0
	v_lshlrev_b64 v[26:27], 1, v[26:27]
	v_add_co_u32 v22, s0, v6, v22
	v_lshlrev_b64 v[33:34], 1, v[4:5]
	v_add_nc_u32_e32 v4, 0x100, v2
	v_add_co_ci_u32_e64 v23, s0, v7, v23, s0
	v_add_co_u32 v24, s0, v6, v24
	s_delay_alu instid0(VALU_DEP_1)
	v_add_co_ci_u32_e64 v25, s0, v7, v25, s0
	v_add_co_u32 v26, s0, v6, v26
	v_lshlrev_b64 v[35:36], 1, v[4:5]
	v_add_nc_u32_e32 v4, 0x200, v2
	v_add_co_ci_u32_e64 v27, s0, v7, v27, s0
	v_add_co_u32 v33, s0, v6, v33
	ds_load_u16 v43, v12 offset:2048
	ds_load_u16 v44, v12 offset:2304
	;; [unrolled: 1-line block ×8, first 2 shown]
	v_add_co_ci_u32_e64 v34, s0, v7, v34, s0
	s_waitcnt lgkmcnt(15)
	global_store_b16 v[31:32], v1, off
	v_lshlrev_b64 v[31:32], 1, v[4:5]
	v_add_nc_u32_e32 v4, 0x300, v2
	v_add_co_u32 v35, s0, v6, v35
	s_delay_alu instid0(VALU_DEP_1)
	v_add_co_ci_u32_e64 v36, s0, v7, v36, s0
	s_waitcnt lgkmcnt(14)
	global_store_b16 v[33:34], v28, off
	v_lshlrev_b64 v[33:34], 1, v[4:5]
	v_add_nc_u32_e32 v4, 0x400, v2
	s_waitcnt lgkmcnt(13)
	global_store_b16 v[35:36], v37, off
	s_waitcnt lgkmcnt(12)
	global_store_b16 v[14:15], v38, off
	v_add_co_u32 v14, s0, v6, v31
	s_delay_alu instid0(VALU_DEP_1) | instskip(SKIP_3) | instid1(VALU_DEP_1)
	v_add_co_ci_u32_e64 v15, s0, v7, v32, s0
	v_lshlrev_b64 v[31:32], 1, v[4:5]
	v_add_nc_u32_e32 v4, 0x500, v2
	v_add_co_u32 v33, s0, v6, v33
	v_add_co_ci_u32_e64 v34, s0, v7, v34, s0
	s_waitcnt lgkmcnt(11)
	global_store_b16 v[14:15], v39, off
	s_waitcnt lgkmcnt(10)
	global_store_b16 v[16:17], v40, off
	v_lshlrev_b64 v[14:15], 1, v[4:5]
	v_add_nc_u32_e32 v4, 0x600, v2
	v_add_co_u32 v16, s0, v6, v31
	s_waitcnt lgkmcnt(9)
	global_store_b16 v[33:34], v41, off
	s_waitcnt lgkmcnt(8)
	global_store_b16 v[18:19], v42, off
	v_add_co_ci_u32_e64 v17, s0, v7, v32, s0
	v_lshlrev_b64 v[18:19], 1, v[4:5]
	v_add_nc_u32_e32 v4, 0x700, v2
	v_add_co_u32 v14, s0, v6, v14
	s_delay_alu instid0(VALU_DEP_1)
	v_add_co_ci_u32_e64 v15, s0, v7, v15, s0
	s_waitcnt lgkmcnt(7)
	global_store_b16 v[16:17], v43, off
	s_waitcnt lgkmcnt(6)
	global_store_b16 v[20:21], v44, off
	v_lshlrev_b64 v[16:17], 1, v[4:5]
	v_add_nc_u32_e32 v12, 0x1000, v12
	s_waitcnt lgkmcnt(5)
	global_store_b16 v[14:15], v45, off
	v_add_co_u32 v14, s0, v6, v18
	v_add_nc_u32_e32 v3, 0x800, v3
	v_add_nc_u32_e32 v2, 0x800, v2
	v_add_co_ci_u32_e64 v15, s0, v7, v19, s0
	v_add_co_u32 v16, s0, v6, v16
	s_delay_alu instid0(VALU_DEP_1)
	v_add_co_ci_u32_e64 v17, s0, v7, v17, s0
	s_waitcnt lgkmcnt(4)
	global_store_b16 v[22:23], v46, off
	s_waitcnt lgkmcnt(3)
	global_store_b16 v[14:15], v47, off
	;; [unrolled: 2-line block ×5, first 2 shown]
	s_and_not1_b32 exec_lo, exec_lo, s6
	s_cbranch_execnz .LBB305_268
; %bb.269:
	s_or_b32 exec_lo, exec_lo, s6
.LBB305_270:
	s_delay_alu instid0(SALU_CYCLE_1) | instskip(SKIP_3) | instid1(VALU_DEP_1)
	s_or_b32 exec_lo, exec_lo, s1
	v_and_b32_e32 v1, 7, v10
	s_mov_b32 s7, 0
	s_mov_b32 s6, exec_lo
	v_cmpx_ne_u32_e32 0, v1
	s_cbranch_execz .LBB305_273
; %bb.271:
	v_lshl_or_b32 v9, v13, 8, v9
	v_mov_b32_e32 v5, 0
	s_set_inst_prefetch_distance 0x1
	.p2align	6
.LBB305_272:                            ; =>This Inner Loop Header: Depth=1
	v_dual_mov_b32 v4, v2 :: v_dual_add_nc_u32 v1, -1, v1
	ds_load_u16 v14, v9
	ds_load_u16 v15, v9 offset:256
	v_add_nc_u32_e32 v2, 0x100, v2
	v_add_nc_u32_e32 v9, 0x200, v9
	v_lshlrev_b64 v[10:11], 1, v[4:5]
	v_mov_b32_e32 v4, v3
	v_cmp_eq_u32_e64 s0, 0, v1
	v_add_nc_u32_e32 v3, 0x100, v3
	s_delay_alu instid0(VALU_DEP_3) | instskip(SKIP_1) | instid1(VALU_DEP_1)
	v_lshlrev_b64 v[12:13], 1, v[4:5]
	v_add_co_u32 v10, s1, v6, v10
	v_add_co_ci_u32_e64 v11, s1, v7, v11, s1
	s_or_b32 s7, s0, s7
	s_delay_alu instid0(VALU_DEP_3) | instskip(NEXT) | instid1(VALU_DEP_1)
	v_add_co_u32 v12, s1, v6, v12
	v_add_co_ci_u32_e64 v13, s1, v7, v13, s1
	s_waitcnt lgkmcnt(1)
	global_store_b16 v[10:11], v14, off
	s_waitcnt lgkmcnt(0)
	global_store_b16 v[12:13], v15, off
	s_and_not1_b32 exec_lo, exec_lo, s7
	s_cbranch_execnz .LBB305_272
.LBB305_273:
	s_set_inst_prefetch_distance 0x2
	s_or_b32 exec_lo, exec_lo, s6
	v_add_nc_u32_e32 v1, 1, v8
	s_delay_alu instid0(VALU_DEP_1) | instskip(NEXT) | instid1(VALU_DEP_1)
	v_and_b32_e32 v2, 0x3fffffe, v1
	v_cmp_ne_u32_e64 s0, v1, v2
	v_lshl_or_b32 v0, v2, 7, v0
	s_delay_alu instid0(VALU_DEP_2)
	s_or_not1_b32 s1, s0, exec_lo
.LBB305_274:
	s_or_b32 exec_lo, exec_lo, s5
	s_delay_alu instid0(SALU_CYCLE_1) | instskip(SKIP_1) | instid1(SALU_CYCLE_1)
	s_and_not1_b32 s0, vcc_lo, exec_lo
	s_and_b32 s1, s1, exec_lo
	s_or_b32 vcc_lo, s0, s1
.LBB305_275:
	s_or_b32 exec_lo, exec_lo, s4
	s_delay_alu instid0(SALU_CYCLE_1)
	s_and_b32 exec_lo, exec_lo, vcc_lo
	s_cbranch_execz .LBB305_278
; %bb.276:
	v_dual_mov_b32 v1, 0 :: v_dual_lshlrev_b32 v2, 1, v0
	s_mov_b32 s1, 0
	.p2align	6
.LBB305_277:                            ; =>This Inner Loop Header: Depth=1
	ds_load_u16 v5, v2
	v_lshlrev_b64 v[3:4], 1, v[0:1]
	v_add_nc_u32_e32 v0, 0x80, v0
	v_add_nc_u32_e32 v2, 0x100, v2
	s_delay_alu instid0(VALU_DEP_2) | instskip(NEXT) | instid1(VALU_DEP_4)
	v_cmp_ge_u32_e32 vcc_lo, v0, v29
	v_add_co_u32 v3, s0, v6, v3
	s_delay_alu instid0(VALU_DEP_1)
	v_add_co_ci_u32_e64 v4, s0, v7, v4, s0
	s_or_b32 s1, vcc_lo, s1
	s_waitcnt lgkmcnt(0)
	global_store_b16 v[3:4], v5, off
	s_and_not1_b32 exec_lo, exec_lo, s1
	s_cbranch_execnz .LBB305_277
.LBB305_278:
	s_or_b32 exec_lo, exec_lo, s3
	s_and_b32 s0, s2, s13
	s_delay_alu instid0(SALU_CYCLE_1)
	s_and_saveexec_b32 s1, s0
	s_cbranch_execz .LBB305_201
.LBB305_279:
	v_add_co_u32 v0, s0, s14, v29
	s_delay_alu instid0(VALU_DEP_1) | instskip(SKIP_1) | instid1(VALU_DEP_3)
	v_add_co_ci_u32_e64 v1, null, s15, 0, s0
	v_mov_b32_e32 v2, 0
	v_add_co_u32 v0, vcc_lo, v0, v30
	s_delay_alu instid0(VALU_DEP_3)
	v_add_co_ci_u32_e32 v1, vcc_lo, 0, v1, vcc_lo
	global_store_b64 v2, v[0:1], s[16:17]
	s_nop 0
	s_sendmsg sendmsg(MSG_DEALLOC_VGPRS)
	s_endpgm
	.section	.rodata,"a",@progbits
	.p2align	6, 0x0
	.amdhsa_kernel _ZN7rocprim17ROCPRIM_400000_NS6detail17trampoline_kernelINS0_14default_configENS1_25partition_config_selectorILNS1_17partition_subalgoE9EttbEEZZNS1_14partition_implILS5_9ELb0ES3_jN6thrust23THRUST_200600_302600_NS6detail15normal_iteratorINS9_10device_ptrItEEEESE_PNS0_10empty_typeENS0_5tupleIJSE_SF_EEENSH_IJSE_SG_EEENS0_18inequality_wrapperINS9_8equal_toItEEEEPmJSF_EEE10hipError_tPvRmT3_T4_T5_T6_T7_T9_mT8_P12ihipStream_tbDpT10_ENKUlT_T0_E_clISt17integral_constantIbLb0EES17_IbLb1EEEEDaS13_S14_EUlS13_E_NS1_11comp_targetILNS1_3genE9ELNS1_11target_archE1100ELNS1_3gpuE3ELNS1_3repE0EEENS1_30default_config_static_selectorELNS0_4arch9wavefront6targetE0EEEvT1_
		.amdhsa_group_segment_fixed_size 3080
		.amdhsa_private_segment_fixed_size 0
		.amdhsa_kernarg_size 128
		.amdhsa_user_sgpr_count 15
		.amdhsa_user_sgpr_dispatch_ptr 0
		.amdhsa_user_sgpr_queue_ptr 0
		.amdhsa_user_sgpr_kernarg_segment_ptr 1
		.amdhsa_user_sgpr_dispatch_id 0
		.amdhsa_user_sgpr_private_segment_size 0
		.amdhsa_wavefront_size32 1
		.amdhsa_uses_dynamic_stack 0
		.amdhsa_enable_private_segment 0
		.amdhsa_system_sgpr_workgroup_id_x 1
		.amdhsa_system_sgpr_workgroup_id_y 0
		.amdhsa_system_sgpr_workgroup_id_z 0
		.amdhsa_system_sgpr_workgroup_info 0
		.amdhsa_system_vgpr_workitem_id 0
		.amdhsa_next_free_vgpr 81
		.amdhsa_next_free_sgpr 30
		.amdhsa_reserve_vcc 1
		.amdhsa_float_round_mode_32 0
		.amdhsa_float_round_mode_16_64 0
		.amdhsa_float_denorm_mode_32 3
		.amdhsa_float_denorm_mode_16_64 3
		.amdhsa_dx10_clamp 1
		.amdhsa_ieee_mode 1
		.amdhsa_fp16_overflow 0
		.amdhsa_workgroup_processor_mode 1
		.amdhsa_memory_ordered 1
		.amdhsa_forward_progress 0
		.amdhsa_shared_vgpr_count 0
		.amdhsa_exception_fp_ieee_invalid_op 0
		.amdhsa_exception_fp_denorm_src 0
		.amdhsa_exception_fp_ieee_div_zero 0
		.amdhsa_exception_fp_ieee_overflow 0
		.amdhsa_exception_fp_ieee_underflow 0
		.amdhsa_exception_fp_ieee_inexact 0
		.amdhsa_exception_int_div_zero 0
	.end_amdhsa_kernel
	.section	.text._ZN7rocprim17ROCPRIM_400000_NS6detail17trampoline_kernelINS0_14default_configENS1_25partition_config_selectorILNS1_17partition_subalgoE9EttbEEZZNS1_14partition_implILS5_9ELb0ES3_jN6thrust23THRUST_200600_302600_NS6detail15normal_iteratorINS9_10device_ptrItEEEESE_PNS0_10empty_typeENS0_5tupleIJSE_SF_EEENSH_IJSE_SG_EEENS0_18inequality_wrapperINS9_8equal_toItEEEEPmJSF_EEE10hipError_tPvRmT3_T4_T5_T6_T7_T9_mT8_P12ihipStream_tbDpT10_ENKUlT_T0_E_clISt17integral_constantIbLb0EES17_IbLb1EEEEDaS13_S14_EUlS13_E_NS1_11comp_targetILNS1_3genE9ELNS1_11target_archE1100ELNS1_3gpuE3ELNS1_3repE0EEENS1_30default_config_static_selectorELNS0_4arch9wavefront6targetE0EEEvT1_,"axG",@progbits,_ZN7rocprim17ROCPRIM_400000_NS6detail17trampoline_kernelINS0_14default_configENS1_25partition_config_selectorILNS1_17partition_subalgoE9EttbEEZZNS1_14partition_implILS5_9ELb0ES3_jN6thrust23THRUST_200600_302600_NS6detail15normal_iteratorINS9_10device_ptrItEEEESE_PNS0_10empty_typeENS0_5tupleIJSE_SF_EEENSH_IJSE_SG_EEENS0_18inequality_wrapperINS9_8equal_toItEEEEPmJSF_EEE10hipError_tPvRmT3_T4_T5_T6_T7_T9_mT8_P12ihipStream_tbDpT10_ENKUlT_T0_E_clISt17integral_constantIbLb0EES17_IbLb1EEEEDaS13_S14_EUlS13_E_NS1_11comp_targetILNS1_3genE9ELNS1_11target_archE1100ELNS1_3gpuE3ELNS1_3repE0EEENS1_30default_config_static_selectorELNS0_4arch9wavefront6targetE0EEEvT1_,comdat
.Lfunc_end305:
	.size	_ZN7rocprim17ROCPRIM_400000_NS6detail17trampoline_kernelINS0_14default_configENS1_25partition_config_selectorILNS1_17partition_subalgoE9EttbEEZZNS1_14partition_implILS5_9ELb0ES3_jN6thrust23THRUST_200600_302600_NS6detail15normal_iteratorINS9_10device_ptrItEEEESE_PNS0_10empty_typeENS0_5tupleIJSE_SF_EEENSH_IJSE_SG_EEENS0_18inequality_wrapperINS9_8equal_toItEEEEPmJSF_EEE10hipError_tPvRmT3_T4_T5_T6_T7_T9_mT8_P12ihipStream_tbDpT10_ENKUlT_T0_E_clISt17integral_constantIbLb0EES17_IbLb1EEEEDaS13_S14_EUlS13_E_NS1_11comp_targetILNS1_3genE9ELNS1_11target_archE1100ELNS1_3gpuE3ELNS1_3repE0EEENS1_30default_config_static_selectorELNS0_4arch9wavefront6targetE0EEEvT1_, .Lfunc_end305-_ZN7rocprim17ROCPRIM_400000_NS6detail17trampoline_kernelINS0_14default_configENS1_25partition_config_selectorILNS1_17partition_subalgoE9EttbEEZZNS1_14partition_implILS5_9ELb0ES3_jN6thrust23THRUST_200600_302600_NS6detail15normal_iteratorINS9_10device_ptrItEEEESE_PNS0_10empty_typeENS0_5tupleIJSE_SF_EEENSH_IJSE_SG_EEENS0_18inequality_wrapperINS9_8equal_toItEEEEPmJSF_EEE10hipError_tPvRmT3_T4_T5_T6_T7_T9_mT8_P12ihipStream_tbDpT10_ENKUlT_T0_E_clISt17integral_constantIbLb0EES17_IbLb1EEEEDaS13_S14_EUlS13_E_NS1_11comp_targetILNS1_3genE9ELNS1_11target_archE1100ELNS1_3gpuE3ELNS1_3repE0EEENS1_30default_config_static_selectorELNS0_4arch9wavefront6targetE0EEEvT1_
                                        ; -- End function
	.section	.AMDGPU.csdata,"",@progbits
; Kernel info:
; codeLenInByte = 13932
; NumSgprs: 32
; NumVgprs: 81
; ScratchSize: 0
; MemoryBound: 0
; FloatMode: 240
; IeeeMode: 1
; LDSByteSize: 3080 bytes/workgroup (compile time only)
; SGPRBlocks: 3
; VGPRBlocks: 10
; NumSGPRsForWavesPerEU: 32
; NumVGPRsForWavesPerEU: 81
; Occupancy: 16
; WaveLimiterHint : 1
; COMPUTE_PGM_RSRC2:SCRATCH_EN: 0
; COMPUTE_PGM_RSRC2:USER_SGPR: 15
; COMPUTE_PGM_RSRC2:TRAP_HANDLER: 0
; COMPUTE_PGM_RSRC2:TGID_X_EN: 1
; COMPUTE_PGM_RSRC2:TGID_Y_EN: 0
; COMPUTE_PGM_RSRC2:TGID_Z_EN: 0
; COMPUTE_PGM_RSRC2:TIDIG_COMP_CNT: 0
	.section	.text._ZN7rocprim17ROCPRIM_400000_NS6detail17trampoline_kernelINS0_14default_configENS1_25partition_config_selectorILNS1_17partition_subalgoE9EttbEEZZNS1_14partition_implILS5_9ELb0ES3_jN6thrust23THRUST_200600_302600_NS6detail15normal_iteratorINS9_10device_ptrItEEEESE_PNS0_10empty_typeENS0_5tupleIJSE_SF_EEENSH_IJSE_SG_EEENS0_18inequality_wrapperINS9_8equal_toItEEEEPmJSF_EEE10hipError_tPvRmT3_T4_T5_T6_T7_T9_mT8_P12ihipStream_tbDpT10_ENKUlT_T0_E_clISt17integral_constantIbLb0EES17_IbLb1EEEEDaS13_S14_EUlS13_E_NS1_11comp_targetILNS1_3genE8ELNS1_11target_archE1030ELNS1_3gpuE2ELNS1_3repE0EEENS1_30default_config_static_selectorELNS0_4arch9wavefront6targetE0EEEvT1_,"axG",@progbits,_ZN7rocprim17ROCPRIM_400000_NS6detail17trampoline_kernelINS0_14default_configENS1_25partition_config_selectorILNS1_17partition_subalgoE9EttbEEZZNS1_14partition_implILS5_9ELb0ES3_jN6thrust23THRUST_200600_302600_NS6detail15normal_iteratorINS9_10device_ptrItEEEESE_PNS0_10empty_typeENS0_5tupleIJSE_SF_EEENSH_IJSE_SG_EEENS0_18inequality_wrapperINS9_8equal_toItEEEEPmJSF_EEE10hipError_tPvRmT3_T4_T5_T6_T7_T9_mT8_P12ihipStream_tbDpT10_ENKUlT_T0_E_clISt17integral_constantIbLb0EES17_IbLb1EEEEDaS13_S14_EUlS13_E_NS1_11comp_targetILNS1_3genE8ELNS1_11target_archE1030ELNS1_3gpuE2ELNS1_3repE0EEENS1_30default_config_static_selectorELNS0_4arch9wavefront6targetE0EEEvT1_,comdat
	.protected	_ZN7rocprim17ROCPRIM_400000_NS6detail17trampoline_kernelINS0_14default_configENS1_25partition_config_selectorILNS1_17partition_subalgoE9EttbEEZZNS1_14partition_implILS5_9ELb0ES3_jN6thrust23THRUST_200600_302600_NS6detail15normal_iteratorINS9_10device_ptrItEEEESE_PNS0_10empty_typeENS0_5tupleIJSE_SF_EEENSH_IJSE_SG_EEENS0_18inequality_wrapperINS9_8equal_toItEEEEPmJSF_EEE10hipError_tPvRmT3_T4_T5_T6_T7_T9_mT8_P12ihipStream_tbDpT10_ENKUlT_T0_E_clISt17integral_constantIbLb0EES17_IbLb1EEEEDaS13_S14_EUlS13_E_NS1_11comp_targetILNS1_3genE8ELNS1_11target_archE1030ELNS1_3gpuE2ELNS1_3repE0EEENS1_30default_config_static_selectorELNS0_4arch9wavefront6targetE0EEEvT1_ ; -- Begin function _ZN7rocprim17ROCPRIM_400000_NS6detail17trampoline_kernelINS0_14default_configENS1_25partition_config_selectorILNS1_17partition_subalgoE9EttbEEZZNS1_14partition_implILS5_9ELb0ES3_jN6thrust23THRUST_200600_302600_NS6detail15normal_iteratorINS9_10device_ptrItEEEESE_PNS0_10empty_typeENS0_5tupleIJSE_SF_EEENSH_IJSE_SG_EEENS0_18inequality_wrapperINS9_8equal_toItEEEEPmJSF_EEE10hipError_tPvRmT3_T4_T5_T6_T7_T9_mT8_P12ihipStream_tbDpT10_ENKUlT_T0_E_clISt17integral_constantIbLb0EES17_IbLb1EEEEDaS13_S14_EUlS13_E_NS1_11comp_targetILNS1_3genE8ELNS1_11target_archE1030ELNS1_3gpuE2ELNS1_3repE0EEENS1_30default_config_static_selectorELNS0_4arch9wavefront6targetE0EEEvT1_
	.globl	_ZN7rocprim17ROCPRIM_400000_NS6detail17trampoline_kernelINS0_14default_configENS1_25partition_config_selectorILNS1_17partition_subalgoE9EttbEEZZNS1_14partition_implILS5_9ELb0ES3_jN6thrust23THRUST_200600_302600_NS6detail15normal_iteratorINS9_10device_ptrItEEEESE_PNS0_10empty_typeENS0_5tupleIJSE_SF_EEENSH_IJSE_SG_EEENS0_18inequality_wrapperINS9_8equal_toItEEEEPmJSF_EEE10hipError_tPvRmT3_T4_T5_T6_T7_T9_mT8_P12ihipStream_tbDpT10_ENKUlT_T0_E_clISt17integral_constantIbLb0EES17_IbLb1EEEEDaS13_S14_EUlS13_E_NS1_11comp_targetILNS1_3genE8ELNS1_11target_archE1030ELNS1_3gpuE2ELNS1_3repE0EEENS1_30default_config_static_selectorELNS0_4arch9wavefront6targetE0EEEvT1_
	.p2align	8
	.type	_ZN7rocprim17ROCPRIM_400000_NS6detail17trampoline_kernelINS0_14default_configENS1_25partition_config_selectorILNS1_17partition_subalgoE9EttbEEZZNS1_14partition_implILS5_9ELb0ES3_jN6thrust23THRUST_200600_302600_NS6detail15normal_iteratorINS9_10device_ptrItEEEESE_PNS0_10empty_typeENS0_5tupleIJSE_SF_EEENSH_IJSE_SG_EEENS0_18inequality_wrapperINS9_8equal_toItEEEEPmJSF_EEE10hipError_tPvRmT3_T4_T5_T6_T7_T9_mT8_P12ihipStream_tbDpT10_ENKUlT_T0_E_clISt17integral_constantIbLb0EES17_IbLb1EEEEDaS13_S14_EUlS13_E_NS1_11comp_targetILNS1_3genE8ELNS1_11target_archE1030ELNS1_3gpuE2ELNS1_3repE0EEENS1_30default_config_static_selectorELNS0_4arch9wavefront6targetE0EEEvT1_,@function
_ZN7rocprim17ROCPRIM_400000_NS6detail17trampoline_kernelINS0_14default_configENS1_25partition_config_selectorILNS1_17partition_subalgoE9EttbEEZZNS1_14partition_implILS5_9ELb0ES3_jN6thrust23THRUST_200600_302600_NS6detail15normal_iteratorINS9_10device_ptrItEEEESE_PNS0_10empty_typeENS0_5tupleIJSE_SF_EEENSH_IJSE_SG_EEENS0_18inequality_wrapperINS9_8equal_toItEEEEPmJSF_EEE10hipError_tPvRmT3_T4_T5_T6_T7_T9_mT8_P12ihipStream_tbDpT10_ENKUlT_T0_E_clISt17integral_constantIbLb0EES17_IbLb1EEEEDaS13_S14_EUlS13_E_NS1_11comp_targetILNS1_3genE8ELNS1_11target_archE1030ELNS1_3gpuE2ELNS1_3repE0EEENS1_30default_config_static_selectorELNS0_4arch9wavefront6targetE0EEEvT1_: ; @_ZN7rocprim17ROCPRIM_400000_NS6detail17trampoline_kernelINS0_14default_configENS1_25partition_config_selectorILNS1_17partition_subalgoE9EttbEEZZNS1_14partition_implILS5_9ELb0ES3_jN6thrust23THRUST_200600_302600_NS6detail15normal_iteratorINS9_10device_ptrItEEEESE_PNS0_10empty_typeENS0_5tupleIJSE_SF_EEENSH_IJSE_SG_EEENS0_18inequality_wrapperINS9_8equal_toItEEEEPmJSF_EEE10hipError_tPvRmT3_T4_T5_T6_T7_T9_mT8_P12ihipStream_tbDpT10_ENKUlT_T0_E_clISt17integral_constantIbLb0EES17_IbLb1EEEEDaS13_S14_EUlS13_E_NS1_11comp_targetILNS1_3genE8ELNS1_11target_archE1030ELNS1_3gpuE2ELNS1_3repE0EEENS1_30default_config_static_selectorELNS0_4arch9wavefront6targetE0EEEvT1_
; %bb.0:
	.section	.rodata,"a",@progbits
	.p2align	6, 0x0
	.amdhsa_kernel _ZN7rocprim17ROCPRIM_400000_NS6detail17trampoline_kernelINS0_14default_configENS1_25partition_config_selectorILNS1_17partition_subalgoE9EttbEEZZNS1_14partition_implILS5_9ELb0ES3_jN6thrust23THRUST_200600_302600_NS6detail15normal_iteratorINS9_10device_ptrItEEEESE_PNS0_10empty_typeENS0_5tupleIJSE_SF_EEENSH_IJSE_SG_EEENS0_18inequality_wrapperINS9_8equal_toItEEEEPmJSF_EEE10hipError_tPvRmT3_T4_T5_T6_T7_T9_mT8_P12ihipStream_tbDpT10_ENKUlT_T0_E_clISt17integral_constantIbLb0EES17_IbLb1EEEEDaS13_S14_EUlS13_E_NS1_11comp_targetILNS1_3genE8ELNS1_11target_archE1030ELNS1_3gpuE2ELNS1_3repE0EEENS1_30default_config_static_selectorELNS0_4arch9wavefront6targetE0EEEvT1_
		.amdhsa_group_segment_fixed_size 0
		.amdhsa_private_segment_fixed_size 0
		.amdhsa_kernarg_size 128
		.amdhsa_user_sgpr_count 15
		.amdhsa_user_sgpr_dispatch_ptr 0
		.amdhsa_user_sgpr_queue_ptr 0
		.amdhsa_user_sgpr_kernarg_segment_ptr 1
		.amdhsa_user_sgpr_dispatch_id 0
		.amdhsa_user_sgpr_private_segment_size 0
		.amdhsa_wavefront_size32 1
		.amdhsa_uses_dynamic_stack 0
		.amdhsa_enable_private_segment 0
		.amdhsa_system_sgpr_workgroup_id_x 1
		.amdhsa_system_sgpr_workgroup_id_y 0
		.amdhsa_system_sgpr_workgroup_id_z 0
		.amdhsa_system_sgpr_workgroup_info 0
		.amdhsa_system_vgpr_workitem_id 0
		.amdhsa_next_free_vgpr 1
		.amdhsa_next_free_sgpr 1
		.amdhsa_reserve_vcc 0
		.amdhsa_float_round_mode_32 0
		.amdhsa_float_round_mode_16_64 0
		.amdhsa_float_denorm_mode_32 3
		.amdhsa_float_denorm_mode_16_64 3
		.amdhsa_dx10_clamp 1
		.amdhsa_ieee_mode 1
		.amdhsa_fp16_overflow 0
		.amdhsa_workgroup_processor_mode 1
		.amdhsa_memory_ordered 1
		.amdhsa_forward_progress 0
		.amdhsa_shared_vgpr_count 0
		.amdhsa_exception_fp_ieee_invalid_op 0
		.amdhsa_exception_fp_denorm_src 0
		.amdhsa_exception_fp_ieee_div_zero 0
		.amdhsa_exception_fp_ieee_overflow 0
		.amdhsa_exception_fp_ieee_underflow 0
		.amdhsa_exception_fp_ieee_inexact 0
		.amdhsa_exception_int_div_zero 0
	.end_amdhsa_kernel
	.section	.text._ZN7rocprim17ROCPRIM_400000_NS6detail17trampoline_kernelINS0_14default_configENS1_25partition_config_selectorILNS1_17partition_subalgoE9EttbEEZZNS1_14partition_implILS5_9ELb0ES3_jN6thrust23THRUST_200600_302600_NS6detail15normal_iteratorINS9_10device_ptrItEEEESE_PNS0_10empty_typeENS0_5tupleIJSE_SF_EEENSH_IJSE_SG_EEENS0_18inequality_wrapperINS9_8equal_toItEEEEPmJSF_EEE10hipError_tPvRmT3_T4_T5_T6_T7_T9_mT8_P12ihipStream_tbDpT10_ENKUlT_T0_E_clISt17integral_constantIbLb0EES17_IbLb1EEEEDaS13_S14_EUlS13_E_NS1_11comp_targetILNS1_3genE8ELNS1_11target_archE1030ELNS1_3gpuE2ELNS1_3repE0EEENS1_30default_config_static_selectorELNS0_4arch9wavefront6targetE0EEEvT1_,"axG",@progbits,_ZN7rocprim17ROCPRIM_400000_NS6detail17trampoline_kernelINS0_14default_configENS1_25partition_config_selectorILNS1_17partition_subalgoE9EttbEEZZNS1_14partition_implILS5_9ELb0ES3_jN6thrust23THRUST_200600_302600_NS6detail15normal_iteratorINS9_10device_ptrItEEEESE_PNS0_10empty_typeENS0_5tupleIJSE_SF_EEENSH_IJSE_SG_EEENS0_18inequality_wrapperINS9_8equal_toItEEEEPmJSF_EEE10hipError_tPvRmT3_T4_T5_T6_T7_T9_mT8_P12ihipStream_tbDpT10_ENKUlT_T0_E_clISt17integral_constantIbLb0EES17_IbLb1EEEEDaS13_S14_EUlS13_E_NS1_11comp_targetILNS1_3genE8ELNS1_11target_archE1030ELNS1_3gpuE2ELNS1_3repE0EEENS1_30default_config_static_selectorELNS0_4arch9wavefront6targetE0EEEvT1_,comdat
.Lfunc_end306:
	.size	_ZN7rocprim17ROCPRIM_400000_NS6detail17trampoline_kernelINS0_14default_configENS1_25partition_config_selectorILNS1_17partition_subalgoE9EttbEEZZNS1_14partition_implILS5_9ELb0ES3_jN6thrust23THRUST_200600_302600_NS6detail15normal_iteratorINS9_10device_ptrItEEEESE_PNS0_10empty_typeENS0_5tupleIJSE_SF_EEENSH_IJSE_SG_EEENS0_18inequality_wrapperINS9_8equal_toItEEEEPmJSF_EEE10hipError_tPvRmT3_T4_T5_T6_T7_T9_mT8_P12ihipStream_tbDpT10_ENKUlT_T0_E_clISt17integral_constantIbLb0EES17_IbLb1EEEEDaS13_S14_EUlS13_E_NS1_11comp_targetILNS1_3genE8ELNS1_11target_archE1030ELNS1_3gpuE2ELNS1_3repE0EEENS1_30default_config_static_selectorELNS0_4arch9wavefront6targetE0EEEvT1_, .Lfunc_end306-_ZN7rocprim17ROCPRIM_400000_NS6detail17trampoline_kernelINS0_14default_configENS1_25partition_config_selectorILNS1_17partition_subalgoE9EttbEEZZNS1_14partition_implILS5_9ELb0ES3_jN6thrust23THRUST_200600_302600_NS6detail15normal_iteratorINS9_10device_ptrItEEEESE_PNS0_10empty_typeENS0_5tupleIJSE_SF_EEENSH_IJSE_SG_EEENS0_18inequality_wrapperINS9_8equal_toItEEEEPmJSF_EEE10hipError_tPvRmT3_T4_T5_T6_T7_T9_mT8_P12ihipStream_tbDpT10_ENKUlT_T0_E_clISt17integral_constantIbLb0EES17_IbLb1EEEEDaS13_S14_EUlS13_E_NS1_11comp_targetILNS1_3genE8ELNS1_11target_archE1030ELNS1_3gpuE2ELNS1_3repE0EEENS1_30default_config_static_selectorELNS0_4arch9wavefront6targetE0EEEvT1_
                                        ; -- End function
	.section	.AMDGPU.csdata,"",@progbits
; Kernel info:
; codeLenInByte = 0
; NumSgprs: 0
; NumVgprs: 0
; ScratchSize: 0
; MemoryBound: 0
; FloatMode: 240
; IeeeMode: 1
; LDSByteSize: 0 bytes/workgroup (compile time only)
; SGPRBlocks: 0
; VGPRBlocks: 0
; NumSGPRsForWavesPerEU: 1
; NumVGPRsForWavesPerEU: 1
; Occupancy: 15
; WaveLimiterHint : 0
; COMPUTE_PGM_RSRC2:SCRATCH_EN: 0
; COMPUTE_PGM_RSRC2:USER_SGPR: 15
; COMPUTE_PGM_RSRC2:TRAP_HANDLER: 0
; COMPUTE_PGM_RSRC2:TGID_X_EN: 1
; COMPUTE_PGM_RSRC2:TGID_Y_EN: 0
; COMPUTE_PGM_RSRC2:TGID_Z_EN: 0
; COMPUTE_PGM_RSRC2:TIDIG_COMP_CNT: 0
	.section	.text._ZN7rocprim17ROCPRIM_400000_NS6detail17trampoline_kernelINS0_14default_configENS1_25partition_config_selectorILNS1_17partition_subalgoE9EttbEEZZNS1_14partition_implILS5_9ELb0ES3_jN6thrust23THRUST_200600_302600_NS6detail15normal_iteratorINS9_10device_ptrItEEEESE_PNS0_10empty_typeENS0_5tupleIJSE_SF_EEENSH_IJSE_SG_EEENS0_18inequality_wrapperI22is_equal_div_10_uniqueItEEEPmJSF_EEE10hipError_tPvRmT3_T4_T5_T6_T7_T9_mT8_P12ihipStream_tbDpT10_ENKUlT_T0_E_clISt17integral_constantIbLb0EES18_EEDaS13_S14_EUlS13_E_NS1_11comp_targetILNS1_3genE0ELNS1_11target_archE4294967295ELNS1_3gpuE0ELNS1_3repE0EEENS1_30default_config_static_selectorELNS0_4arch9wavefront6targetE0EEEvT1_,"axG",@progbits,_ZN7rocprim17ROCPRIM_400000_NS6detail17trampoline_kernelINS0_14default_configENS1_25partition_config_selectorILNS1_17partition_subalgoE9EttbEEZZNS1_14partition_implILS5_9ELb0ES3_jN6thrust23THRUST_200600_302600_NS6detail15normal_iteratorINS9_10device_ptrItEEEESE_PNS0_10empty_typeENS0_5tupleIJSE_SF_EEENSH_IJSE_SG_EEENS0_18inequality_wrapperI22is_equal_div_10_uniqueItEEEPmJSF_EEE10hipError_tPvRmT3_T4_T5_T6_T7_T9_mT8_P12ihipStream_tbDpT10_ENKUlT_T0_E_clISt17integral_constantIbLb0EES18_EEDaS13_S14_EUlS13_E_NS1_11comp_targetILNS1_3genE0ELNS1_11target_archE4294967295ELNS1_3gpuE0ELNS1_3repE0EEENS1_30default_config_static_selectorELNS0_4arch9wavefront6targetE0EEEvT1_,comdat
	.protected	_ZN7rocprim17ROCPRIM_400000_NS6detail17trampoline_kernelINS0_14default_configENS1_25partition_config_selectorILNS1_17partition_subalgoE9EttbEEZZNS1_14partition_implILS5_9ELb0ES3_jN6thrust23THRUST_200600_302600_NS6detail15normal_iteratorINS9_10device_ptrItEEEESE_PNS0_10empty_typeENS0_5tupleIJSE_SF_EEENSH_IJSE_SG_EEENS0_18inequality_wrapperI22is_equal_div_10_uniqueItEEEPmJSF_EEE10hipError_tPvRmT3_T4_T5_T6_T7_T9_mT8_P12ihipStream_tbDpT10_ENKUlT_T0_E_clISt17integral_constantIbLb0EES18_EEDaS13_S14_EUlS13_E_NS1_11comp_targetILNS1_3genE0ELNS1_11target_archE4294967295ELNS1_3gpuE0ELNS1_3repE0EEENS1_30default_config_static_selectorELNS0_4arch9wavefront6targetE0EEEvT1_ ; -- Begin function _ZN7rocprim17ROCPRIM_400000_NS6detail17trampoline_kernelINS0_14default_configENS1_25partition_config_selectorILNS1_17partition_subalgoE9EttbEEZZNS1_14partition_implILS5_9ELb0ES3_jN6thrust23THRUST_200600_302600_NS6detail15normal_iteratorINS9_10device_ptrItEEEESE_PNS0_10empty_typeENS0_5tupleIJSE_SF_EEENSH_IJSE_SG_EEENS0_18inequality_wrapperI22is_equal_div_10_uniqueItEEEPmJSF_EEE10hipError_tPvRmT3_T4_T5_T6_T7_T9_mT8_P12ihipStream_tbDpT10_ENKUlT_T0_E_clISt17integral_constantIbLb0EES18_EEDaS13_S14_EUlS13_E_NS1_11comp_targetILNS1_3genE0ELNS1_11target_archE4294967295ELNS1_3gpuE0ELNS1_3repE0EEENS1_30default_config_static_selectorELNS0_4arch9wavefront6targetE0EEEvT1_
	.globl	_ZN7rocprim17ROCPRIM_400000_NS6detail17trampoline_kernelINS0_14default_configENS1_25partition_config_selectorILNS1_17partition_subalgoE9EttbEEZZNS1_14partition_implILS5_9ELb0ES3_jN6thrust23THRUST_200600_302600_NS6detail15normal_iteratorINS9_10device_ptrItEEEESE_PNS0_10empty_typeENS0_5tupleIJSE_SF_EEENSH_IJSE_SG_EEENS0_18inequality_wrapperI22is_equal_div_10_uniqueItEEEPmJSF_EEE10hipError_tPvRmT3_T4_T5_T6_T7_T9_mT8_P12ihipStream_tbDpT10_ENKUlT_T0_E_clISt17integral_constantIbLb0EES18_EEDaS13_S14_EUlS13_E_NS1_11comp_targetILNS1_3genE0ELNS1_11target_archE4294967295ELNS1_3gpuE0ELNS1_3repE0EEENS1_30default_config_static_selectorELNS0_4arch9wavefront6targetE0EEEvT1_
	.p2align	8
	.type	_ZN7rocprim17ROCPRIM_400000_NS6detail17trampoline_kernelINS0_14default_configENS1_25partition_config_selectorILNS1_17partition_subalgoE9EttbEEZZNS1_14partition_implILS5_9ELb0ES3_jN6thrust23THRUST_200600_302600_NS6detail15normal_iteratorINS9_10device_ptrItEEEESE_PNS0_10empty_typeENS0_5tupleIJSE_SF_EEENSH_IJSE_SG_EEENS0_18inequality_wrapperI22is_equal_div_10_uniqueItEEEPmJSF_EEE10hipError_tPvRmT3_T4_T5_T6_T7_T9_mT8_P12ihipStream_tbDpT10_ENKUlT_T0_E_clISt17integral_constantIbLb0EES18_EEDaS13_S14_EUlS13_E_NS1_11comp_targetILNS1_3genE0ELNS1_11target_archE4294967295ELNS1_3gpuE0ELNS1_3repE0EEENS1_30default_config_static_selectorELNS0_4arch9wavefront6targetE0EEEvT1_,@function
_ZN7rocprim17ROCPRIM_400000_NS6detail17trampoline_kernelINS0_14default_configENS1_25partition_config_selectorILNS1_17partition_subalgoE9EttbEEZZNS1_14partition_implILS5_9ELb0ES3_jN6thrust23THRUST_200600_302600_NS6detail15normal_iteratorINS9_10device_ptrItEEEESE_PNS0_10empty_typeENS0_5tupleIJSE_SF_EEENSH_IJSE_SG_EEENS0_18inequality_wrapperI22is_equal_div_10_uniqueItEEEPmJSF_EEE10hipError_tPvRmT3_T4_T5_T6_T7_T9_mT8_P12ihipStream_tbDpT10_ENKUlT_T0_E_clISt17integral_constantIbLb0EES18_EEDaS13_S14_EUlS13_E_NS1_11comp_targetILNS1_3genE0ELNS1_11target_archE4294967295ELNS1_3gpuE0ELNS1_3repE0EEENS1_30default_config_static_selectorELNS0_4arch9wavefront6targetE0EEEvT1_: ; @_ZN7rocprim17ROCPRIM_400000_NS6detail17trampoline_kernelINS0_14default_configENS1_25partition_config_selectorILNS1_17partition_subalgoE9EttbEEZZNS1_14partition_implILS5_9ELb0ES3_jN6thrust23THRUST_200600_302600_NS6detail15normal_iteratorINS9_10device_ptrItEEEESE_PNS0_10empty_typeENS0_5tupleIJSE_SF_EEENSH_IJSE_SG_EEENS0_18inequality_wrapperI22is_equal_div_10_uniqueItEEEPmJSF_EEE10hipError_tPvRmT3_T4_T5_T6_T7_T9_mT8_P12ihipStream_tbDpT10_ENKUlT_T0_E_clISt17integral_constantIbLb0EES18_EEDaS13_S14_EUlS13_E_NS1_11comp_targetILNS1_3genE0ELNS1_11target_archE4294967295ELNS1_3gpuE0ELNS1_3repE0EEENS1_30default_config_static_selectorELNS0_4arch9wavefront6targetE0EEEvT1_
; %bb.0:
	.section	.rodata,"a",@progbits
	.p2align	6, 0x0
	.amdhsa_kernel _ZN7rocprim17ROCPRIM_400000_NS6detail17trampoline_kernelINS0_14default_configENS1_25partition_config_selectorILNS1_17partition_subalgoE9EttbEEZZNS1_14partition_implILS5_9ELb0ES3_jN6thrust23THRUST_200600_302600_NS6detail15normal_iteratorINS9_10device_ptrItEEEESE_PNS0_10empty_typeENS0_5tupleIJSE_SF_EEENSH_IJSE_SG_EEENS0_18inequality_wrapperI22is_equal_div_10_uniqueItEEEPmJSF_EEE10hipError_tPvRmT3_T4_T5_T6_T7_T9_mT8_P12ihipStream_tbDpT10_ENKUlT_T0_E_clISt17integral_constantIbLb0EES18_EEDaS13_S14_EUlS13_E_NS1_11comp_targetILNS1_3genE0ELNS1_11target_archE4294967295ELNS1_3gpuE0ELNS1_3repE0EEENS1_30default_config_static_selectorELNS0_4arch9wavefront6targetE0EEEvT1_
		.amdhsa_group_segment_fixed_size 0
		.amdhsa_private_segment_fixed_size 0
		.amdhsa_kernarg_size 112
		.amdhsa_user_sgpr_count 15
		.amdhsa_user_sgpr_dispatch_ptr 0
		.amdhsa_user_sgpr_queue_ptr 0
		.amdhsa_user_sgpr_kernarg_segment_ptr 1
		.amdhsa_user_sgpr_dispatch_id 0
		.amdhsa_user_sgpr_private_segment_size 0
		.amdhsa_wavefront_size32 1
		.amdhsa_uses_dynamic_stack 0
		.amdhsa_enable_private_segment 0
		.amdhsa_system_sgpr_workgroup_id_x 1
		.amdhsa_system_sgpr_workgroup_id_y 0
		.amdhsa_system_sgpr_workgroup_id_z 0
		.amdhsa_system_sgpr_workgroup_info 0
		.amdhsa_system_vgpr_workitem_id 0
		.amdhsa_next_free_vgpr 1
		.amdhsa_next_free_sgpr 1
		.amdhsa_reserve_vcc 0
		.amdhsa_float_round_mode_32 0
		.amdhsa_float_round_mode_16_64 0
		.amdhsa_float_denorm_mode_32 3
		.amdhsa_float_denorm_mode_16_64 3
		.amdhsa_dx10_clamp 1
		.amdhsa_ieee_mode 1
		.amdhsa_fp16_overflow 0
		.amdhsa_workgroup_processor_mode 1
		.amdhsa_memory_ordered 1
		.amdhsa_forward_progress 0
		.amdhsa_shared_vgpr_count 0
		.amdhsa_exception_fp_ieee_invalid_op 0
		.amdhsa_exception_fp_denorm_src 0
		.amdhsa_exception_fp_ieee_div_zero 0
		.amdhsa_exception_fp_ieee_overflow 0
		.amdhsa_exception_fp_ieee_underflow 0
		.amdhsa_exception_fp_ieee_inexact 0
		.amdhsa_exception_int_div_zero 0
	.end_amdhsa_kernel
	.section	.text._ZN7rocprim17ROCPRIM_400000_NS6detail17trampoline_kernelINS0_14default_configENS1_25partition_config_selectorILNS1_17partition_subalgoE9EttbEEZZNS1_14partition_implILS5_9ELb0ES3_jN6thrust23THRUST_200600_302600_NS6detail15normal_iteratorINS9_10device_ptrItEEEESE_PNS0_10empty_typeENS0_5tupleIJSE_SF_EEENSH_IJSE_SG_EEENS0_18inequality_wrapperI22is_equal_div_10_uniqueItEEEPmJSF_EEE10hipError_tPvRmT3_T4_T5_T6_T7_T9_mT8_P12ihipStream_tbDpT10_ENKUlT_T0_E_clISt17integral_constantIbLb0EES18_EEDaS13_S14_EUlS13_E_NS1_11comp_targetILNS1_3genE0ELNS1_11target_archE4294967295ELNS1_3gpuE0ELNS1_3repE0EEENS1_30default_config_static_selectorELNS0_4arch9wavefront6targetE0EEEvT1_,"axG",@progbits,_ZN7rocprim17ROCPRIM_400000_NS6detail17trampoline_kernelINS0_14default_configENS1_25partition_config_selectorILNS1_17partition_subalgoE9EttbEEZZNS1_14partition_implILS5_9ELb0ES3_jN6thrust23THRUST_200600_302600_NS6detail15normal_iteratorINS9_10device_ptrItEEEESE_PNS0_10empty_typeENS0_5tupleIJSE_SF_EEENSH_IJSE_SG_EEENS0_18inequality_wrapperI22is_equal_div_10_uniqueItEEEPmJSF_EEE10hipError_tPvRmT3_T4_T5_T6_T7_T9_mT8_P12ihipStream_tbDpT10_ENKUlT_T0_E_clISt17integral_constantIbLb0EES18_EEDaS13_S14_EUlS13_E_NS1_11comp_targetILNS1_3genE0ELNS1_11target_archE4294967295ELNS1_3gpuE0ELNS1_3repE0EEENS1_30default_config_static_selectorELNS0_4arch9wavefront6targetE0EEEvT1_,comdat
.Lfunc_end307:
	.size	_ZN7rocprim17ROCPRIM_400000_NS6detail17trampoline_kernelINS0_14default_configENS1_25partition_config_selectorILNS1_17partition_subalgoE9EttbEEZZNS1_14partition_implILS5_9ELb0ES3_jN6thrust23THRUST_200600_302600_NS6detail15normal_iteratorINS9_10device_ptrItEEEESE_PNS0_10empty_typeENS0_5tupleIJSE_SF_EEENSH_IJSE_SG_EEENS0_18inequality_wrapperI22is_equal_div_10_uniqueItEEEPmJSF_EEE10hipError_tPvRmT3_T4_T5_T6_T7_T9_mT8_P12ihipStream_tbDpT10_ENKUlT_T0_E_clISt17integral_constantIbLb0EES18_EEDaS13_S14_EUlS13_E_NS1_11comp_targetILNS1_3genE0ELNS1_11target_archE4294967295ELNS1_3gpuE0ELNS1_3repE0EEENS1_30default_config_static_selectorELNS0_4arch9wavefront6targetE0EEEvT1_, .Lfunc_end307-_ZN7rocprim17ROCPRIM_400000_NS6detail17trampoline_kernelINS0_14default_configENS1_25partition_config_selectorILNS1_17partition_subalgoE9EttbEEZZNS1_14partition_implILS5_9ELb0ES3_jN6thrust23THRUST_200600_302600_NS6detail15normal_iteratorINS9_10device_ptrItEEEESE_PNS0_10empty_typeENS0_5tupleIJSE_SF_EEENSH_IJSE_SG_EEENS0_18inequality_wrapperI22is_equal_div_10_uniqueItEEEPmJSF_EEE10hipError_tPvRmT3_T4_T5_T6_T7_T9_mT8_P12ihipStream_tbDpT10_ENKUlT_T0_E_clISt17integral_constantIbLb0EES18_EEDaS13_S14_EUlS13_E_NS1_11comp_targetILNS1_3genE0ELNS1_11target_archE4294967295ELNS1_3gpuE0ELNS1_3repE0EEENS1_30default_config_static_selectorELNS0_4arch9wavefront6targetE0EEEvT1_
                                        ; -- End function
	.section	.AMDGPU.csdata,"",@progbits
; Kernel info:
; codeLenInByte = 0
; NumSgprs: 0
; NumVgprs: 0
; ScratchSize: 0
; MemoryBound: 0
; FloatMode: 240
; IeeeMode: 1
; LDSByteSize: 0 bytes/workgroup (compile time only)
; SGPRBlocks: 0
; VGPRBlocks: 0
; NumSGPRsForWavesPerEU: 1
; NumVGPRsForWavesPerEU: 1
; Occupancy: 16
; WaveLimiterHint : 0
; COMPUTE_PGM_RSRC2:SCRATCH_EN: 0
; COMPUTE_PGM_RSRC2:USER_SGPR: 15
; COMPUTE_PGM_RSRC2:TRAP_HANDLER: 0
; COMPUTE_PGM_RSRC2:TGID_X_EN: 1
; COMPUTE_PGM_RSRC2:TGID_Y_EN: 0
; COMPUTE_PGM_RSRC2:TGID_Z_EN: 0
; COMPUTE_PGM_RSRC2:TIDIG_COMP_CNT: 0
	.section	.text._ZN7rocprim17ROCPRIM_400000_NS6detail17trampoline_kernelINS0_14default_configENS1_25partition_config_selectorILNS1_17partition_subalgoE9EttbEEZZNS1_14partition_implILS5_9ELb0ES3_jN6thrust23THRUST_200600_302600_NS6detail15normal_iteratorINS9_10device_ptrItEEEESE_PNS0_10empty_typeENS0_5tupleIJSE_SF_EEENSH_IJSE_SG_EEENS0_18inequality_wrapperI22is_equal_div_10_uniqueItEEEPmJSF_EEE10hipError_tPvRmT3_T4_T5_T6_T7_T9_mT8_P12ihipStream_tbDpT10_ENKUlT_T0_E_clISt17integral_constantIbLb0EES18_EEDaS13_S14_EUlS13_E_NS1_11comp_targetILNS1_3genE5ELNS1_11target_archE942ELNS1_3gpuE9ELNS1_3repE0EEENS1_30default_config_static_selectorELNS0_4arch9wavefront6targetE0EEEvT1_,"axG",@progbits,_ZN7rocprim17ROCPRIM_400000_NS6detail17trampoline_kernelINS0_14default_configENS1_25partition_config_selectorILNS1_17partition_subalgoE9EttbEEZZNS1_14partition_implILS5_9ELb0ES3_jN6thrust23THRUST_200600_302600_NS6detail15normal_iteratorINS9_10device_ptrItEEEESE_PNS0_10empty_typeENS0_5tupleIJSE_SF_EEENSH_IJSE_SG_EEENS0_18inequality_wrapperI22is_equal_div_10_uniqueItEEEPmJSF_EEE10hipError_tPvRmT3_T4_T5_T6_T7_T9_mT8_P12ihipStream_tbDpT10_ENKUlT_T0_E_clISt17integral_constantIbLb0EES18_EEDaS13_S14_EUlS13_E_NS1_11comp_targetILNS1_3genE5ELNS1_11target_archE942ELNS1_3gpuE9ELNS1_3repE0EEENS1_30default_config_static_selectorELNS0_4arch9wavefront6targetE0EEEvT1_,comdat
	.protected	_ZN7rocprim17ROCPRIM_400000_NS6detail17trampoline_kernelINS0_14default_configENS1_25partition_config_selectorILNS1_17partition_subalgoE9EttbEEZZNS1_14partition_implILS5_9ELb0ES3_jN6thrust23THRUST_200600_302600_NS6detail15normal_iteratorINS9_10device_ptrItEEEESE_PNS0_10empty_typeENS0_5tupleIJSE_SF_EEENSH_IJSE_SG_EEENS0_18inequality_wrapperI22is_equal_div_10_uniqueItEEEPmJSF_EEE10hipError_tPvRmT3_T4_T5_T6_T7_T9_mT8_P12ihipStream_tbDpT10_ENKUlT_T0_E_clISt17integral_constantIbLb0EES18_EEDaS13_S14_EUlS13_E_NS1_11comp_targetILNS1_3genE5ELNS1_11target_archE942ELNS1_3gpuE9ELNS1_3repE0EEENS1_30default_config_static_selectorELNS0_4arch9wavefront6targetE0EEEvT1_ ; -- Begin function _ZN7rocprim17ROCPRIM_400000_NS6detail17trampoline_kernelINS0_14default_configENS1_25partition_config_selectorILNS1_17partition_subalgoE9EttbEEZZNS1_14partition_implILS5_9ELb0ES3_jN6thrust23THRUST_200600_302600_NS6detail15normal_iteratorINS9_10device_ptrItEEEESE_PNS0_10empty_typeENS0_5tupleIJSE_SF_EEENSH_IJSE_SG_EEENS0_18inequality_wrapperI22is_equal_div_10_uniqueItEEEPmJSF_EEE10hipError_tPvRmT3_T4_T5_T6_T7_T9_mT8_P12ihipStream_tbDpT10_ENKUlT_T0_E_clISt17integral_constantIbLb0EES18_EEDaS13_S14_EUlS13_E_NS1_11comp_targetILNS1_3genE5ELNS1_11target_archE942ELNS1_3gpuE9ELNS1_3repE0EEENS1_30default_config_static_selectorELNS0_4arch9wavefront6targetE0EEEvT1_
	.globl	_ZN7rocprim17ROCPRIM_400000_NS6detail17trampoline_kernelINS0_14default_configENS1_25partition_config_selectorILNS1_17partition_subalgoE9EttbEEZZNS1_14partition_implILS5_9ELb0ES3_jN6thrust23THRUST_200600_302600_NS6detail15normal_iteratorINS9_10device_ptrItEEEESE_PNS0_10empty_typeENS0_5tupleIJSE_SF_EEENSH_IJSE_SG_EEENS0_18inequality_wrapperI22is_equal_div_10_uniqueItEEEPmJSF_EEE10hipError_tPvRmT3_T4_T5_T6_T7_T9_mT8_P12ihipStream_tbDpT10_ENKUlT_T0_E_clISt17integral_constantIbLb0EES18_EEDaS13_S14_EUlS13_E_NS1_11comp_targetILNS1_3genE5ELNS1_11target_archE942ELNS1_3gpuE9ELNS1_3repE0EEENS1_30default_config_static_selectorELNS0_4arch9wavefront6targetE0EEEvT1_
	.p2align	8
	.type	_ZN7rocprim17ROCPRIM_400000_NS6detail17trampoline_kernelINS0_14default_configENS1_25partition_config_selectorILNS1_17partition_subalgoE9EttbEEZZNS1_14partition_implILS5_9ELb0ES3_jN6thrust23THRUST_200600_302600_NS6detail15normal_iteratorINS9_10device_ptrItEEEESE_PNS0_10empty_typeENS0_5tupleIJSE_SF_EEENSH_IJSE_SG_EEENS0_18inequality_wrapperI22is_equal_div_10_uniqueItEEEPmJSF_EEE10hipError_tPvRmT3_T4_T5_T6_T7_T9_mT8_P12ihipStream_tbDpT10_ENKUlT_T0_E_clISt17integral_constantIbLb0EES18_EEDaS13_S14_EUlS13_E_NS1_11comp_targetILNS1_3genE5ELNS1_11target_archE942ELNS1_3gpuE9ELNS1_3repE0EEENS1_30default_config_static_selectorELNS0_4arch9wavefront6targetE0EEEvT1_,@function
_ZN7rocprim17ROCPRIM_400000_NS6detail17trampoline_kernelINS0_14default_configENS1_25partition_config_selectorILNS1_17partition_subalgoE9EttbEEZZNS1_14partition_implILS5_9ELb0ES3_jN6thrust23THRUST_200600_302600_NS6detail15normal_iteratorINS9_10device_ptrItEEEESE_PNS0_10empty_typeENS0_5tupleIJSE_SF_EEENSH_IJSE_SG_EEENS0_18inequality_wrapperI22is_equal_div_10_uniqueItEEEPmJSF_EEE10hipError_tPvRmT3_T4_T5_T6_T7_T9_mT8_P12ihipStream_tbDpT10_ENKUlT_T0_E_clISt17integral_constantIbLb0EES18_EEDaS13_S14_EUlS13_E_NS1_11comp_targetILNS1_3genE5ELNS1_11target_archE942ELNS1_3gpuE9ELNS1_3repE0EEENS1_30default_config_static_selectorELNS0_4arch9wavefront6targetE0EEEvT1_: ; @_ZN7rocprim17ROCPRIM_400000_NS6detail17trampoline_kernelINS0_14default_configENS1_25partition_config_selectorILNS1_17partition_subalgoE9EttbEEZZNS1_14partition_implILS5_9ELb0ES3_jN6thrust23THRUST_200600_302600_NS6detail15normal_iteratorINS9_10device_ptrItEEEESE_PNS0_10empty_typeENS0_5tupleIJSE_SF_EEENSH_IJSE_SG_EEENS0_18inequality_wrapperI22is_equal_div_10_uniqueItEEEPmJSF_EEE10hipError_tPvRmT3_T4_T5_T6_T7_T9_mT8_P12ihipStream_tbDpT10_ENKUlT_T0_E_clISt17integral_constantIbLb0EES18_EEDaS13_S14_EUlS13_E_NS1_11comp_targetILNS1_3genE5ELNS1_11target_archE942ELNS1_3gpuE9ELNS1_3repE0EEENS1_30default_config_static_selectorELNS0_4arch9wavefront6targetE0EEEvT1_
; %bb.0:
	.section	.rodata,"a",@progbits
	.p2align	6, 0x0
	.amdhsa_kernel _ZN7rocprim17ROCPRIM_400000_NS6detail17trampoline_kernelINS0_14default_configENS1_25partition_config_selectorILNS1_17partition_subalgoE9EttbEEZZNS1_14partition_implILS5_9ELb0ES3_jN6thrust23THRUST_200600_302600_NS6detail15normal_iteratorINS9_10device_ptrItEEEESE_PNS0_10empty_typeENS0_5tupleIJSE_SF_EEENSH_IJSE_SG_EEENS0_18inequality_wrapperI22is_equal_div_10_uniqueItEEEPmJSF_EEE10hipError_tPvRmT3_T4_T5_T6_T7_T9_mT8_P12ihipStream_tbDpT10_ENKUlT_T0_E_clISt17integral_constantIbLb0EES18_EEDaS13_S14_EUlS13_E_NS1_11comp_targetILNS1_3genE5ELNS1_11target_archE942ELNS1_3gpuE9ELNS1_3repE0EEENS1_30default_config_static_selectorELNS0_4arch9wavefront6targetE0EEEvT1_
		.amdhsa_group_segment_fixed_size 0
		.amdhsa_private_segment_fixed_size 0
		.amdhsa_kernarg_size 112
		.amdhsa_user_sgpr_count 15
		.amdhsa_user_sgpr_dispatch_ptr 0
		.amdhsa_user_sgpr_queue_ptr 0
		.amdhsa_user_sgpr_kernarg_segment_ptr 1
		.amdhsa_user_sgpr_dispatch_id 0
		.amdhsa_user_sgpr_private_segment_size 0
		.amdhsa_wavefront_size32 1
		.amdhsa_uses_dynamic_stack 0
		.amdhsa_enable_private_segment 0
		.amdhsa_system_sgpr_workgroup_id_x 1
		.amdhsa_system_sgpr_workgroup_id_y 0
		.amdhsa_system_sgpr_workgroup_id_z 0
		.amdhsa_system_sgpr_workgroup_info 0
		.amdhsa_system_vgpr_workitem_id 0
		.amdhsa_next_free_vgpr 1
		.amdhsa_next_free_sgpr 1
		.amdhsa_reserve_vcc 0
		.amdhsa_float_round_mode_32 0
		.amdhsa_float_round_mode_16_64 0
		.amdhsa_float_denorm_mode_32 3
		.amdhsa_float_denorm_mode_16_64 3
		.amdhsa_dx10_clamp 1
		.amdhsa_ieee_mode 1
		.amdhsa_fp16_overflow 0
		.amdhsa_workgroup_processor_mode 1
		.amdhsa_memory_ordered 1
		.amdhsa_forward_progress 0
		.amdhsa_shared_vgpr_count 0
		.amdhsa_exception_fp_ieee_invalid_op 0
		.amdhsa_exception_fp_denorm_src 0
		.amdhsa_exception_fp_ieee_div_zero 0
		.amdhsa_exception_fp_ieee_overflow 0
		.amdhsa_exception_fp_ieee_underflow 0
		.amdhsa_exception_fp_ieee_inexact 0
		.amdhsa_exception_int_div_zero 0
	.end_amdhsa_kernel
	.section	.text._ZN7rocprim17ROCPRIM_400000_NS6detail17trampoline_kernelINS0_14default_configENS1_25partition_config_selectorILNS1_17partition_subalgoE9EttbEEZZNS1_14partition_implILS5_9ELb0ES3_jN6thrust23THRUST_200600_302600_NS6detail15normal_iteratorINS9_10device_ptrItEEEESE_PNS0_10empty_typeENS0_5tupleIJSE_SF_EEENSH_IJSE_SG_EEENS0_18inequality_wrapperI22is_equal_div_10_uniqueItEEEPmJSF_EEE10hipError_tPvRmT3_T4_T5_T6_T7_T9_mT8_P12ihipStream_tbDpT10_ENKUlT_T0_E_clISt17integral_constantIbLb0EES18_EEDaS13_S14_EUlS13_E_NS1_11comp_targetILNS1_3genE5ELNS1_11target_archE942ELNS1_3gpuE9ELNS1_3repE0EEENS1_30default_config_static_selectorELNS0_4arch9wavefront6targetE0EEEvT1_,"axG",@progbits,_ZN7rocprim17ROCPRIM_400000_NS6detail17trampoline_kernelINS0_14default_configENS1_25partition_config_selectorILNS1_17partition_subalgoE9EttbEEZZNS1_14partition_implILS5_9ELb0ES3_jN6thrust23THRUST_200600_302600_NS6detail15normal_iteratorINS9_10device_ptrItEEEESE_PNS0_10empty_typeENS0_5tupleIJSE_SF_EEENSH_IJSE_SG_EEENS0_18inequality_wrapperI22is_equal_div_10_uniqueItEEEPmJSF_EEE10hipError_tPvRmT3_T4_T5_T6_T7_T9_mT8_P12ihipStream_tbDpT10_ENKUlT_T0_E_clISt17integral_constantIbLb0EES18_EEDaS13_S14_EUlS13_E_NS1_11comp_targetILNS1_3genE5ELNS1_11target_archE942ELNS1_3gpuE9ELNS1_3repE0EEENS1_30default_config_static_selectorELNS0_4arch9wavefront6targetE0EEEvT1_,comdat
.Lfunc_end308:
	.size	_ZN7rocprim17ROCPRIM_400000_NS6detail17trampoline_kernelINS0_14default_configENS1_25partition_config_selectorILNS1_17partition_subalgoE9EttbEEZZNS1_14partition_implILS5_9ELb0ES3_jN6thrust23THRUST_200600_302600_NS6detail15normal_iteratorINS9_10device_ptrItEEEESE_PNS0_10empty_typeENS0_5tupleIJSE_SF_EEENSH_IJSE_SG_EEENS0_18inequality_wrapperI22is_equal_div_10_uniqueItEEEPmJSF_EEE10hipError_tPvRmT3_T4_T5_T6_T7_T9_mT8_P12ihipStream_tbDpT10_ENKUlT_T0_E_clISt17integral_constantIbLb0EES18_EEDaS13_S14_EUlS13_E_NS1_11comp_targetILNS1_3genE5ELNS1_11target_archE942ELNS1_3gpuE9ELNS1_3repE0EEENS1_30default_config_static_selectorELNS0_4arch9wavefront6targetE0EEEvT1_, .Lfunc_end308-_ZN7rocprim17ROCPRIM_400000_NS6detail17trampoline_kernelINS0_14default_configENS1_25partition_config_selectorILNS1_17partition_subalgoE9EttbEEZZNS1_14partition_implILS5_9ELb0ES3_jN6thrust23THRUST_200600_302600_NS6detail15normal_iteratorINS9_10device_ptrItEEEESE_PNS0_10empty_typeENS0_5tupleIJSE_SF_EEENSH_IJSE_SG_EEENS0_18inequality_wrapperI22is_equal_div_10_uniqueItEEEPmJSF_EEE10hipError_tPvRmT3_T4_T5_T6_T7_T9_mT8_P12ihipStream_tbDpT10_ENKUlT_T0_E_clISt17integral_constantIbLb0EES18_EEDaS13_S14_EUlS13_E_NS1_11comp_targetILNS1_3genE5ELNS1_11target_archE942ELNS1_3gpuE9ELNS1_3repE0EEENS1_30default_config_static_selectorELNS0_4arch9wavefront6targetE0EEEvT1_
                                        ; -- End function
	.section	.AMDGPU.csdata,"",@progbits
; Kernel info:
; codeLenInByte = 0
; NumSgprs: 0
; NumVgprs: 0
; ScratchSize: 0
; MemoryBound: 0
; FloatMode: 240
; IeeeMode: 1
; LDSByteSize: 0 bytes/workgroup (compile time only)
; SGPRBlocks: 0
; VGPRBlocks: 0
; NumSGPRsForWavesPerEU: 1
; NumVGPRsForWavesPerEU: 1
; Occupancy: 16
; WaveLimiterHint : 0
; COMPUTE_PGM_RSRC2:SCRATCH_EN: 0
; COMPUTE_PGM_RSRC2:USER_SGPR: 15
; COMPUTE_PGM_RSRC2:TRAP_HANDLER: 0
; COMPUTE_PGM_RSRC2:TGID_X_EN: 1
; COMPUTE_PGM_RSRC2:TGID_Y_EN: 0
; COMPUTE_PGM_RSRC2:TGID_Z_EN: 0
; COMPUTE_PGM_RSRC2:TIDIG_COMP_CNT: 0
	.section	.text._ZN7rocprim17ROCPRIM_400000_NS6detail17trampoline_kernelINS0_14default_configENS1_25partition_config_selectorILNS1_17partition_subalgoE9EttbEEZZNS1_14partition_implILS5_9ELb0ES3_jN6thrust23THRUST_200600_302600_NS6detail15normal_iteratorINS9_10device_ptrItEEEESE_PNS0_10empty_typeENS0_5tupleIJSE_SF_EEENSH_IJSE_SG_EEENS0_18inequality_wrapperI22is_equal_div_10_uniqueItEEEPmJSF_EEE10hipError_tPvRmT3_T4_T5_T6_T7_T9_mT8_P12ihipStream_tbDpT10_ENKUlT_T0_E_clISt17integral_constantIbLb0EES18_EEDaS13_S14_EUlS13_E_NS1_11comp_targetILNS1_3genE4ELNS1_11target_archE910ELNS1_3gpuE8ELNS1_3repE0EEENS1_30default_config_static_selectorELNS0_4arch9wavefront6targetE0EEEvT1_,"axG",@progbits,_ZN7rocprim17ROCPRIM_400000_NS6detail17trampoline_kernelINS0_14default_configENS1_25partition_config_selectorILNS1_17partition_subalgoE9EttbEEZZNS1_14partition_implILS5_9ELb0ES3_jN6thrust23THRUST_200600_302600_NS6detail15normal_iteratorINS9_10device_ptrItEEEESE_PNS0_10empty_typeENS0_5tupleIJSE_SF_EEENSH_IJSE_SG_EEENS0_18inequality_wrapperI22is_equal_div_10_uniqueItEEEPmJSF_EEE10hipError_tPvRmT3_T4_T5_T6_T7_T9_mT8_P12ihipStream_tbDpT10_ENKUlT_T0_E_clISt17integral_constantIbLb0EES18_EEDaS13_S14_EUlS13_E_NS1_11comp_targetILNS1_3genE4ELNS1_11target_archE910ELNS1_3gpuE8ELNS1_3repE0EEENS1_30default_config_static_selectorELNS0_4arch9wavefront6targetE0EEEvT1_,comdat
	.protected	_ZN7rocprim17ROCPRIM_400000_NS6detail17trampoline_kernelINS0_14default_configENS1_25partition_config_selectorILNS1_17partition_subalgoE9EttbEEZZNS1_14partition_implILS5_9ELb0ES3_jN6thrust23THRUST_200600_302600_NS6detail15normal_iteratorINS9_10device_ptrItEEEESE_PNS0_10empty_typeENS0_5tupleIJSE_SF_EEENSH_IJSE_SG_EEENS0_18inequality_wrapperI22is_equal_div_10_uniqueItEEEPmJSF_EEE10hipError_tPvRmT3_T4_T5_T6_T7_T9_mT8_P12ihipStream_tbDpT10_ENKUlT_T0_E_clISt17integral_constantIbLb0EES18_EEDaS13_S14_EUlS13_E_NS1_11comp_targetILNS1_3genE4ELNS1_11target_archE910ELNS1_3gpuE8ELNS1_3repE0EEENS1_30default_config_static_selectorELNS0_4arch9wavefront6targetE0EEEvT1_ ; -- Begin function _ZN7rocprim17ROCPRIM_400000_NS6detail17trampoline_kernelINS0_14default_configENS1_25partition_config_selectorILNS1_17partition_subalgoE9EttbEEZZNS1_14partition_implILS5_9ELb0ES3_jN6thrust23THRUST_200600_302600_NS6detail15normal_iteratorINS9_10device_ptrItEEEESE_PNS0_10empty_typeENS0_5tupleIJSE_SF_EEENSH_IJSE_SG_EEENS0_18inequality_wrapperI22is_equal_div_10_uniqueItEEEPmJSF_EEE10hipError_tPvRmT3_T4_T5_T6_T7_T9_mT8_P12ihipStream_tbDpT10_ENKUlT_T0_E_clISt17integral_constantIbLb0EES18_EEDaS13_S14_EUlS13_E_NS1_11comp_targetILNS1_3genE4ELNS1_11target_archE910ELNS1_3gpuE8ELNS1_3repE0EEENS1_30default_config_static_selectorELNS0_4arch9wavefront6targetE0EEEvT1_
	.globl	_ZN7rocprim17ROCPRIM_400000_NS6detail17trampoline_kernelINS0_14default_configENS1_25partition_config_selectorILNS1_17partition_subalgoE9EttbEEZZNS1_14partition_implILS5_9ELb0ES3_jN6thrust23THRUST_200600_302600_NS6detail15normal_iteratorINS9_10device_ptrItEEEESE_PNS0_10empty_typeENS0_5tupleIJSE_SF_EEENSH_IJSE_SG_EEENS0_18inequality_wrapperI22is_equal_div_10_uniqueItEEEPmJSF_EEE10hipError_tPvRmT3_T4_T5_T6_T7_T9_mT8_P12ihipStream_tbDpT10_ENKUlT_T0_E_clISt17integral_constantIbLb0EES18_EEDaS13_S14_EUlS13_E_NS1_11comp_targetILNS1_3genE4ELNS1_11target_archE910ELNS1_3gpuE8ELNS1_3repE0EEENS1_30default_config_static_selectorELNS0_4arch9wavefront6targetE0EEEvT1_
	.p2align	8
	.type	_ZN7rocprim17ROCPRIM_400000_NS6detail17trampoline_kernelINS0_14default_configENS1_25partition_config_selectorILNS1_17partition_subalgoE9EttbEEZZNS1_14partition_implILS5_9ELb0ES3_jN6thrust23THRUST_200600_302600_NS6detail15normal_iteratorINS9_10device_ptrItEEEESE_PNS0_10empty_typeENS0_5tupleIJSE_SF_EEENSH_IJSE_SG_EEENS0_18inequality_wrapperI22is_equal_div_10_uniqueItEEEPmJSF_EEE10hipError_tPvRmT3_T4_T5_T6_T7_T9_mT8_P12ihipStream_tbDpT10_ENKUlT_T0_E_clISt17integral_constantIbLb0EES18_EEDaS13_S14_EUlS13_E_NS1_11comp_targetILNS1_3genE4ELNS1_11target_archE910ELNS1_3gpuE8ELNS1_3repE0EEENS1_30default_config_static_selectorELNS0_4arch9wavefront6targetE0EEEvT1_,@function
_ZN7rocprim17ROCPRIM_400000_NS6detail17trampoline_kernelINS0_14default_configENS1_25partition_config_selectorILNS1_17partition_subalgoE9EttbEEZZNS1_14partition_implILS5_9ELb0ES3_jN6thrust23THRUST_200600_302600_NS6detail15normal_iteratorINS9_10device_ptrItEEEESE_PNS0_10empty_typeENS0_5tupleIJSE_SF_EEENSH_IJSE_SG_EEENS0_18inequality_wrapperI22is_equal_div_10_uniqueItEEEPmJSF_EEE10hipError_tPvRmT3_T4_T5_T6_T7_T9_mT8_P12ihipStream_tbDpT10_ENKUlT_T0_E_clISt17integral_constantIbLb0EES18_EEDaS13_S14_EUlS13_E_NS1_11comp_targetILNS1_3genE4ELNS1_11target_archE910ELNS1_3gpuE8ELNS1_3repE0EEENS1_30default_config_static_selectorELNS0_4arch9wavefront6targetE0EEEvT1_: ; @_ZN7rocprim17ROCPRIM_400000_NS6detail17trampoline_kernelINS0_14default_configENS1_25partition_config_selectorILNS1_17partition_subalgoE9EttbEEZZNS1_14partition_implILS5_9ELb0ES3_jN6thrust23THRUST_200600_302600_NS6detail15normal_iteratorINS9_10device_ptrItEEEESE_PNS0_10empty_typeENS0_5tupleIJSE_SF_EEENSH_IJSE_SG_EEENS0_18inequality_wrapperI22is_equal_div_10_uniqueItEEEPmJSF_EEE10hipError_tPvRmT3_T4_T5_T6_T7_T9_mT8_P12ihipStream_tbDpT10_ENKUlT_T0_E_clISt17integral_constantIbLb0EES18_EEDaS13_S14_EUlS13_E_NS1_11comp_targetILNS1_3genE4ELNS1_11target_archE910ELNS1_3gpuE8ELNS1_3repE0EEENS1_30default_config_static_selectorELNS0_4arch9wavefront6targetE0EEEvT1_
; %bb.0:
	.section	.rodata,"a",@progbits
	.p2align	6, 0x0
	.amdhsa_kernel _ZN7rocprim17ROCPRIM_400000_NS6detail17trampoline_kernelINS0_14default_configENS1_25partition_config_selectorILNS1_17partition_subalgoE9EttbEEZZNS1_14partition_implILS5_9ELb0ES3_jN6thrust23THRUST_200600_302600_NS6detail15normal_iteratorINS9_10device_ptrItEEEESE_PNS0_10empty_typeENS0_5tupleIJSE_SF_EEENSH_IJSE_SG_EEENS0_18inequality_wrapperI22is_equal_div_10_uniqueItEEEPmJSF_EEE10hipError_tPvRmT3_T4_T5_T6_T7_T9_mT8_P12ihipStream_tbDpT10_ENKUlT_T0_E_clISt17integral_constantIbLb0EES18_EEDaS13_S14_EUlS13_E_NS1_11comp_targetILNS1_3genE4ELNS1_11target_archE910ELNS1_3gpuE8ELNS1_3repE0EEENS1_30default_config_static_selectorELNS0_4arch9wavefront6targetE0EEEvT1_
		.amdhsa_group_segment_fixed_size 0
		.amdhsa_private_segment_fixed_size 0
		.amdhsa_kernarg_size 112
		.amdhsa_user_sgpr_count 15
		.amdhsa_user_sgpr_dispatch_ptr 0
		.amdhsa_user_sgpr_queue_ptr 0
		.amdhsa_user_sgpr_kernarg_segment_ptr 1
		.amdhsa_user_sgpr_dispatch_id 0
		.amdhsa_user_sgpr_private_segment_size 0
		.amdhsa_wavefront_size32 1
		.amdhsa_uses_dynamic_stack 0
		.amdhsa_enable_private_segment 0
		.amdhsa_system_sgpr_workgroup_id_x 1
		.amdhsa_system_sgpr_workgroup_id_y 0
		.amdhsa_system_sgpr_workgroup_id_z 0
		.amdhsa_system_sgpr_workgroup_info 0
		.amdhsa_system_vgpr_workitem_id 0
		.amdhsa_next_free_vgpr 1
		.amdhsa_next_free_sgpr 1
		.amdhsa_reserve_vcc 0
		.amdhsa_float_round_mode_32 0
		.amdhsa_float_round_mode_16_64 0
		.amdhsa_float_denorm_mode_32 3
		.amdhsa_float_denorm_mode_16_64 3
		.amdhsa_dx10_clamp 1
		.amdhsa_ieee_mode 1
		.amdhsa_fp16_overflow 0
		.amdhsa_workgroup_processor_mode 1
		.amdhsa_memory_ordered 1
		.amdhsa_forward_progress 0
		.amdhsa_shared_vgpr_count 0
		.amdhsa_exception_fp_ieee_invalid_op 0
		.amdhsa_exception_fp_denorm_src 0
		.amdhsa_exception_fp_ieee_div_zero 0
		.amdhsa_exception_fp_ieee_overflow 0
		.amdhsa_exception_fp_ieee_underflow 0
		.amdhsa_exception_fp_ieee_inexact 0
		.amdhsa_exception_int_div_zero 0
	.end_amdhsa_kernel
	.section	.text._ZN7rocprim17ROCPRIM_400000_NS6detail17trampoline_kernelINS0_14default_configENS1_25partition_config_selectorILNS1_17partition_subalgoE9EttbEEZZNS1_14partition_implILS5_9ELb0ES3_jN6thrust23THRUST_200600_302600_NS6detail15normal_iteratorINS9_10device_ptrItEEEESE_PNS0_10empty_typeENS0_5tupleIJSE_SF_EEENSH_IJSE_SG_EEENS0_18inequality_wrapperI22is_equal_div_10_uniqueItEEEPmJSF_EEE10hipError_tPvRmT3_T4_T5_T6_T7_T9_mT8_P12ihipStream_tbDpT10_ENKUlT_T0_E_clISt17integral_constantIbLb0EES18_EEDaS13_S14_EUlS13_E_NS1_11comp_targetILNS1_3genE4ELNS1_11target_archE910ELNS1_3gpuE8ELNS1_3repE0EEENS1_30default_config_static_selectorELNS0_4arch9wavefront6targetE0EEEvT1_,"axG",@progbits,_ZN7rocprim17ROCPRIM_400000_NS6detail17trampoline_kernelINS0_14default_configENS1_25partition_config_selectorILNS1_17partition_subalgoE9EttbEEZZNS1_14partition_implILS5_9ELb0ES3_jN6thrust23THRUST_200600_302600_NS6detail15normal_iteratorINS9_10device_ptrItEEEESE_PNS0_10empty_typeENS0_5tupleIJSE_SF_EEENSH_IJSE_SG_EEENS0_18inequality_wrapperI22is_equal_div_10_uniqueItEEEPmJSF_EEE10hipError_tPvRmT3_T4_T5_T6_T7_T9_mT8_P12ihipStream_tbDpT10_ENKUlT_T0_E_clISt17integral_constantIbLb0EES18_EEDaS13_S14_EUlS13_E_NS1_11comp_targetILNS1_3genE4ELNS1_11target_archE910ELNS1_3gpuE8ELNS1_3repE0EEENS1_30default_config_static_selectorELNS0_4arch9wavefront6targetE0EEEvT1_,comdat
.Lfunc_end309:
	.size	_ZN7rocprim17ROCPRIM_400000_NS6detail17trampoline_kernelINS0_14default_configENS1_25partition_config_selectorILNS1_17partition_subalgoE9EttbEEZZNS1_14partition_implILS5_9ELb0ES3_jN6thrust23THRUST_200600_302600_NS6detail15normal_iteratorINS9_10device_ptrItEEEESE_PNS0_10empty_typeENS0_5tupleIJSE_SF_EEENSH_IJSE_SG_EEENS0_18inequality_wrapperI22is_equal_div_10_uniqueItEEEPmJSF_EEE10hipError_tPvRmT3_T4_T5_T6_T7_T9_mT8_P12ihipStream_tbDpT10_ENKUlT_T0_E_clISt17integral_constantIbLb0EES18_EEDaS13_S14_EUlS13_E_NS1_11comp_targetILNS1_3genE4ELNS1_11target_archE910ELNS1_3gpuE8ELNS1_3repE0EEENS1_30default_config_static_selectorELNS0_4arch9wavefront6targetE0EEEvT1_, .Lfunc_end309-_ZN7rocprim17ROCPRIM_400000_NS6detail17trampoline_kernelINS0_14default_configENS1_25partition_config_selectorILNS1_17partition_subalgoE9EttbEEZZNS1_14partition_implILS5_9ELb0ES3_jN6thrust23THRUST_200600_302600_NS6detail15normal_iteratorINS9_10device_ptrItEEEESE_PNS0_10empty_typeENS0_5tupleIJSE_SF_EEENSH_IJSE_SG_EEENS0_18inequality_wrapperI22is_equal_div_10_uniqueItEEEPmJSF_EEE10hipError_tPvRmT3_T4_T5_T6_T7_T9_mT8_P12ihipStream_tbDpT10_ENKUlT_T0_E_clISt17integral_constantIbLb0EES18_EEDaS13_S14_EUlS13_E_NS1_11comp_targetILNS1_3genE4ELNS1_11target_archE910ELNS1_3gpuE8ELNS1_3repE0EEENS1_30default_config_static_selectorELNS0_4arch9wavefront6targetE0EEEvT1_
                                        ; -- End function
	.section	.AMDGPU.csdata,"",@progbits
; Kernel info:
; codeLenInByte = 0
; NumSgprs: 0
; NumVgprs: 0
; ScratchSize: 0
; MemoryBound: 0
; FloatMode: 240
; IeeeMode: 1
; LDSByteSize: 0 bytes/workgroup (compile time only)
; SGPRBlocks: 0
; VGPRBlocks: 0
; NumSGPRsForWavesPerEU: 1
; NumVGPRsForWavesPerEU: 1
; Occupancy: 16
; WaveLimiterHint : 0
; COMPUTE_PGM_RSRC2:SCRATCH_EN: 0
; COMPUTE_PGM_RSRC2:USER_SGPR: 15
; COMPUTE_PGM_RSRC2:TRAP_HANDLER: 0
; COMPUTE_PGM_RSRC2:TGID_X_EN: 1
; COMPUTE_PGM_RSRC2:TGID_Y_EN: 0
; COMPUTE_PGM_RSRC2:TGID_Z_EN: 0
; COMPUTE_PGM_RSRC2:TIDIG_COMP_CNT: 0
	.section	.text._ZN7rocprim17ROCPRIM_400000_NS6detail17trampoline_kernelINS0_14default_configENS1_25partition_config_selectorILNS1_17partition_subalgoE9EttbEEZZNS1_14partition_implILS5_9ELb0ES3_jN6thrust23THRUST_200600_302600_NS6detail15normal_iteratorINS9_10device_ptrItEEEESE_PNS0_10empty_typeENS0_5tupleIJSE_SF_EEENSH_IJSE_SG_EEENS0_18inequality_wrapperI22is_equal_div_10_uniqueItEEEPmJSF_EEE10hipError_tPvRmT3_T4_T5_T6_T7_T9_mT8_P12ihipStream_tbDpT10_ENKUlT_T0_E_clISt17integral_constantIbLb0EES18_EEDaS13_S14_EUlS13_E_NS1_11comp_targetILNS1_3genE3ELNS1_11target_archE908ELNS1_3gpuE7ELNS1_3repE0EEENS1_30default_config_static_selectorELNS0_4arch9wavefront6targetE0EEEvT1_,"axG",@progbits,_ZN7rocprim17ROCPRIM_400000_NS6detail17trampoline_kernelINS0_14default_configENS1_25partition_config_selectorILNS1_17partition_subalgoE9EttbEEZZNS1_14partition_implILS5_9ELb0ES3_jN6thrust23THRUST_200600_302600_NS6detail15normal_iteratorINS9_10device_ptrItEEEESE_PNS0_10empty_typeENS0_5tupleIJSE_SF_EEENSH_IJSE_SG_EEENS0_18inequality_wrapperI22is_equal_div_10_uniqueItEEEPmJSF_EEE10hipError_tPvRmT3_T4_T5_T6_T7_T9_mT8_P12ihipStream_tbDpT10_ENKUlT_T0_E_clISt17integral_constantIbLb0EES18_EEDaS13_S14_EUlS13_E_NS1_11comp_targetILNS1_3genE3ELNS1_11target_archE908ELNS1_3gpuE7ELNS1_3repE0EEENS1_30default_config_static_selectorELNS0_4arch9wavefront6targetE0EEEvT1_,comdat
	.protected	_ZN7rocprim17ROCPRIM_400000_NS6detail17trampoline_kernelINS0_14default_configENS1_25partition_config_selectorILNS1_17partition_subalgoE9EttbEEZZNS1_14partition_implILS5_9ELb0ES3_jN6thrust23THRUST_200600_302600_NS6detail15normal_iteratorINS9_10device_ptrItEEEESE_PNS0_10empty_typeENS0_5tupleIJSE_SF_EEENSH_IJSE_SG_EEENS0_18inequality_wrapperI22is_equal_div_10_uniqueItEEEPmJSF_EEE10hipError_tPvRmT3_T4_T5_T6_T7_T9_mT8_P12ihipStream_tbDpT10_ENKUlT_T0_E_clISt17integral_constantIbLb0EES18_EEDaS13_S14_EUlS13_E_NS1_11comp_targetILNS1_3genE3ELNS1_11target_archE908ELNS1_3gpuE7ELNS1_3repE0EEENS1_30default_config_static_selectorELNS0_4arch9wavefront6targetE0EEEvT1_ ; -- Begin function _ZN7rocprim17ROCPRIM_400000_NS6detail17trampoline_kernelINS0_14default_configENS1_25partition_config_selectorILNS1_17partition_subalgoE9EttbEEZZNS1_14partition_implILS5_9ELb0ES3_jN6thrust23THRUST_200600_302600_NS6detail15normal_iteratorINS9_10device_ptrItEEEESE_PNS0_10empty_typeENS0_5tupleIJSE_SF_EEENSH_IJSE_SG_EEENS0_18inequality_wrapperI22is_equal_div_10_uniqueItEEEPmJSF_EEE10hipError_tPvRmT3_T4_T5_T6_T7_T9_mT8_P12ihipStream_tbDpT10_ENKUlT_T0_E_clISt17integral_constantIbLb0EES18_EEDaS13_S14_EUlS13_E_NS1_11comp_targetILNS1_3genE3ELNS1_11target_archE908ELNS1_3gpuE7ELNS1_3repE0EEENS1_30default_config_static_selectorELNS0_4arch9wavefront6targetE0EEEvT1_
	.globl	_ZN7rocprim17ROCPRIM_400000_NS6detail17trampoline_kernelINS0_14default_configENS1_25partition_config_selectorILNS1_17partition_subalgoE9EttbEEZZNS1_14partition_implILS5_9ELb0ES3_jN6thrust23THRUST_200600_302600_NS6detail15normal_iteratorINS9_10device_ptrItEEEESE_PNS0_10empty_typeENS0_5tupleIJSE_SF_EEENSH_IJSE_SG_EEENS0_18inequality_wrapperI22is_equal_div_10_uniqueItEEEPmJSF_EEE10hipError_tPvRmT3_T4_T5_T6_T7_T9_mT8_P12ihipStream_tbDpT10_ENKUlT_T0_E_clISt17integral_constantIbLb0EES18_EEDaS13_S14_EUlS13_E_NS1_11comp_targetILNS1_3genE3ELNS1_11target_archE908ELNS1_3gpuE7ELNS1_3repE0EEENS1_30default_config_static_selectorELNS0_4arch9wavefront6targetE0EEEvT1_
	.p2align	8
	.type	_ZN7rocprim17ROCPRIM_400000_NS6detail17trampoline_kernelINS0_14default_configENS1_25partition_config_selectorILNS1_17partition_subalgoE9EttbEEZZNS1_14partition_implILS5_9ELb0ES3_jN6thrust23THRUST_200600_302600_NS6detail15normal_iteratorINS9_10device_ptrItEEEESE_PNS0_10empty_typeENS0_5tupleIJSE_SF_EEENSH_IJSE_SG_EEENS0_18inequality_wrapperI22is_equal_div_10_uniqueItEEEPmJSF_EEE10hipError_tPvRmT3_T4_T5_T6_T7_T9_mT8_P12ihipStream_tbDpT10_ENKUlT_T0_E_clISt17integral_constantIbLb0EES18_EEDaS13_S14_EUlS13_E_NS1_11comp_targetILNS1_3genE3ELNS1_11target_archE908ELNS1_3gpuE7ELNS1_3repE0EEENS1_30default_config_static_selectorELNS0_4arch9wavefront6targetE0EEEvT1_,@function
_ZN7rocprim17ROCPRIM_400000_NS6detail17trampoline_kernelINS0_14default_configENS1_25partition_config_selectorILNS1_17partition_subalgoE9EttbEEZZNS1_14partition_implILS5_9ELb0ES3_jN6thrust23THRUST_200600_302600_NS6detail15normal_iteratorINS9_10device_ptrItEEEESE_PNS0_10empty_typeENS0_5tupleIJSE_SF_EEENSH_IJSE_SG_EEENS0_18inequality_wrapperI22is_equal_div_10_uniqueItEEEPmJSF_EEE10hipError_tPvRmT3_T4_T5_T6_T7_T9_mT8_P12ihipStream_tbDpT10_ENKUlT_T0_E_clISt17integral_constantIbLb0EES18_EEDaS13_S14_EUlS13_E_NS1_11comp_targetILNS1_3genE3ELNS1_11target_archE908ELNS1_3gpuE7ELNS1_3repE0EEENS1_30default_config_static_selectorELNS0_4arch9wavefront6targetE0EEEvT1_: ; @_ZN7rocprim17ROCPRIM_400000_NS6detail17trampoline_kernelINS0_14default_configENS1_25partition_config_selectorILNS1_17partition_subalgoE9EttbEEZZNS1_14partition_implILS5_9ELb0ES3_jN6thrust23THRUST_200600_302600_NS6detail15normal_iteratorINS9_10device_ptrItEEEESE_PNS0_10empty_typeENS0_5tupleIJSE_SF_EEENSH_IJSE_SG_EEENS0_18inequality_wrapperI22is_equal_div_10_uniqueItEEEPmJSF_EEE10hipError_tPvRmT3_T4_T5_T6_T7_T9_mT8_P12ihipStream_tbDpT10_ENKUlT_T0_E_clISt17integral_constantIbLb0EES18_EEDaS13_S14_EUlS13_E_NS1_11comp_targetILNS1_3genE3ELNS1_11target_archE908ELNS1_3gpuE7ELNS1_3repE0EEENS1_30default_config_static_selectorELNS0_4arch9wavefront6targetE0EEEvT1_
; %bb.0:
	.section	.rodata,"a",@progbits
	.p2align	6, 0x0
	.amdhsa_kernel _ZN7rocprim17ROCPRIM_400000_NS6detail17trampoline_kernelINS0_14default_configENS1_25partition_config_selectorILNS1_17partition_subalgoE9EttbEEZZNS1_14partition_implILS5_9ELb0ES3_jN6thrust23THRUST_200600_302600_NS6detail15normal_iteratorINS9_10device_ptrItEEEESE_PNS0_10empty_typeENS0_5tupleIJSE_SF_EEENSH_IJSE_SG_EEENS0_18inequality_wrapperI22is_equal_div_10_uniqueItEEEPmJSF_EEE10hipError_tPvRmT3_T4_T5_T6_T7_T9_mT8_P12ihipStream_tbDpT10_ENKUlT_T0_E_clISt17integral_constantIbLb0EES18_EEDaS13_S14_EUlS13_E_NS1_11comp_targetILNS1_3genE3ELNS1_11target_archE908ELNS1_3gpuE7ELNS1_3repE0EEENS1_30default_config_static_selectorELNS0_4arch9wavefront6targetE0EEEvT1_
		.amdhsa_group_segment_fixed_size 0
		.amdhsa_private_segment_fixed_size 0
		.amdhsa_kernarg_size 112
		.amdhsa_user_sgpr_count 15
		.amdhsa_user_sgpr_dispatch_ptr 0
		.amdhsa_user_sgpr_queue_ptr 0
		.amdhsa_user_sgpr_kernarg_segment_ptr 1
		.amdhsa_user_sgpr_dispatch_id 0
		.amdhsa_user_sgpr_private_segment_size 0
		.amdhsa_wavefront_size32 1
		.amdhsa_uses_dynamic_stack 0
		.amdhsa_enable_private_segment 0
		.amdhsa_system_sgpr_workgroup_id_x 1
		.amdhsa_system_sgpr_workgroup_id_y 0
		.amdhsa_system_sgpr_workgroup_id_z 0
		.amdhsa_system_sgpr_workgroup_info 0
		.amdhsa_system_vgpr_workitem_id 0
		.amdhsa_next_free_vgpr 1
		.amdhsa_next_free_sgpr 1
		.amdhsa_reserve_vcc 0
		.amdhsa_float_round_mode_32 0
		.amdhsa_float_round_mode_16_64 0
		.amdhsa_float_denorm_mode_32 3
		.amdhsa_float_denorm_mode_16_64 3
		.amdhsa_dx10_clamp 1
		.amdhsa_ieee_mode 1
		.amdhsa_fp16_overflow 0
		.amdhsa_workgroup_processor_mode 1
		.amdhsa_memory_ordered 1
		.amdhsa_forward_progress 0
		.amdhsa_shared_vgpr_count 0
		.amdhsa_exception_fp_ieee_invalid_op 0
		.amdhsa_exception_fp_denorm_src 0
		.amdhsa_exception_fp_ieee_div_zero 0
		.amdhsa_exception_fp_ieee_overflow 0
		.amdhsa_exception_fp_ieee_underflow 0
		.amdhsa_exception_fp_ieee_inexact 0
		.amdhsa_exception_int_div_zero 0
	.end_amdhsa_kernel
	.section	.text._ZN7rocprim17ROCPRIM_400000_NS6detail17trampoline_kernelINS0_14default_configENS1_25partition_config_selectorILNS1_17partition_subalgoE9EttbEEZZNS1_14partition_implILS5_9ELb0ES3_jN6thrust23THRUST_200600_302600_NS6detail15normal_iteratorINS9_10device_ptrItEEEESE_PNS0_10empty_typeENS0_5tupleIJSE_SF_EEENSH_IJSE_SG_EEENS0_18inequality_wrapperI22is_equal_div_10_uniqueItEEEPmJSF_EEE10hipError_tPvRmT3_T4_T5_T6_T7_T9_mT8_P12ihipStream_tbDpT10_ENKUlT_T0_E_clISt17integral_constantIbLb0EES18_EEDaS13_S14_EUlS13_E_NS1_11comp_targetILNS1_3genE3ELNS1_11target_archE908ELNS1_3gpuE7ELNS1_3repE0EEENS1_30default_config_static_selectorELNS0_4arch9wavefront6targetE0EEEvT1_,"axG",@progbits,_ZN7rocprim17ROCPRIM_400000_NS6detail17trampoline_kernelINS0_14default_configENS1_25partition_config_selectorILNS1_17partition_subalgoE9EttbEEZZNS1_14partition_implILS5_9ELb0ES3_jN6thrust23THRUST_200600_302600_NS6detail15normal_iteratorINS9_10device_ptrItEEEESE_PNS0_10empty_typeENS0_5tupleIJSE_SF_EEENSH_IJSE_SG_EEENS0_18inequality_wrapperI22is_equal_div_10_uniqueItEEEPmJSF_EEE10hipError_tPvRmT3_T4_T5_T6_T7_T9_mT8_P12ihipStream_tbDpT10_ENKUlT_T0_E_clISt17integral_constantIbLb0EES18_EEDaS13_S14_EUlS13_E_NS1_11comp_targetILNS1_3genE3ELNS1_11target_archE908ELNS1_3gpuE7ELNS1_3repE0EEENS1_30default_config_static_selectorELNS0_4arch9wavefront6targetE0EEEvT1_,comdat
.Lfunc_end310:
	.size	_ZN7rocprim17ROCPRIM_400000_NS6detail17trampoline_kernelINS0_14default_configENS1_25partition_config_selectorILNS1_17partition_subalgoE9EttbEEZZNS1_14partition_implILS5_9ELb0ES3_jN6thrust23THRUST_200600_302600_NS6detail15normal_iteratorINS9_10device_ptrItEEEESE_PNS0_10empty_typeENS0_5tupleIJSE_SF_EEENSH_IJSE_SG_EEENS0_18inequality_wrapperI22is_equal_div_10_uniqueItEEEPmJSF_EEE10hipError_tPvRmT3_T4_T5_T6_T7_T9_mT8_P12ihipStream_tbDpT10_ENKUlT_T0_E_clISt17integral_constantIbLb0EES18_EEDaS13_S14_EUlS13_E_NS1_11comp_targetILNS1_3genE3ELNS1_11target_archE908ELNS1_3gpuE7ELNS1_3repE0EEENS1_30default_config_static_selectorELNS0_4arch9wavefront6targetE0EEEvT1_, .Lfunc_end310-_ZN7rocprim17ROCPRIM_400000_NS6detail17trampoline_kernelINS0_14default_configENS1_25partition_config_selectorILNS1_17partition_subalgoE9EttbEEZZNS1_14partition_implILS5_9ELb0ES3_jN6thrust23THRUST_200600_302600_NS6detail15normal_iteratorINS9_10device_ptrItEEEESE_PNS0_10empty_typeENS0_5tupleIJSE_SF_EEENSH_IJSE_SG_EEENS0_18inequality_wrapperI22is_equal_div_10_uniqueItEEEPmJSF_EEE10hipError_tPvRmT3_T4_T5_T6_T7_T9_mT8_P12ihipStream_tbDpT10_ENKUlT_T0_E_clISt17integral_constantIbLb0EES18_EEDaS13_S14_EUlS13_E_NS1_11comp_targetILNS1_3genE3ELNS1_11target_archE908ELNS1_3gpuE7ELNS1_3repE0EEENS1_30default_config_static_selectorELNS0_4arch9wavefront6targetE0EEEvT1_
                                        ; -- End function
	.section	.AMDGPU.csdata,"",@progbits
; Kernel info:
; codeLenInByte = 0
; NumSgprs: 0
; NumVgprs: 0
; ScratchSize: 0
; MemoryBound: 0
; FloatMode: 240
; IeeeMode: 1
; LDSByteSize: 0 bytes/workgroup (compile time only)
; SGPRBlocks: 0
; VGPRBlocks: 0
; NumSGPRsForWavesPerEU: 1
; NumVGPRsForWavesPerEU: 1
; Occupancy: 16
; WaveLimiterHint : 0
; COMPUTE_PGM_RSRC2:SCRATCH_EN: 0
; COMPUTE_PGM_RSRC2:USER_SGPR: 15
; COMPUTE_PGM_RSRC2:TRAP_HANDLER: 0
; COMPUTE_PGM_RSRC2:TGID_X_EN: 1
; COMPUTE_PGM_RSRC2:TGID_Y_EN: 0
; COMPUTE_PGM_RSRC2:TGID_Z_EN: 0
; COMPUTE_PGM_RSRC2:TIDIG_COMP_CNT: 0
	.section	.text._ZN7rocprim17ROCPRIM_400000_NS6detail17trampoline_kernelINS0_14default_configENS1_25partition_config_selectorILNS1_17partition_subalgoE9EttbEEZZNS1_14partition_implILS5_9ELb0ES3_jN6thrust23THRUST_200600_302600_NS6detail15normal_iteratorINS9_10device_ptrItEEEESE_PNS0_10empty_typeENS0_5tupleIJSE_SF_EEENSH_IJSE_SG_EEENS0_18inequality_wrapperI22is_equal_div_10_uniqueItEEEPmJSF_EEE10hipError_tPvRmT3_T4_T5_T6_T7_T9_mT8_P12ihipStream_tbDpT10_ENKUlT_T0_E_clISt17integral_constantIbLb0EES18_EEDaS13_S14_EUlS13_E_NS1_11comp_targetILNS1_3genE2ELNS1_11target_archE906ELNS1_3gpuE6ELNS1_3repE0EEENS1_30default_config_static_selectorELNS0_4arch9wavefront6targetE0EEEvT1_,"axG",@progbits,_ZN7rocprim17ROCPRIM_400000_NS6detail17trampoline_kernelINS0_14default_configENS1_25partition_config_selectorILNS1_17partition_subalgoE9EttbEEZZNS1_14partition_implILS5_9ELb0ES3_jN6thrust23THRUST_200600_302600_NS6detail15normal_iteratorINS9_10device_ptrItEEEESE_PNS0_10empty_typeENS0_5tupleIJSE_SF_EEENSH_IJSE_SG_EEENS0_18inequality_wrapperI22is_equal_div_10_uniqueItEEEPmJSF_EEE10hipError_tPvRmT3_T4_T5_T6_T7_T9_mT8_P12ihipStream_tbDpT10_ENKUlT_T0_E_clISt17integral_constantIbLb0EES18_EEDaS13_S14_EUlS13_E_NS1_11comp_targetILNS1_3genE2ELNS1_11target_archE906ELNS1_3gpuE6ELNS1_3repE0EEENS1_30default_config_static_selectorELNS0_4arch9wavefront6targetE0EEEvT1_,comdat
	.protected	_ZN7rocprim17ROCPRIM_400000_NS6detail17trampoline_kernelINS0_14default_configENS1_25partition_config_selectorILNS1_17partition_subalgoE9EttbEEZZNS1_14partition_implILS5_9ELb0ES3_jN6thrust23THRUST_200600_302600_NS6detail15normal_iteratorINS9_10device_ptrItEEEESE_PNS0_10empty_typeENS0_5tupleIJSE_SF_EEENSH_IJSE_SG_EEENS0_18inequality_wrapperI22is_equal_div_10_uniqueItEEEPmJSF_EEE10hipError_tPvRmT3_T4_T5_T6_T7_T9_mT8_P12ihipStream_tbDpT10_ENKUlT_T0_E_clISt17integral_constantIbLb0EES18_EEDaS13_S14_EUlS13_E_NS1_11comp_targetILNS1_3genE2ELNS1_11target_archE906ELNS1_3gpuE6ELNS1_3repE0EEENS1_30default_config_static_selectorELNS0_4arch9wavefront6targetE0EEEvT1_ ; -- Begin function _ZN7rocprim17ROCPRIM_400000_NS6detail17trampoline_kernelINS0_14default_configENS1_25partition_config_selectorILNS1_17partition_subalgoE9EttbEEZZNS1_14partition_implILS5_9ELb0ES3_jN6thrust23THRUST_200600_302600_NS6detail15normal_iteratorINS9_10device_ptrItEEEESE_PNS0_10empty_typeENS0_5tupleIJSE_SF_EEENSH_IJSE_SG_EEENS0_18inequality_wrapperI22is_equal_div_10_uniqueItEEEPmJSF_EEE10hipError_tPvRmT3_T4_T5_T6_T7_T9_mT8_P12ihipStream_tbDpT10_ENKUlT_T0_E_clISt17integral_constantIbLb0EES18_EEDaS13_S14_EUlS13_E_NS1_11comp_targetILNS1_3genE2ELNS1_11target_archE906ELNS1_3gpuE6ELNS1_3repE0EEENS1_30default_config_static_selectorELNS0_4arch9wavefront6targetE0EEEvT1_
	.globl	_ZN7rocprim17ROCPRIM_400000_NS6detail17trampoline_kernelINS0_14default_configENS1_25partition_config_selectorILNS1_17partition_subalgoE9EttbEEZZNS1_14partition_implILS5_9ELb0ES3_jN6thrust23THRUST_200600_302600_NS6detail15normal_iteratorINS9_10device_ptrItEEEESE_PNS0_10empty_typeENS0_5tupleIJSE_SF_EEENSH_IJSE_SG_EEENS0_18inequality_wrapperI22is_equal_div_10_uniqueItEEEPmJSF_EEE10hipError_tPvRmT3_T4_T5_T6_T7_T9_mT8_P12ihipStream_tbDpT10_ENKUlT_T0_E_clISt17integral_constantIbLb0EES18_EEDaS13_S14_EUlS13_E_NS1_11comp_targetILNS1_3genE2ELNS1_11target_archE906ELNS1_3gpuE6ELNS1_3repE0EEENS1_30default_config_static_selectorELNS0_4arch9wavefront6targetE0EEEvT1_
	.p2align	8
	.type	_ZN7rocprim17ROCPRIM_400000_NS6detail17trampoline_kernelINS0_14default_configENS1_25partition_config_selectorILNS1_17partition_subalgoE9EttbEEZZNS1_14partition_implILS5_9ELb0ES3_jN6thrust23THRUST_200600_302600_NS6detail15normal_iteratorINS9_10device_ptrItEEEESE_PNS0_10empty_typeENS0_5tupleIJSE_SF_EEENSH_IJSE_SG_EEENS0_18inequality_wrapperI22is_equal_div_10_uniqueItEEEPmJSF_EEE10hipError_tPvRmT3_T4_T5_T6_T7_T9_mT8_P12ihipStream_tbDpT10_ENKUlT_T0_E_clISt17integral_constantIbLb0EES18_EEDaS13_S14_EUlS13_E_NS1_11comp_targetILNS1_3genE2ELNS1_11target_archE906ELNS1_3gpuE6ELNS1_3repE0EEENS1_30default_config_static_selectorELNS0_4arch9wavefront6targetE0EEEvT1_,@function
_ZN7rocprim17ROCPRIM_400000_NS6detail17trampoline_kernelINS0_14default_configENS1_25partition_config_selectorILNS1_17partition_subalgoE9EttbEEZZNS1_14partition_implILS5_9ELb0ES3_jN6thrust23THRUST_200600_302600_NS6detail15normal_iteratorINS9_10device_ptrItEEEESE_PNS0_10empty_typeENS0_5tupleIJSE_SF_EEENSH_IJSE_SG_EEENS0_18inequality_wrapperI22is_equal_div_10_uniqueItEEEPmJSF_EEE10hipError_tPvRmT3_T4_T5_T6_T7_T9_mT8_P12ihipStream_tbDpT10_ENKUlT_T0_E_clISt17integral_constantIbLb0EES18_EEDaS13_S14_EUlS13_E_NS1_11comp_targetILNS1_3genE2ELNS1_11target_archE906ELNS1_3gpuE6ELNS1_3repE0EEENS1_30default_config_static_selectorELNS0_4arch9wavefront6targetE0EEEvT1_: ; @_ZN7rocprim17ROCPRIM_400000_NS6detail17trampoline_kernelINS0_14default_configENS1_25partition_config_selectorILNS1_17partition_subalgoE9EttbEEZZNS1_14partition_implILS5_9ELb0ES3_jN6thrust23THRUST_200600_302600_NS6detail15normal_iteratorINS9_10device_ptrItEEEESE_PNS0_10empty_typeENS0_5tupleIJSE_SF_EEENSH_IJSE_SG_EEENS0_18inequality_wrapperI22is_equal_div_10_uniqueItEEEPmJSF_EEE10hipError_tPvRmT3_T4_T5_T6_T7_T9_mT8_P12ihipStream_tbDpT10_ENKUlT_T0_E_clISt17integral_constantIbLb0EES18_EEDaS13_S14_EUlS13_E_NS1_11comp_targetILNS1_3genE2ELNS1_11target_archE906ELNS1_3gpuE6ELNS1_3repE0EEENS1_30default_config_static_selectorELNS0_4arch9wavefront6targetE0EEEvT1_
; %bb.0:
	.section	.rodata,"a",@progbits
	.p2align	6, 0x0
	.amdhsa_kernel _ZN7rocprim17ROCPRIM_400000_NS6detail17trampoline_kernelINS0_14default_configENS1_25partition_config_selectorILNS1_17partition_subalgoE9EttbEEZZNS1_14partition_implILS5_9ELb0ES3_jN6thrust23THRUST_200600_302600_NS6detail15normal_iteratorINS9_10device_ptrItEEEESE_PNS0_10empty_typeENS0_5tupleIJSE_SF_EEENSH_IJSE_SG_EEENS0_18inequality_wrapperI22is_equal_div_10_uniqueItEEEPmJSF_EEE10hipError_tPvRmT3_T4_T5_T6_T7_T9_mT8_P12ihipStream_tbDpT10_ENKUlT_T0_E_clISt17integral_constantIbLb0EES18_EEDaS13_S14_EUlS13_E_NS1_11comp_targetILNS1_3genE2ELNS1_11target_archE906ELNS1_3gpuE6ELNS1_3repE0EEENS1_30default_config_static_selectorELNS0_4arch9wavefront6targetE0EEEvT1_
		.amdhsa_group_segment_fixed_size 0
		.amdhsa_private_segment_fixed_size 0
		.amdhsa_kernarg_size 112
		.amdhsa_user_sgpr_count 15
		.amdhsa_user_sgpr_dispatch_ptr 0
		.amdhsa_user_sgpr_queue_ptr 0
		.amdhsa_user_sgpr_kernarg_segment_ptr 1
		.amdhsa_user_sgpr_dispatch_id 0
		.amdhsa_user_sgpr_private_segment_size 0
		.amdhsa_wavefront_size32 1
		.amdhsa_uses_dynamic_stack 0
		.amdhsa_enable_private_segment 0
		.amdhsa_system_sgpr_workgroup_id_x 1
		.amdhsa_system_sgpr_workgroup_id_y 0
		.amdhsa_system_sgpr_workgroup_id_z 0
		.amdhsa_system_sgpr_workgroup_info 0
		.amdhsa_system_vgpr_workitem_id 0
		.amdhsa_next_free_vgpr 1
		.amdhsa_next_free_sgpr 1
		.amdhsa_reserve_vcc 0
		.amdhsa_float_round_mode_32 0
		.amdhsa_float_round_mode_16_64 0
		.amdhsa_float_denorm_mode_32 3
		.amdhsa_float_denorm_mode_16_64 3
		.amdhsa_dx10_clamp 1
		.amdhsa_ieee_mode 1
		.amdhsa_fp16_overflow 0
		.amdhsa_workgroup_processor_mode 1
		.amdhsa_memory_ordered 1
		.amdhsa_forward_progress 0
		.amdhsa_shared_vgpr_count 0
		.amdhsa_exception_fp_ieee_invalid_op 0
		.amdhsa_exception_fp_denorm_src 0
		.amdhsa_exception_fp_ieee_div_zero 0
		.amdhsa_exception_fp_ieee_overflow 0
		.amdhsa_exception_fp_ieee_underflow 0
		.amdhsa_exception_fp_ieee_inexact 0
		.amdhsa_exception_int_div_zero 0
	.end_amdhsa_kernel
	.section	.text._ZN7rocprim17ROCPRIM_400000_NS6detail17trampoline_kernelINS0_14default_configENS1_25partition_config_selectorILNS1_17partition_subalgoE9EttbEEZZNS1_14partition_implILS5_9ELb0ES3_jN6thrust23THRUST_200600_302600_NS6detail15normal_iteratorINS9_10device_ptrItEEEESE_PNS0_10empty_typeENS0_5tupleIJSE_SF_EEENSH_IJSE_SG_EEENS0_18inequality_wrapperI22is_equal_div_10_uniqueItEEEPmJSF_EEE10hipError_tPvRmT3_T4_T5_T6_T7_T9_mT8_P12ihipStream_tbDpT10_ENKUlT_T0_E_clISt17integral_constantIbLb0EES18_EEDaS13_S14_EUlS13_E_NS1_11comp_targetILNS1_3genE2ELNS1_11target_archE906ELNS1_3gpuE6ELNS1_3repE0EEENS1_30default_config_static_selectorELNS0_4arch9wavefront6targetE0EEEvT1_,"axG",@progbits,_ZN7rocprim17ROCPRIM_400000_NS6detail17trampoline_kernelINS0_14default_configENS1_25partition_config_selectorILNS1_17partition_subalgoE9EttbEEZZNS1_14partition_implILS5_9ELb0ES3_jN6thrust23THRUST_200600_302600_NS6detail15normal_iteratorINS9_10device_ptrItEEEESE_PNS0_10empty_typeENS0_5tupleIJSE_SF_EEENSH_IJSE_SG_EEENS0_18inequality_wrapperI22is_equal_div_10_uniqueItEEEPmJSF_EEE10hipError_tPvRmT3_T4_T5_T6_T7_T9_mT8_P12ihipStream_tbDpT10_ENKUlT_T0_E_clISt17integral_constantIbLb0EES18_EEDaS13_S14_EUlS13_E_NS1_11comp_targetILNS1_3genE2ELNS1_11target_archE906ELNS1_3gpuE6ELNS1_3repE0EEENS1_30default_config_static_selectorELNS0_4arch9wavefront6targetE0EEEvT1_,comdat
.Lfunc_end311:
	.size	_ZN7rocprim17ROCPRIM_400000_NS6detail17trampoline_kernelINS0_14default_configENS1_25partition_config_selectorILNS1_17partition_subalgoE9EttbEEZZNS1_14partition_implILS5_9ELb0ES3_jN6thrust23THRUST_200600_302600_NS6detail15normal_iteratorINS9_10device_ptrItEEEESE_PNS0_10empty_typeENS0_5tupleIJSE_SF_EEENSH_IJSE_SG_EEENS0_18inequality_wrapperI22is_equal_div_10_uniqueItEEEPmJSF_EEE10hipError_tPvRmT3_T4_T5_T6_T7_T9_mT8_P12ihipStream_tbDpT10_ENKUlT_T0_E_clISt17integral_constantIbLb0EES18_EEDaS13_S14_EUlS13_E_NS1_11comp_targetILNS1_3genE2ELNS1_11target_archE906ELNS1_3gpuE6ELNS1_3repE0EEENS1_30default_config_static_selectorELNS0_4arch9wavefront6targetE0EEEvT1_, .Lfunc_end311-_ZN7rocprim17ROCPRIM_400000_NS6detail17trampoline_kernelINS0_14default_configENS1_25partition_config_selectorILNS1_17partition_subalgoE9EttbEEZZNS1_14partition_implILS5_9ELb0ES3_jN6thrust23THRUST_200600_302600_NS6detail15normal_iteratorINS9_10device_ptrItEEEESE_PNS0_10empty_typeENS0_5tupleIJSE_SF_EEENSH_IJSE_SG_EEENS0_18inequality_wrapperI22is_equal_div_10_uniqueItEEEPmJSF_EEE10hipError_tPvRmT3_T4_T5_T6_T7_T9_mT8_P12ihipStream_tbDpT10_ENKUlT_T0_E_clISt17integral_constantIbLb0EES18_EEDaS13_S14_EUlS13_E_NS1_11comp_targetILNS1_3genE2ELNS1_11target_archE906ELNS1_3gpuE6ELNS1_3repE0EEENS1_30default_config_static_selectorELNS0_4arch9wavefront6targetE0EEEvT1_
                                        ; -- End function
	.section	.AMDGPU.csdata,"",@progbits
; Kernel info:
; codeLenInByte = 0
; NumSgprs: 0
; NumVgprs: 0
; ScratchSize: 0
; MemoryBound: 0
; FloatMode: 240
; IeeeMode: 1
; LDSByteSize: 0 bytes/workgroup (compile time only)
; SGPRBlocks: 0
; VGPRBlocks: 0
; NumSGPRsForWavesPerEU: 1
; NumVGPRsForWavesPerEU: 1
; Occupancy: 16
; WaveLimiterHint : 0
; COMPUTE_PGM_RSRC2:SCRATCH_EN: 0
; COMPUTE_PGM_RSRC2:USER_SGPR: 15
; COMPUTE_PGM_RSRC2:TRAP_HANDLER: 0
; COMPUTE_PGM_RSRC2:TGID_X_EN: 1
; COMPUTE_PGM_RSRC2:TGID_Y_EN: 0
; COMPUTE_PGM_RSRC2:TGID_Z_EN: 0
; COMPUTE_PGM_RSRC2:TIDIG_COMP_CNT: 0
	.section	.text._ZN7rocprim17ROCPRIM_400000_NS6detail17trampoline_kernelINS0_14default_configENS1_25partition_config_selectorILNS1_17partition_subalgoE9EttbEEZZNS1_14partition_implILS5_9ELb0ES3_jN6thrust23THRUST_200600_302600_NS6detail15normal_iteratorINS9_10device_ptrItEEEESE_PNS0_10empty_typeENS0_5tupleIJSE_SF_EEENSH_IJSE_SG_EEENS0_18inequality_wrapperI22is_equal_div_10_uniqueItEEEPmJSF_EEE10hipError_tPvRmT3_T4_T5_T6_T7_T9_mT8_P12ihipStream_tbDpT10_ENKUlT_T0_E_clISt17integral_constantIbLb0EES18_EEDaS13_S14_EUlS13_E_NS1_11comp_targetILNS1_3genE10ELNS1_11target_archE1200ELNS1_3gpuE4ELNS1_3repE0EEENS1_30default_config_static_selectorELNS0_4arch9wavefront6targetE0EEEvT1_,"axG",@progbits,_ZN7rocprim17ROCPRIM_400000_NS6detail17trampoline_kernelINS0_14default_configENS1_25partition_config_selectorILNS1_17partition_subalgoE9EttbEEZZNS1_14partition_implILS5_9ELb0ES3_jN6thrust23THRUST_200600_302600_NS6detail15normal_iteratorINS9_10device_ptrItEEEESE_PNS0_10empty_typeENS0_5tupleIJSE_SF_EEENSH_IJSE_SG_EEENS0_18inequality_wrapperI22is_equal_div_10_uniqueItEEEPmJSF_EEE10hipError_tPvRmT3_T4_T5_T6_T7_T9_mT8_P12ihipStream_tbDpT10_ENKUlT_T0_E_clISt17integral_constantIbLb0EES18_EEDaS13_S14_EUlS13_E_NS1_11comp_targetILNS1_3genE10ELNS1_11target_archE1200ELNS1_3gpuE4ELNS1_3repE0EEENS1_30default_config_static_selectorELNS0_4arch9wavefront6targetE0EEEvT1_,comdat
	.protected	_ZN7rocprim17ROCPRIM_400000_NS6detail17trampoline_kernelINS0_14default_configENS1_25partition_config_selectorILNS1_17partition_subalgoE9EttbEEZZNS1_14partition_implILS5_9ELb0ES3_jN6thrust23THRUST_200600_302600_NS6detail15normal_iteratorINS9_10device_ptrItEEEESE_PNS0_10empty_typeENS0_5tupleIJSE_SF_EEENSH_IJSE_SG_EEENS0_18inequality_wrapperI22is_equal_div_10_uniqueItEEEPmJSF_EEE10hipError_tPvRmT3_T4_T5_T6_T7_T9_mT8_P12ihipStream_tbDpT10_ENKUlT_T0_E_clISt17integral_constantIbLb0EES18_EEDaS13_S14_EUlS13_E_NS1_11comp_targetILNS1_3genE10ELNS1_11target_archE1200ELNS1_3gpuE4ELNS1_3repE0EEENS1_30default_config_static_selectorELNS0_4arch9wavefront6targetE0EEEvT1_ ; -- Begin function _ZN7rocprim17ROCPRIM_400000_NS6detail17trampoline_kernelINS0_14default_configENS1_25partition_config_selectorILNS1_17partition_subalgoE9EttbEEZZNS1_14partition_implILS5_9ELb0ES3_jN6thrust23THRUST_200600_302600_NS6detail15normal_iteratorINS9_10device_ptrItEEEESE_PNS0_10empty_typeENS0_5tupleIJSE_SF_EEENSH_IJSE_SG_EEENS0_18inequality_wrapperI22is_equal_div_10_uniqueItEEEPmJSF_EEE10hipError_tPvRmT3_T4_T5_T6_T7_T9_mT8_P12ihipStream_tbDpT10_ENKUlT_T0_E_clISt17integral_constantIbLb0EES18_EEDaS13_S14_EUlS13_E_NS1_11comp_targetILNS1_3genE10ELNS1_11target_archE1200ELNS1_3gpuE4ELNS1_3repE0EEENS1_30default_config_static_selectorELNS0_4arch9wavefront6targetE0EEEvT1_
	.globl	_ZN7rocprim17ROCPRIM_400000_NS6detail17trampoline_kernelINS0_14default_configENS1_25partition_config_selectorILNS1_17partition_subalgoE9EttbEEZZNS1_14partition_implILS5_9ELb0ES3_jN6thrust23THRUST_200600_302600_NS6detail15normal_iteratorINS9_10device_ptrItEEEESE_PNS0_10empty_typeENS0_5tupleIJSE_SF_EEENSH_IJSE_SG_EEENS0_18inequality_wrapperI22is_equal_div_10_uniqueItEEEPmJSF_EEE10hipError_tPvRmT3_T4_T5_T6_T7_T9_mT8_P12ihipStream_tbDpT10_ENKUlT_T0_E_clISt17integral_constantIbLb0EES18_EEDaS13_S14_EUlS13_E_NS1_11comp_targetILNS1_3genE10ELNS1_11target_archE1200ELNS1_3gpuE4ELNS1_3repE0EEENS1_30default_config_static_selectorELNS0_4arch9wavefront6targetE0EEEvT1_
	.p2align	8
	.type	_ZN7rocprim17ROCPRIM_400000_NS6detail17trampoline_kernelINS0_14default_configENS1_25partition_config_selectorILNS1_17partition_subalgoE9EttbEEZZNS1_14partition_implILS5_9ELb0ES3_jN6thrust23THRUST_200600_302600_NS6detail15normal_iteratorINS9_10device_ptrItEEEESE_PNS0_10empty_typeENS0_5tupleIJSE_SF_EEENSH_IJSE_SG_EEENS0_18inequality_wrapperI22is_equal_div_10_uniqueItEEEPmJSF_EEE10hipError_tPvRmT3_T4_T5_T6_T7_T9_mT8_P12ihipStream_tbDpT10_ENKUlT_T0_E_clISt17integral_constantIbLb0EES18_EEDaS13_S14_EUlS13_E_NS1_11comp_targetILNS1_3genE10ELNS1_11target_archE1200ELNS1_3gpuE4ELNS1_3repE0EEENS1_30default_config_static_selectorELNS0_4arch9wavefront6targetE0EEEvT1_,@function
_ZN7rocprim17ROCPRIM_400000_NS6detail17trampoline_kernelINS0_14default_configENS1_25partition_config_selectorILNS1_17partition_subalgoE9EttbEEZZNS1_14partition_implILS5_9ELb0ES3_jN6thrust23THRUST_200600_302600_NS6detail15normal_iteratorINS9_10device_ptrItEEEESE_PNS0_10empty_typeENS0_5tupleIJSE_SF_EEENSH_IJSE_SG_EEENS0_18inequality_wrapperI22is_equal_div_10_uniqueItEEEPmJSF_EEE10hipError_tPvRmT3_T4_T5_T6_T7_T9_mT8_P12ihipStream_tbDpT10_ENKUlT_T0_E_clISt17integral_constantIbLb0EES18_EEDaS13_S14_EUlS13_E_NS1_11comp_targetILNS1_3genE10ELNS1_11target_archE1200ELNS1_3gpuE4ELNS1_3repE0EEENS1_30default_config_static_selectorELNS0_4arch9wavefront6targetE0EEEvT1_: ; @_ZN7rocprim17ROCPRIM_400000_NS6detail17trampoline_kernelINS0_14default_configENS1_25partition_config_selectorILNS1_17partition_subalgoE9EttbEEZZNS1_14partition_implILS5_9ELb0ES3_jN6thrust23THRUST_200600_302600_NS6detail15normal_iteratorINS9_10device_ptrItEEEESE_PNS0_10empty_typeENS0_5tupleIJSE_SF_EEENSH_IJSE_SG_EEENS0_18inequality_wrapperI22is_equal_div_10_uniqueItEEEPmJSF_EEE10hipError_tPvRmT3_T4_T5_T6_T7_T9_mT8_P12ihipStream_tbDpT10_ENKUlT_T0_E_clISt17integral_constantIbLb0EES18_EEDaS13_S14_EUlS13_E_NS1_11comp_targetILNS1_3genE10ELNS1_11target_archE1200ELNS1_3gpuE4ELNS1_3repE0EEENS1_30default_config_static_selectorELNS0_4arch9wavefront6targetE0EEEvT1_
; %bb.0:
	.section	.rodata,"a",@progbits
	.p2align	6, 0x0
	.amdhsa_kernel _ZN7rocprim17ROCPRIM_400000_NS6detail17trampoline_kernelINS0_14default_configENS1_25partition_config_selectorILNS1_17partition_subalgoE9EttbEEZZNS1_14partition_implILS5_9ELb0ES3_jN6thrust23THRUST_200600_302600_NS6detail15normal_iteratorINS9_10device_ptrItEEEESE_PNS0_10empty_typeENS0_5tupleIJSE_SF_EEENSH_IJSE_SG_EEENS0_18inequality_wrapperI22is_equal_div_10_uniqueItEEEPmJSF_EEE10hipError_tPvRmT3_T4_T5_T6_T7_T9_mT8_P12ihipStream_tbDpT10_ENKUlT_T0_E_clISt17integral_constantIbLb0EES18_EEDaS13_S14_EUlS13_E_NS1_11comp_targetILNS1_3genE10ELNS1_11target_archE1200ELNS1_3gpuE4ELNS1_3repE0EEENS1_30default_config_static_selectorELNS0_4arch9wavefront6targetE0EEEvT1_
		.amdhsa_group_segment_fixed_size 0
		.amdhsa_private_segment_fixed_size 0
		.amdhsa_kernarg_size 112
		.amdhsa_user_sgpr_count 15
		.amdhsa_user_sgpr_dispatch_ptr 0
		.amdhsa_user_sgpr_queue_ptr 0
		.amdhsa_user_sgpr_kernarg_segment_ptr 1
		.amdhsa_user_sgpr_dispatch_id 0
		.amdhsa_user_sgpr_private_segment_size 0
		.amdhsa_wavefront_size32 1
		.amdhsa_uses_dynamic_stack 0
		.amdhsa_enable_private_segment 0
		.amdhsa_system_sgpr_workgroup_id_x 1
		.amdhsa_system_sgpr_workgroup_id_y 0
		.amdhsa_system_sgpr_workgroup_id_z 0
		.amdhsa_system_sgpr_workgroup_info 0
		.amdhsa_system_vgpr_workitem_id 0
		.amdhsa_next_free_vgpr 1
		.amdhsa_next_free_sgpr 1
		.amdhsa_reserve_vcc 0
		.amdhsa_float_round_mode_32 0
		.amdhsa_float_round_mode_16_64 0
		.amdhsa_float_denorm_mode_32 3
		.amdhsa_float_denorm_mode_16_64 3
		.amdhsa_dx10_clamp 1
		.amdhsa_ieee_mode 1
		.amdhsa_fp16_overflow 0
		.amdhsa_workgroup_processor_mode 1
		.amdhsa_memory_ordered 1
		.amdhsa_forward_progress 0
		.amdhsa_shared_vgpr_count 0
		.amdhsa_exception_fp_ieee_invalid_op 0
		.amdhsa_exception_fp_denorm_src 0
		.amdhsa_exception_fp_ieee_div_zero 0
		.amdhsa_exception_fp_ieee_overflow 0
		.amdhsa_exception_fp_ieee_underflow 0
		.amdhsa_exception_fp_ieee_inexact 0
		.amdhsa_exception_int_div_zero 0
	.end_amdhsa_kernel
	.section	.text._ZN7rocprim17ROCPRIM_400000_NS6detail17trampoline_kernelINS0_14default_configENS1_25partition_config_selectorILNS1_17partition_subalgoE9EttbEEZZNS1_14partition_implILS5_9ELb0ES3_jN6thrust23THRUST_200600_302600_NS6detail15normal_iteratorINS9_10device_ptrItEEEESE_PNS0_10empty_typeENS0_5tupleIJSE_SF_EEENSH_IJSE_SG_EEENS0_18inequality_wrapperI22is_equal_div_10_uniqueItEEEPmJSF_EEE10hipError_tPvRmT3_T4_T5_T6_T7_T9_mT8_P12ihipStream_tbDpT10_ENKUlT_T0_E_clISt17integral_constantIbLb0EES18_EEDaS13_S14_EUlS13_E_NS1_11comp_targetILNS1_3genE10ELNS1_11target_archE1200ELNS1_3gpuE4ELNS1_3repE0EEENS1_30default_config_static_selectorELNS0_4arch9wavefront6targetE0EEEvT1_,"axG",@progbits,_ZN7rocprim17ROCPRIM_400000_NS6detail17trampoline_kernelINS0_14default_configENS1_25partition_config_selectorILNS1_17partition_subalgoE9EttbEEZZNS1_14partition_implILS5_9ELb0ES3_jN6thrust23THRUST_200600_302600_NS6detail15normal_iteratorINS9_10device_ptrItEEEESE_PNS0_10empty_typeENS0_5tupleIJSE_SF_EEENSH_IJSE_SG_EEENS0_18inequality_wrapperI22is_equal_div_10_uniqueItEEEPmJSF_EEE10hipError_tPvRmT3_T4_T5_T6_T7_T9_mT8_P12ihipStream_tbDpT10_ENKUlT_T0_E_clISt17integral_constantIbLb0EES18_EEDaS13_S14_EUlS13_E_NS1_11comp_targetILNS1_3genE10ELNS1_11target_archE1200ELNS1_3gpuE4ELNS1_3repE0EEENS1_30default_config_static_selectorELNS0_4arch9wavefront6targetE0EEEvT1_,comdat
.Lfunc_end312:
	.size	_ZN7rocprim17ROCPRIM_400000_NS6detail17trampoline_kernelINS0_14default_configENS1_25partition_config_selectorILNS1_17partition_subalgoE9EttbEEZZNS1_14partition_implILS5_9ELb0ES3_jN6thrust23THRUST_200600_302600_NS6detail15normal_iteratorINS9_10device_ptrItEEEESE_PNS0_10empty_typeENS0_5tupleIJSE_SF_EEENSH_IJSE_SG_EEENS0_18inequality_wrapperI22is_equal_div_10_uniqueItEEEPmJSF_EEE10hipError_tPvRmT3_T4_T5_T6_T7_T9_mT8_P12ihipStream_tbDpT10_ENKUlT_T0_E_clISt17integral_constantIbLb0EES18_EEDaS13_S14_EUlS13_E_NS1_11comp_targetILNS1_3genE10ELNS1_11target_archE1200ELNS1_3gpuE4ELNS1_3repE0EEENS1_30default_config_static_selectorELNS0_4arch9wavefront6targetE0EEEvT1_, .Lfunc_end312-_ZN7rocprim17ROCPRIM_400000_NS6detail17trampoline_kernelINS0_14default_configENS1_25partition_config_selectorILNS1_17partition_subalgoE9EttbEEZZNS1_14partition_implILS5_9ELb0ES3_jN6thrust23THRUST_200600_302600_NS6detail15normal_iteratorINS9_10device_ptrItEEEESE_PNS0_10empty_typeENS0_5tupleIJSE_SF_EEENSH_IJSE_SG_EEENS0_18inequality_wrapperI22is_equal_div_10_uniqueItEEEPmJSF_EEE10hipError_tPvRmT3_T4_T5_T6_T7_T9_mT8_P12ihipStream_tbDpT10_ENKUlT_T0_E_clISt17integral_constantIbLb0EES18_EEDaS13_S14_EUlS13_E_NS1_11comp_targetILNS1_3genE10ELNS1_11target_archE1200ELNS1_3gpuE4ELNS1_3repE0EEENS1_30default_config_static_selectorELNS0_4arch9wavefront6targetE0EEEvT1_
                                        ; -- End function
	.section	.AMDGPU.csdata,"",@progbits
; Kernel info:
; codeLenInByte = 0
; NumSgprs: 0
; NumVgprs: 0
; ScratchSize: 0
; MemoryBound: 0
; FloatMode: 240
; IeeeMode: 1
; LDSByteSize: 0 bytes/workgroup (compile time only)
; SGPRBlocks: 0
; VGPRBlocks: 0
; NumSGPRsForWavesPerEU: 1
; NumVGPRsForWavesPerEU: 1
; Occupancy: 16
; WaveLimiterHint : 0
; COMPUTE_PGM_RSRC2:SCRATCH_EN: 0
; COMPUTE_PGM_RSRC2:USER_SGPR: 15
; COMPUTE_PGM_RSRC2:TRAP_HANDLER: 0
; COMPUTE_PGM_RSRC2:TGID_X_EN: 1
; COMPUTE_PGM_RSRC2:TGID_Y_EN: 0
; COMPUTE_PGM_RSRC2:TGID_Z_EN: 0
; COMPUTE_PGM_RSRC2:TIDIG_COMP_CNT: 0
	.section	.text._ZN7rocprim17ROCPRIM_400000_NS6detail17trampoline_kernelINS0_14default_configENS1_25partition_config_selectorILNS1_17partition_subalgoE9EttbEEZZNS1_14partition_implILS5_9ELb0ES3_jN6thrust23THRUST_200600_302600_NS6detail15normal_iteratorINS9_10device_ptrItEEEESE_PNS0_10empty_typeENS0_5tupleIJSE_SF_EEENSH_IJSE_SG_EEENS0_18inequality_wrapperI22is_equal_div_10_uniqueItEEEPmJSF_EEE10hipError_tPvRmT3_T4_T5_T6_T7_T9_mT8_P12ihipStream_tbDpT10_ENKUlT_T0_E_clISt17integral_constantIbLb0EES18_EEDaS13_S14_EUlS13_E_NS1_11comp_targetILNS1_3genE9ELNS1_11target_archE1100ELNS1_3gpuE3ELNS1_3repE0EEENS1_30default_config_static_selectorELNS0_4arch9wavefront6targetE0EEEvT1_,"axG",@progbits,_ZN7rocprim17ROCPRIM_400000_NS6detail17trampoline_kernelINS0_14default_configENS1_25partition_config_selectorILNS1_17partition_subalgoE9EttbEEZZNS1_14partition_implILS5_9ELb0ES3_jN6thrust23THRUST_200600_302600_NS6detail15normal_iteratorINS9_10device_ptrItEEEESE_PNS0_10empty_typeENS0_5tupleIJSE_SF_EEENSH_IJSE_SG_EEENS0_18inequality_wrapperI22is_equal_div_10_uniqueItEEEPmJSF_EEE10hipError_tPvRmT3_T4_T5_T6_T7_T9_mT8_P12ihipStream_tbDpT10_ENKUlT_T0_E_clISt17integral_constantIbLb0EES18_EEDaS13_S14_EUlS13_E_NS1_11comp_targetILNS1_3genE9ELNS1_11target_archE1100ELNS1_3gpuE3ELNS1_3repE0EEENS1_30default_config_static_selectorELNS0_4arch9wavefront6targetE0EEEvT1_,comdat
	.protected	_ZN7rocprim17ROCPRIM_400000_NS6detail17trampoline_kernelINS0_14default_configENS1_25partition_config_selectorILNS1_17partition_subalgoE9EttbEEZZNS1_14partition_implILS5_9ELb0ES3_jN6thrust23THRUST_200600_302600_NS6detail15normal_iteratorINS9_10device_ptrItEEEESE_PNS0_10empty_typeENS0_5tupleIJSE_SF_EEENSH_IJSE_SG_EEENS0_18inequality_wrapperI22is_equal_div_10_uniqueItEEEPmJSF_EEE10hipError_tPvRmT3_T4_T5_T6_T7_T9_mT8_P12ihipStream_tbDpT10_ENKUlT_T0_E_clISt17integral_constantIbLb0EES18_EEDaS13_S14_EUlS13_E_NS1_11comp_targetILNS1_3genE9ELNS1_11target_archE1100ELNS1_3gpuE3ELNS1_3repE0EEENS1_30default_config_static_selectorELNS0_4arch9wavefront6targetE0EEEvT1_ ; -- Begin function _ZN7rocprim17ROCPRIM_400000_NS6detail17trampoline_kernelINS0_14default_configENS1_25partition_config_selectorILNS1_17partition_subalgoE9EttbEEZZNS1_14partition_implILS5_9ELb0ES3_jN6thrust23THRUST_200600_302600_NS6detail15normal_iteratorINS9_10device_ptrItEEEESE_PNS0_10empty_typeENS0_5tupleIJSE_SF_EEENSH_IJSE_SG_EEENS0_18inequality_wrapperI22is_equal_div_10_uniqueItEEEPmJSF_EEE10hipError_tPvRmT3_T4_T5_T6_T7_T9_mT8_P12ihipStream_tbDpT10_ENKUlT_T0_E_clISt17integral_constantIbLb0EES18_EEDaS13_S14_EUlS13_E_NS1_11comp_targetILNS1_3genE9ELNS1_11target_archE1100ELNS1_3gpuE3ELNS1_3repE0EEENS1_30default_config_static_selectorELNS0_4arch9wavefront6targetE0EEEvT1_
	.globl	_ZN7rocprim17ROCPRIM_400000_NS6detail17trampoline_kernelINS0_14default_configENS1_25partition_config_selectorILNS1_17partition_subalgoE9EttbEEZZNS1_14partition_implILS5_9ELb0ES3_jN6thrust23THRUST_200600_302600_NS6detail15normal_iteratorINS9_10device_ptrItEEEESE_PNS0_10empty_typeENS0_5tupleIJSE_SF_EEENSH_IJSE_SG_EEENS0_18inequality_wrapperI22is_equal_div_10_uniqueItEEEPmJSF_EEE10hipError_tPvRmT3_T4_T5_T6_T7_T9_mT8_P12ihipStream_tbDpT10_ENKUlT_T0_E_clISt17integral_constantIbLb0EES18_EEDaS13_S14_EUlS13_E_NS1_11comp_targetILNS1_3genE9ELNS1_11target_archE1100ELNS1_3gpuE3ELNS1_3repE0EEENS1_30default_config_static_selectorELNS0_4arch9wavefront6targetE0EEEvT1_
	.p2align	8
	.type	_ZN7rocprim17ROCPRIM_400000_NS6detail17trampoline_kernelINS0_14default_configENS1_25partition_config_selectorILNS1_17partition_subalgoE9EttbEEZZNS1_14partition_implILS5_9ELb0ES3_jN6thrust23THRUST_200600_302600_NS6detail15normal_iteratorINS9_10device_ptrItEEEESE_PNS0_10empty_typeENS0_5tupleIJSE_SF_EEENSH_IJSE_SG_EEENS0_18inequality_wrapperI22is_equal_div_10_uniqueItEEEPmJSF_EEE10hipError_tPvRmT3_T4_T5_T6_T7_T9_mT8_P12ihipStream_tbDpT10_ENKUlT_T0_E_clISt17integral_constantIbLb0EES18_EEDaS13_S14_EUlS13_E_NS1_11comp_targetILNS1_3genE9ELNS1_11target_archE1100ELNS1_3gpuE3ELNS1_3repE0EEENS1_30default_config_static_selectorELNS0_4arch9wavefront6targetE0EEEvT1_,@function
_ZN7rocprim17ROCPRIM_400000_NS6detail17trampoline_kernelINS0_14default_configENS1_25partition_config_selectorILNS1_17partition_subalgoE9EttbEEZZNS1_14partition_implILS5_9ELb0ES3_jN6thrust23THRUST_200600_302600_NS6detail15normal_iteratorINS9_10device_ptrItEEEESE_PNS0_10empty_typeENS0_5tupleIJSE_SF_EEENSH_IJSE_SG_EEENS0_18inequality_wrapperI22is_equal_div_10_uniqueItEEEPmJSF_EEE10hipError_tPvRmT3_T4_T5_T6_T7_T9_mT8_P12ihipStream_tbDpT10_ENKUlT_T0_E_clISt17integral_constantIbLb0EES18_EEDaS13_S14_EUlS13_E_NS1_11comp_targetILNS1_3genE9ELNS1_11target_archE1100ELNS1_3gpuE3ELNS1_3repE0EEENS1_30default_config_static_selectorELNS0_4arch9wavefront6targetE0EEEvT1_: ; @_ZN7rocprim17ROCPRIM_400000_NS6detail17trampoline_kernelINS0_14default_configENS1_25partition_config_selectorILNS1_17partition_subalgoE9EttbEEZZNS1_14partition_implILS5_9ELb0ES3_jN6thrust23THRUST_200600_302600_NS6detail15normal_iteratorINS9_10device_ptrItEEEESE_PNS0_10empty_typeENS0_5tupleIJSE_SF_EEENSH_IJSE_SG_EEENS0_18inequality_wrapperI22is_equal_div_10_uniqueItEEEPmJSF_EEE10hipError_tPvRmT3_T4_T5_T6_T7_T9_mT8_P12ihipStream_tbDpT10_ENKUlT_T0_E_clISt17integral_constantIbLb0EES18_EEDaS13_S14_EUlS13_E_NS1_11comp_targetILNS1_3genE9ELNS1_11target_archE1100ELNS1_3gpuE3ELNS1_3repE0EEENS1_30default_config_static_selectorELNS0_4arch9wavefront6targetE0EEEvT1_
; %bb.0:
	s_clause 0x4
	s_load_b128 s[4:7], s[0:1], 0x8
	s_load_b32 s14, s[0:1], 0x68
	s_load_b128 s[16:19], s[0:1], 0x40
	s_load_b64 s[2:3], s[0:1], 0x50
	s_load_b64 s[8:9], s[0:1], 0x18
	s_waitcnt lgkmcnt(0)
	s_lshl_b64 s[12:13], s[6:7], 1
	s_mul_i32 s20, s14, 0x600
	s_add_u32 s21, s4, s12
	s_addc_u32 s22, s5, s13
	s_add_i32 s4, s20, s6
	s_load_b64 s[10:11], s[18:19], 0x0
	s_sub_i32 s19, s2, s4
	s_add_i32 s14, s14, -1
	s_addk_i32 s19, 0x600
	s_add_u32 s4, s6, s20
	s_addc_u32 s5, s7, 0
	s_cmp_eq_u32 s15, s14
	v_cmp_ge_u64_e64 s2, s[4:5], s[2:3]
	s_cselect_b32 s14, -1, 0
	s_mov_b32 s5, 0
	s_mul_i32 s4, s15, 0x600
	s_delay_alu instid0(SALU_CYCLE_1) | instskip(NEXT) | instid1(VALU_DEP_1)
	s_lshl_b64 s[4:5], s[4:5], 1
	s_and_b32 s3, s14, s2
	s_delay_alu instid0(SALU_CYCLE_1)
	s_xor_b32 s18, s3, -1
	s_add_u32 s21, s21, s4
	s_addc_u32 s20, s22, s5
	s_and_b32 vcc_lo, exec_lo, s18
	s_mov_b32 s22, -1
	s_cbranch_vccz .LBB313_2
; %bb.1:
	v_lshlrev_b32_e32 v3, 1, v0
	s_mov_b32 s22, 0
	s_delay_alu instid0(VALU_DEP_1) | instskip(NEXT) | instid1(VALU_DEP_1)
	v_add_co_u32 v1, s2, s21, v3
	v_add_co_ci_u32_e64 v2, null, s20, 0, s2
	s_clause 0xb
	flat_load_u16 v4, v[1:2]
	flat_load_u16 v5, v[1:2] offset:256
	flat_load_u16 v6, v[1:2] offset:512
	;; [unrolled: 1-line block ×11, first 2 shown]
	s_waitcnt vmcnt(11) lgkmcnt(0)
	ds_store_b16 v3, v4
	s_waitcnt vmcnt(10)
	ds_store_b16 v3, v5 offset:256
	s_waitcnt vmcnt(9)
	ds_store_b16 v3, v6 offset:512
	;; [unrolled: 2-line block ×11, first 2 shown]
	s_waitcnt lgkmcnt(0)
	s_barrier
.LBB313_2:
	v_cmp_gt_u32_e64 s2, s19, v0
	s_and_not1_b32 vcc_lo, exec_lo, s22
	s_cbranch_vccnz .LBB313_28
; %bb.3:
                                        ; implicit-def: $vgpr1_vgpr2_vgpr3_vgpr4_vgpr5_vgpr6_vgpr7_vgpr8
	s_delay_alu instid0(VALU_DEP_1)
	s_and_saveexec_b32 s22, s2
	s_cbranch_execz .LBB313_5
; %bb.4:
	v_lshlrev_b32_e32 v1, 1, v0
	s_delay_alu instid0(VALU_DEP_1) | instskip(NEXT) | instid1(VALU_DEP_1)
	v_add_co_u32 v1, s2, s21, v1
	v_add_co_ci_u32_e64 v2, null, s20, 0, s2
	flat_load_d16_b16 v1, v[1:2]
.LBB313_5:
	s_or_b32 exec_lo, exec_lo, s22
	v_or_b32_e32 v7, 0x80, v0
	s_mov_b32 s2, exec_lo
	s_delay_alu instid0(VALU_DEP_1)
	v_cmpx_gt_u32_e64 s19, v7
	s_cbranch_execz .LBB313_7
; %bb.6:
	v_lshlrev_b32_e32 v7, 1, v0
	s_delay_alu instid0(VALU_DEP_1) | instskip(NEXT) | instid1(VALU_DEP_1)
	v_add_co_u32 v7, s22, s21, v7
	v_add_co_ci_u32_e64 v8, null, s20, 0, s22
	s_waitcnt vmcnt(0) lgkmcnt(0)
	flat_load_d16_hi_b16 v1, v[7:8] offset:256
.LBB313_7:
	s_or_b32 exec_lo, exec_lo, s2
	v_or_b32_e32 v7, 0x100, v0
	s_mov_b32 s2, exec_lo
	s_delay_alu instid0(VALU_DEP_1)
	v_cmpx_gt_u32_e64 s19, v7
	s_cbranch_execz .LBB313_9
; %bb.8:
	v_lshlrev_b32_e32 v7, 1, v0
	s_delay_alu instid0(VALU_DEP_1) | instskip(NEXT) | instid1(VALU_DEP_1)
	v_add_co_u32 v7, s22, s21, v7
	v_add_co_ci_u32_e64 v8, null, s20, 0, s22
	flat_load_d16_b16 v2, v[7:8] offset:512
.LBB313_9:
	s_or_b32 exec_lo, exec_lo, s2
	v_or_b32_e32 v7, 0x180, v0
	s_mov_b32 s2, exec_lo
	s_delay_alu instid0(VALU_DEP_1)
	v_cmpx_gt_u32_e64 s19, v7
	s_cbranch_execz .LBB313_11
; %bb.10:
	v_lshlrev_b32_e32 v7, 1, v0
	s_delay_alu instid0(VALU_DEP_1) | instskip(NEXT) | instid1(VALU_DEP_1)
	v_add_co_u32 v7, s22, s21, v7
	v_add_co_ci_u32_e64 v8, null, s20, 0, s22
	s_waitcnt vmcnt(0) lgkmcnt(0)
	flat_load_d16_hi_b16 v2, v[7:8] offset:768
.LBB313_11:
	s_or_b32 exec_lo, exec_lo, s2
	v_or_b32_e32 v7, 0x200, v0
	s_mov_b32 s2, exec_lo
	s_delay_alu instid0(VALU_DEP_1)
	v_cmpx_gt_u32_e64 s19, v7
	s_cbranch_execz .LBB313_13
; %bb.12:
	v_lshlrev_b32_e32 v7, 1, v0
	s_delay_alu instid0(VALU_DEP_1) | instskip(NEXT) | instid1(VALU_DEP_1)
	v_add_co_u32 v7, s22, s21, v7
	v_add_co_ci_u32_e64 v8, null, s20, 0, s22
	flat_load_d16_b16 v3, v[7:8] offset:1024
.LBB313_13:
	;; [unrolled: 27-line block ×5, first 2 shown]
	s_or_b32 exec_lo, exec_lo, s2
	v_or_b32_e32 v7, 0x580, v0
	s_mov_b32 s2, exec_lo
	s_delay_alu instid0(VALU_DEP_1)
	v_cmpx_gt_u32_e64 s19, v7
	s_cbranch_execz .LBB313_27
; %bb.26:
	v_lshlrev_b32_e32 v7, 1, v0
	s_delay_alu instid0(VALU_DEP_1) | instskip(NEXT) | instid1(VALU_DEP_1)
	v_add_co_u32 v7, s22, s21, v7
	v_add_co_ci_u32_e64 v8, null, s20, 0, s22
	s_waitcnt vmcnt(0) lgkmcnt(0)
	flat_load_d16_hi_b16 v6, v[7:8] offset:2816
.LBB313_27:
	s_or_b32 exec_lo, exec_lo, s2
	v_lshlrev_b32_e32 v7, 1, v0
	s_waitcnt vmcnt(0) lgkmcnt(0)
	ds_store_b16 v7, v1
	ds_store_b16_d16_hi v7, v1 offset:256
	ds_store_b16 v7, v2 offset:512
	ds_store_b16_d16_hi v7, v2 offset:768
	ds_store_b16 v7, v3 offset:1024
	;; [unrolled: 2-line block ×5, first 2 shown]
	ds_store_b16_d16_hi v7, v6 offset:2816
	s_waitcnt lgkmcnt(0)
	s_barrier
.LBB313_28:
	v_mul_u32_u24_e32 v1, 12, v0
	s_waitcnt lgkmcnt(0)
	buffer_gl0_inv
	s_add_u32 s2, s8, s12
	s_addc_u32 s8, s9, s13
	s_add_u32 s2, s2, s4
	v_lshlrev_b32_e32 v8, 1, v1
	s_addc_u32 s4, s8, s5
	s_and_b32 vcc_lo, exec_lo, s18
	s_mov_b32 s5, -1
	ds_load_2addr_b64 v[18:21], v8 offset1:1
	ds_load_b64 v[27:28], v8 offset:16
	s_waitcnt lgkmcnt(0)
	s_barrier
	buffer_gl0_inv
	s_cbranch_vccz .LBB313_30
; %bb.29:
	v_lshlrev_b32_e32 v4, 1, v0
	s_delay_alu instid0(VALU_DEP_1) | instskip(NEXT) | instid1(VALU_DEP_1)
	v_add_co_u32 v2, s5, s2, v4
	v_add_co_ci_u32_e64 v3, null, s4, 0, s5
	s_mov_b32 s5, 0
	s_clause 0xb
	flat_load_u16 v5, v[2:3]
	flat_load_u16 v6, v[2:3] offset:256
	flat_load_u16 v7, v[2:3] offset:512
	flat_load_u16 v9, v[2:3] offset:768
	flat_load_u16 v10, v[2:3] offset:1024
	flat_load_u16 v11, v[2:3] offset:1280
	flat_load_u16 v12, v[2:3] offset:1536
	flat_load_u16 v13, v[2:3] offset:1792
	flat_load_u16 v14, v[2:3] offset:2048
	flat_load_u16 v15, v[2:3] offset:2304
	flat_load_u16 v16, v[2:3] offset:2560
	flat_load_u16 v2, v[2:3] offset:2816
	s_waitcnt vmcnt(11) lgkmcnt(11)
	ds_store_b16 v4, v5
	s_waitcnt vmcnt(10) lgkmcnt(11)
	ds_store_b16 v4, v6 offset:256
	s_waitcnt vmcnt(9) lgkmcnt(11)
	ds_store_b16 v4, v7 offset:512
	;; [unrolled: 2-line block ×11, first 2 shown]
	s_waitcnt lgkmcnt(0)
	s_barrier
.LBB313_30:
	s_and_not1_b32 vcc_lo, exec_lo, s5
	s_cbranch_vccnz .LBB313_56
; %bb.31:
	s_mov_b32 s5, exec_lo
                                        ; implicit-def: $vgpr2
	v_cmpx_gt_u32_e64 s19, v0
	s_cbranch_execz .LBB313_33
; %bb.32:
	v_lshlrev_b32_e32 v2, 1, v0
	s_delay_alu instid0(VALU_DEP_1) | instskip(NEXT) | instid1(VALU_DEP_1)
	v_add_co_u32 v2, s8, s2, v2
	v_add_co_ci_u32_e64 v3, null, s4, 0, s8
	flat_load_u16 v2, v[2:3]
.LBB313_33:
	s_or_b32 exec_lo, exec_lo, s5
	v_or_b32_e32 v3, 0x80, v0
	s_delay_alu instid0(VALU_DEP_1)
	v_cmp_gt_u32_e32 vcc_lo, s19, v3
                                        ; implicit-def: $vgpr3
	s_and_saveexec_b32 s5, vcc_lo
	s_cbranch_execz .LBB313_35
; %bb.34:
	v_lshlrev_b32_e32 v3, 1, v0
	s_delay_alu instid0(VALU_DEP_1) | instskip(NEXT) | instid1(VALU_DEP_1)
	v_add_co_u32 v3, s8, s2, v3
	v_add_co_ci_u32_e64 v4, null, s4, 0, s8
	flat_load_u16 v3, v[3:4] offset:256
.LBB313_35:
	s_or_b32 exec_lo, exec_lo, s5
	v_or_b32_e32 v4, 0x100, v0
	s_delay_alu instid0(VALU_DEP_1)
	v_cmp_gt_u32_e32 vcc_lo, s19, v4
                                        ; implicit-def: $vgpr4
	s_and_saveexec_b32 s5, vcc_lo
	s_cbranch_execz .LBB313_37
; %bb.36:
	v_lshlrev_b32_e32 v4, 1, v0
	s_delay_alu instid0(VALU_DEP_1) | instskip(NEXT) | instid1(VALU_DEP_1)
	v_add_co_u32 v4, s8, s2, v4
	v_add_co_ci_u32_e64 v5, null, s4, 0, s8
	flat_load_u16 v4, v[4:5] offset:512
.LBB313_37:
	s_or_b32 exec_lo, exec_lo, s5
	v_or_b32_e32 v5, 0x180, v0
	s_delay_alu instid0(VALU_DEP_1)
	v_cmp_gt_u32_e32 vcc_lo, s19, v5
                                        ; implicit-def: $vgpr5
	s_and_saveexec_b32 s5, vcc_lo
	s_cbranch_execz .LBB313_39
; %bb.38:
	v_lshlrev_b32_e32 v5, 1, v0
	s_delay_alu instid0(VALU_DEP_1) | instskip(NEXT) | instid1(VALU_DEP_1)
	v_add_co_u32 v5, s8, s2, v5
	v_add_co_ci_u32_e64 v6, null, s4, 0, s8
	flat_load_u16 v5, v[5:6] offset:768
.LBB313_39:
	s_or_b32 exec_lo, exec_lo, s5
	v_or_b32_e32 v6, 0x200, v0
	s_delay_alu instid0(VALU_DEP_1)
	v_cmp_gt_u32_e32 vcc_lo, s19, v6
                                        ; implicit-def: $vgpr6
	s_and_saveexec_b32 s5, vcc_lo
	s_cbranch_execz .LBB313_41
; %bb.40:
	v_lshlrev_b32_e32 v6, 1, v0
	s_delay_alu instid0(VALU_DEP_1) | instskip(NEXT) | instid1(VALU_DEP_1)
	v_add_co_u32 v6, s8, s2, v6
	v_add_co_ci_u32_e64 v7, null, s4, 0, s8
	flat_load_u16 v6, v[6:7] offset:1024
.LBB313_41:
	s_or_b32 exec_lo, exec_lo, s5
	v_or_b32_e32 v7, 0x280, v0
	s_delay_alu instid0(VALU_DEP_1)
	v_cmp_gt_u32_e32 vcc_lo, s19, v7
                                        ; implicit-def: $vgpr7
	s_and_saveexec_b32 s5, vcc_lo
	s_cbranch_execz .LBB313_43
; %bb.42:
	v_lshlrev_b32_e32 v7, 1, v0
	s_delay_alu instid0(VALU_DEP_1) | instskip(NEXT) | instid1(VALU_DEP_1)
	v_add_co_u32 v9, s8, s2, v7
	v_add_co_ci_u32_e64 v10, null, s4, 0, s8
	flat_load_u16 v7, v[9:10] offset:1280
.LBB313_43:
	s_or_b32 exec_lo, exec_lo, s5
	v_or_b32_e32 v9, 0x300, v0
	s_delay_alu instid0(VALU_DEP_1)
	v_cmp_gt_u32_e32 vcc_lo, s19, v9
                                        ; implicit-def: $vgpr9
	s_and_saveexec_b32 s5, vcc_lo
	s_cbranch_execz .LBB313_45
; %bb.44:
	v_lshlrev_b32_e32 v9, 1, v0
	s_delay_alu instid0(VALU_DEP_1) | instskip(NEXT) | instid1(VALU_DEP_1)
	v_add_co_u32 v9, s8, s2, v9
	v_add_co_ci_u32_e64 v10, null, s4, 0, s8
	flat_load_u16 v9, v[9:10] offset:1536
.LBB313_45:
	s_or_b32 exec_lo, exec_lo, s5
	v_or_b32_e32 v10, 0x380, v0
	s_delay_alu instid0(VALU_DEP_1)
	v_cmp_gt_u32_e32 vcc_lo, s19, v10
                                        ; implicit-def: $vgpr10
	s_and_saveexec_b32 s5, vcc_lo
	s_cbranch_execz .LBB313_47
; %bb.46:
	v_lshlrev_b32_e32 v10, 1, v0
	s_delay_alu instid0(VALU_DEP_1) | instskip(NEXT) | instid1(VALU_DEP_1)
	v_add_co_u32 v10, s8, s2, v10
	v_add_co_ci_u32_e64 v11, null, s4, 0, s8
	flat_load_u16 v10, v[10:11] offset:1792
.LBB313_47:
	s_or_b32 exec_lo, exec_lo, s5
	v_or_b32_e32 v11, 0x400, v0
	s_delay_alu instid0(VALU_DEP_1)
	v_cmp_gt_u32_e32 vcc_lo, s19, v11
                                        ; implicit-def: $vgpr11
	s_and_saveexec_b32 s5, vcc_lo
	s_cbranch_execz .LBB313_49
; %bb.48:
	v_lshlrev_b32_e32 v11, 1, v0
	s_delay_alu instid0(VALU_DEP_1) | instskip(NEXT) | instid1(VALU_DEP_1)
	v_add_co_u32 v11, s8, s2, v11
	v_add_co_ci_u32_e64 v12, null, s4, 0, s8
	flat_load_u16 v11, v[11:12] offset:2048
.LBB313_49:
	s_or_b32 exec_lo, exec_lo, s5
	v_or_b32_e32 v12, 0x480, v0
	s_delay_alu instid0(VALU_DEP_1)
	v_cmp_gt_u32_e32 vcc_lo, s19, v12
                                        ; implicit-def: $vgpr12
	s_and_saveexec_b32 s5, vcc_lo
	s_cbranch_execz .LBB313_51
; %bb.50:
	v_lshlrev_b32_e32 v12, 1, v0
	s_delay_alu instid0(VALU_DEP_1) | instskip(NEXT) | instid1(VALU_DEP_1)
	v_add_co_u32 v12, s8, s2, v12
	v_add_co_ci_u32_e64 v13, null, s4, 0, s8
	flat_load_u16 v12, v[12:13] offset:2304
.LBB313_51:
	s_or_b32 exec_lo, exec_lo, s5
	v_or_b32_e32 v13, 0x500, v0
	s_delay_alu instid0(VALU_DEP_1)
	v_cmp_gt_u32_e32 vcc_lo, s19, v13
                                        ; implicit-def: $vgpr13
	s_and_saveexec_b32 s5, vcc_lo
	s_cbranch_execz .LBB313_53
; %bb.52:
	v_lshlrev_b32_e32 v13, 1, v0
	s_delay_alu instid0(VALU_DEP_1) | instskip(NEXT) | instid1(VALU_DEP_1)
	v_add_co_u32 v13, s8, s2, v13
	v_add_co_ci_u32_e64 v14, null, s4, 0, s8
	flat_load_u16 v13, v[13:14] offset:2560
.LBB313_53:
	s_or_b32 exec_lo, exec_lo, s5
	v_or_b32_e32 v14, 0x580, v0
	s_delay_alu instid0(VALU_DEP_1)
	v_cmp_gt_u32_e32 vcc_lo, s19, v14
                                        ; implicit-def: $vgpr14
	s_and_saveexec_b32 s5, vcc_lo
	s_cbranch_execz .LBB313_55
; %bb.54:
	v_lshlrev_b32_e32 v14, 1, v0
	s_delay_alu instid0(VALU_DEP_1) | instskip(NEXT) | instid1(VALU_DEP_1)
	v_add_co_u32 v14, s2, s2, v14
	v_add_co_ci_u32_e64 v15, null, s4, 0, s2
	flat_load_u16 v14, v[14:15] offset:2816
.LBB313_55:
	s_or_b32 exec_lo, exec_lo, s5
	v_mad_i32_i24 v15, 0xffffffea, v0, v8
	s_waitcnt vmcnt(0) lgkmcnt(0)
	ds_store_b16 v15, v2
	ds_store_b16 v15, v3 offset:256
	ds_store_b16 v15, v4 offset:512
	;; [unrolled: 1-line block ×11, first 2 shown]
	s_waitcnt lgkmcnt(0)
	s_barrier
.LBB313_56:
	buffer_gl0_inv
	ds_load_2addr_b64 v[14:17], v8 offset1:1
	ds_load_b64 v[25:26], v8 offset:16
	s_cmp_lg_u32 s15, 0
	v_lshrrev_b32_e32 v41, 16, v18
	s_cselect_b32 s8, -1, 0
	s_cmp_lg_u64 s[6:7], 0
	v_lshrrev_b32_e32 v40, 16, v19
	s_cselect_b32 s2, -1, 0
	v_lshrrev_b32_e32 v39, 16, v20
	v_lshrrev_b32_e32 v38, 16, v21
	v_or_b32_e32 v12, 1, v1
	v_or_b32_e32 v6, 2, v1
	;; [unrolled: 1-line block ×3, first 2 shown]
	v_add_nc_u32_e32 v7, 4, v1
	v_add_nc_u32_e32 v5, 5, v1
	;; [unrolled: 1-line block ×5, first 2 shown]
	v_lshrrev_b32_e32 v37, 16, v27
	v_lshrrev_b32_e32 v31, 16, v28
	v_add_nc_u32_e32 v10, 9, v1
	v_add_nc_u32_e32 v8, 10, v1
	;; [unrolled: 1-line block ×3, first 2 shown]
	s_or_b32 s2, s8, s2
	s_waitcnt lgkmcnt(0)
	s_and_b32 vcc_lo, exec_lo, s2
	s_mov_b32 s2, 0
	s_barrier
	buffer_gl0_inv
	s_cbranch_vccz .LBB313_61
; %bb.57:
	v_add_co_u32 v22, s2, -2, s21
	s_delay_alu instid0(VALU_DEP_1)
	v_add_co_ci_u32_e64 v23, null, -1, s20, s2
	v_lshlrev_b32_e32 v29, 1, v0
	s_mov_b32 s2, -1
	s_and_b32 vcc_lo, exec_lo, s18
	flat_load_u16 v13, v[22:23]
	ds_store_b16 v29, v31
	s_cbranch_vccz .LBB313_62
; %bb.58:
	s_waitcnt vmcnt(0) lgkmcnt(1)
	v_mov_b32_e32 v22, v13
	s_mov_b32 s2, 0
	s_mov_b32 s4, exec_lo
	s_waitcnt lgkmcnt(0)
	s_barrier
	buffer_gl0_inv
	v_cmpx_ne_u32_e32 0, v0
	s_cbranch_execz .LBB313_60
; %bb.59:
	v_add_nc_u32_e32 v22, -2, v29
	ds_load_u16 v22, v22
.LBB313_60:
	s_or_b32 exec_lo, exec_lo, s4
	v_and_b32_e32 v23, 0xffff, v28
	v_and_b32_e32 v24, 0xffff, v31
	;; [unrolled: 1-line block ×5, first 2 shown]
	v_mul_u32_u24_e32 v23, 0xcccd, v23
	v_mul_u32_u24_e32 v24, 0xcccd, v24
	;; [unrolled: 1-line block ×4, first 2 shown]
	v_and_b32_e32 v34, 0xffff, v21
	v_lshrrev_b32_e32 v23, 19, v23
	v_lshrrev_b32_e32 v24, 19, v24
	;; [unrolled: 1-line block ×3, first 2 shown]
	v_mul_u32_u24_e32 v33, 0xcccd, v33
	v_lshrrev_b32_e32 v32, 19, v32
	v_mul_u32_u24_e32 v34, 0xcccd, v34
	v_cmp_ne_u16_e32 vcc_lo, v23, v24
	v_and_b32_e32 v35, 0xffff, v39
	v_lshrrev_b32_e32 v33, 19, v33
	v_and_b32_e32 v36, 0xffff, v40
	v_lshrrev_b32_e32 v34, 19, v34
	v_cndmask_b32_e64 v24, 0, 1, vcc_lo
	v_cmp_ne_u16_e32 vcc_lo, v30, v23
	v_and_b32_e32 v42, 0xffff, v19
	v_mul_u32_u24_e32 v35, 0xcccd, v35
	v_and_b32_e32 v44, 0xffff, v41
	v_mul_u32_u24_e32 v36, 0xcccd, v36
	v_cndmask_b32_e64 v23, 0, 1, vcc_lo
	v_cmp_ne_u16_e32 vcc_lo, v32, v30
	v_mul_u32_u24_e32 v42, 0xcccd, v42
	v_lshrrev_b32_e32 v35, 19, v35
	v_and_b32_e32 v43, 0xffff, v20
	v_mul_u32_u24_e32 v44, 0xcccd, v44
	v_cndmask_b32_e64 v30, 0, 1, vcc_lo
	v_cmp_ne_u16_e32 vcc_lo, v33, v32
	v_lshrrev_b32_e32 v36, 19, v36
	v_lshrrev_b32_e32 v42, 19, v42
	v_mul_u32_u24_e32 v43, 0xcccd, v43
	v_lshrrev_b32_e32 v44, 19, v44
	v_cndmask_b32_e64 v32, 0, 1, vcc_lo
	v_cmp_ne_u16_e32 vcc_lo, v34, v33
	v_and_b32_e32 v45, 0xffff, v18
	v_lshrrev_b32_e32 v43, 19, v43
	s_waitcnt lgkmcnt(0)
	v_and_b32_e32 v22, 0xffff, v22
	v_lshlrev_b16 v30, 8, v30
	v_cndmask_b32_e64 v33, 0, 1, vcc_lo
	v_cmp_ne_u16_e32 vcc_lo, v35, v34
	v_mul_u32_u24_e32 v45, 0xcccd, v45
	v_lshlrev_b16 v24, 8, v24
	v_mul_u32_u24_e32 v22, 0xcccd, v22
	v_lshlrev_b16 v33, 8, v33
	v_cndmask_b32_e64 v34, 0, 1, vcc_lo
	v_cmp_ne_u16_e32 vcc_lo, v42, v36
	v_lshrrev_b32_e32 v45, 19, v45
	v_or_b32_e32 v30, v32, v30
	v_or_b32_e32 v23, v23, v24
	v_or_b32_e32 v33, v34, v33
	v_cndmask_b32_e64 v46, 0, 1, vcc_lo
	v_cmp_ne_u16_e32 vcc_lo, v44, v42
	v_lshrrev_b32_e32 v22, 19, v22
	v_and_b32_e32 v30, 0xffff, v30
	v_lshlrev_b32_e32 v33, 16, v33
	v_lshlrev_b16 v46, 8, v46
	v_cndmask_b32_e64 v42, 0, 1, vcc_lo
	v_cmp_ne_u16_e32 vcc_lo, v43, v35
	v_lshlrev_b32_e32 v34, 16, v23
	v_cmp_ne_u16_e64 s4, v22, v45
	s_delay_alu instid0(VALU_DEP_4) | instskip(SKIP_2) | instid1(VALU_DEP_3)
	v_or_b32_e32 v42, v42, v46
	v_cndmask_b32_e64 v35, 0, 1, vcc_lo
	v_cmp_ne_u16_e32 vcc_lo, v36, v43
	v_lshlrev_b32_e32 v42, 16, v42
	s_delay_alu instid0(VALU_DEP_3) | instskip(SKIP_2) | instid1(VALU_DEP_2)
	v_lshlrev_b16 v35, 8, v35
	v_cndmask_b32_e64 v36, 0, 1, vcc_lo
	v_cmp_ne_u16_e32 vcc_lo, v45, v44
	v_or_b32_e32 v35, v36, v35
	v_cndmask_b32_e64 v43, 0, 1, vcc_lo
	v_or_b32_e32 v36, v30, v34
	s_delay_alu instid0(VALU_DEP_3) | instskip(NEXT) | instid1(VALU_DEP_3)
	v_and_b32_e32 v32, 0xffff, v35
	v_lshlrev_b16 v43, 8, v43
	s_delay_alu instid0(VALU_DEP_2) | instskip(NEXT) | instid1(VALU_DEP_2)
	v_or_b32_e32 v23, v32, v33
	v_and_b32_e32 v24, 0xffff, v43
	s_delay_alu instid0(VALU_DEP_1)
	v_or_b32_e32 v22, v24, v42
	s_and_b32 vcc_lo, exec_lo, s2
	s_cbranch_vccnz .LBB313_63
	s_branch .LBB313_90
.LBB313_61:
                                        ; implicit-def: $sgpr4
                                        ; implicit-def: $vgpr36
                                        ; implicit-def: $vgpr22_vgpr23_vgpr24
	s_branch .LBB313_91
.LBB313_62:
                                        ; implicit-def: $sgpr4
                                        ; implicit-def: $vgpr36
                                        ; implicit-def: $vgpr22_vgpr23_vgpr24
	s_and_b32 vcc_lo, exec_lo, s2
	s_cbranch_vccz .LBB313_90
.LBB313_63:
	s_mov_b32 s4, 0
	s_mov_b32 s2, 0
	s_mov_b32 s5, exec_lo
	v_cmpx_gt_u32_e64 s19, v9
; %bb.64:
	v_and_b32_e32 v22, 0xffff, v28
	v_and_b32_e32 v23, 0xffff, v31
	s_delay_alu instid0(VALU_DEP_2) | instskip(NEXT) | instid1(VALU_DEP_2)
	v_mul_u32_u24_e32 v22, 0xcccd, v22
	v_mul_u32_u24_e32 v23, 0xcccd, v23
	s_delay_alu instid0(VALU_DEP_2) | instskip(NEXT) | instid1(VALU_DEP_2)
	v_lshrrev_b32_e32 v22, 19, v22
	v_lshrrev_b32_e32 v23, 19, v23
	s_delay_alu instid0(VALU_DEP_1)
	v_cmp_ne_u16_e32 vcc_lo, v22, v23
	s_and_b32 s2, vcc_lo, exec_lo
; %bb.65:
	s_or_b32 exec_lo, exec_lo, s5
	s_delay_alu instid0(SALU_CYCLE_1)
	s_mov_b32 s5, exec_lo
	v_cmpx_gt_u32_e64 s19, v8
; %bb.66:
	v_and_b32_e32 v22, 0xffff, v37
	v_and_b32_e32 v23, 0xffff, v28
	s_delay_alu instid0(VALU_DEP_2) | instskip(NEXT) | instid1(VALU_DEP_2)
	v_mul_u32_u24_e32 v22, 0xcccd, v22
	v_mul_u32_u24_e32 v23, 0xcccd, v23
	s_delay_alu instid0(VALU_DEP_2) | instskip(NEXT) | instid1(VALU_DEP_2)
	v_lshrrev_b32_e32 v22, 19, v22
	v_lshrrev_b32_e32 v23, 19, v23
	s_delay_alu instid0(VALU_DEP_1)
	v_cmp_ne_u16_e32 vcc_lo, v22, v23
	s_and_b32 s4, vcc_lo, exec_lo
; %bb.67:
	s_or_b32 exec_lo, exec_lo, s5
	s_mov_b32 s6, 0
	s_mov_b32 s5, 0
	s_mov_b32 s7, exec_lo
	v_cmpx_gt_u32_e64 s19, v10
; %bb.68:
	v_and_b32_e32 v22, 0xffff, v27
	v_and_b32_e32 v23, 0xffff, v37
	s_delay_alu instid0(VALU_DEP_2) | instskip(NEXT) | instid1(VALU_DEP_2)
	v_mul_u32_u24_e32 v22, 0xcccd, v22
	v_mul_u32_u24_e32 v23, 0xcccd, v23
	s_delay_alu instid0(VALU_DEP_2) | instskip(NEXT) | instid1(VALU_DEP_2)
	v_lshrrev_b32_e32 v22, 19, v22
	v_lshrrev_b32_e32 v23, 19, v23
	s_delay_alu instid0(VALU_DEP_1)
	v_cmp_ne_u16_e32 vcc_lo, v22, v23
	s_and_b32 s5, vcc_lo, exec_lo
; %bb.69:
	s_or_b32 exec_lo, exec_lo, s7
	s_delay_alu instid0(SALU_CYCLE_1)
	s_mov_b32 s7, exec_lo
	v_cmpx_gt_u32_e64 s19, v11
; %bb.70:
	v_and_b32_e32 v22, 0xffff, v38
	v_and_b32_e32 v23, 0xffff, v27
	s_delay_alu instid0(VALU_DEP_2) | instskip(NEXT) | instid1(VALU_DEP_2)
	v_mul_u32_u24_e32 v22, 0xcccd, v22
	v_mul_u32_u24_e32 v23, 0xcccd, v23
	s_delay_alu instid0(VALU_DEP_2) | instskip(NEXT) | instid1(VALU_DEP_2)
	v_lshrrev_b32_e32 v22, 19, v22
	v_lshrrev_b32_e32 v23, 19, v23
	s_delay_alu instid0(VALU_DEP_1)
	v_cmp_ne_u16_e32 vcc_lo, v22, v23
	s_and_b32 s6, vcc_lo, exec_lo
; %bb.71:
	s_or_b32 exec_lo, exec_lo, s7
	;; [unrolled: 35-line block ×5, first 2 shown]
	s_mov_b32 s22, 0
	s_mov_b32 s23, exec_lo
	v_cmpx_gt_u32_e64 s19, v12
; %bb.84:
	v_and_b32_e32 v22, 0xffff, v18
	v_and_b32_e32 v23, 0xffff, v41
	s_delay_alu instid0(VALU_DEP_2) | instskip(NEXT) | instid1(VALU_DEP_2)
	v_mul_u32_u24_e32 v22, 0xcccd, v22
	v_mul_u32_u24_e32 v23, 0xcccd, v23
	s_delay_alu instid0(VALU_DEP_2) | instskip(NEXT) | instid1(VALU_DEP_2)
	v_lshrrev_b32_e32 v22, 19, v22
	v_lshrrev_b32_e32 v23, 19, v23
	s_delay_alu instid0(VALU_DEP_1)
	v_cmp_ne_u16_e32 vcc_lo, v22, v23
	s_and_b32 s22, vcc_lo, exec_lo
; %bb.85:
	s_or_b32 exec_lo, exec_lo, s23
	s_delay_alu instid0(SALU_CYCLE_1)
	s_mov_b32 s23, exec_lo
	s_waitcnt vmcnt(0) lgkmcnt(0)
	s_barrier
	buffer_gl0_inv
	v_cmpx_ne_u32_e32 0, v0
	s_cbranch_execz .LBB313_87
; %bb.86:
	v_add_nc_u32_e32 v13, -2, v29
	ds_load_u16 v13, v13
.LBB313_87:
	s_or_b32 exec_lo, exec_lo, s23
	v_cndmask_b32_e64 v24, 0, 1, s20
	v_cndmask_b32_e64 v30, 0, 1, s12
	;; [unrolled: 1-line block ×11, first 2 shown]
	v_lshlrev_b16 v24, 8, v24
	v_lshlrev_b16 v30, 8, v30
	;; [unrolled: 1-line block ×6, first 2 shown]
	v_or_b32_e32 v23, v23, v24
	v_or_b32_e32 v24, v29, v30
	;; [unrolled: 1-line block ×5, first 2 shown]
	v_and_b32_e32 v22, 0xffff, v22
	v_lshlrev_b32_e32 v23, 16, v23
	v_and_b32_e32 v24, 0xffff, v24
	v_lshlrev_b32_e32 v29, 16, v29
	;; [unrolled: 2-line block ×3, first 2 shown]
	s_mov_b32 s4, 0
	s_mov_b32 s2, exec_lo
	v_cmpx_gt_u32_e64 s19, v1
	s_cbranch_execz .LBB313_89
; %bb.88:
	s_waitcnt lgkmcnt(0)
	v_and_b32_e32 v13, 0xffff, v13
	v_and_b32_e32 v33, 0xffff, v18
	s_delay_alu instid0(VALU_DEP_2) | instskip(NEXT) | instid1(VALU_DEP_2)
	v_mul_u32_u24_e32 v13, 0xcccd, v13
	v_mul_u32_u24_e32 v33, 0xcccd, v33
	s_delay_alu instid0(VALU_DEP_2) | instskip(NEXT) | instid1(VALU_DEP_2)
	v_lshrrev_b32_e32 v13, 19, v13
	v_lshrrev_b32_e32 v33, 19, v33
	s_delay_alu instid0(VALU_DEP_1)
	v_cmp_ne_u16_e32 vcc_lo, v13, v33
	s_and_b32 s4, vcc_lo, exec_lo
.LBB313_89:
	s_or_b32 exec_lo, exec_lo, s2
	v_or_b32_e32 v22, v22, v23
	v_or_b32_e32 v23, v24, v29
	;; [unrolled: 1-line block ×3, first 2 shown]
.LBB313_90:
	s_mov_b32 s2, -1
	s_cbranch_execnz .LBB313_123
.LBB313_91:
	s_waitcnt vmcnt(0) lgkmcnt(0)
	v_lshlrev_b32_e32 v13, 1, v0
	v_and_b32_e32 v45, 0xffff, v28
	v_and_b32_e32 v44, 0xffff, v37
	;; [unrolled: 1-line block ×10, first 2 shown]
	s_and_b32 vcc_lo, exec_lo, s18
	ds_store_b16 v13, v31
	s_cbranch_vccz .LBB313_95
; %bb.92:
	v_and_b32_e32 v22, 0xffff, v31
	v_mul_u32_u24_e32 v23, 0xcccd, v45
	v_mul_u32_u24_e32 v24, 0xcccd, v44
	;; [unrolled: 1-line block ×5, first 2 shown]
	v_lshrrev_b32_e32 v23, 19, v23
	v_lshrrev_b32_e32 v24, 19, v24
	;; [unrolled: 1-line block ×3, first 2 shown]
	v_mul_u32_u24_e32 v47, 0xcccd, v35
	v_lshrrev_b32_e32 v22, 19, v22
	v_lshrrev_b32_e32 v46, 19, v46
	v_cmp_ne_u16_e32 vcc_lo, v24, v23
	v_mul_u32_u24_e32 v49, 0xcccd, v33
	v_lshrrev_b32_e32 v47, 19, v47
	v_mul_u32_u24_e32 v50, 0xcccd, v32
	v_mul_u32_u24_e32 v51, 0xcccd, v30
	v_cndmask_b32_e64 v48, 0, 1, vcc_lo
	v_cmp_ne_u16_e32 vcc_lo, v23, v22
	v_lshrrev_b32_e32 v49, 19, v49
	v_lshrrev_b32_e32 v50, 19, v50
	v_and_b32_e32 v52, 0xffff, v18
	v_lshrrev_b32_e32 v51, 19, v51
	v_cndmask_b32_e64 v22, 0, 1, vcc_lo
	v_cmp_ne_u16_e32 vcc_lo, v36, v24
	v_mul_u32_u24_e32 v24, 0xcccd, v34
	v_mul_u32_u24_e32 v52, 0xcccd, v52
	s_mov_b32 s5, 0
	v_lshlrev_b16 v22, 8, v22
	v_cndmask_b32_e64 v23, 0, 1, vcc_lo
	v_cmp_ne_u16_e32 vcc_lo, v46, v36
	v_lshrrev_b32_e32 v24, 19, v24
	s_mov_b32 s6, exec_lo
	v_or_b32_e32 v22, v48, v22
	v_lshlrev_b16 v23, 8, v23
	v_cndmask_b32_e64 v36, 0, 1, vcc_lo
	v_cmp_ne_u16_e32 vcc_lo, v47, v46
	s_waitcnt lgkmcnt(0)
	v_lshlrev_b32_e32 v22, 16, v22
	s_barrier
	v_or_b32_e32 v23, v36, v23
	v_cndmask_b32_e64 v46, 0, 1, vcc_lo
	v_cmp_ne_u16_e32 vcc_lo, v24, v47
	buffer_gl0_inv
                                        ; implicit-def: $sgpr4
	v_and_b32_e32 v23, 0xffff, v23
	v_lshlrev_b16 v46, 8, v46
	v_cndmask_b32_e64 v47, 0, 1, vcc_lo
	v_cmp_ne_u16_e32 vcc_lo, v49, v24
	v_mul_u32_u24_e32 v24, 0xcccd, v29
	s_delay_alu instid0(VALU_DEP_3) | instskip(SKIP_2) | instid1(VALU_DEP_4)
	v_or_b32_e32 v46, v47, v46
	v_cndmask_b32_e64 v53, 0, 1, vcc_lo
	v_cmp_ne_u16_e32 vcc_lo, v50, v49
	v_lshrrev_b32_e32 v54, 19, v24
	v_lshrrev_b32_e32 v24, 19, v52
	v_lshlrev_b32_e32 v46, 16, v46
	v_lshlrev_b16 v52, 8, v53
	v_cndmask_b32_e64 v49, 0, 1, vcc_lo
	v_cmp_ne_u16_e32 vcc_lo, v51, v50
	s_delay_alu instid0(VALU_DEP_2) | instskip(SKIP_2) | instid1(VALU_DEP_3)
	v_or_b32_e32 v48, v49, v52
	v_cndmask_b32_e64 v50, 0, 1, vcc_lo
	v_cmp_ne_u16_e32 vcc_lo, v54, v51
	v_and_b32_e32 v48, 0xffff, v48
	s_delay_alu instid0(VALU_DEP_3) | instskip(SKIP_2) | instid1(VALU_DEP_2)
	v_lshlrev_b16 v50, 8, v50
	v_cndmask_b32_e64 v36, 0, 1, vcc_lo
	v_cmp_ne_u16_e32 vcc_lo, v24, v54
	v_or_b32_e32 v36, v36, v50
	v_cndmask_b32_e64 v51, 0, 1, vcc_lo
	s_delay_alu instid0(VALU_DEP_2) | instskip(NEXT) | instid1(VALU_DEP_2)
	v_lshlrev_b32_e32 v49, 16, v36
	v_lshlrev_b16 v51, 8, v51
	v_or_b32_e32 v36, v23, v22
	v_or_b32_e32 v23, v48, v46
	s_delay_alu instid0(VALU_DEP_3) | instskip(NEXT) | instid1(VALU_DEP_1)
	v_or_b32_e32 v47, 1, v51
	v_and_b32_e32 v47, 0xffff, v47
	s_delay_alu instid0(VALU_DEP_1)
	v_or_b32_e32 v22, v47, v49
	v_cmpx_ne_u32_e32 0, v0
	s_xor_b32 s6, exec_lo, s6
	s_cbranch_execz .LBB313_94
; %bb.93:
	v_add_nc_u32_e32 v46, -2, v13
	s_or_b32 s2, s2, exec_lo
	ds_load_u16 v46, v46
	s_waitcnt lgkmcnt(0)
	v_mul_u32_u24_e32 v46, 0xcccd, v46
	s_delay_alu instid0(VALU_DEP_1) | instskip(NEXT) | instid1(VALU_DEP_1)
	v_lshrrev_b32_e32 v46, 19, v46
	v_cmp_ne_u16_e32 vcc_lo, v46, v24
	s_and_b32 s4, vcc_lo, exec_lo
.LBB313_94:
	s_or_b32 exec_lo, exec_lo, s6
	s_delay_alu instid0(SALU_CYCLE_1)
	s_and_b32 vcc_lo, exec_lo, s5
	s_cbranch_vccnz .LBB313_96
	s_branch .LBB313_123
.LBB313_95:
                                        ; implicit-def: $sgpr4
                                        ; implicit-def: $vgpr36
                                        ; implicit-def: $vgpr22_vgpr23_vgpr24
	s_cbranch_execz .LBB313_123
.LBB313_96:
	s_mov_b32 s4, 0
	s_mov_b32 s5, 0
	s_mov_b32 s6, exec_lo
	v_cmpx_gt_u32_e64 s19, v9
; %bb.97:
	v_and_b32_e32 v22, 0xffff, v31
	v_mul_u32_u24_e32 v23, 0xcccd, v45
	s_delay_alu instid0(VALU_DEP_2) | instskip(NEXT) | instid1(VALU_DEP_2)
	v_mul_u32_u24_e32 v22, 0xcccd, v22
	v_lshrrev_b32_e32 v23, 19, v23
	s_delay_alu instid0(VALU_DEP_2) | instskip(NEXT) | instid1(VALU_DEP_1)
	v_lshrrev_b32_e32 v22, 19, v22
	v_cmp_ne_u16_e32 vcc_lo, v23, v22
	s_and_b32 s5, vcc_lo, exec_lo
; %bb.98:
	s_or_b32 exec_lo, exec_lo, s6
	s_delay_alu instid0(SALU_CYCLE_1)
	s_mov_b32 s6, exec_lo
	v_cmpx_gt_u32_e64 s19, v8
; %bb.99:
	v_mul_u32_u24_e32 v22, 0xcccd, v44
	v_mul_u32_u24_e32 v23, 0xcccd, v45
	s_delay_alu instid0(VALU_DEP_2) | instskip(NEXT) | instid1(VALU_DEP_2)
	v_lshrrev_b32_e32 v22, 19, v22
	v_lshrrev_b32_e32 v23, 19, v23
	s_delay_alu instid0(VALU_DEP_1)
	v_cmp_ne_u16_e32 vcc_lo, v22, v23
	s_and_b32 s4, vcc_lo, exec_lo
; %bb.100:
	s_or_b32 exec_lo, exec_lo, s6
	s_mov_b32 s6, 0
	s_mov_b32 s7, 0
	s_mov_b32 s9, exec_lo
	v_cmpx_gt_u32_e64 s19, v10
; %bb.101:
	v_mul_u32_u24_e32 v22, 0xcccd, v43
	v_mul_u32_u24_e32 v23, 0xcccd, v44
	s_delay_alu instid0(VALU_DEP_2) | instskip(NEXT) | instid1(VALU_DEP_2)
	v_lshrrev_b32_e32 v22, 19, v22
	v_lshrrev_b32_e32 v23, 19, v23
	s_delay_alu instid0(VALU_DEP_1)
	v_cmp_ne_u16_e32 vcc_lo, v22, v23
	s_and_b32 s7, vcc_lo, exec_lo
; %bb.102:
	s_or_b32 exec_lo, exec_lo, s9
	s_delay_alu instid0(SALU_CYCLE_1)
	s_mov_b32 s9, exec_lo
	v_cmpx_gt_u32_e64 s19, v11
; %bb.103:
	v_mul_u32_u24_e32 v22, 0xcccd, v42
	v_mul_u32_u24_e32 v23, 0xcccd, v43
	s_delay_alu instid0(VALU_DEP_2) | instskip(NEXT) | instid1(VALU_DEP_2)
	v_lshrrev_b32_e32 v22, 19, v22
	v_lshrrev_b32_e32 v23, 19, v23
	s_delay_alu instid0(VALU_DEP_1)
	v_cmp_ne_u16_e32 vcc_lo, v22, v23
	s_and_b32 s6, vcc_lo, exec_lo
; %bb.104:
	s_or_b32 exec_lo, exec_lo, s9
	s_mov_b32 s12, 0
	s_mov_b32 s9, 0
	s_mov_b32 s13, exec_lo
	v_cmpx_gt_u32_e64 s19, v2
; %bb.105:
	v_mul_u32_u24_e32 v22, 0xcccd, v35
	v_mul_u32_u24_e32 v23, 0xcccd, v42
	s_delay_alu instid0(VALU_DEP_2) | instskip(NEXT) | instid1(VALU_DEP_2)
	v_lshrrev_b32_e32 v22, 19, v22
	v_lshrrev_b32_e32 v23, 19, v23
	s_delay_alu instid0(VALU_DEP_1)
	;; [unrolled: 29-line block ×4, first 2 shown]
	v_cmp_ne_u16_e32 vcc_lo, v22, v23
	s_and_b32 s21, vcc_lo, exec_lo
; %bb.114:
	s_or_b32 exec_lo, exec_lo, s23
	s_delay_alu instid0(SALU_CYCLE_1)
	s_mov_b32 s23, exec_lo
	v_cmpx_gt_u32_e64 s19, v6
; %bb.115:
	v_mul_u32_u24_e32 v22, 0xcccd, v29
	v_mul_u32_u24_e32 v23, 0xcccd, v30
	s_delay_alu instid0(VALU_DEP_2) | instskip(NEXT) | instid1(VALU_DEP_2)
	v_lshrrev_b32_e32 v22, 19, v22
	v_lshrrev_b32_e32 v23, 19, v23
	s_delay_alu instid0(VALU_DEP_1)
	v_cmp_ne_u16_e32 vcc_lo, v22, v23
	s_and_b32 s22, vcc_lo, exec_lo
; %bb.116:
	s_or_b32 exec_lo, exec_lo, s23
	s_mov_b32 s23, 0
	s_mov_b32 s24, exec_lo
	v_cmpx_gt_u32_e64 s19, v12
; %bb.117:
	v_and_b32_e32 v22, 0xffff, v18
	v_mul_u32_u24_e32 v23, 0xcccd, v29
	s_delay_alu instid0(VALU_DEP_2) | instskip(NEXT) | instid1(VALU_DEP_2)
	v_mul_u32_u24_e32 v22, 0xcccd, v22
	v_lshrrev_b32_e32 v23, 19, v23
	s_delay_alu instid0(VALU_DEP_2) | instskip(NEXT) | instid1(VALU_DEP_1)
	v_lshrrev_b32_e32 v22, 19, v22
	v_cmp_ne_u16_e32 vcc_lo, v22, v23
	s_and_b32 s23, vcc_lo, exec_lo
; %bb.118:
	s_or_b32 exec_lo, exec_lo, s24
	v_cndmask_b32_e64 v22, 0, 1, s7
	v_cndmask_b32_e64 v24, 0, 1, s21
	;; [unrolled: 1-line block ×5, first 2 shown]
	v_lshlrev_b16 v22, 8, v22
	v_cndmask_b32_e64 v35, 0, 1, s9
	v_cndmask_b32_e64 v36, 0, 1, s23
	;; [unrolled: 1-line block ×5, first 2 shown]
	v_or_b32_e32 v22, v30, v22
	v_cndmask_b32_e64 v30, 0, 1, s4
	v_lshlrev_b16 v34, 8, v34
	v_lshlrev_b16 v32, 8, v32
	;; [unrolled: 1-line block ×5, first 2 shown]
	v_or_b32_e32 v30, v30, v34
	v_or_b32_e32 v29, v29, v32
	;; [unrolled: 1-line block ×5, first 2 shown]
	v_and_b32_e32 v22, 0xffff, v22
	v_lshlrev_b32_e32 v24, 16, v30
	v_and_b32_e32 v29, 0xffff, v29
	v_lshlrev_b32_e32 v30, 16, v32
	;; [unrolled: 2-line block ×3, first 2 shown]
	v_or_b32_e32 v36, v22, v24
	s_mov_b32 s5, exec_lo
	v_or_b32_e32 v23, v29, v30
	s_waitcnt lgkmcnt(0)
	v_or_b32_e32 v22, v32, v33
	s_barrier
	buffer_gl0_inv
                                        ; implicit-def: $sgpr4
	v_cmpx_ne_u32_e32 0, v0
	s_cbranch_execz .LBB313_122
; %bb.119:
	s_mov_b32 s6, 0
	s_mov_b32 s4, exec_lo
	v_cmpx_gt_u32_e64 s19, v1
	s_cbranch_execz .LBB313_121
; %bb.120:
	v_add_nc_u32_e32 v13, -2, v13
	v_and_b32_e32 v24, 0xffff, v18
	ds_load_u16 v13, v13
	v_mul_u32_u24_e32 v24, 0xcccd, v24
	s_delay_alu instid0(VALU_DEP_1) | instskip(SKIP_2) | instid1(VALU_DEP_1)
	v_lshrrev_b32_e32 v24, 19, v24
	s_waitcnt lgkmcnt(0)
	v_mul_u32_u24_e32 v13, 0xcccd, v13
	v_lshrrev_b32_e32 v13, 19, v13
	s_delay_alu instid0(VALU_DEP_1)
	v_cmp_ne_u16_e32 vcc_lo, v13, v24
	s_and_b32 s6, vcc_lo, exec_lo
.LBB313_121:
	s_or_b32 exec_lo, exec_lo, s4
	s_delay_alu instid0(SALU_CYCLE_1)
	s_and_b32 s4, s6, exec_lo
	s_or_b32 s2, s2, exec_lo
.LBB313_122:
	s_or_b32 exec_lo, exec_lo, s5
.LBB313_123:
	s_and_saveexec_b32 s5, s2
	s_cbranch_execz .LBB313_125
; %bb.124:
	s_waitcnt vmcnt(0) lgkmcnt(0)
	v_and_b32_e32 v13, 0xffffff00, v22
	v_cndmask_b32_e64 v24, 0, 1, s4
	s_delay_alu instid0(VALU_DEP_1) | instskip(NEXT) | instid1(VALU_DEP_1)
	v_or_b32_e32 v13, v24, v13
	v_and_b32_e32 v13, 0xffff, v13
	s_delay_alu instid0(VALU_DEP_1)
	v_and_or_b32 v22, 0xffff0000, v22, v13
.LBB313_125:
	s_or_b32 exec_lo, exec_lo, s5
	s_load_b64 s[12:13], s[0:1], 0x60
	s_and_not1_b32 vcc_lo, exec_lo, s3
	s_cbranch_vccnz .LBB313_127
; %bb.126:
	v_cmp_gt_u32_e32 vcc_lo, s19, v1
	v_cmp_gt_u32_e64 s3, s19, v6
	v_cmp_gt_u32_e64 s5, s19, v4
	;; [unrolled: 1-line block ×4, first 2 shown]
	v_cndmask_b32_e32 v1, 0, v22, vcc_lo
	v_cmp_gt_u32_e32 vcc_lo, s19, v12
	v_and_b32_e32 v12, 0xffffff00, v23
	v_cmp_gt_u32_e64 s6, s19, v3
	s_delay_alu instid0(VALU_DEP_4) | instskip(NEXT) | instid1(VALU_DEP_3)
	v_and_b32_e32 v1, 0xff, v1
	v_cndmask_b32_e64 v7, v12, v23, s2
	s_delay_alu instid0(VALU_DEP_2) | instskip(SKIP_1) | instid1(VALU_DEP_3)
	v_cndmask_b32_e32 v1, v1, v22, vcc_lo
	v_cmp_gt_u32_e32 vcc_lo, s19, v11
	v_and_b32_e32 v7, 0xffff00ff, v7
	s_delay_alu instid0(VALU_DEP_3) | instskip(SKIP_1) | instid1(VALU_DEP_3)
	v_and_b32_e32 v1, 0xffff, v1
	v_cndmask_b32_e32 v11, 0, v36, vcc_lo
	v_cndmask_b32_e64 v5, v7, v23, s4
	s_delay_alu instid0(VALU_DEP_3) | instskip(SKIP_1) | instid1(VALU_DEP_3)
	v_cndmask_b32_e64 v1, v1, v22, s3
	v_cmp_gt_u32_e64 s3, s19, v10
	v_and_b32_e32 v5, 0xff00ffff, v5
	s_delay_alu instid0(VALU_DEP_3) | instskip(NEXT) | instid1(VALU_DEP_2)
	v_and_b32_e32 v1, 0xffffff, v1
	v_cndmask_b32_e64 v3, v5, v23, s6
	s_delay_alu instid0(VALU_DEP_2) | instskip(SKIP_1) | instid1(VALU_DEP_2)
	v_cndmask_b32_e64 v1, v1, v22, s5
	v_cmp_gt_u32_e64 s5, s19, v8
	v_cndmask_b32_e64 v1, v1, v22, s2
	v_cmp_gt_u32_e64 s2, s19, v9
	s_delay_alu instid0(VALU_DEP_2) | instskip(SKIP_2) | instid1(VALU_DEP_3)
	v_cndmask_b32_e64 v1, v1, v22, s4
	v_cmp_gt_u32_e64 s4, s19, v2
	v_and_b32_e32 v2, 0xffffff, v3
	v_cndmask_b32_e64 v1, v1, v22, s6
	v_and_b32_e32 v11, 0xff, v11
	s_delay_alu instid0(VALU_DEP_1) | instskip(NEXT) | instid1(VALU_DEP_1)
	v_cndmask_b32_e64 v6, v11, v36, s3
	v_and_b32_e32 v6, 0xffff, v6
	s_delay_alu instid0(VALU_DEP_1) | instskip(NEXT) | instid1(VALU_DEP_1)
	v_cndmask_b32_e64 v4, v6, v36, s5
	v_and_b32_e32 v4, 0xffffff, v4
	s_delay_alu instid0(VALU_DEP_1) | instskip(SKIP_1) | instid1(SALU_CYCLE_1)
	v_cndmask_b32_e64 v36, v4, v36, s2
	s_or_b32 s2, s2, s5
	s_or_b32 s2, s2, s3
	s_delay_alu instid0(SALU_CYCLE_1) | instskip(NEXT) | instid1(SALU_CYCLE_1)
	s_or_b32 s2, s2, vcc_lo
	s_or_b32 vcc_lo, s2, s4
	v_dual_cndmask_b32 v22, v1, v22 :: v_dual_cndmask_b32 v23, v2, v23
.LBB313_127:
	s_delay_alu instid0(VALU_DEP_1) | instskip(NEXT) | instid1(VALU_DEP_2)
	v_and_b32_e32 v42, 0xff, v22
	v_alignbit_b32 v1, v23, v22, 24
	v_bfe_u32 v43, v22, 8, 8
	v_bfe_u32 v44, v22, 16, 8
	v_and_b32_e32 v46, 0xff, v23
	v_bfe_u32 v47, v23, 8, 8
	v_and_b32_e32 v45, 0xff, v1
	v_dual_mov_b32 v1, v36 :: v_dual_add_nc_u32 v2, v43, v42
	v_bfe_u32 v48, v23, 16, 8
	v_lshrrev_b32_e32 v24, 24, v23
	v_and_b32_e32 v49, 0xff, v36
	v_mbcnt_lo_u32_b32 v52, -1, 0
	v_add3_u32 v2, v2, v44, v45
	v_bfe_u32 v50, v36, 8, 8
	v_alignbit_b32 v3, s0, v36, 24
	v_bfe_u32 v51, v36, 16, 8
	v_and_b32_e32 v4, 15, v52
	v_add3_u32 v2, v2, v46, v47
	v_or_b32_e32 v5, 31, v0
	v_and_b32_e32 v3, 0xff, v3
	v_and_b32_e32 v6, 16, v52
	v_cmp_eq_u32_e64 s7, 0, v4
	v_add3_u32 v2, v2, v48, v24
	v_cmp_lt_u32_e64 s6, 1, v4
	v_cmp_lt_u32_e64 s5, 3, v4
	v_cmp_lt_u32_e64 s4, 7, v4
	v_cmp_eq_u32_e64 s3, 0, v6
	v_add3_u32 v2, v2, v49, v50
	v_lshrrev_b32_e32 v53, 5, v0
	v_cmp_eq_u32_e64 s2, v5, v0
	s_and_b32 vcc_lo, exec_lo, s8
	s_mov_b32 s8, -1
	v_add3_u32 v54, v2, v51, v3
	s_waitcnt vmcnt(0) lgkmcnt(0)
	s_barrier
	buffer_gl0_inv
	s_cbranch_vccz .LBB313_153
; %bb.128:
	v_mov_b32_dpp v2, v54 row_shr:1 row_mask:0xf bank_mask:0xf
	s_delay_alu instid0(VALU_DEP_1) | instskip(NEXT) | instid1(VALU_DEP_1)
	v_cndmask_b32_e64 v2, v2, 0, s7
	v_add_nc_u32_e32 v2, v2, v54
	s_delay_alu instid0(VALU_DEP_1) | instskip(NEXT) | instid1(VALU_DEP_1)
	v_mov_b32_dpp v3, v2 row_shr:2 row_mask:0xf bank_mask:0xf
	v_cndmask_b32_e64 v3, 0, v3, s6
	s_delay_alu instid0(VALU_DEP_1) | instskip(NEXT) | instid1(VALU_DEP_1)
	v_add_nc_u32_e32 v2, v2, v3
	v_mov_b32_dpp v3, v2 row_shr:4 row_mask:0xf bank_mask:0xf
	s_delay_alu instid0(VALU_DEP_1) | instskip(NEXT) | instid1(VALU_DEP_1)
	v_cndmask_b32_e64 v3, 0, v3, s5
	v_add_nc_u32_e32 v2, v2, v3
	s_delay_alu instid0(VALU_DEP_1) | instskip(NEXT) | instid1(VALU_DEP_1)
	v_mov_b32_dpp v3, v2 row_shr:8 row_mask:0xf bank_mask:0xf
	v_cndmask_b32_e64 v3, 0, v3, s4
	s_delay_alu instid0(VALU_DEP_1) | instskip(SKIP_3) | instid1(VALU_DEP_1)
	v_add_nc_u32_e32 v2, v2, v3
	ds_swizzle_b32 v3, v2 offset:swizzle(BROADCAST,32,15)
	s_waitcnt lgkmcnt(0)
	v_cndmask_b32_e64 v3, v3, 0, s3
	v_add_nc_u32_e32 v2, v2, v3
	s_and_saveexec_b32 s8, s2
	s_cbranch_execz .LBB313_130
; %bb.129:
	v_lshlrev_b32_e32 v3, 2, v53
	ds_store_b32 v3, v2
.LBB313_130:
	s_or_b32 exec_lo, exec_lo, s8
	s_delay_alu instid0(SALU_CYCLE_1)
	s_mov_b32 s8, exec_lo
	s_waitcnt lgkmcnt(0)
	s_barrier
	buffer_gl0_inv
	v_cmpx_gt_u32_e32 4, v0
	s_cbranch_execz .LBB313_132
; %bb.131:
	v_and_b32_e32 v5, 3, v52
	s_delay_alu instid0(VALU_DEP_1) | instskip(SKIP_4) | instid1(VALU_DEP_1)
	v_cmp_ne_u32_e32 vcc_lo, 0, v5
	v_lshlrev_b32_e32 v3, 2, v0
	ds_load_b32 v4, v3
	s_waitcnt lgkmcnt(0)
	v_mov_b32_dpp v6, v4 row_shr:1 row_mask:0xf bank_mask:0xf
	v_cndmask_b32_e32 v6, 0, v6, vcc_lo
	v_cmp_lt_u32_e32 vcc_lo, 1, v5
	s_delay_alu instid0(VALU_DEP_2) | instskip(NEXT) | instid1(VALU_DEP_1)
	v_add_nc_u32_e32 v4, v6, v4
	v_mov_b32_dpp v6, v4 row_shr:2 row_mask:0xf bank_mask:0xf
	s_delay_alu instid0(VALU_DEP_1) | instskip(NEXT) | instid1(VALU_DEP_1)
	v_cndmask_b32_e32 v5, 0, v6, vcc_lo
	v_add_nc_u32_e32 v4, v4, v5
	ds_store_b32 v3, v4
.LBB313_132:
	s_or_b32 exec_lo, exec_lo, s8
	v_cmp_gt_u32_e32 vcc_lo, 32, v0
	s_mov_b32 s9, exec_lo
	s_waitcnt lgkmcnt(0)
	s_barrier
	buffer_gl0_inv
                                        ; implicit-def: $vgpr10
	v_cmpx_lt_u32_e32 31, v0
	s_cbranch_execz .LBB313_134
; %bb.133:
	v_lshl_add_u32 v3, v53, 2, -4
	ds_load_b32 v10, v3
	s_waitcnt lgkmcnt(0)
	v_add_nc_u32_e32 v2, v10, v2
.LBB313_134:
	s_or_b32 exec_lo, exec_lo, s9
	v_add_nc_u32_e32 v3, -1, v52
	s_delay_alu instid0(VALU_DEP_1) | instskip(NEXT) | instid1(VALU_DEP_1)
	v_cmp_gt_i32_e64 s8, 0, v3
	v_cndmask_b32_e64 v3, v3, v52, s8
	v_cmp_eq_u32_e64 s8, 0, v52
	s_delay_alu instid0(VALU_DEP_2)
	v_lshlrev_b32_e32 v3, 2, v3
	ds_bpermute_b32 v11, v3, v2
	s_and_saveexec_b32 s9, vcc_lo
	s_cbranch_execz .LBB313_152
; %bb.135:
	v_mov_b32_e32 v6, 0
	ds_load_b32 v2, v6 offset:12
	s_and_saveexec_b32 s19, s8
	s_cbranch_execz .LBB313_137
; %bb.136:
	s_add_i32 s20, s15, 32
	s_mov_b32 s21, 0
	v_mov_b32_e32 v3, 1
	s_lshl_b64 s[20:21], s[20:21], 3
	s_delay_alu instid0(SALU_CYCLE_1)
	s_add_u32 s20, s12, s20
	s_addc_u32 s21, s13, s21
	s_waitcnt lgkmcnt(0)
	global_store_b64 v6, v[2:3], s[20:21]
.LBB313_137:
	s_or_b32 exec_lo, exec_lo, s19
	v_xad_u32 v4, v52, -1, s15
	s_mov_b32 s20, 0
	s_mov_b32 s19, exec_lo
	s_delay_alu instid0(VALU_DEP_1) | instskip(NEXT) | instid1(VALU_DEP_1)
	v_add_nc_u32_e32 v5, 32, v4
	v_lshlrev_b64 v[5:6], 3, v[5:6]
	s_delay_alu instid0(VALU_DEP_1) | instskip(NEXT) | instid1(VALU_DEP_2)
	v_add_co_u32 v8, vcc_lo, s12, v5
	v_add_co_ci_u32_e32 v9, vcc_lo, s13, v6, vcc_lo
	global_load_b64 v[6:7], v[8:9], off glc
	s_waitcnt vmcnt(0)
	v_and_b32_e32 v3, 0xff, v7
	s_delay_alu instid0(VALU_DEP_1)
	v_cmpx_eq_u16_e32 0, v3
	s_cbranch_execz .LBB313_140
.LBB313_138:                            ; =>This Inner Loop Header: Depth=1
	global_load_b64 v[6:7], v[8:9], off glc
	s_waitcnt vmcnt(0)
	v_and_b32_e32 v3, 0xff, v7
	s_delay_alu instid0(VALU_DEP_1) | instskip(SKIP_1) | instid1(SALU_CYCLE_1)
	v_cmp_ne_u16_e32 vcc_lo, 0, v3
	s_or_b32 s20, vcc_lo, s20
	s_and_not1_b32 exec_lo, exec_lo, s20
	s_cbranch_execnz .LBB313_138
; %bb.139:
	s_or_b32 exec_lo, exec_lo, s20
.LBB313_140:
	s_delay_alu instid0(SALU_CYCLE_1)
	s_or_b32 exec_lo, exec_lo, s19
	v_cmp_ne_u32_e32 vcc_lo, 31, v52
	v_lshlrev_b32_e64 v13, v52, -1
	v_add_nc_u32_e32 v30, 2, v52
	v_add_nc_u32_e32 v56, 16, v52
	v_add_co_ci_u32_e32 v3, vcc_lo, 0, v52, vcc_lo
	s_delay_alu instid0(VALU_DEP_1)
	v_lshlrev_b32_e32 v12, 2, v3
	v_and_b32_e32 v3, 0xff, v7
	ds_bpermute_b32 v5, v12, v6
	v_cmp_eq_u16_e32 vcc_lo, 2, v3
	v_and_or_b32 v3, vcc_lo, v13, 0x80000000
	v_cmp_gt_u32_e32 vcc_lo, 30, v52
	s_delay_alu instid0(VALU_DEP_2) | instskip(SKIP_1) | instid1(VALU_DEP_2)
	v_ctz_i32_b32_e32 v3, v3
	v_cndmask_b32_e64 v8, 0, 1, vcc_lo
	v_cmp_lt_u32_e32 vcc_lo, v52, v3
	s_waitcnt lgkmcnt(0)
	s_delay_alu instid0(VALU_DEP_2) | instskip(NEXT) | instid1(VALU_DEP_1)
	v_dual_cndmask_b32 v5, 0, v5 :: v_dual_lshlrev_b32 v8, 1, v8
	v_add_lshl_u32 v29, v8, v52, 2
	v_cmp_gt_u32_e32 vcc_lo, 28, v52
	s_delay_alu instid0(VALU_DEP_3) | instskip(SKIP_4) | instid1(VALU_DEP_1)
	v_add_nc_u32_e32 v5, v5, v6
	v_cndmask_b32_e64 v8, 0, 1, vcc_lo
	v_cmp_le_u32_e32 vcc_lo, v30, v3
	ds_bpermute_b32 v6, v29, v5
	v_lshlrev_b32_e32 v8, 2, v8
	v_add_lshl_u32 v32, v8, v52, 2
	s_waitcnt lgkmcnt(0)
	v_cndmask_b32_e32 v6, 0, v6, vcc_lo
	v_cmp_gt_u32_e32 vcc_lo, 24, v52
	s_delay_alu instid0(VALU_DEP_2) | instskip(SKIP_4) | instid1(VALU_DEP_2)
	v_add_nc_u32_e32 v5, v5, v6
	v_cndmask_b32_e64 v8, 0, 1, vcc_lo
	ds_bpermute_b32 v6, v32, v5
	v_add_nc_u32_e32 v33, 4, v52
	v_lshlrev_b32_e32 v8, 3, v8
	v_cmp_le_u32_e32 vcc_lo, v33, v3
	s_delay_alu instid0(VALU_DEP_2) | instskip(SKIP_3) | instid1(VALU_DEP_2)
	v_add_lshl_u32 v34, v8, v52, 2
	s_waitcnt lgkmcnt(0)
	v_cndmask_b32_e32 v6, 0, v6, vcc_lo
	v_cmp_gt_u32_e32 vcc_lo, 16, v52
	v_add_nc_u32_e32 v5, v5, v6
	v_cndmask_b32_e64 v8, 0, 1, vcc_lo
	ds_bpermute_b32 v6, v34, v5
	v_add_nc_u32_e32 v35, 8, v52
	v_lshlrev_b32_e32 v8, 4, v8
	s_delay_alu instid0(VALU_DEP_2) | instskip(NEXT) | instid1(VALU_DEP_2)
	v_cmp_le_u32_e32 vcc_lo, v35, v3
	v_add_lshl_u32 v55, v8, v52, 2
	s_waitcnt lgkmcnt(0)
	v_cndmask_b32_e32 v6, 0, v6, vcc_lo
	v_cmp_le_u32_e32 vcc_lo, v56, v3
	s_delay_alu instid0(VALU_DEP_2) | instskip(SKIP_3) | instid1(VALU_DEP_1)
	v_add_nc_u32_e32 v5, v5, v6
	ds_bpermute_b32 v6, v55, v5
	s_waitcnt lgkmcnt(0)
	v_cndmask_b32_e32 v3, 0, v6, vcc_lo
	v_dual_mov_b32 v5, 0 :: v_dual_add_nc_u32 v6, v5, v3
	s_branch .LBB313_142
.LBB313_141:                            ;   in Loop: Header=BB313_142 Depth=1
	s_or_b32 exec_lo, exec_lo, s19
	ds_bpermute_b32 v9, v12, v6
	v_and_b32_e32 v8, 0xff, v7
	v_subrev_nc_u32_e32 v4, 32, v4
	s_delay_alu instid0(VALU_DEP_2) | instskip(SKIP_1) | instid1(VALU_DEP_1)
	v_cmp_eq_u16_e32 vcc_lo, 2, v8
	v_and_or_b32 v8, vcc_lo, v13, 0x80000000
	v_ctz_i32_b32_e32 v8, v8
	s_delay_alu instid0(VALU_DEP_1) | instskip(SKIP_3) | instid1(VALU_DEP_2)
	v_cmp_lt_u32_e32 vcc_lo, v52, v8
	s_waitcnt lgkmcnt(0)
	v_cndmask_b32_e32 v9, 0, v9, vcc_lo
	v_cmp_le_u32_e32 vcc_lo, v30, v8
	v_add_nc_u32_e32 v6, v9, v6
	ds_bpermute_b32 v9, v29, v6
	s_waitcnt lgkmcnt(0)
	v_cndmask_b32_e32 v9, 0, v9, vcc_lo
	v_cmp_le_u32_e32 vcc_lo, v33, v8
	s_delay_alu instid0(VALU_DEP_2) | instskip(SKIP_4) | instid1(VALU_DEP_2)
	v_add_nc_u32_e32 v6, v6, v9
	ds_bpermute_b32 v9, v32, v6
	s_waitcnt lgkmcnt(0)
	v_cndmask_b32_e32 v9, 0, v9, vcc_lo
	v_cmp_le_u32_e32 vcc_lo, v35, v8
	v_add_nc_u32_e32 v6, v6, v9
	ds_bpermute_b32 v9, v34, v6
	s_waitcnt lgkmcnt(0)
	v_cndmask_b32_e32 v9, 0, v9, vcc_lo
	v_cmp_le_u32_e32 vcc_lo, v56, v8
	s_delay_alu instid0(VALU_DEP_2) | instskip(SKIP_3) | instid1(VALU_DEP_1)
	v_add_nc_u32_e32 v6, v6, v9
	ds_bpermute_b32 v9, v55, v6
	s_waitcnt lgkmcnt(0)
	v_cndmask_b32_e32 v8, 0, v9, vcc_lo
	v_add3_u32 v6, v8, v3, v6
.LBB313_142:                            ; =>This Loop Header: Depth=1
                                        ;     Child Loop BB313_145 Depth 2
	v_and_b32_e32 v3, 0xff, v7
	s_delay_alu instid0(VALU_DEP_1) | instskip(SKIP_2) | instid1(VALU_DEP_1)
	v_cmp_ne_u16_e32 vcc_lo, 2, v3
	v_cndmask_b32_e64 v3, 0, 1, vcc_lo
	;;#ASMSTART
	;;#ASMEND
	v_cmp_ne_u32_e32 vcc_lo, 0, v3
	v_mov_b32_e32 v3, v6
	s_cmp_lg_u32 vcc_lo, exec_lo
	s_cbranch_scc1 .LBB313_147
; %bb.143:                              ;   in Loop: Header=BB313_142 Depth=1
	v_lshlrev_b64 v[6:7], 3, v[4:5]
	s_mov_b32 s19, exec_lo
	s_delay_alu instid0(VALU_DEP_1) | instskip(NEXT) | instid1(VALU_DEP_2)
	v_add_co_u32 v8, vcc_lo, s12, v6
	v_add_co_ci_u32_e32 v9, vcc_lo, s13, v7, vcc_lo
	global_load_b64 v[6:7], v[8:9], off glc
	s_waitcnt vmcnt(0)
	v_and_b32_e32 v57, 0xff, v7
	s_delay_alu instid0(VALU_DEP_1)
	v_cmpx_eq_u16_e32 0, v57
	s_cbranch_execz .LBB313_141
; %bb.144:                              ;   in Loop: Header=BB313_142 Depth=1
	s_mov_b32 s20, 0
.LBB313_145:                            ;   Parent Loop BB313_142 Depth=1
                                        ; =>  This Inner Loop Header: Depth=2
	global_load_b64 v[6:7], v[8:9], off glc
	s_waitcnt vmcnt(0)
	v_and_b32_e32 v57, 0xff, v7
	s_delay_alu instid0(VALU_DEP_1) | instskip(SKIP_1) | instid1(SALU_CYCLE_1)
	v_cmp_ne_u16_e32 vcc_lo, 0, v57
	s_or_b32 s20, vcc_lo, s20
	s_and_not1_b32 exec_lo, exec_lo, s20
	s_cbranch_execnz .LBB313_145
; %bb.146:                              ;   in Loop: Header=BB313_142 Depth=1
	s_or_b32 exec_lo, exec_lo, s20
	s_branch .LBB313_141
.LBB313_147:                            ;   in Loop: Header=BB313_142 Depth=1
                                        ; implicit-def: $vgpr6
                                        ; implicit-def: $vgpr7
	s_cbranch_execz .LBB313_142
; %bb.148:
	s_and_saveexec_b32 s19, s8
	s_cbranch_execz .LBB313_150
; %bb.149:
	s_add_i32 s20, s15, 32
	s_mov_b32 s21, 0
	v_dual_mov_b32 v5, 2 :: v_dual_add_nc_u32 v4, v3, v2
	s_lshl_b64 s[20:21], s[20:21], 3
	v_mov_b32_e32 v6, 0
	s_add_u32 s20, s12, s20
	s_addc_u32 s21, s13, s21
	global_store_b64 v6, v[4:5], s[20:21]
	ds_store_b64 v6, v[2:3] offset:3072
.LBB313_150:
	s_or_b32 exec_lo, exec_lo, s19
	v_cmp_eq_u32_e32 vcc_lo, 0, v0
	s_and_b32 exec_lo, exec_lo, vcc_lo
	s_cbranch_execz .LBB313_152
; %bb.151:
	v_mov_b32_e32 v2, 0
	ds_store_b32 v2, v3 offset:12
.LBB313_152:
	s_or_b32 exec_lo, exec_lo, s9
	s_waitcnt lgkmcnt(0)
	v_cndmask_b32_e64 v3, v11, v10, s8
	v_cmp_ne_u32_e32 vcc_lo, 0, v0
	v_mov_b32_e32 v12, 0
	s_waitcnt_vscnt null, 0x0
	s_barrier
	buffer_gl0_inv
	v_cndmask_b32_e32 v3, 0, v3, vcc_lo
	ds_load_b32 v2, v12 offset:12
	s_waitcnt lgkmcnt(0)
	s_barrier
	buffer_gl0_inv
	ds_load_b64 v[29:30], v12 offset:3072
	v_add_nc_u32_e32 v2, v2, v3
	s_delay_alu instid0(VALU_DEP_1) | instskip(NEXT) | instid1(VALU_DEP_1)
	v_add_nc_u32_e32 v3, v2, v42
	v_add_nc_u32_e32 v4, v3, v43
	s_delay_alu instid0(VALU_DEP_1) | instskip(NEXT) | instid1(VALU_DEP_1)
	v_add_nc_u32_e32 v5, v4, v44
	;; [unrolled: 3-line block ×5, first 2 shown]
	v_add_nc_u32_e32 v12, v11, v50
	s_delay_alu instid0(VALU_DEP_1)
	v_add_nc_u32_e32 v13, v12, v51
	v_lshrrev_b64 v[34:35], 24, v[22:23]
	v_lshrrev_b64 v[32:33], 24, v[1:2]
	s_branch .LBB313_163
.LBB313_153:
                                        ; implicit-def: $vgpr30
                                        ; implicit-def: $vgpr2_vgpr3_vgpr4_vgpr5_vgpr6_vgpr7_vgpr8_vgpr9_vgpr10_vgpr11_vgpr12_vgpr13
                                        ; implicit-def: $vgpr29
	v_lshrrev_b64 v[34:35], 24, v[22:23]
	v_lshrrev_b64 v[32:33], 24, v[1:2]
	s_and_b32 vcc_lo, exec_lo, s8
	s_cbranch_vccz .LBB313_163
; %bb.154:
	v_mov_b32_dpp v1, v54 row_shr:1 row_mask:0xf bank_mask:0xf
	s_delay_alu instid0(VALU_DEP_1) | instskip(NEXT) | instid1(VALU_DEP_1)
	v_cndmask_b32_e64 v1, v1, 0, s7
	v_add_nc_u32_e32 v1, v1, v54
	s_delay_alu instid0(VALU_DEP_1) | instskip(NEXT) | instid1(VALU_DEP_1)
	v_mov_b32_dpp v2, v1 row_shr:2 row_mask:0xf bank_mask:0xf
	v_cndmask_b32_e64 v2, 0, v2, s6
	s_delay_alu instid0(VALU_DEP_1) | instskip(NEXT) | instid1(VALU_DEP_1)
	v_add_nc_u32_e32 v1, v1, v2
	v_mov_b32_dpp v2, v1 row_shr:4 row_mask:0xf bank_mask:0xf
	s_delay_alu instid0(VALU_DEP_1) | instskip(NEXT) | instid1(VALU_DEP_1)
	v_cndmask_b32_e64 v2, 0, v2, s5
	v_add_nc_u32_e32 v1, v1, v2
	s_delay_alu instid0(VALU_DEP_1) | instskip(NEXT) | instid1(VALU_DEP_1)
	v_mov_b32_dpp v2, v1 row_shr:8 row_mask:0xf bank_mask:0xf
	v_cndmask_b32_e64 v2, 0, v2, s4
	s_delay_alu instid0(VALU_DEP_1) | instskip(SKIP_3) | instid1(VALU_DEP_1)
	v_add_nc_u32_e32 v1, v1, v2
	ds_swizzle_b32 v2, v1 offset:swizzle(BROADCAST,32,15)
	s_waitcnt lgkmcnt(0)
	v_cndmask_b32_e64 v2, v2, 0, s3
	v_add_nc_u32_e32 v1, v1, v2
	s_and_saveexec_b32 s3, s2
	s_cbranch_execz .LBB313_156
; %bb.155:
	v_lshlrev_b32_e32 v2, 2, v53
	ds_store_b32 v2, v1
.LBB313_156:
	s_or_b32 exec_lo, exec_lo, s3
	s_delay_alu instid0(SALU_CYCLE_1)
	s_mov_b32 s2, exec_lo
	s_waitcnt lgkmcnt(0)
	s_barrier
	buffer_gl0_inv
	v_cmpx_gt_u32_e32 4, v0
	s_cbranch_execz .LBB313_158
; %bb.157:
	v_and_b32_e32 v4, 3, v52
	s_delay_alu instid0(VALU_DEP_1) | instskip(SKIP_4) | instid1(VALU_DEP_1)
	v_cmp_ne_u32_e32 vcc_lo, 0, v4
	v_lshlrev_b32_e32 v2, 2, v0
	ds_load_b32 v3, v2
	s_waitcnt lgkmcnt(0)
	v_mov_b32_dpp v5, v3 row_shr:1 row_mask:0xf bank_mask:0xf
	v_cndmask_b32_e32 v5, 0, v5, vcc_lo
	v_cmp_lt_u32_e32 vcc_lo, 1, v4
	s_delay_alu instid0(VALU_DEP_2) | instskip(NEXT) | instid1(VALU_DEP_1)
	v_add_nc_u32_e32 v3, v5, v3
	v_mov_b32_dpp v5, v3 row_shr:2 row_mask:0xf bank_mask:0xf
	s_delay_alu instid0(VALU_DEP_1) | instskip(NEXT) | instid1(VALU_DEP_1)
	v_cndmask_b32_e32 v4, 0, v5, vcc_lo
	v_add_nc_u32_e32 v3, v3, v4
	ds_store_b32 v2, v3
.LBB313_158:
	s_or_b32 exec_lo, exec_lo, s2
	v_dual_mov_b32 v3, 0 :: v_dual_mov_b32 v2, 0
	s_mov_b32 s2, exec_lo
	s_waitcnt lgkmcnt(0)
	s_barrier
	buffer_gl0_inv
	v_cmpx_lt_u32_e32 31, v0
	s_cbranch_execz .LBB313_160
; %bb.159:
	v_lshl_add_u32 v2, v53, 2, -4
	ds_load_b32 v2, v2
.LBB313_160:
	s_or_b32 exec_lo, exec_lo, s2
	v_add_nc_u32_e32 v4, -1, v52
	ds_load_b32 v29, v3 offset:12
	s_waitcnt lgkmcnt(1)
	v_add_nc_u32_e32 v1, v2, v1
	v_cmp_gt_i32_e32 vcc_lo, 0, v4
	v_cndmask_b32_e32 v4, v4, v52, vcc_lo
	v_cmp_eq_u32_e32 vcc_lo, 0, v0
	s_delay_alu instid0(VALU_DEP_2)
	v_lshlrev_b32_e32 v4, 2, v4
	ds_bpermute_b32 v1, v4, v1
	s_and_saveexec_b32 s2, vcc_lo
	s_cbranch_execz .LBB313_162
; %bb.161:
	v_dual_mov_b32 v3, 0 :: v_dual_mov_b32 v30, 2
	s_waitcnt lgkmcnt(1)
	global_store_b64 v3, v[29:30], s[12:13] offset:256
.LBB313_162:
	s_or_b32 exec_lo, exec_lo, s2
	v_cmp_eq_u32_e64 s2, 0, v52
	s_waitcnt lgkmcnt(0)
	s_waitcnt_vscnt null, 0x0
	s_barrier
	buffer_gl0_inv
	v_mov_b32_e32 v30, 0
	v_cndmask_b32_e64 v1, v1, v2, s2
	s_delay_alu instid0(VALU_DEP_1) | instskip(NEXT) | instid1(VALU_DEP_1)
	v_cndmask_b32_e64 v2, v1, 0, vcc_lo
	v_add_nc_u32_e32 v3, v2, v42
	s_delay_alu instid0(VALU_DEP_1) | instskip(NEXT) | instid1(VALU_DEP_1)
	v_add_nc_u32_e32 v4, v3, v43
	v_add_nc_u32_e32 v5, v4, v44
	s_delay_alu instid0(VALU_DEP_1) | instskip(NEXT) | instid1(VALU_DEP_1)
	v_add_nc_u32_e32 v6, v5, v45
	;; [unrolled: 3-line block ×5, first 2 shown]
	v_add_nc_u32_e32 v13, v12, v51
.LBB313_163:
	s_load_b128 s[4:7], s[0:1], 0x28
	s_waitcnt lgkmcnt(0)
	v_add_nc_u32_e32 v46, v30, v29
	v_cmp_gt_u32_e64 s0, 0x81, v29
	v_lshrrev_b32_e32 v33, 16, v36
	v_lshrrev_b32_e32 v44, 16, v22
	;; [unrolled: 1-line block ×6, first 2 shown]
	v_cmp_lt_u32_e64 s1, v2, v46
	s_and_b32 vcc_lo, exec_lo, s0
	s_mov_b32 s2, -1
	s_cbranch_vccz .LBB313_201
; %bb.164:
	s_lshl_b64 s[2:3], s[10:11], 1
	s_delay_alu instid0(SALU_CYCLE_1) | instskip(SKIP_2) | instid1(SALU_CYCLE_1)
	s_add_u32 s2, s4, s2
	s_addc_u32 s3, s5, s3
	s_or_b32 s8, s18, s1
	s_and_saveexec_b32 s1, s8
	s_cbranch_execz .LBB313_167
; %bb.165:
	v_and_b32_e32 v1, 1, v22
	s_delay_alu instid0(VALU_DEP_1)
	v_cmp_eq_u32_e32 vcc_lo, 1, v1
	s_and_b32 exec_lo, exec_lo, vcc_lo
	s_cbranch_execz .LBB313_167
; %bb.166:
	v_dual_mov_b32 v48, 0 :: v_dual_mov_b32 v47, v2
	s_delay_alu instid0(VALU_DEP_1) | instskip(NEXT) | instid1(VALU_DEP_1)
	v_lshlrev_b64 v[47:48], 1, v[47:48]
	v_add_co_u32 v47, vcc_lo, s2, v47
	s_delay_alu instid0(VALU_DEP_2)
	v_add_co_ci_u32_e32 v48, vcc_lo, s3, v48, vcc_lo
	global_store_b16 v[47:48], v18, off
.LBB313_167:
	s_or_b32 exec_lo, exec_lo, s1
	v_cmp_lt_u32_e32 vcc_lo, v3, v46
	s_or_b32 s8, s18, vcc_lo
	s_delay_alu instid0(SALU_CYCLE_1)
	s_and_saveexec_b32 s1, s8
	s_cbranch_execz .LBB313_170
; %bb.168:
	v_and_b32_e32 v1, 1, v45
	s_delay_alu instid0(VALU_DEP_1)
	v_cmp_eq_u32_e32 vcc_lo, 1, v1
	s_and_b32 exec_lo, exec_lo, vcc_lo
	s_cbranch_execz .LBB313_170
; %bb.169:
	v_dual_mov_b32 v48, 0 :: v_dual_mov_b32 v47, v3
	s_delay_alu instid0(VALU_DEP_1) | instskip(NEXT) | instid1(VALU_DEP_1)
	v_lshlrev_b64 v[47:48], 1, v[47:48]
	v_add_co_u32 v47, vcc_lo, s2, v47
	s_delay_alu instid0(VALU_DEP_2)
	v_add_co_ci_u32_e32 v48, vcc_lo, s3, v48, vcc_lo
	global_store_b16 v[47:48], v41, off
.LBB313_170:
	s_or_b32 exec_lo, exec_lo, s1
	v_cmp_lt_u32_e32 vcc_lo, v4, v46
	s_or_b32 s8, s18, vcc_lo
	s_delay_alu instid0(SALU_CYCLE_1)
	;; [unrolled: 21-line block ×11, first 2 shown]
	s_and_saveexec_b32 s1, s8
	s_cbranch_execz .LBB313_200
; %bb.198:
	v_and_b32_e32 v1, 1, v32
	s_delay_alu instid0(VALU_DEP_1)
	v_cmp_eq_u32_e32 vcc_lo, 1, v1
	s_and_b32 exec_lo, exec_lo, vcc_lo
	s_cbranch_execz .LBB313_200
; %bb.199:
	v_dual_mov_b32 v48, 0 :: v_dual_mov_b32 v47, v13
	s_delay_alu instid0(VALU_DEP_1) | instskip(NEXT) | instid1(VALU_DEP_1)
	v_lshlrev_b64 v[47:48], 1, v[47:48]
	v_add_co_u32 v47, vcc_lo, s2, v47
	s_delay_alu instid0(VALU_DEP_2)
	v_add_co_ci_u32_e32 v48, vcc_lo, s3, v48, vcc_lo
	global_store_b16 v[47:48], v31, off
.LBB313_200:
	s_or_b32 exec_lo, exec_lo, s1
	s_mov_b32 s2, 0
.LBB313_201:
	v_and_b32_e32 v22, 1, v22
	s_and_b32 vcc_lo, exec_lo, s2
	s_delay_alu instid0(VALU_DEP_1)
	v_cmp_eq_u32_e64 s1, 1, v22
	s_cbranch_vccz .LBB313_242
; %bb.202:
	s_delay_alu instid0(VALU_DEP_1)
	s_and_saveexec_b32 s2, s1
	s_cbranch_execz .LBB313_204
; %bb.203:
	v_sub_nc_u32_e32 v1, v2, v30
	s_delay_alu instid0(VALU_DEP_1)
	v_lshlrev_b32_e32 v1, 1, v1
	ds_store_b16 v1, v18
.LBB313_204:
	s_or_b32 exec_lo, exec_lo, s2
	v_and_b32_e32 v1, 1, v45
	s_mov_b32 s1, exec_lo
	s_delay_alu instid0(VALU_DEP_1)
	v_cmpx_eq_u32_e32 1, v1
	s_cbranch_execz .LBB313_206
; %bb.205:
	v_sub_nc_u32_e32 v1, v3, v30
	s_delay_alu instid0(VALU_DEP_1)
	v_lshlrev_b32_e32 v1, 1, v1
	ds_store_b16 v1, v41
.LBB313_206:
	s_or_b32 exec_lo, exec_lo, s1
	v_and_b32_e32 v1, 1, v44
	s_mov_b32 s1, exec_lo
	s_delay_alu instid0(VALU_DEP_1)
	v_cmpx_eq_u32_e32 1, v1
	;; [unrolled: 12-line block ×11, first 2 shown]
	s_cbranch_execz .LBB313_226
; %bb.225:
	v_sub_nc_u32_e32 v1, v13, v30
	s_delay_alu instid0(VALU_DEP_1)
	v_lshlrev_b32_e32 v1, 1, v1
	ds_store_b16 v1, v31
.LBB313_226:
	s_or_b32 exec_lo, exec_lo, s1
	s_delay_alu instid0(SALU_CYCLE_1)
	s_mov_b32 s3, exec_lo
	s_waitcnt lgkmcnt(0)
	s_waitcnt_vscnt null, 0x0
	s_barrier
	buffer_gl0_inv
	v_cmpx_lt_u32_e64 v0, v29
	s_cbranch_execz .LBB313_241
; %bb.227:
	v_mov_b32_e32 v31, 0
	s_lshl_b64 s[8:9], s[10:11], 1
	v_xad_u32 v1, v0, -1, v29
	s_add_u32 s2, s4, s8
	s_addc_u32 s4, s5, s9
	v_lshlrev_b64 v[18:19], 1, v[30:31]
	s_delay_alu instid0(VALU_DEP_2) | instskip(NEXT) | instid1(VALU_DEP_2)
	v_cmp_gt_u32_e32 vcc_lo, 0xc80, v1
	v_add_co_u32 v27, s2, s2, v18
	v_mov_b32_e32 v18, v0
	s_delay_alu instid0(VALU_DEP_4)
	v_add_co_ci_u32_e64 v28, s2, s4, v19, s2
	s_mov_b32 s2, -1
	s_mov_b32 s4, exec_lo
	v_cmpx_lt_u32_e32 0xc7f, v1
	s_cbranch_execz .LBB313_238
; %bb.228:
	v_sub_nc_u32_e32 v18, v0, v29
	s_delay_alu instid0(VALU_DEP_1) | instskip(NEXT) | instid1(VALU_DEP_1)
	v_or_b32_e32 v18, 0x7f, v18
	v_cmp_ge_u32_e64 s1, v18, v0
	v_mov_b32_e32 v18, v0
	s_delay_alu instid0(VALU_DEP_2)
	s_and_saveexec_b32 s5, s1
	s_cbranch_execz .LBB313_237
; %bb.229:
	v_lshrrev_b32_e32 v31, 7, v1
	v_or_b32_e32 v1, 0x80, v0
	s_delay_alu instid0(VALU_DEP_2) | instskip(NEXT) | instid1(VALU_DEP_1)
	v_add_nc_u32_e32 v18, -1, v31
	v_lshrrev_b32_e32 v19, 1, v18
	v_mov_b32_e32 v40, 0
	v_cmp_lt_u32_e64 s1, 13, v18
	s_delay_alu instid0(VALU_DEP_3) | instskip(SKIP_1) | instid1(VALU_DEP_3)
	v_add_nc_u32_e32 v37, 1, v19
	v_dual_mov_b32 v19, v1 :: v_dual_mov_b32 v18, v0
	s_and_saveexec_b32 s2, s1
	s_cbranch_execz .LBB313_233
; %bb.230:
	s_delay_alu instid0(VALU_DEP_2)
	v_dual_mov_b32 v19, v1 :: v_dual_and_b32 v38, -8, v37
	v_mov_b32_e32 v21, 0
	v_dual_mov_b32 v18, v0 :: v_dual_lshlrev_b32 v39, 1, v0
	s_mov_b32 s8, 0
	s_mov_b32 s9, 0
.LBB313_231:                            ; =>This Inner Loop Header: Depth=1
	s_delay_alu instid0(VALU_DEP_1) | instskip(SKIP_2) | instid1(VALU_DEP_3)
	v_dual_mov_b32 v20, v18 :: v_dual_add_nc_u32 v47, 0x100, v19
	v_add_nc_u32_e32 v38, -8, v38
	v_dual_mov_b32 v48, v21 :: v_dual_add_nc_u32 v49, 0x200, v19
	v_lshlrev_b64 v[61:62], 1, v[20:21]
	v_dual_mov_b32 v50, v21 :: v_dual_add_nc_u32 v51, 0x300, v19
	s_delay_alu instid0(VALU_DEP_4) | instskip(NEXT) | instid1(VALU_DEP_4)
	v_cmp_eq_u32_e64 s1, 0, v38
	v_lshlrev_b64 v[47:48], 1, v[47:48]
	v_dual_mov_b32 v52, v21 :: v_dual_add_nc_u32 v53, 0x400, v19
	s_add_i32 s9, s9, 16
	v_lshlrev_b64 v[49:50], 1, v[49:50]
	s_or_b32 s8, s1, s8
	v_add_co_u32 v61, s1, v27, v61
	v_dual_mov_b32 v54, v21 :: v_dual_add_nc_u32 v55, 0x500, v19
	v_add_co_ci_u32_e64 v62, s1, v28, v62, s1
	v_lshlrev_b64 v[51:52], 1, v[51:52]
	v_add_co_u32 v47, s1, v27, v47
	v_dual_mov_b32 v56, v21 :: v_dual_add_nc_u32 v57, 0x600, v19
	v_add_co_ci_u32_e64 v48, s1, v28, v48, s1
	v_lshlrev_b64 v[53:54], 1, v[53:54]
	;; [unrolled: 4-line block ×3, first 2 shown]
	v_add_co_u32 v51, s1, v27, v51
	v_mov_b32_e32 v60, v21
	v_mov_b32_e32 v20, v19
	v_add_co_ci_u32_e64 v52, s1, v28, v52, s1
	v_lshlrev_b64 v[57:58], 1, v[57:58]
	v_add_co_u32 v53, s1, v27, v53
	ds_load_u16 v1, v39
	ds_load_u16 v41, v39 offset:256
	ds_load_u16 v67, v39 offset:512
	;; [unrolled: 1-line block ×7, first 2 shown]
	v_add_co_ci_u32_e64 v54, s1, v28, v54, s1
	ds_load_u16 v73, v39 offset:2048
	ds_load_u16 v74, v39 offset:2304
	;; [unrolled: 1-line block ×8, first 2 shown]
	v_add_nc_u32_e32 v39, 0x1000, v39
	v_lshlrev_b64 v[59:60], 1, v[59:60]
	v_add_co_u32 v55, s1, v27, v55
	v_lshlrev_b64 v[63:64], 1, v[20:21]
	v_add_nc_u32_e32 v20, 0x100, v18
	v_add_co_ci_u32_e64 v56, s1, v28, v56, s1
	v_add_co_u32 v57, s1, v27, v57
	s_delay_alu instid0(VALU_DEP_1)
	v_add_co_ci_u32_e64 v58, s1, v28, v58, s1
	v_add_co_u32 v59, s1, v27, v59
	v_lshlrev_b64 v[65:66], 1, v[20:21]
	v_add_nc_u32_e32 v20, 0x200, v18
	v_add_co_ci_u32_e64 v60, s1, v28, v60, s1
	v_add_co_u32 v63, s1, v27, v63
	s_delay_alu instid0(VALU_DEP_1)
	v_add_co_ci_u32_e64 v64, s1, v28, v64, s1
	s_waitcnt lgkmcnt(15)
	global_store_b16 v[61:62], v1, off
	v_lshlrev_b64 v[61:62], 1, v[20:21]
	v_add_nc_u32_e32 v20, 0x300, v18
	v_add_co_u32 v65, s1, v27, v65
	s_delay_alu instid0(VALU_DEP_1)
	v_add_co_ci_u32_e64 v66, s1, v28, v66, s1
	s_waitcnt lgkmcnt(14)
	global_store_b16 v[63:64], v41, off
	v_lshlrev_b64 v[63:64], 1, v[20:21]
	v_add_nc_u32_e32 v20, 0x400, v18
	s_waitcnt lgkmcnt(13)
	global_store_b16 v[65:66], v67, off
	s_waitcnt lgkmcnt(12)
	global_store_b16 v[47:48], v68, off
	v_add_co_u32 v47, s1, v27, v61
	s_delay_alu instid0(VALU_DEP_1) | instskip(SKIP_3) | instid1(VALU_DEP_1)
	v_add_co_ci_u32_e64 v48, s1, v28, v62, s1
	v_lshlrev_b64 v[61:62], 1, v[20:21]
	v_add_nc_u32_e32 v20, 0x500, v18
	v_add_co_u32 v63, s1, v27, v63
	v_add_co_ci_u32_e64 v64, s1, v28, v64, s1
	s_waitcnt lgkmcnt(11)
	global_store_b16 v[47:48], v69, off
	s_waitcnt lgkmcnt(10)
	global_store_b16 v[49:50], v70, off
	v_lshlrev_b64 v[47:48], 1, v[20:21]
	v_add_nc_u32_e32 v20, 0x600, v18
	v_add_co_u32 v49, s1, v27, v61
	s_waitcnt lgkmcnt(9)
	global_store_b16 v[63:64], v71, off
	s_waitcnt lgkmcnt(8)
	global_store_b16 v[51:52], v72, off
	v_add_co_ci_u32_e64 v50, s1, v28, v62, s1
	v_lshlrev_b64 v[51:52], 1, v[20:21]
	v_add_nc_u32_e32 v20, 0x700, v18
	v_add_co_u32 v47, s1, v27, v47
	s_delay_alu instid0(VALU_DEP_1)
	v_add_co_ci_u32_e64 v48, s1, v28, v48, s1
	s_waitcnt lgkmcnt(7)
	global_store_b16 v[49:50], v73, off
	s_waitcnt lgkmcnt(6)
	global_store_b16 v[53:54], v74, off
	v_lshlrev_b64 v[49:50], 1, v[20:21]
	v_dual_mov_b32 v40, s9 :: v_dual_add_nc_u32 v19, 0x800, v19
	s_waitcnt lgkmcnt(5)
	global_store_b16 v[47:48], v75, off
	v_add_co_u32 v47, s1, v27, v51
	v_add_nc_u32_e32 v18, 0x800, v18
	v_add_co_ci_u32_e64 v48, s1, v28, v52, s1
	v_add_co_u32 v49, s1, v27, v49
	s_delay_alu instid0(VALU_DEP_1)
	v_add_co_ci_u32_e64 v50, s1, v28, v50, s1
	s_waitcnt lgkmcnt(4)
	global_store_b16 v[55:56], v76, off
	s_waitcnt lgkmcnt(3)
	global_store_b16 v[47:48], v77, off
	;; [unrolled: 2-line block ×5, first 2 shown]
	s_and_not1_b32 exec_lo, exec_lo, s8
	s_cbranch_execnz .LBB313_231
; %bb.232:
	s_or_b32 exec_lo, exec_lo, s8
.LBB313_233:
	s_delay_alu instid0(SALU_CYCLE_1) | instskip(SKIP_3) | instid1(VALU_DEP_1)
	s_or_b32 exec_lo, exec_lo, s2
	v_and_b32_e32 v1, 7, v37
	s_mov_b32 s9, 0
	s_mov_b32 s8, exec_lo
	v_cmpx_ne_u32_e32 0, v1
	s_cbranch_execz .LBB313_236
; %bb.234:
	v_dual_mov_b32 v21, 0 :: v_dual_lshlrev_b32 v20, 1, v0
	s_delay_alu instid0(VALU_DEP_1)
	v_lshl_or_b32 v37, v40, 8, v20
	s_set_inst_prefetch_distance 0x1
	.p2align	6
.LBB313_235:                            ; =>This Inner Loop Header: Depth=1
	v_dual_mov_b32 v20, v18 :: v_dual_add_nc_u32 v1, -1, v1
	ds_load_u16 v47, v37
	ds_load_u16 v48, v37 offset:256
	v_add_nc_u32_e32 v18, 0x100, v18
	v_add_nc_u32_e32 v37, 0x200, v37
	v_lshlrev_b64 v[38:39], 1, v[20:21]
	v_mov_b32_e32 v20, v19
	v_cmp_eq_u32_e64 s1, 0, v1
	v_add_nc_u32_e32 v19, 0x100, v19
	s_delay_alu instid0(VALU_DEP_3) | instskip(SKIP_1) | instid1(VALU_DEP_1)
	v_lshlrev_b64 v[40:41], 1, v[20:21]
	v_add_co_u32 v38, s2, v27, v38
	v_add_co_ci_u32_e64 v39, s2, v28, v39, s2
	s_or_b32 s9, s1, s9
	s_delay_alu instid0(VALU_DEP_3) | instskip(NEXT) | instid1(VALU_DEP_1)
	v_add_co_u32 v40, s2, v27, v40
	v_add_co_ci_u32_e64 v41, s2, v28, v41, s2
	s_waitcnt lgkmcnt(1)
	global_store_b16 v[38:39], v47, off
	s_waitcnt lgkmcnt(0)
	global_store_b16 v[40:41], v48, off
	s_and_not1_b32 exec_lo, exec_lo, s9
	s_cbranch_execnz .LBB313_235
.LBB313_236:
	s_set_inst_prefetch_distance 0x2
	s_or_b32 exec_lo, exec_lo, s8
	v_add_nc_u32_e32 v1, 1, v31
	s_delay_alu instid0(VALU_DEP_1) | instskip(NEXT) | instid1(VALU_DEP_1)
	v_and_b32_e32 v18, 0x3fffffe, v1
	v_cmp_ne_u32_e64 s1, v1, v18
	v_lshl_or_b32 v18, v18, 7, v0
	s_delay_alu instid0(VALU_DEP_2)
	s_or_not1_b32 s2, s1, exec_lo
.LBB313_237:
	s_or_b32 exec_lo, exec_lo, s5
	s_delay_alu instid0(SALU_CYCLE_1) | instskip(SKIP_1) | instid1(SALU_CYCLE_1)
	s_and_not1_b32 s1, vcc_lo, exec_lo
	s_and_b32 s2, s2, exec_lo
	s_or_b32 vcc_lo, s1, s2
.LBB313_238:
	s_or_b32 exec_lo, exec_lo, s4
	s_delay_alu instid0(SALU_CYCLE_1)
	s_and_b32 exec_lo, exec_lo, vcc_lo
	s_cbranch_execz .LBB313_241
; %bb.239:
	v_lshlrev_b32_e32 v1, 1, v18
	v_mov_b32_e32 v19, 0
	s_mov_b32 s2, 0
	.p2align	6
.LBB313_240:                            ; =>This Inner Loop Header: Depth=1
	ds_load_u16 v31, v1
	v_lshlrev_b64 v[20:21], 1, v[18:19]
	v_add_nc_u32_e32 v18, 0x80, v18
	v_add_nc_u32_e32 v1, 0x100, v1
	s_delay_alu instid0(VALU_DEP_2) | instskip(NEXT) | instid1(VALU_DEP_4)
	v_cmp_ge_u32_e32 vcc_lo, v18, v29
	v_add_co_u32 v20, s1, v27, v20
	s_delay_alu instid0(VALU_DEP_1)
	v_add_co_ci_u32_e64 v21, s1, v28, v21, s1
	s_or_b32 s2, vcc_lo, s2
	s_waitcnt lgkmcnt(0)
	global_store_b16 v[20:21], v31, off
	s_and_not1_b32 exec_lo, exec_lo, s2
	s_cbranch_execnz .LBB313_240
.LBB313_241:
	s_or_b32 exec_lo, exec_lo, s3
.LBB313_242:
	v_lshrrev_b32_e32 v27, 16, v14
	v_lshrrev_b32_e32 v21, 16, v15
	;; [unrolled: 1-line block ×6, first 2 shown]
	s_and_b32 vcc_lo, exec_lo, s0
	s_mov_b32 s0, -1
	s_waitcnt_vscnt null, 0x0
	s_barrier
	buffer_gl0_inv
	s_cbranch_vccnz .LBB313_246
; %bb.243:
	s_and_b32 vcc_lo, exec_lo, s0
	s_cbranch_vccnz .LBB313_283
.LBB313_244:
	v_cmp_eq_u32_e32 vcc_lo, 0, v0
	s_and_b32 s0, vcc_lo, s14
	s_delay_alu instid0(SALU_CYCLE_1)
	s_and_saveexec_b32 s1, s0
	s_cbranch_execnz .LBB313_323
.LBB313_245:
	s_nop 0
	s_sendmsg sendmsg(MSG_DEALLOC_VGPRS)
	s_endpgm
.LBB313_246:
	v_cmp_lt_u32_e32 vcc_lo, v2, v46
	s_lshl_b64 s[0:1], s[10:11], 1
	s_delay_alu instid0(SALU_CYCLE_1) | instskip(SKIP_2) | instid1(SALU_CYCLE_1)
	s_add_u32 s0, s6, s0
	s_addc_u32 s1, s7, s1
	s_or_b32 s3, s18, vcc_lo
	s_and_saveexec_b32 s2, s3
	s_cbranch_execz .LBB313_249
; %bb.247:
	v_cmp_eq_u32_e32 vcc_lo, 1, v22
	s_and_b32 exec_lo, exec_lo, vcc_lo
	s_cbranch_execz .LBB313_249
; %bb.248:
	v_dual_mov_b32 v38, 0 :: v_dual_mov_b32 v37, v2
	s_delay_alu instid0(VALU_DEP_1) | instskip(NEXT) | instid1(VALU_DEP_1)
	v_lshlrev_b64 v[37:38], 1, v[37:38]
	v_add_co_u32 v37, vcc_lo, s0, v37
	s_delay_alu instid0(VALU_DEP_2)
	v_add_co_ci_u32_e32 v38, vcc_lo, s1, v38, vcc_lo
	global_store_b16 v[37:38], v14, off
.LBB313_249:
	s_or_b32 exec_lo, exec_lo, s2
	v_cmp_lt_u32_e32 vcc_lo, v3, v46
	s_or_b32 s3, s18, vcc_lo
	s_delay_alu instid0(SALU_CYCLE_1)
	s_and_saveexec_b32 s2, s3
	s_cbranch_execz .LBB313_252
; %bb.250:
	v_and_b32_e32 v28, 1, v45
	s_delay_alu instid0(VALU_DEP_1)
	v_cmp_eq_u32_e32 vcc_lo, 1, v28
	s_and_b32 exec_lo, exec_lo, vcc_lo
	s_cbranch_execz .LBB313_252
; %bb.251:
	v_dual_mov_b32 v38, 0 :: v_dual_mov_b32 v37, v3
	s_delay_alu instid0(VALU_DEP_1) | instskip(NEXT) | instid1(VALU_DEP_1)
	v_lshlrev_b64 v[37:38], 1, v[37:38]
	v_add_co_u32 v37, vcc_lo, s0, v37
	s_delay_alu instid0(VALU_DEP_2)
	v_add_co_ci_u32_e32 v38, vcc_lo, s1, v38, vcc_lo
	global_store_b16 v[37:38], v27, off
.LBB313_252:
	s_or_b32 exec_lo, exec_lo, s2
	v_cmp_lt_u32_e32 vcc_lo, v4, v46
	s_or_b32 s3, s18, vcc_lo
	s_delay_alu instid0(SALU_CYCLE_1)
	s_and_saveexec_b32 s2, s3
	s_cbranch_execz .LBB313_255
; %bb.253:
	v_and_b32_e32 v28, 1, v44
	s_delay_alu instid0(VALU_DEP_1)
	v_cmp_eq_u32_e32 vcc_lo, 1, v28
	s_and_b32 exec_lo, exec_lo, vcc_lo
	s_cbranch_execz .LBB313_255
; %bb.254:
	v_dual_mov_b32 v38, 0 :: v_dual_mov_b32 v37, v4
	s_delay_alu instid0(VALU_DEP_1) | instskip(NEXT) | instid1(VALU_DEP_1)
	v_lshlrev_b64 v[37:38], 1, v[37:38]
	v_add_co_u32 v37, vcc_lo, s0, v37
	s_delay_alu instid0(VALU_DEP_2)
	v_add_co_ci_u32_e32 v38, vcc_lo, s1, v38, vcc_lo
	global_store_b16 v[37:38], v15, off
.LBB313_255:
	;; [unrolled: 21-line block ×11, first 2 shown]
	s_or_b32 exec_lo, exec_lo, s2
	s_branch .LBB313_244
.LBB313_283:
	s_mov_b32 s0, exec_lo
	v_cmpx_eq_u32_e32 1, v22
	s_cbranch_execz .LBB313_285
; %bb.284:
	v_sub_nc_u32_e32 v2, v2, v30
	s_delay_alu instid0(VALU_DEP_1)
	v_lshlrev_b32_e32 v2, 1, v2
	ds_store_b16 v2, v14
.LBB313_285:
	s_or_b32 exec_lo, exec_lo, s0
	v_and_b32_e32 v2, 1, v45
	s_mov_b32 s0, exec_lo
	s_delay_alu instid0(VALU_DEP_1)
	v_cmpx_eq_u32_e32 1, v2
	s_cbranch_execz .LBB313_287
; %bb.286:
	v_sub_nc_u32_e32 v2, v3, v30
	s_delay_alu instid0(VALU_DEP_1)
	v_lshlrev_b32_e32 v2, 1, v2
	ds_store_b16 v2, v27
.LBB313_287:
	s_or_b32 exec_lo, exec_lo, s0
	v_and_b32_e32 v2, 1, v44
	s_mov_b32 s0, exec_lo
	s_delay_alu instid0(VALU_DEP_1)
	;; [unrolled: 12-line block ×11, first 2 shown]
	v_cmpx_eq_u32_e32 1, v2
	s_cbranch_execz .LBB313_307
; %bb.306:
	v_sub_nc_u32_e32 v2, v13, v30
	s_delay_alu instid0(VALU_DEP_1)
	v_lshlrev_b32_e32 v2, 1, v2
	ds_store_b16 v2, v1
.LBB313_307:
	s_or_b32 exec_lo, exec_lo, s0
	s_delay_alu instid0(SALU_CYCLE_1)
	s_mov_b32 s2, exec_lo
	s_waitcnt lgkmcnt(0)
	s_waitcnt_vscnt null, 0x0
	s_barrier
	buffer_gl0_inv
	v_cmpx_lt_u32_e64 v0, v29
	s_cbranch_execz .LBB313_322
; %bb.308:
	v_mov_b32_e32 v31, 0
	s_lshl_b64 s[0:1], s[10:11], 1
	v_xad_u32 v2, v0, -1, v29
	s_add_u32 s3, s6, s0
	s_addc_u32 s4, s7, s1
	v_lshlrev_b64 v[3:4], 1, v[30:31]
	v_mov_b32_e32 v1, v0
	v_cmp_gt_u32_e32 vcc_lo, 0xc80, v2
	s_delay_alu instid0(VALU_DEP_3) | instskip(NEXT) | instid1(VALU_DEP_1)
	v_add_co_u32 v6, s1, s3, v3
	v_add_co_ci_u32_e64 v7, s1, s4, v4, s1
	s_mov_b32 s1, -1
	s_mov_b32 s3, exec_lo
	v_cmpx_lt_u32_e32 0xc7f, v2
	s_cbranch_execz .LBB313_319
; %bb.309:
	v_sub_nc_u32_e32 v1, v0, v29
	s_delay_alu instid0(VALU_DEP_1) | instskip(NEXT) | instid1(VALU_DEP_1)
	v_or_b32_e32 v1, 0x7f, v1
	v_cmp_ge_u32_e64 s0, v1, v0
	v_mov_b32_e32 v1, v0
	s_delay_alu instid0(VALU_DEP_2)
	s_and_saveexec_b32 s4, s0
	s_cbranch_execz .LBB313_318
; %bb.310:
	v_lshrrev_b32_e32 v8, 7, v2
	v_or_b32_e32 v1, 0x80, v0
	v_lshlrev_b32_e32 v9, 1, v0
	s_delay_alu instid0(VALU_DEP_3) | instskip(NEXT) | instid1(VALU_DEP_1)
	v_dual_mov_b32 v13, 0 :: v_dual_add_nc_u32 v2, -1, v8
	v_lshrrev_b32_e32 v3, 1, v2
	v_cmp_lt_u32_e64 s0, 13, v2
	s_delay_alu instid0(VALU_DEP_2) | instskip(SKIP_1) | instid1(VALU_DEP_3)
	v_dual_mov_b32 v3, v1 :: v_dual_add_nc_u32 v10, 1, v3
	v_mov_b32_e32 v2, v0
	s_and_saveexec_b32 s1, s0
	s_cbranch_execz .LBB313_314
; %bb.311:
	v_mov_b32_e32 v3, v1
	v_dual_mov_b32 v12, v9 :: v_dual_and_b32 v11, -8, v10
	v_dual_mov_b32 v5, 0 :: v_dual_mov_b32 v2, v0
	s_mov_b32 s5, 0
	s_mov_b32 s6, 0
.LBB313_312:                            ; =>This Inner Loop Header: Depth=1
	s_delay_alu instid0(VALU_DEP_1) | instskip(SKIP_2) | instid1(VALU_DEP_3)
	v_dual_mov_b32 v4, v2 :: v_dual_mov_b32 v15, v5
	v_add_nc_u32_e32 v11, -8, v11
	v_dual_mov_b32 v17, v5 :: v_dual_add_nc_u32 v14, 0x100, v3
	v_lshlrev_b64 v[31:32], 1, v[4:5]
	v_dual_mov_b32 v19, v5 :: v_dual_add_nc_u32 v16, 0x200, v3
	v_mov_b32_e32 v4, v3
	v_cmp_eq_u32_e64 s0, 0, v11
	v_lshlrev_b64 v[14:15], 1, v[14:15]
	v_dual_mov_b32 v21, v5 :: v_dual_add_nc_u32 v18, 0x300, v3
	s_add_i32 s6, s6, 16
	v_lshlrev_b64 v[16:17], 1, v[16:17]
	s_or_b32 s5, s0, s5
	v_add_co_u32 v31, s0, v6, v31
	v_dual_mov_b32 v23, v5 :: v_dual_add_nc_u32 v20, 0x400, v3
	v_add_co_ci_u32_e64 v32, s0, v7, v32, s0
	v_lshlrev_b64 v[18:19], 1, v[18:19]
	v_add_co_u32 v14, s0, v6, v14
	v_dual_mov_b32 v25, v5 :: v_dual_add_nc_u32 v22, 0x500, v3
	v_add_co_ci_u32_e64 v15, s0, v7, v15, s0
	v_lshlrev_b64 v[20:21], 1, v[20:21]
	;; [unrolled: 4-line block ×4, first 2 shown]
	v_add_co_u32 v20, s0, v6, v20
	ds_load_u16 v1, v12
	ds_load_u16 v28, v12 offset:256
	ds_load_u16 v37, v12 offset:512
	;; [unrolled: 1-line block ×7, first 2 shown]
	v_add_co_ci_u32_e64 v21, s0, v7, v21, s0
	v_lshlrev_b64 v[26:27], 1, v[26:27]
	v_add_co_u32 v22, s0, v6, v22
	v_lshlrev_b64 v[33:34], 1, v[4:5]
	v_add_nc_u32_e32 v4, 0x100, v2
	v_add_co_ci_u32_e64 v23, s0, v7, v23, s0
	v_add_co_u32 v24, s0, v6, v24
	s_delay_alu instid0(VALU_DEP_1)
	v_add_co_ci_u32_e64 v25, s0, v7, v25, s0
	v_add_co_u32 v26, s0, v6, v26
	v_lshlrev_b64 v[35:36], 1, v[4:5]
	v_add_nc_u32_e32 v4, 0x200, v2
	v_add_co_ci_u32_e64 v27, s0, v7, v27, s0
	v_add_co_u32 v33, s0, v6, v33
	ds_load_u16 v43, v12 offset:2048
	ds_load_u16 v44, v12 offset:2304
	;; [unrolled: 1-line block ×8, first 2 shown]
	v_add_co_ci_u32_e64 v34, s0, v7, v34, s0
	s_waitcnt lgkmcnt(15)
	global_store_b16 v[31:32], v1, off
	v_lshlrev_b64 v[31:32], 1, v[4:5]
	v_add_nc_u32_e32 v4, 0x300, v2
	v_add_co_u32 v35, s0, v6, v35
	s_delay_alu instid0(VALU_DEP_1)
	v_add_co_ci_u32_e64 v36, s0, v7, v36, s0
	s_waitcnt lgkmcnt(14)
	global_store_b16 v[33:34], v28, off
	v_lshlrev_b64 v[33:34], 1, v[4:5]
	v_add_nc_u32_e32 v4, 0x400, v2
	s_waitcnt lgkmcnt(13)
	global_store_b16 v[35:36], v37, off
	s_waitcnt lgkmcnt(12)
	global_store_b16 v[14:15], v38, off
	v_add_co_u32 v14, s0, v6, v31
	s_delay_alu instid0(VALU_DEP_1) | instskip(SKIP_3) | instid1(VALU_DEP_1)
	v_add_co_ci_u32_e64 v15, s0, v7, v32, s0
	v_lshlrev_b64 v[31:32], 1, v[4:5]
	v_add_nc_u32_e32 v4, 0x500, v2
	v_add_co_u32 v33, s0, v6, v33
	v_add_co_ci_u32_e64 v34, s0, v7, v34, s0
	s_waitcnt lgkmcnt(11)
	global_store_b16 v[14:15], v39, off
	s_waitcnt lgkmcnt(10)
	global_store_b16 v[16:17], v40, off
	v_lshlrev_b64 v[14:15], 1, v[4:5]
	v_add_nc_u32_e32 v4, 0x600, v2
	v_add_co_u32 v16, s0, v6, v31
	s_waitcnt lgkmcnt(9)
	global_store_b16 v[33:34], v41, off
	s_waitcnt lgkmcnt(8)
	global_store_b16 v[18:19], v42, off
	v_add_co_ci_u32_e64 v17, s0, v7, v32, s0
	v_lshlrev_b64 v[18:19], 1, v[4:5]
	v_add_nc_u32_e32 v4, 0x700, v2
	v_add_co_u32 v14, s0, v6, v14
	s_delay_alu instid0(VALU_DEP_1)
	v_add_co_ci_u32_e64 v15, s0, v7, v15, s0
	s_waitcnt lgkmcnt(7)
	global_store_b16 v[16:17], v43, off
	s_waitcnt lgkmcnt(6)
	global_store_b16 v[20:21], v44, off
	v_lshlrev_b64 v[16:17], 1, v[4:5]
	v_add_nc_u32_e32 v12, 0x1000, v12
	s_waitcnt lgkmcnt(5)
	global_store_b16 v[14:15], v45, off
	v_add_co_u32 v14, s0, v6, v18
	v_add_nc_u32_e32 v3, 0x800, v3
	v_add_nc_u32_e32 v2, 0x800, v2
	v_add_co_ci_u32_e64 v15, s0, v7, v19, s0
	v_add_co_u32 v16, s0, v6, v16
	s_delay_alu instid0(VALU_DEP_1)
	v_add_co_ci_u32_e64 v17, s0, v7, v17, s0
	s_waitcnt lgkmcnt(4)
	global_store_b16 v[22:23], v46, off
	s_waitcnt lgkmcnt(3)
	global_store_b16 v[14:15], v47, off
	;; [unrolled: 2-line block ×5, first 2 shown]
	s_and_not1_b32 exec_lo, exec_lo, s5
	s_cbranch_execnz .LBB313_312
; %bb.313:
	s_or_b32 exec_lo, exec_lo, s5
.LBB313_314:
	s_delay_alu instid0(SALU_CYCLE_1) | instskip(SKIP_3) | instid1(VALU_DEP_1)
	s_or_b32 exec_lo, exec_lo, s1
	v_and_b32_e32 v1, 7, v10
	s_mov_b32 s6, 0
	s_mov_b32 s5, exec_lo
	v_cmpx_ne_u32_e32 0, v1
	s_cbranch_execz .LBB313_317
; %bb.315:
	v_lshl_or_b32 v9, v13, 8, v9
	v_mov_b32_e32 v5, 0
	s_set_inst_prefetch_distance 0x1
	.p2align	6
.LBB313_316:                            ; =>This Inner Loop Header: Depth=1
	v_dual_mov_b32 v4, v2 :: v_dual_add_nc_u32 v1, -1, v1
	ds_load_u16 v14, v9
	ds_load_u16 v15, v9 offset:256
	v_add_nc_u32_e32 v2, 0x100, v2
	v_add_nc_u32_e32 v9, 0x200, v9
	v_lshlrev_b64 v[10:11], 1, v[4:5]
	v_mov_b32_e32 v4, v3
	v_cmp_eq_u32_e64 s0, 0, v1
	v_add_nc_u32_e32 v3, 0x100, v3
	s_delay_alu instid0(VALU_DEP_3) | instskip(SKIP_1) | instid1(VALU_DEP_1)
	v_lshlrev_b64 v[12:13], 1, v[4:5]
	v_add_co_u32 v10, s1, v6, v10
	v_add_co_ci_u32_e64 v11, s1, v7, v11, s1
	s_or_b32 s6, s0, s6
	s_delay_alu instid0(VALU_DEP_3) | instskip(NEXT) | instid1(VALU_DEP_1)
	v_add_co_u32 v12, s1, v6, v12
	v_add_co_ci_u32_e64 v13, s1, v7, v13, s1
	s_waitcnt lgkmcnt(1)
	global_store_b16 v[10:11], v14, off
	s_waitcnt lgkmcnt(0)
	global_store_b16 v[12:13], v15, off
	s_and_not1_b32 exec_lo, exec_lo, s6
	s_cbranch_execnz .LBB313_316
.LBB313_317:
	s_set_inst_prefetch_distance 0x2
	s_or_b32 exec_lo, exec_lo, s5
	v_add_nc_u32_e32 v1, 1, v8
	s_delay_alu instid0(VALU_DEP_1) | instskip(NEXT) | instid1(VALU_DEP_1)
	v_and_b32_e32 v2, 0x3fffffe, v1
	v_cmp_ne_u32_e64 s0, v1, v2
	v_lshl_or_b32 v1, v2, 7, v0
	s_delay_alu instid0(VALU_DEP_2)
	s_or_not1_b32 s1, s0, exec_lo
.LBB313_318:
	s_or_b32 exec_lo, exec_lo, s4
	s_delay_alu instid0(SALU_CYCLE_1) | instskip(SKIP_1) | instid1(SALU_CYCLE_1)
	s_and_not1_b32 s0, vcc_lo, exec_lo
	s_and_b32 s1, s1, exec_lo
	s_or_b32 vcc_lo, s0, s1
.LBB313_319:
	s_or_b32 exec_lo, exec_lo, s3
	s_delay_alu instid0(SALU_CYCLE_1)
	s_and_b32 exec_lo, exec_lo, vcc_lo
	s_cbranch_execz .LBB313_322
; %bb.320:
	v_dual_mov_b32 v2, 0 :: v_dual_lshlrev_b32 v3, 1, v1
	s_mov_b32 s1, 0
	.p2align	6
.LBB313_321:                            ; =>This Inner Loop Header: Depth=1
	ds_load_u16 v8, v3
	v_lshlrev_b64 v[4:5], 1, v[1:2]
	v_add_nc_u32_e32 v1, 0x80, v1
	v_add_nc_u32_e32 v3, 0x100, v3
	s_delay_alu instid0(VALU_DEP_2) | instskip(NEXT) | instid1(VALU_DEP_4)
	v_cmp_ge_u32_e32 vcc_lo, v1, v29
	v_add_co_u32 v4, s0, v6, v4
	s_delay_alu instid0(VALU_DEP_1)
	v_add_co_ci_u32_e64 v5, s0, v7, v5, s0
	s_or_b32 s1, vcc_lo, s1
	s_waitcnt lgkmcnt(0)
	global_store_b16 v[4:5], v8, off
	s_and_not1_b32 exec_lo, exec_lo, s1
	s_cbranch_execnz .LBB313_321
.LBB313_322:
	s_or_b32 exec_lo, exec_lo, s2
	v_cmp_eq_u32_e32 vcc_lo, 0, v0
	s_and_b32 s0, vcc_lo, s14
	s_delay_alu instid0(SALU_CYCLE_1)
	s_and_saveexec_b32 s1, s0
	s_cbranch_execz .LBB313_245
.LBB313_323:
	v_add_co_u32 v0, s0, s10, v29
	s_delay_alu instid0(VALU_DEP_1) | instskip(SKIP_1) | instid1(VALU_DEP_3)
	v_add_co_ci_u32_e64 v1, null, s11, 0, s0
	v_mov_b32_e32 v2, 0
	v_add_co_u32 v0, vcc_lo, v0, v30
	s_delay_alu instid0(VALU_DEP_3)
	v_add_co_ci_u32_e32 v1, vcc_lo, 0, v1, vcc_lo
	global_store_b64 v2, v[0:1], s[16:17]
	s_nop 0
	s_sendmsg sendmsg(MSG_DEALLOC_VGPRS)
	s_endpgm
	.section	.rodata,"a",@progbits
	.p2align	6, 0x0
	.amdhsa_kernel _ZN7rocprim17ROCPRIM_400000_NS6detail17trampoline_kernelINS0_14default_configENS1_25partition_config_selectorILNS1_17partition_subalgoE9EttbEEZZNS1_14partition_implILS5_9ELb0ES3_jN6thrust23THRUST_200600_302600_NS6detail15normal_iteratorINS9_10device_ptrItEEEESE_PNS0_10empty_typeENS0_5tupleIJSE_SF_EEENSH_IJSE_SG_EEENS0_18inequality_wrapperI22is_equal_div_10_uniqueItEEEPmJSF_EEE10hipError_tPvRmT3_T4_T5_T6_T7_T9_mT8_P12ihipStream_tbDpT10_ENKUlT_T0_E_clISt17integral_constantIbLb0EES18_EEDaS13_S14_EUlS13_E_NS1_11comp_targetILNS1_3genE9ELNS1_11target_archE1100ELNS1_3gpuE3ELNS1_3repE0EEENS1_30default_config_static_selectorELNS0_4arch9wavefront6targetE0EEEvT1_
		.amdhsa_group_segment_fixed_size 3080
		.amdhsa_private_segment_fixed_size 0
		.amdhsa_kernarg_size 112
		.amdhsa_user_sgpr_count 15
		.amdhsa_user_sgpr_dispatch_ptr 0
		.amdhsa_user_sgpr_queue_ptr 0
		.amdhsa_user_sgpr_kernarg_segment_ptr 1
		.amdhsa_user_sgpr_dispatch_id 0
		.amdhsa_user_sgpr_private_segment_size 0
		.amdhsa_wavefront_size32 1
		.amdhsa_uses_dynamic_stack 0
		.amdhsa_enable_private_segment 0
		.amdhsa_system_sgpr_workgroup_id_x 1
		.amdhsa_system_sgpr_workgroup_id_y 0
		.amdhsa_system_sgpr_workgroup_id_z 0
		.amdhsa_system_sgpr_workgroup_info 0
		.amdhsa_system_vgpr_workitem_id 0
		.amdhsa_next_free_vgpr 81
		.amdhsa_next_free_sgpr 25
		.amdhsa_reserve_vcc 1
		.amdhsa_float_round_mode_32 0
		.amdhsa_float_round_mode_16_64 0
		.amdhsa_float_denorm_mode_32 3
		.amdhsa_float_denorm_mode_16_64 3
		.amdhsa_dx10_clamp 1
		.amdhsa_ieee_mode 1
		.amdhsa_fp16_overflow 0
		.amdhsa_workgroup_processor_mode 1
		.amdhsa_memory_ordered 1
		.amdhsa_forward_progress 0
		.amdhsa_shared_vgpr_count 0
		.amdhsa_exception_fp_ieee_invalid_op 0
		.amdhsa_exception_fp_denorm_src 0
		.amdhsa_exception_fp_ieee_div_zero 0
		.amdhsa_exception_fp_ieee_overflow 0
		.amdhsa_exception_fp_ieee_underflow 0
		.amdhsa_exception_fp_ieee_inexact 0
		.amdhsa_exception_int_div_zero 0
	.end_amdhsa_kernel
	.section	.text._ZN7rocprim17ROCPRIM_400000_NS6detail17trampoline_kernelINS0_14default_configENS1_25partition_config_selectorILNS1_17partition_subalgoE9EttbEEZZNS1_14partition_implILS5_9ELb0ES3_jN6thrust23THRUST_200600_302600_NS6detail15normal_iteratorINS9_10device_ptrItEEEESE_PNS0_10empty_typeENS0_5tupleIJSE_SF_EEENSH_IJSE_SG_EEENS0_18inequality_wrapperI22is_equal_div_10_uniqueItEEEPmJSF_EEE10hipError_tPvRmT3_T4_T5_T6_T7_T9_mT8_P12ihipStream_tbDpT10_ENKUlT_T0_E_clISt17integral_constantIbLb0EES18_EEDaS13_S14_EUlS13_E_NS1_11comp_targetILNS1_3genE9ELNS1_11target_archE1100ELNS1_3gpuE3ELNS1_3repE0EEENS1_30default_config_static_selectorELNS0_4arch9wavefront6targetE0EEEvT1_,"axG",@progbits,_ZN7rocprim17ROCPRIM_400000_NS6detail17trampoline_kernelINS0_14default_configENS1_25partition_config_selectorILNS1_17partition_subalgoE9EttbEEZZNS1_14partition_implILS5_9ELb0ES3_jN6thrust23THRUST_200600_302600_NS6detail15normal_iteratorINS9_10device_ptrItEEEESE_PNS0_10empty_typeENS0_5tupleIJSE_SF_EEENSH_IJSE_SG_EEENS0_18inequality_wrapperI22is_equal_div_10_uniqueItEEEPmJSF_EEE10hipError_tPvRmT3_T4_T5_T6_T7_T9_mT8_P12ihipStream_tbDpT10_ENKUlT_T0_E_clISt17integral_constantIbLb0EES18_EEDaS13_S14_EUlS13_E_NS1_11comp_targetILNS1_3genE9ELNS1_11target_archE1100ELNS1_3gpuE3ELNS1_3repE0EEENS1_30default_config_static_selectorELNS0_4arch9wavefront6targetE0EEEvT1_,comdat
.Lfunc_end313:
	.size	_ZN7rocprim17ROCPRIM_400000_NS6detail17trampoline_kernelINS0_14default_configENS1_25partition_config_selectorILNS1_17partition_subalgoE9EttbEEZZNS1_14partition_implILS5_9ELb0ES3_jN6thrust23THRUST_200600_302600_NS6detail15normal_iteratorINS9_10device_ptrItEEEESE_PNS0_10empty_typeENS0_5tupleIJSE_SF_EEENSH_IJSE_SG_EEENS0_18inequality_wrapperI22is_equal_div_10_uniqueItEEEPmJSF_EEE10hipError_tPvRmT3_T4_T5_T6_T7_T9_mT8_P12ihipStream_tbDpT10_ENKUlT_T0_E_clISt17integral_constantIbLb0EES18_EEDaS13_S14_EUlS13_E_NS1_11comp_targetILNS1_3genE9ELNS1_11target_archE1100ELNS1_3gpuE3ELNS1_3repE0EEENS1_30default_config_static_selectorELNS0_4arch9wavefront6targetE0EEEvT1_, .Lfunc_end313-_ZN7rocprim17ROCPRIM_400000_NS6detail17trampoline_kernelINS0_14default_configENS1_25partition_config_selectorILNS1_17partition_subalgoE9EttbEEZZNS1_14partition_implILS5_9ELb0ES3_jN6thrust23THRUST_200600_302600_NS6detail15normal_iteratorINS9_10device_ptrItEEEESE_PNS0_10empty_typeENS0_5tupleIJSE_SF_EEENSH_IJSE_SG_EEENS0_18inequality_wrapperI22is_equal_div_10_uniqueItEEEPmJSF_EEE10hipError_tPvRmT3_T4_T5_T6_T7_T9_mT8_P12ihipStream_tbDpT10_ENKUlT_T0_E_clISt17integral_constantIbLb0EES18_EEDaS13_S14_EUlS13_E_NS1_11comp_targetILNS1_3genE9ELNS1_11target_archE1100ELNS1_3gpuE3ELNS1_3repE0EEENS1_30default_config_static_selectorELNS0_4arch9wavefront6targetE0EEEvT1_
                                        ; -- End function
	.section	.AMDGPU.csdata,"",@progbits
; Kernel info:
; codeLenInByte = 15596
; NumSgprs: 27
; NumVgprs: 81
; ScratchSize: 0
; MemoryBound: 0
; FloatMode: 240
; IeeeMode: 1
; LDSByteSize: 3080 bytes/workgroup (compile time only)
; SGPRBlocks: 3
; VGPRBlocks: 10
; NumSGPRsForWavesPerEU: 27
; NumVGPRsForWavesPerEU: 81
; Occupancy: 16
; WaveLimiterHint : 1
; COMPUTE_PGM_RSRC2:SCRATCH_EN: 0
; COMPUTE_PGM_RSRC2:USER_SGPR: 15
; COMPUTE_PGM_RSRC2:TRAP_HANDLER: 0
; COMPUTE_PGM_RSRC2:TGID_X_EN: 1
; COMPUTE_PGM_RSRC2:TGID_Y_EN: 0
; COMPUTE_PGM_RSRC2:TGID_Z_EN: 0
; COMPUTE_PGM_RSRC2:TIDIG_COMP_CNT: 0
	.section	.text._ZN7rocprim17ROCPRIM_400000_NS6detail17trampoline_kernelINS0_14default_configENS1_25partition_config_selectorILNS1_17partition_subalgoE9EttbEEZZNS1_14partition_implILS5_9ELb0ES3_jN6thrust23THRUST_200600_302600_NS6detail15normal_iteratorINS9_10device_ptrItEEEESE_PNS0_10empty_typeENS0_5tupleIJSE_SF_EEENSH_IJSE_SG_EEENS0_18inequality_wrapperI22is_equal_div_10_uniqueItEEEPmJSF_EEE10hipError_tPvRmT3_T4_T5_T6_T7_T9_mT8_P12ihipStream_tbDpT10_ENKUlT_T0_E_clISt17integral_constantIbLb0EES18_EEDaS13_S14_EUlS13_E_NS1_11comp_targetILNS1_3genE8ELNS1_11target_archE1030ELNS1_3gpuE2ELNS1_3repE0EEENS1_30default_config_static_selectorELNS0_4arch9wavefront6targetE0EEEvT1_,"axG",@progbits,_ZN7rocprim17ROCPRIM_400000_NS6detail17trampoline_kernelINS0_14default_configENS1_25partition_config_selectorILNS1_17partition_subalgoE9EttbEEZZNS1_14partition_implILS5_9ELb0ES3_jN6thrust23THRUST_200600_302600_NS6detail15normal_iteratorINS9_10device_ptrItEEEESE_PNS0_10empty_typeENS0_5tupleIJSE_SF_EEENSH_IJSE_SG_EEENS0_18inequality_wrapperI22is_equal_div_10_uniqueItEEEPmJSF_EEE10hipError_tPvRmT3_T4_T5_T6_T7_T9_mT8_P12ihipStream_tbDpT10_ENKUlT_T0_E_clISt17integral_constantIbLb0EES18_EEDaS13_S14_EUlS13_E_NS1_11comp_targetILNS1_3genE8ELNS1_11target_archE1030ELNS1_3gpuE2ELNS1_3repE0EEENS1_30default_config_static_selectorELNS0_4arch9wavefront6targetE0EEEvT1_,comdat
	.protected	_ZN7rocprim17ROCPRIM_400000_NS6detail17trampoline_kernelINS0_14default_configENS1_25partition_config_selectorILNS1_17partition_subalgoE9EttbEEZZNS1_14partition_implILS5_9ELb0ES3_jN6thrust23THRUST_200600_302600_NS6detail15normal_iteratorINS9_10device_ptrItEEEESE_PNS0_10empty_typeENS0_5tupleIJSE_SF_EEENSH_IJSE_SG_EEENS0_18inequality_wrapperI22is_equal_div_10_uniqueItEEEPmJSF_EEE10hipError_tPvRmT3_T4_T5_T6_T7_T9_mT8_P12ihipStream_tbDpT10_ENKUlT_T0_E_clISt17integral_constantIbLb0EES18_EEDaS13_S14_EUlS13_E_NS1_11comp_targetILNS1_3genE8ELNS1_11target_archE1030ELNS1_3gpuE2ELNS1_3repE0EEENS1_30default_config_static_selectorELNS0_4arch9wavefront6targetE0EEEvT1_ ; -- Begin function _ZN7rocprim17ROCPRIM_400000_NS6detail17trampoline_kernelINS0_14default_configENS1_25partition_config_selectorILNS1_17partition_subalgoE9EttbEEZZNS1_14partition_implILS5_9ELb0ES3_jN6thrust23THRUST_200600_302600_NS6detail15normal_iteratorINS9_10device_ptrItEEEESE_PNS0_10empty_typeENS0_5tupleIJSE_SF_EEENSH_IJSE_SG_EEENS0_18inequality_wrapperI22is_equal_div_10_uniqueItEEEPmJSF_EEE10hipError_tPvRmT3_T4_T5_T6_T7_T9_mT8_P12ihipStream_tbDpT10_ENKUlT_T0_E_clISt17integral_constantIbLb0EES18_EEDaS13_S14_EUlS13_E_NS1_11comp_targetILNS1_3genE8ELNS1_11target_archE1030ELNS1_3gpuE2ELNS1_3repE0EEENS1_30default_config_static_selectorELNS0_4arch9wavefront6targetE0EEEvT1_
	.globl	_ZN7rocprim17ROCPRIM_400000_NS6detail17trampoline_kernelINS0_14default_configENS1_25partition_config_selectorILNS1_17partition_subalgoE9EttbEEZZNS1_14partition_implILS5_9ELb0ES3_jN6thrust23THRUST_200600_302600_NS6detail15normal_iteratorINS9_10device_ptrItEEEESE_PNS0_10empty_typeENS0_5tupleIJSE_SF_EEENSH_IJSE_SG_EEENS0_18inequality_wrapperI22is_equal_div_10_uniqueItEEEPmJSF_EEE10hipError_tPvRmT3_T4_T5_T6_T7_T9_mT8_P12ihipStream_tbDpT10_ENKUlT_T0_E_clISt17integral_constantIbLb0EES18_EEDaS13_S14_EUlS13_E_NS1_11comp_targetILNS1_3genE8ELNS1_11target_archE1030ELNS1_3gpuE2ELNS1_3repE0EEENS1_30default_config_static_selectorELNS0_4arch9wavefront6targetE0EEEvT1_
	.p2align	8
	.type	_ZN7rocprim17ROCPRIM_400000_NS6detail17trampoline_kernelINS0_14default_configENS1_25partition_config_selectorILNS1_17partition_subalgoE9EttbEEZZNS1_14partition_implILS5_9ELb0ES3_jN6thrust23THRUST_200600_302600_NS6detail15normal_iteratorINS9_10device_ptrItEEEESE_PNS0_10empty_typeENS0_5tupleIJSE_SF_EEENSH_IJSE_SG_EEENS0_18inequality_wrapperI22is_equal_div_10_uniqueItEEEPmJSF_EEE10hipError_tPvRmT3_T4_T5_T6_T7_T9_mT8_P12ihipStream_tbDpT10_ENKUlT_T0_E_clISt17integral_constantIbLb0EES18_EEDaS13_S14_EUlS13_E_NS1_11comp_targetILNS1_3genE8ELNS1_11target_archE1030ELNS1_3gpuE2ELNS1_3repE0EEENS1_30default_config_static_selectorELNS0_4arch9wavefront6targetE0EEEvT1_,@function
_ZN7rocprim17ROCPRIM_400000_NS6detail17trampoline_kernelINS0_14default_configENS1_25partition_config_selectorILNS1_17partition_subalgoE9EttbEEZZNS1_14partition_implILS5_9ELb0ES3_jN6thrust23THRUST_200600_302600_NS6detail15normal_iteratorINS9_10device_ptrItEEEESE_PNS0_10empty_typeENS0_5tupleIJSE_SF_EEENSH_IJSE_SG_EEENS0_18inequality_wrapperI22is_equal_div_10_uniqueItEEEPmJSF_EEE10hipError_tPvRmT3_T4_T5_T6_T7_T9_mT8_P12ihipStream_tbDpT10_ENKUlT_T0_E_clISt17integral_constantIbLb0EES18_EEDaS13_S14_EUlS13_E_NS1_11comp_targetILNS1_3genE8ELNS1_11target_archE1030ELNS1_3gpuE2ELNS1_3repE0EEENS1_30default_config_static_selectorELNS0_4arch9wavefront6targetE0EEEvT1_: ; @_ZN7rocprim17ROCPRIM_400000_NS6detail17trampoline_kernelINS0_14default_configENS1_25partition_config_selectorILNS1_17partition_subalgoE9EttbEEZZNS1_14partition_implILS5_9ELb0ES3_jN6thrust23THRUST_200600_302600_NS6detail15normal_iteratorINS9_10device_ptrItEEEESE_PNS0_10empty_typeENS0_5tupleIJSE_SF_EEENSH_IJSE_SG_EEENS0_18inequality_wrapperI22is_equal_div_10_uniqueItEEEPmJSF_EEE10hipError_tPvRmT3_T4_T5_T6_T7_T9_mT8_P12ihipStream_tbDpT10_ENKUlT_T0_E_clISt17integral_constantIbLb0EES18_EEDaS13_S14_EUlS13_E_NS1_11comp_targetILNS1_3genE8ELNS1_11target_archE1030ELNS1_3gpuE2ELNS1_3repE0EEENS1_30default_config_static_selectorELNS0_4arch9wavefront6targetE0EEEvT1_
; %bb.0:
	.section	.rodata,"a",@progbits
	.p2align	6, 0x0
	.amdhsa_kernel _ZN7rocprim17ROCPRIM_400000_NS6detail17trampoline_kernelINS0_14default_configENS1_25partition_config_selectorILNS1_17partition_subalgoE9EttbEEZZNS1_14partition_implILS5_9ELb0ES3_jN6thrust23THRUST_200600_302600_NS6detail15normal_iteratorINS9_10device_ptrItEEEESE_PNS0_10empty_typeENS0_5tupleIJSE_SF_EEENSH_IJSE_SG_EEENS0_18inequality_wrapperI22is_equal_div_10_uniqueItEEEPmJSF_EEE10hipError_tPvRmT3_T4_T5_T6_T7_T9_mT8_P12ihipStream_tbDpT10_ENKUlT_T0_E_clISt17integral_constantIbLb0EES18_EEDaS13_S14_EUlS13_E_NS1_11comp_targetILNS1_3genE8ELNS1_11target_archE1030ELNS1_3gpuE2ELNS1_3repE0EEENS1_30default_config_static_selectorELNS0_4arch9wavefront6targetE0EEEvT1_
		.amdhsa_group_segment_fixed_size 0
		.amdhsa_private_segment_fixed_size 0
		.amdhsa_kernarg_size 112
		.amdhsa_user_sgpr_count 15
		.amdhsa_user_sgpr_dispatch_ptr 0
		.amdhsa_user_sgpr_queue_ptr 0
		.amdhsa_user_sgpr_kernarg_segment_ptr 1
		.amdhsa_user_sgpr_dispatch_id 0
		.amdhsa_user_sgpr_private_segment_size 0
		.amdhsa_wavefront_size32 1
		.amdhsa_uses_dynamic_stack 0
		.amdhsa_enable_private_segment 0
		.amdhsa_system_sgpr_workgroup_id_x 1
		.amdhsa_system_sgpr_workgroup_id_y 0
		.amdhsa_system_sgpr_workgroup_id_z 0
		.amdhsa_system_sgpr_workgroup_info 0
		.amdhsa_system_vgpr_workitem_id 0
		.amdhsa_next_free_vgpr 1
		.amdhsa_next_free_sgpr 1
		.amdhsa_reserve_vcc 0
		.amdhsa_float_round_mode_32 0
		.amdhsa_float_round_mode_16_64 0
		.amdhsa_float_denorm_mode_32 3
		.amdhsa_float_denorm_mode_16_64 3
		.amdhsa_dx10_clamp 1
		.amdhsa_ieee_mode 1
		.amdhsa_fp16_overflow 0
		.amdhsa_workgroup_processor_mode 1
		.amdhsa_memory_ordered 1
		.amdhsa_forward_progress 0
		.amdhsa_shared_vgpr_count 0
		.amdhsa_exception_fp_ieee_invalid_op 0
		.amdhsa_exception_fp_denorm_src 0
		.amdhsa_exception_fp_ieee_div_zero 0
		.amdhsa_exception_fp_ieee_overflow 0
		.amdhsa_exception_fp_ieee_underflow 0
		.amdhsa_exception_fp_ieee_inexact 0
		.amdhsa_exception_int_div_zero 0
	.end_amdhsa_kernel
	.section	.text._ZN7rocprim17ROCPRIM_400000_NS6detail17trampoline_kernelINS0_14default_configENS1_25partition_config_selectorILNS1_17partition_subalgoE9EttbEEZZNS1_14partition_implILS5_9ELb0ES3_jN6thrust23THRUST_200600_302600_NS6detail15normal_iteratorINS9_10device_ptrItEEEESE_PNS0_10empty_typeENS0_5tupleIJSE_SF_EEENSH_IJSE_SG_EEENS0_18inequality_wrapperI22is_equal_div_10_uniqueItEEEPmJSF_EEE10hipError_tPvRmT3_T4_T5_T6_T7_T9_mT8_P12ihipStream_tbDpT10_ENKUlT_T0_E_clISt17integral_constantIbLb0EES18_EEDaS13_S14_EUlS13_E_NS1_11comp_targetILNS1_3genE8ELNS1_11target_archE1030ELNS1_3gpuE2ELNS1_3repE0EEENS1_30default_config_static_selectorELNS0_4arch9wavefront6targetE0EEEvT1_,"axG",@progbits,_ZN7rocprim17ROCPRIM_400000_NS6detail17trampoline_kernelINS0_14default_configENS1_25partition_config_selectorILNS1_17partition_subalgoE9EttbEEZZNS1_14partition_implILS5_9ELb0ES3_jN6thrust23THRUST_200600_302600_NS6detail15normal_iteratorINS9_10device_ptrItEEEESE_PNS0_10empty_typeENS0_5tupleIJSE_SF_EEENSH_IJSE_SG_EEENS0_18inequality_wrapperI22is_equal_div_10_uniqueItEEEPmJSF_EEE10hipError_tPvRmT3_T4_T5_T6_T7_T9_mT8_P12ihipStream_tbDpT10_ENKUlT_T0_E_clISt17integral_constantIbLb0EES18_EEDaS13_S14_EUlS13_E_NS1_11comp_targetILNS1_3genE8ELNS1_11target_archE1030ELNS1_3gpuE2ELNS1_3repE0EEENS1_30default_config_static_selectorELNS0_4arch9wavefront6targetE0EEEvT1_,comdat
.Lfunc_end314:
	.size	_ZN7rocprim17ROCPRIM_400000_NS6detail17trampoline_kernelINS0_14default_configENS1_25partition_config_selectorILNS1_17partition_subalgoE9EttbEEZZNS1_14partition_implILS5_9ELb0ES3_jN6thrust23THRUST_200600_302600_NS6detail15normal_iteratorINS9_10device_ptrItEEEESE_PNS0_10empty_typeENS0_5tupleIJSE_SF_EEENSH_IJSE_SG_EEENS0_18inequality_wrapperI22is_equal_div_10_uniqueItEEEPmJSF_EEE10hipError_tPvRmT3_T4_T5_T6_T7_T9_mT8_P12ihipStream_tbDpT10_ENKUlT_T0_E_clISt17integral_constantIbLb0EES18_EEDaS13_S14_EUlS13_E_NS1_11comp_targetILNS1_3genE8ELNS1_11target_archE1030ELNS1_3gpuE2ELNS1_3repE0EEENS1_30default_config_static_selectorELNS0_4arch9wavefront6targetE0EEEvT1_, .Lfunc_end314-_ZN7rocprim17ROCPRIM_400000_NS6detail17trampoline_kernelINS0_14default_configENS1_25partition_config_selectorILNS1_17partition_subalgoE9EttbEEZZNS1_14partition_implILS5_9ELb0ES3_jN6thrust23THRUST_200600_302600_NS6detail15normal_iteratorINS9_10device_ptrItEEEESE_PNS0_10empty_typeENS0_5tupleIJSE_SF_EEENSH_IJSE_SG_EEENS0_18inequality_wrapperI22is_equal_div_10_uniqueItEEEPmJSF_EEE10hipError_tPvRmT3_T4_T5_T6_T7_T9_mT8_P12ihipStream_tbDpT10_ENKUlT_T0_E_clISt17integral_constantIbLb0EES18_EEDaS13_S14_EUlS13_E_NS1_11comp_targetILNS1_3genE8ELNS1_11target_archE1030ELNS1_3gpuE2ELNS1_3repE0EEENS1_30default_config_static_selectorELNS0_4arch9wavefront6targetE0EEEvT1_
                                        ; -- End function
	.section	.AMDGPU.csdata,"",@progbits
; Kernel info:
; codeLenInByte = 0
; NumSgprs: 0
; NumVgprs: 0
; ScratchSize: 0
; MemoryBound: 0
; FloatMode: 240
; IeeeMode: 1
; LDSByteSize: 0 bytes/workgroup (compile time only)
; SGPRBlocks: 0
; VGPRBlocks: 0
; NumSGPRsForWavesPerEU: 1
; NumVGPRsForWavesPerEU: 1
; Occupancy: 15
; WaveLimiterHint : 0
; COMPUTE_PGM_RSRC2:SCRATCH_EN: 0
; COMPUTE_PGM_RSRC2:USER_SGPR: 15
; COMPUTE_PGM_RSRC2:TRAP_HANDLER: 0
; COMPUTE_PGM_RSRC2:TGID_X_EN: 1
; COMPUTE_PGM_RSRC2:TGID_Y_EN: 0
; COMPUTE_PGM_RSRC2:TGID_Z_EN: 0
; COMPUTE_PGM_RSRC2:TIDIG_COMP_CNT: 0
	.section	.text._ZN7rocprim17ROCPRIM_400000_NS6detail17trampoline_kernelINS0_14default_configENS1_25partition_config_selectorILNS1_17partition_subalgoE9EttbEEZZNS1_14partition_implILS5_9ELb0ES3_jN6thrust23THRUST_200600_302600_NS6detail15normal_iteratorINS9_10device_ptrItEEEESE_PNS0_10empty_typeENS0_5tupleIJSE_SF_EEENSH_IJSE_SG_EEENS0_18inequality_wrapperI22is_equal_div_10_uniqueItEEEPmJSF_EEE10hipError_tPvRmT3_T4_T5_T6_T7_T9_mT8_P12ihipStream_tbDpT10_ENKUlT_T0_E_clISt17integral_constantIbLb1EES18_EEDaS13_S14_EUlS13_E_NS1_11comp_targetILNS1_3genE0ELNS1_11target_archE4294967295ELNS1_3gpuE0ELNS1_3repE0EEENS1_30default_config_static_selectorELNS0_4arch9wavefront6targetE0EEEvT1_,"axG",@progbits,_ZN7rocprim17ROCPRIM_400000_NS6detail17trampoline_kernelINS0_14default_configENS1_25partition_config_selectorILNS1_17partition_subalgoE9EttbEEZZNS1_14partition_implILS5_9ELb0ES3_jN6thrust23THRUST_200600_302600_NS6detail15normal_iteratorINS9_10device_ptrItEEEESE_PNS0_10empty_typeENS0_5tupleIJSE_SF_EEENSH_IJSE_SG_EEENS0_18inequality_wrapperI22is_equal_div_10_uniqueItEEEPmJSF_EEE10hipError_tPvRmT3_T4_T5_T6_T7_T9_mT8_P12ihipStream_tbDpT10_ENKUlT_T0_E_clISt17integral_constantIbLb1EES18_EEDaS13_S14_EUlS13_E_NS1_11comp_targetILNS1_3genE0ELNS1_11target_archE4294967295ELNS1_3gpuE0ELNS1_3repE0EEENS1_30default_config_static_selectorELNS0_4arch9wavefront6targetE0EEEvT1_,comdat
	.protected	_ZN7rocprim17ROCPRIM_400000_NS6detail17trampoline_kernelINS0_14default_configENS1_25partition_config_selectorILNS1_17partition_subalgoE9EttbEEZZNS1_14partition_implILS5_9ELb0ES3_jN6thrust23THRUST_200600_302600_NS6detail15normal_iteratorINS9_10device_ptrItEEEESE_PNS0_10empty_typeENS0_5tupleIJSE_SF_EEENSH_IJSE_SG_EEENS0_18inequality_wrapperI22is_equal_div_10_uniqueItEEEPmJSF_EEE10hipError_tPvRmT3_T4_T5_T6_T7_T9_mT8_P12ihipStream_tbDpT10_ENKUlT_T0_E_clISt17integral_constantIbLb1EES18_EEDaS13_S14_EUlS13_E_NS1_11comp_targetILNS1_3genE0ELNS1_11target_archE4294967295ELNS1_3gpuE0ELNS1_3repE0EEENS1_30default_config_static_selectorELNS0_4arch9wavefront6targetE0EEEvT1_ ; -- Begin function _ZN7rocprim17ROCPRIM_400000_NS6detail17trampoline_kernelINS0_14default_configENS1_25partition_config_selectorILNS1_17partition_subalgoE9EttbEEZZNS1_14partition_implILS5_9ELb0ES3_jN6thrust23THRUST_200600_302600_NS6detail15normal_iteratorINS9_10device_ptrItEEEESE_PNS0_10empty_typeENS0_5tupleIJSE_SF_EEENSH_IJSE_SG_EEENS0_18inequality_wrapperI22is_equal_div_10_uniqueItEEEPmJSF_EEE10hipError_tPvRmT3_T4_T5_T6_T7_T9_mT8_P12ihipStream_tbDpT10_ENKUlT_T0_E_clISt17integral_constantIbLb1EES18_EEDaS13_S14_EUlS13_E_NS1_11comp_targetILNS1_3genE0ELNS1_11target_archE4294967295ELNS1_3gpuE0ELNS1_3repE0EEENS1_30default_config_static_selectorELNS0_4arch9wavefront6targetE0EEEvT1_
	.globl	_ZN7rocprim17ROCPRIM_400000_NS6detail17trampoline_kernelINS0_14default_configENS1_25partition_config_selectorILNS1_17partition_subalgoE9EttbEEZZNS1_14partition_implILS5_9ELb0ES3_jN6thrust23THRUST_200600_302600_NS6detail15normal_iteratorINS9_10device_ptrItEEEESE_PNS0_10empty_typeENS0_5tupleIJSE_SF_EEENSH_IJSE_SG_EEENS0_18inequality_wrapperI22is_equal_div_10_uniqueItEEEPmJSF_EEE10hipError_tPvRmT3_T4_T5_T6_T7_T9_mT8_P12ihipStream_tbDpT10_ENKUlT_T0_E_clISt17integral_constantIbLb1EES18_EEDaS13_S14_EUlS13_E_NS1_11comp_targetILNS1_3genE0ELNS1_11target_archE4294967295ELNS1_3gpuE0ELNS1_3repE0EEENS1_30default_config_static_selectorELNS0_4arch9wavefront6targetE0EEEvT1_
	.p2align	8
	.type	_ZN7rocprim17ROCPRIM_400000_NS6detail17trampoline_kernelINS0_14default_configENS1_25partition_config_selectorILNS1_17partition_subalgoE9EttbEEZZNS1_14partition_implILS5_9ELb0ES3_jN6thrust23THRUST_200600_302600_NS6detail15normal_iteratorINS9_10device_ptrItEEEESE_PNS0_10empty_typeENS0_5tupleIJSE_SF_EEENSH_IJSE_SG_EEENS0_18inequality_wrapperI22is_equal_div_10_uniqueItEEEPmJSF_EEE10hipError_tPvRmT3_T4_T5_T6_T7_T9_mT8_P12ihipStream_tbDpT10_ENKUlT_T0_E_clISt17integral_constantIbLb1EES18_EEDaS13_S14_EUlS13_E_NS1_11comp_targetILNS1_3genE0ELNS1_11target_archE4294967295ELNS1_3gpuE0ELNS1_3repE0EEENS1_30default_config_static_selectorELNS0_4arch9wavefront6targetE0EEEvT1_,@function
_ZN7rocprim17ROCPRIM_400000_NS6detail17trampoline_kernelINS0_14default_configENS1_25partition_config_selectorILNS1_17partition_subalgoE9EttbEEZZNS1_14partition_implILS5_9ELb0ES3_jN6thrust23THRUST_200600_302600_NS6detail15normal_iteratorINS9_10device_ptrItEEEESE_PNS0_10empty_typeENS0_5tupleIJSE_SF_EEENSH_IJSE_SG_EEENS0_18inequality_wrapperI22is_equal_div_10_uniqueItEEEPmJSF_EEE10hipError_tPvRmT3_T4_T5_T6_T7_T9_mT8_P12ihipStream_tbDpT10_ENKUlT_T0_E_clISt17integral_constantIbLb1EES18_EEDaS13_S14_EUlS13_E_NS1_11comp_targetILNS1_3genE0ELNS1_11target_archE4294967295ELNS1_3gpuE0ELNS1_3repE0EEENS1_30default_config_static_selectorELNS0_4arch9wavefront6targetE0EEEvT1_: ; @_ZN7rocprim17ROCPRIM_400000_NS6detail17trampoline_kernelINS0_14default_configENS1_25partition_config_selectorILNS1_17partition_subalgoE9EttbEEZZNS1_14partition_implILS5_9ELb0ES3_jN6thrust23THRUST_200600_302600_NS6detail15normal_iteratorINS9_10device_ptrItEEEESE_PNS0_10empty_typeENS0_5tupleIJSE_SF_EEENSH_IJSE_SG_EEENS0_18inequality_wrapperI22is_equal_div_10_uniqueItEEEPmJSF_EEE10hipError_tPvRmT3_T4_T5_T6_T7_T9_mT8_P12ihipStream_tbDpT10_ENKUlT_T0_E_clISt17integral_constantIbLb1EES18_EEDaS13_S14_EUlS13_E_NS1_11comp_targetILNS1_3genE0ELNS1_11target_archE4294967295ELNS1_3gpuE0ELNS1_3repE0EEENS1_30default_config_static_selectorELNS0_4arch9wavefront6targetE0EEEvT1_
; %bb.0:
	.section	.rodata,"a",@progbits
	.p2align	6, 0x0
	.amdhsa_kernel _ZN7rocprim17ROCPRIM_400000_NS6detail17trampoline_kernelINS0_14default_configENS1_25partition_config_selectorILNS1_17partition_subalgoE9EttbEEZZNS1_14partition_implILS5_9ELb0ES3_jN6thrust23THRUST_200600_302600_NS6detail15normal_iteratorINS9_10device_ptrItEEEESE_PNS0_10empty_typeENS0_5tupleIJSE_SF_EEENSH_IJSE_SG_EEENS0_18inequality_wrapperI22is_equal_div_10_uniqueItEEEPmJSF_EEE10hipError_tPvRmT3_T4_T5_T6_T7_T9_mT8_P12ihipStream_tbDpT10_ENKUlT_T0_E_clISt17integral_constantIbLb1EES18_EEDaS13_S14_EUlS13_E_NS1_11comp_targetILNS1_3genE0ELNS1_11target_archE4294967295ELNS1_3gpuE0ELNS1_3repE0EEENS1_30default_config_static_selectorELNS0_4arch9wavefront6targetE0EEEvT1_
		.amdhsa_group_segment_fixed_size 0
		.amdhsa_private_segment_fixed_size 0
		.amdhsa_kernarg_size 128
		.amdhsa_user_sgpr_count 15
		.amdhsa_user_sgpr_dispatch_ptr 0
		.amdhsa_user_sgpr_queue_ptr 0
		.amdhsa_user_sgpr_kernarg_segment_ptr 1
		.amdhsa_user_sgpr_dispatch_id 0
		.amdhsa_user_sgpr_private_segment_size 0
		.amdhsa_wavefront_size32 1
		.amdhsa_uses_dynamic_stack 0
		.amdhsa_enable_private_segment 0
		.amdhsa_system_sgpr_workgroup_id_x 1
		.amdhsa_system_sgpr_workgroup_id_y 0
		.amdhsa_system_sgpr_workgroup_id_z 0
		.amdhsa_system_sgpr_workgroup_info 0
		.amdhsa_system_vgpr_workitem_id 0
		.amdhsa_next_free_vgpr 1
		.amdhsa_next_free_sgpr 1
		.amdhsa_reserve_vcc 0
		.amdhsa_float_round_mode_32 0
		.amdhsa_float_round_mode_16_64 0
		.amdhsa_float_denorm_mode_32 3
		.amdhsa_float_denorm_mode_16_64 3
		.amdhsa_dx10_clamp 1
		.amdhsa_ieee_mode 1
		.amdhsa_fp16_overflow 0
		.amdhsa_workgroup_processor_mode 1
		.amdhsa_memory_ordered 1
		.amdhsa_forward_progress 0
		.amdhsa_shared_vgpr_count 0
		.amdhsa_exception_fp_ieee_invalid_op 0
		.amdhsa_exception_fp_denorm_src 0
		.amdhsa_exception_fp_ieee_div_zero 0
		.amdhsa_exception_fp_ieee_overflow 0
		.amdhsa_exception_fp_ieee_underflow 0
		.amdhsa_exception_fp_ieee_inexact 0
		.amdhsa_exception_int_div_zero 0
	.end_amdhsa_kernel
	.section	.text._ZN7rocprim17ROCPRIM_400000_NS6detail17trampoline_kernelINS0_14default_configENS1_25partition_config_selectorILNS1_17partition_subalgoE9EttbEEZZNS1_14partition_implILS5_9ELb0ES3_jN6thrust23THRUST_200600_302600_NS6detail15normal_iteratorINS9_10device_ptrItEEEESE_PNS0_10empty_typeENS0_5tupleIJSE_SF_EEENSH_IJSE_SG_EEENS0_18inequality_wrapperI22is_equal_div_10_uniqueItEEEPmJSF_EEE10hipError_tPvRmT3_T4_T5_T6_T7_T9_mT8_P12ihipStream_tbDpT10_ENKUlT_T0_E_clISt17integral_constantIbLb1EES18_EEDaS13_S14_EUlS13_E_NS1_11comp_targetILNS1_3genE0ELNS1_11target_archE4294967295ELNS1_3gpuE0ELNS1_3repE0EEENS1_30default_config_static_selectorELNS0_4arch9wavefront6targetE0EEEvT1_,"axG",@progbits,_ZN7rocprim17ROCPRIM_400000_NS6detail17trampoline_kernelINS0_14default_configENS1_25partition_config_selectorILNS1_17partition_subalgoE9EttbEEZZNS1_14partition_implILS5_9ELb0ES3_jN6thrust23THRUST_200600_302600_NS6detail15normal_iteratorINS9_10device_ptrItEEEESE_PNS0_10empty_typeENS0_5tupleIJSE_SF_EEENSH_IJSE_SG_EEENS0_18inequality_wrapperI22is_equal_div_10_uniqueItEEEPmJSF_EEE10hipError_tPvRmT3_T4_T5_T6_T7_T9_mT8_P12ihipStream_tbDpT10_ENKUlT_T0_E_clISt17integral_constantIbLb1EES18_EEDaS13_S14_EUlS13_E_NS1_11comp_targetILNS1_3genE0ELNS1_11target_archE4294967295ELNS1_3gpuE0ELNS1_3repE0EEENS1_30default_config_static_selectorELNS0_4arch9wavefront6targetE0EEEvT1_,comdat
.Lfunc_end315:
	.size	_ZN7rocprim17ROCPRIM_400000_NS6detail17trampoline_kernelINS0_14default_configENS1_25partition_config_selectorILNS1_17partition_subalgoE9EttbEEZZNS1_14partition_implILS5_9ELb0ES3_jN6thrust23THRUST_200600_302600_NS6detail15normal_iteratorINS9_10device_ptrItEEEESE_PNS0_10empty_typeENS0_5tupleIJSE_SF_EEENSH_IJSE_SG_EEENS0_18inequality_wrapperI22is_equal_div_10_uniqueItEEEPmJSF_EEE10hipError_tPvRmT3_T4_T5_T6_T7_T9_mT8_P12ihipStream_tbDpT10_ENKUlT_T0_E_clISt17integral_constantIbLb1EES18_EEDaS13_S14_EUlS13_E_NS1_11comp_targetILNS1_3genE0ELNS1_11target_archE4294967295ELNS1_3gpuE0ELNS1_3repE0EEENS1_30default_config_static_selectorELNS0_4arch9wavefront6targetE0EEEvT1_, .Lfunc_end315-_ZN7rocprim17ROCPRIM_400000_NS6detail17trampoline_kernelINS0_14default_configENS1_25partition_config_selectorILNS1_17partition_subalgoE9EttbEEZZNS1_14partition_implILS5_9ELb0ES3_jN6thrust23THRUST_200600_302600_NS6detail15normal_iteratorINS9_10device_ptrItEEEESE_PNS0_10empty_typeENS0_5tupleIJSE_SF_EEENSH_IJSE_SG_EEENS0_18inequality_wrapperI22is_equal_div_10_uniqueItEEEPmJSF_EEE10hipError_tPvRmT3_T4_T5_T6_T7_T9_mT8_P12ihipStream_tbDpT10_ENKUlT_T0_E_clISt17integral_constantIbLb1EES18_EEDaS13_S14_EUlS13_E_NS1_11comp_targetILNS1_3genE0ELNS1_11target_archE4294967295ELNS1_3gpuE0ELNS1_3repE0EEENS1_30default_config_static_selectorELNS0_4arch9wavefront6targetE0EEEvT1_
                                        ; -- End function
	.section	.AMDGPU.csdata,"",@progbits
; Kernel info:
; codeLenInByte = 0
; NumSgprs: 0
; NumVgprs: 0
; ScratchSize: 0
; MemoryBound: 0
; FloatMode: 240
; IeeeMode: 1
; LDSByteSize: 0 bytes/workgroup (compile time only)
; SGPRBlocks: 0
; VGPRBlocks: 0
; NumSGPRsForWavesPerEU: 1
; NumVGPRsForWavesPerEU: 1
; Occupancy: 16
; WaveLimiterHint : 0
; COMPUTE_PGM_RSRC2:SCRATCH_EN: 0
; COMPUTE_PGM_RSRC2:USER_SGPR: 15
; COMPUTE_PGM_RSRC2:TRAP_HANDLER: 0
; COMPUTE_PGM_RSRC2:TGID_X_EN: 1
; COMPUTE_PGM_RSRC2:TGID_Y_EN: 0
; COMPUTE_PGM_RSRC2:TGID_Z_EN: 0
; COMPUTE_PGM_RSRC2:TIDIG_COMP_CNT: 0
	.section	.text._ZN7rocprim17ROCPRIM_400000_NS6detail17trampoline_kernelINS0_14default_configENS1_25partition_config_selectorILNS1_17partition_subalgoE9EttbEEZZNS1_14partition_implILS5_9ELb0ES3_jN6thrust23THRUST_200600_302600_NS6detail15normal_iteratorINS9_10device_ptrItEEEESE_PNS0_10empty_typeENS0_5tupleIJSE_SF_EEENSH_IJSE_SG_EEENS0_18inequality_wrapperI22is_equal_div_10_uniqueItEEEPmJSF_EEE10hipError_tPvRmT3_T4_T5_T6_T7_T9_mT8_P12ihipStream_tbDpT10_ENKUlT_T0_E_clISt17integral_constantIbLb1EES18_EEDaS13_S14_EUlS13_E_NS1_11comp_targetILNS1_3genE5ELNS1_11target_archE942ELNS1_3gpuE9ELNS1_3repE0EEENS1_30default_config_static_selectorELNS0_4arch9wavefront6targetE0EEEvT1_,"axG",@progbits,_ZN7rocprim17ROCPRIM_400000_NS6detail17trampoline_kernelINS0_14default_configENS1_25partition_config_selectorILNS1_17partition_subalgoE9EttbEEZZNS1_14partition_implILS5_9ELb0ES3_jN6thrust23THRUST_200600_302600_NS6detail15normal_iteratorINS9_10device_ptrItEEEESE_PNS0_10empty_typeENS0_5tupleIJSE_SF_EEENSH_IJSE_SG_EEENS0_18inequality_wrapperI22is_equal_div_10_uniqueItEEEPmJSF_EEE10hipError_tPvRmT3_T4_T5_T6_T7_T9_mT8_P12ihipStream_tbDpT10_ENKUlT_T0_E_clISt17integral_constantIbLb1EES18_EEDaS13_S14_EUlS13_E_NS1_11comp_targetILNS1_3genE5ELNS1_11target_archE942ELNS1_3gpuE9ELNS1_3repE0EEENS1_30default_config_static_selectorELNS0_4arch9wavefront6targetE0EEEvT1_,comdat
	.protected	_ZN7rocprim17ROCPRIM_400000_NS6detail17trampoline_kernelINS0_14default_configENS1_25partition_config_selectorILNS1_17partition_subalgoE9EttbEEZZNS1_14partition_implILS5_9ELb0ES3_jN6thrust23THRUST_200600_302600_NS6detail15normal_iteratorINS9_10device_ptrItEEEESE_PNS0_10empty_typeENS0_5tupleIJSE_SF_EEENSH_IJSE_SG_EEENS0_18inequality_wrapperI22is_equal_div_10_uniqueItEEEPmJSF_EEE10hipError_tPvRmT3_T4_T5_T6_T7_T9_mT8_P12ihipStream_tbDpT10_ENKUlT_T0_E_clISt17integral_constantIbLb1EES18_EEDaS13_S14_EUlS13_E_NS1_11comp_targetILNS1_3genE5ELNS1_11target_archE942ELNS1_3gpuE9ELNS1_3repE0EEENS1_30default_config_static_selectorELNS0_4arch9wavefront6targetE0EEEvT1_ ; -- Begin function _ZN7rocprim17ROCPRIM_400000_NS6detail17trampoline_kernelINS0_14default_configENS1_25partition_config_selectorILNS1_17partition_subalgoE9EttbEEZZNS1_14partition_implILS5_9ELb0ES3_jN6thrust23THRUST_200600_302600_NS6detail15normal_iteratorINS9_10device_ptrItEEEESE_PNS0_10empty_typeENS0_5tupleIJSE_SF_EEENSH_IJSE_SG_EEENS0_18inequality_wrapperI22is_equal_div_10_uniqueItEEEPmJSF_EEE10hipError_tPvRmT3_T4_T5_T6_T7_T9_mT8_P12ihipStream_tbDpT10_ENKUlT_T0_E_clISt17integral_constantIbLb1EES18_EEDaS13_S14_EUlS13_E_NS1_11comp_targetILNS1_3genE5ELNS1_11target_archE942ELNS1_3gpuE9ELNS1_3repE0EEENS1_30default_config_static_selectorELNS0_4arch9wavefront6targetE0EEEvT1_
	.globl	_ZN7rocprim17ROCPRIM_400000_NS6detail17trampoline_kernelINS0_14default_configENS1_25partition_config_selectorILNS1_17partition_subalgoE9EttbEEZZNS1_14partition_implILS5_9ELb0ES3_jN6thrust23THRUST_200600_302600_NS6detail15normal_iteratorINS9_10device_ptrItEEEESE_PNS0_10empty_typeENS0_5tupleIJSE_SF_EEENSH_IJSE_SG_EEENS0_18inequality_wrapperI22is_equal_div_10_uniqueItEEEPmJSF_EEE10hipError_tPvRmT3_T4_T5_T6_T7_T9_mT8_P12ihipStream_tbDpT10_ENKUlT_T0_E_clISt17integral_constantIbLb1EES18_EEDaS13_S14_EUlS13_E_NS1_11comp_targetILNS1_3genE5ELNS1_11target_archE942ELNS1_3gpuE9ELNS1_3repE0EEENS1_30default_config_static_selectorELNS0_4arch9wavefront6targetE0EEEvT1_
	.p2align	8
	.type	_ZN7rocprim17ROCPRIM_400000_NS6detail17trampoline_kernelINS0_14default_configENS1_25partition_config_selectorILNS1_17partition_subalgoE9EttbEEZZNS1_14partition_implILS5_9ELb0ES3_jN6thrust23THRUST_200600_302600_NS6detail15normal_iteratorINS9_10device_ptrItEEEESE_PNS0_10empty_typeENS0_5tupleIJSE_SF_EEENSH_IJSE_SG_EEENS0_18inequality_wrapperI22is_equal_div_10_uniqueItEEEPmJSF_EEE10hipError_tPvRmT3_T4_T5_T6_T7_T9_mT8_P12ihipStream_tbDpT10_ENKUlT_T0_E_clISt17integral_constantIbLb1EES18_EEDaS13_S14_EUlS13_E_NS1_11comp_targetILNS1_3genE5ELNS1_11target_archE942ELNS1_3gpuE9ELNS1_3repE0EEENS1_30default_config_static_selectorELNS0_4arch9wavefront6targetE0EEEvT1_,@function
_ZN7rocprim17ROCPRIM_400000_NS6detail17trampoline_kernelINS0_14default_configENS1_25partition_config_selectorILNS1_17partition_subalgoE9EttbEEZZNS1_14partition_implILS5_9ELb0ES3_jN6thrust23THRUST_200600_302600_NS6detail15normal_iteratorINS9_10device_ptrItEEEESE_PNS0_10empty_typeENS0_5tupleIJSE_SF_EEENSH_IJSE_SG_EEENS0_18inequality_wrapperI22is_equal_div_10_uniqueItEEEPmJSF_EEE10hipError_tPvRmT3_T4_T5_T6_T7_T9_mT8_P12ihipStream_tbDpT10_ENKUlT_T0_E_clISt17integral_constantIbLb1EES18_EEDaS13_S14_EUlS13_E_NS1_11comp_targetILNS1_3genE5ELNS1_11target_archE942ELNS1_3gpuE9ELNS1_3repE0EEENS1_30default_config_static_selectorELNS0_4arch9wavefront6targetE0EEEvT1_: ; @_ZN7rocprim17ROCPRIM_400000_NS6detail17trampoline_kernelINS0_14default_configENS1_25partition_config_selectorILNS1_17partition_subalgoE9EttbEEZZNS1_14partition_implILS5_9ELb0ES3_jN6thrust23THRUST_200600_302600_NS6detail15normal_iteratorINS9_10device_ptrItEEEESE_PNS0_10empty_typeENS0_5tupleIJSE_SF_EEENSH_IJSE_SG_EEENS0_18inequality_wrapperI22is_equal_div_10_uniqueItEEEPmJSF_EEE10hipError_tPvRmT3_T4_T5_T6_T7_T9_mT8_P12ihipStream_tbDpT10_ENKUlT_T0_E_clISt17integral_constantIbLb1EES18_EEDaS13_S14_EUlS13_E_NS1_11comp_targetILNS1_3genE5ELNS1_11target_archE942ELNS1_3gpuE9ELNS1_3repE0EEENS1_30default_config_static_selectorELNS0_4arch9wavefront6targetE0EEEvT1_
; %bb.0:
	.section	.rodata,"a",@progbits
	.p2align	6, 0x0
	.amdhsa_kernel _ZN7rocprim17ROCPRIM_400000_NS6detail17trampoline_kernelINS0_14default_configENS1_25partition_config_selectorILNS1_17partition_subalgoE9EttbEEZZNS1_14partition_implILS5_9ELb0ES3_jN6thrust23THRUST_200600_302600_NS6detail15normal_iteratorINS9_10device_ptrItEEEESE_PNS0_10empty_typeENS0_5tupleIJSE_SF_EEENSH_IJSE_SG_EEENS0_18inequality_wrapperI22is_equal_div_10_uniqueItEEEPmJSF_EEE10hipError_tPvRmT3_T4_T5_T6_T7_T9_mT8_P12ihipStream_tbDpT10_ENKUlT_T0_E_clISt17integral_constantIbLb1EES18_EEDaS13_S14_EUlS13_E_NS1_11comp_targetILNS1_3genE5ELNS1_11target_archE942ELNS1_3gpuE9ELNS1_3repE0EEENS1_30default_config_static_selectorELNS0_4arch9wavefront6targetE0EEEvT1_
		.amdhsa_group_segment_fixed_size 0
		.amdhsa_private_segment_fixed_size 0
		.amdhsa_kernarg_size 128
		.amdhsa_user_sgpr_count 15
		.amdhsa_user_sgpr_dispatch_ptr 0
		.amdhsa_user_sgpr_queue_ptr 0
		.amdhsa_user_sgpr_kernarg_segment_ptr 1
		.amdhsa_user_sgpr_dispatch_id 0
		.amdhsa_user_sgpr_private_segment_size 0
		.amdhsa_wavefront_size32 1
		.amdhsa_uses_dynamic_stack 0
		.amdhsa_enable_private_segment 0
		.amdhsa_system_sgpr_workgroup_id_x 1
		.amdhsa_system_sgpr_workgroup_id_y 0
		.amdhsa_system_sgpr_workgroup_id_z 0
		.amdhsa_system_sgpr_workgroup_info 0
		.amdhsa_system_vgpr_workitem_id 0
		.amdhsa_next_free_vgpr 1
		.amdhsa_next_free_sgpr 1
		.amdhsa_reserve_vcc 0
		.amdhsa_float_round_mode_32 0
		.amdhsa_float_round_mode_16_64 0
		.amdhsa_float_denorm_mode_32 3
		.amdhsa_float_denorm_mode_16_64 3
		.amdhsa_dx10_clamp 1
		.amdhsa_ieee_mode 1
		.amdhsa_fp16_overflow 0
		.amdhsa_workgroup_processor_mode 1
		.amdhsa_memory_ordered 1
		.amdhsa_forward_progress 0
		.amdhsa_shared_vgpr_count 0
		.amdhsa_exception_fp_ieee_invalid_op 0
		.amdhsa_exception_fp_denorm_src 0
		.amdhsa_exception_fp_ieee_div_zero 0
		.amdhsa_exception_fp_ieee_overflow 0
		.amdhsa_exception_fp_ieee_underflow 0
		.amdhsa_exception_fp_ieee_inexact 0
		.amdhsa_exception_int_div_zero 0
	.end_amdhsa_kernel
	.section	.text._ZN7rocprim17ROCPRIM_400000_NS6detail17trampoline_kernelINS0_14default_configENS1_25partition_config_selectorILNS1_17partition_subalgoE9EttbEEZZNS1_14partition_implILS5_9ELb0ES3_jN6thrust23THRUST_200600_302600_NS6detail15normal_iteratorINS9_10device_ptrItEEEESE_PNS0_10empty_typeENS0_5tupleIJSE_SF_EEENSH_IJSE_SG_EEENS0_18inequality_wrapperI22is_equal_div_10_uniqueItEEEPmJSF_EEE10hipError_tPvRmT3_T4_T5_T6_T7_T9_mT8_P12ihipStream_tbDpT10_ENKUlT_T0_E_clISt17integral_constantIbLb1EES18_EEDaS13_S14_EUlS13_E_NS1_11comp_targetILNS1_3genE5ELNS1_11target_archE942ELNS1_3gpuE9ELNS1_3repE0EEENS1_30default_config_static_selectorELNS0_4arch9wavefront6targetE0EEEvT1_,"axG",@progbits,_ZN7rocprim17ROCPRIM_400000_NS6detail17trampoline_kernelINS0_14default_configENS1_25partition_config_selectorILNS1_17partition_subalgoE9EttbEEZZNS1_14partition_implILS5_9ELb0ES3_jN6thrust23THRUST_200600_302600_NS6detail15normal_iteratorINS9_10device_ptrItEEEESE_PNS0_10empty_typeENS0_5tupleIJSE_SF_EEENSH_IJSE_SG_EEENS0_18inequality_wrapperI22is_equal_div_10_uniqueItEEEPmJSF_EEE10hipError_tPvRmT3_T4_T5_T6_T7_T9_mT8_P12ihipStream_tbDpT10_ENKUlT_T0_E_clISt17integral_constantIbLb1EES18_EEDaS13_S14_EUlS13_E_NS1_11comp_targetILNS1_3genE5ELNS1_11target_archE942ELNS1_3gpuE9ELNS1_3repE0EEENS1_30default_config_static_selectorELNS0_4arch9wavefront6targetE0EEEvT1_,comdat
.Lfunc_end316:
	.size	_ZN7rocprim17ROCPRIM_400000_NS6detail17trampoline_kernelINS0_14default_configENS1_25partition_config_selectorILNS1_17partition_subalgoE9EttbEEZZNS1_14partition_implILS5_9ELb0ES3_jN6thrust23THRUST_200600_302600_NS6detail15normal_iteratorINS9_10device_ptrItEEEESE_PNS0_10empty_typeENS0_5tupleIJSE_SF_EEENSH_IJSE_SG_EEENS0_18inequality_wrapperI22is_equal_div_10_uniqueItEEEPmJSF_EEE10hipError_tPvRmT3_T4_T5_T6_T7_T9_mT8_P12ihipStream_tbDpT10_ENKUlT_T0_E_clISt17integral_constantIbLb1EES18_EEDaS13_S14_EUlS13_E_NS1_11comp_targetILNS1_3genE5ELNS1_11target_archE942ELNS1_3gpuE9ELNS1_3repE0EEENS1_30default_config_static_selectorELNS0_4arch9wavefront6targetE0EEEvT1_, .Lfunc_end316-_ZN7rocprim17ROCPRIM_400000_NS6detail17trampoline_kernelINS0_14default_configENS1_25partition_config_selectorILNS1_17partition_subalgoE9EttbEEZZNS1_14partition_implILS5_9ELb0ES3_jN6thrust23THRUST_200600_302600_NS6detail15normal_iteratorINS9_10device_ptrItEEEESE_PNS0_10empty_typeENS0_5tupleIJSE_SF_EEENSH_IJSE_SG_EEENS0_18inequality_wrapperI22is_equal_div_10_uniqueItEEEPmJSF_EEE10hipError_tPvRmT3_T4_T5_T6_T7_T9_mT8_P12ihipStream_tbDpT10_ENKUlT_T0_E_clISt17integral_constantIbLb1EES18_EEDaS13_S14_EUlS13_E_NS1_11comp_targetILNS1_3genE5ELNS1_11target_archE942ELNS1_3gpuE9ELNS1_3repE0EEENS1_30default_config_static_selectorELNS0_4arch9wavefront6targetE0EEEvT1_
                                        ; -- End function
	.section	.AMDGPU.csdata,"",@progbits
; Kernel info:
; codeLenInByte = 0
; NumSgprs: 0
; NumVgprs: 0
; ScratchSize: 0
; MemoryBound: 0
; FloatMode: 240
; IeeeMode: 1
; LDSByteSize: 0 bytes/workgroup (compile time only)
; SGPRBlocks: 0
; VGPRBlocks: 0
; NumSGPRsForWavesPerEU: 1
; NumVGPRsForWavesPerEU: 1
; Occupancy: 16
; WaveLimiterHint : 0
; COMPUTE_PGM_RSRC2:SCRATCH_EN: 0
; COMPUTE_PGM_RSRC2:USER_SGPR: 15
; COMPUTE_PGM_RSRC2:TRAP_HANDLER: 0
; COMPUTE_PGM_RSRC2:TGID_X_EN: 1
; COMPUTE_PGM_RSRC2:TGID_Y_EN: 0
; COMPUTE_PGM_RSRC2:TGID_Z_EN: 0
; COMPUTE_PGM_RSRC2:TIDIG_COMP_CNT: 0
	.section	.text._ZN7rocprim17ROCPRIM_400000_NS6detail17trampoline_kernelINS0_14default_configENS1_25partition_config_selectorILNS1_17partition_subalgoE9EttbEEZZNS1_14partition_implILS5_9ELb0ES3_jN6thrust23THRUST_200600_302600_NS6detail15normal_iteratorINS9_10device_ptrItEEEESE_PNS0_10empty_typeENS0_5tupleIJSE_SF_EEENSH_IJSE_SG_EEENS0_18inequality_wrapperI22is_equal_div_10_uniqueItEEEPmJSF_EEE10hipError_tPvRmT3_T4_T5_T6_T7_T9_mT8_P12ihipStream_tbDpT10_ENKUlT_T0_E_clISt17integral_constantIbLb1EES18_EEDaS13_S14_EUlS13_E_NS1_11comp_targetILNS1_3genE4ELNS1_11target_archE910ELNS1_3gpuE8ELNS1_3repE0EEENS1_30default_config_static_selectorELNS0_4arch9wavefront6targetE0EEEvT1_,"axG",@progbits,_ZN7rocprim17ROCPRIM_400000_NS6detail17trampoline_kernelINS0_14default_configENS1_25partition_config_selectorILNS1_17partition_subalgoE9EttbEEZZNS1_14partition_implILS5_9ELb0ES3_jN6thrust23THRUST_200600_302600_NS6detail15normal_iteratorINS9_10device_ptrItEEEESE_PNS0_10empty_typeENS0_5tupleIJSE_SF_EEENSH_IJSE_SG_EEENS0_18inequality_wrapperI22is_equal_div_10_uniqueItEEEPmJSF_EEE10hipError_tPvRmT3_T4_T5_T6_T7_T9_mT8_P12ihipStream_tbDpT10_ENKUlT_T0_E_clISt17integral_constantIbLb1EES18_EEDaS13_S14_EUlS13_E_NS1_11comp_targetILNS1_3genE4ELNS1_11target_archE910ELNS1_3gpuE8ELNS1_3repE0EEENS1_30default_config_static_selectorELNS0_4arch9wavefront6targetE0EEEvT1_,comdat
	.protected	_ZN7rocprim17ROCPRIM_400000_NS6detail17trampoline_kernelINS0_14default_configENS1_25partition_config_selectorILNS1_17partition_subalgoE9EttbEEZZNS1_14partition_implILS5_9ELb0ES3_jN6thrust23THRUST_200600_302600_NS6detail15normal_iteratorINS9_10device_ptrItEEEESE_PNS0_10empty_typeENS0_5tupleIJSE_SF_EEENSH_IJSE_SG_EEENS0_18inequality_wrapperI22is_equal_div_10_uniqueItEEEPmJSF_EEE10hipError_tPvRmT3_T4_T5_T6_T7_T9_mT8_P12ihipStream_tbDpT10_ENKUlT_T0_E_clISt17integral_constantIbLb1EES18_EEDaS13_S14_EUlS13_E_NS1_11comp_targetILNS1_3genE4ELNS1_11target_archE910ELNS1_3gpuE8ELNS1_3repE0EEENS1_30default_config_static_selectorELNS0_4arch9wavefront6targetE0EEEvT1_ ; -- Begin function _ZN7rocprim17ROCPRIM_400000_NS6detail17trampoline_kernelINS0_14default_configENS1_25partition_config_selectorILNS1_17partition_subalgoE9EttbEEZZNS1_14partition_implILS5_9ELb0ES3_jN6thrust23THRUST_200600_302600_NS6detail15normal_iteratorINS9_10device_ptrItEEEESE_PNS0_10empty_typeENS0_5tupleIJSE_SF_EEENSH_IJSE_SG_EEENS0_18inequality_wrapperI22is_equal_div_10_uniqueItEEEPmJSF_EEE10hipError_tPvRmT3_T4_T5_T6_T7_T9_mT8_P12ihipStream_tbDpT10_ENKUlT_T0_E_clISt17integral_constantIbLb1EES18_EEDaS13_S14_EUlS13_E_NS1_11comp_targetILNS1_3genE4ELNS1_11target_archE910ELNS1_3gpuE8ELNS1_3repE0EEENS1_30default_config_static_selectorELNS0_4arch9wavefront6targetE0EEEvT1_
	.globl	_ZN7rocprim17ROCPRIM_400000_NS6detail17trampoline_kernelINS0_14default_configENS1_25partition_config_selectorILNS1_17partition_subalgoE9EttbEEZZNS1_14partition_implILS5_9ELb0ES3_jN6thrust23THRUST_200600_302600_NS6detail15normal_iteratorINS9_10device_ptrItEEEESE_PNS0_10empty_typeENS0_5tupleIJSE_SF_EEENSH_IJSE_SG_EEENS0_18inequality_wrapperI22is_equal_div_10_uniqueItEEEPmJSF_EEE10hipError_tPvRmT3_T4_T5_T6_T7_T9_mT8_P12ihipStream_tbDpT10_ENKUlT_T0_E_clISt17integral_constantIbLb1EES18_EEDaS13_S14_EUlS13_E_NS1_11comp_targetILNS1_3genE4ELNS1_11target_archE910ELNS1_3gpuE8ELNS1_3repE0EEENS1_30default_config_static_selectorELNS0_4arch9wavefront6targetE0EEEvT1_
	.p2align	8
	.type	_ZN7rocprim17ROCPRIM_400000_NS6detail17trampoline_kernelINS0_14default_configENS1_25partition_config_selectorILNS1_17partition_subalgoE9EttbEEZZNS1_14partition_implILS5_9ELb0ES3_jN6thrust23THRUST_200600_302600_NS6detail15normal_iteratorINS9_10device_ptrItEEEESE_PNS0_10empty_typeENS0_5tupleIJSE_SF_EEENSH_IJSE_SG_EEENS0_18inequality_wrapperI22is_equal_div_10_uniqueItEEEPmJSF_EEE10hipError_tPvRmT3_T4_T5_T6_T7_T9_mT8_P12ihipStream_tbDpT10_ENKUlT_T0_E_clISt17integral_constantIbLb1EES18_EEDaS13_S14_EUlS13_E_NS1_11comp_targetILNS1_3genE4ELNS1_11target_archE910ELNS1_3gpuE8ELNS1_3repE0EEENS1_30default_config_static_selectorELNS0_4arch9wavefront6targetE0EEEvT1_,@function
_ZN7rocprim17ROCPRIM_400000_NS6detail17trampoline_kernelINS0_14default_configENS1_25partition_config_selectorILNS1_17partition_subalgoE9EttbEEZZNS1_14partition_implILS5_9ELb0ES3_jN6thrust23THRUST_200600_302600_NS6detail15normal_iteratorINS9_10device_ptrItEEEESE_PNS0_10empty_typeENS0_5tupleIJSE_SF_EEENSH_IJSE_SG_EEENS0_18inequality_wrapperI22is_equal_div_10_uniqueItEEEPmJSF_EEE10hipError_tPvRmT3_T4_T5_T6_T7_T9_mT8_P12ihipStream_tbDpT10_ENKUlT_T0_E_clISt17integral_constantIbLb1EES18_EEDaS13_S14_EUlS13_E_NS1_11comp_targetILNS1_3genE4ELNS1_11target_archE910ELNS1_3gpuE8ELNS1_3repE0EEENS1_30default_config_static_selectorELNS0_4arch9wavefront6targetE0EEEvT1_: ; @_ZN7rocprim17ROCPRIM_400000_NS6detail17trampoline_kernelINS0_14default_configENS1_25partition_config_selectorILNS1_17partition_subalgoE9EttbEEZZNS1_14partition_implILS5_9ELb0ES3_jN6thrust23THRUST_200600_302600_NS6detail15normal_iteratorINS9_10device_ptrItEEEESE_PNS0_10empty_typeENS0_5tupleIJSE_SF_EEENSH_IJSE_SG_EEENS0_18inequality_wrapperI22is_equal_div_10_uniqueItEEEPmJSF_EEE10hipError_tPvRmT3_T4_T5_T6_T7_T9_mT8_P12ihipStream_tbDpT10_ENKUlT_T0_E_clISt17integral_constantIbLb1EES18_EEDaS13_S14_EUlS13_E_NS1_11comp_targetILNS1_3genE4ELNS1_11target_archE910ELNS1_3gpuE8ELNS1_3repE0EEENS1_30default_config_static_selectorELNS0_4arch9wavefront6targetE0EEEvT1_
; %bb.0:
	.section	.rodata,"a",@progbits
	.p2align	6, 0x0
	.amdhsa_kernel _ZN7rocprim17ROCPRIM_400000_NS6detail17trampoline_kernelINS0_14default_configENS1_25partition_config_selectorILNS1_17partition_subalgoE9EttbEEZZNS1_14partition_implILS5_9ELb0ES3_jN6thrust23THRUST_200600_302600_NS6detail15normal_iteratorINS9_10device_ptrItEEEESE_PNS0_10empty_typeENS0_5tupleIJSE_SF_EEENSH_IJSE_SG_EEENS0_18inequality_wrapperI22is_equal_div_10_uniqueItEEEPmJSF_EEE10hipError_tPvRmT3_T4_T5_T6_T7_T9_mT8_P12ihipStream_tbDpT10_ENKUlT_T0_E_clISt17integral_constantIbLb1EES18_EEDaS13_S14_EUlS13_E_NS1_11comp_targetILNS1_3genE4ELNS1_11target_archE910ELNS1_3gpuE8ELNS1_3repE0EEENS1_30default_config_static_selectorELNS0_4arch9wavefront6targetE0EEEvT1_
		.amdhsa_group_segment_fixed_size 0
		.amdhsa_private_segment_fixed_size 0
		.amdhsa_kernarg_size 128
		.amdhsa_user_sgpr_count 15
		.amdhsa_user_sgpr_dispatch_ptr 0
		.amdhsa_user_sgpr_queue_ptr 0
		.amdhsa_user_sgpr_kernarg_segment_ptr 1
		.amdhsa_user_sgpr_dispatch_id 0
		.amdhsa_user_sgpr_private_segment_size 0
		.amdhsa_wavefront_size32 1
		.amdhsa_uses_dynamic_stack 0
		.amdhsa_enable_private_segment 0
		.amdhsa_system_sgpr_workgroup_id_x 1
		.amdhsa_system_sgpr_workgroup_id_y 0
		.amdhsa_system_sgpr_workgroup_id_z 0
		.amdhsa_system_sgpr_workgroup_info 0
		.amdhsa_system_vgpr_workitem_id 0
		.amdhsa_next_free_vgpr 1
		.amdhsa_next_free_sgpr 1
		.amdhsa_reserve_vcc 0
		.amdhsa_float_round_mode_32 0
		.amdhsa_float_round_mode_16_64 0
		.amdhsa_float_denorm_mode_32 3
		.amdhsa_float_denorm_mode_16_64 3
		.amdhsa_dx10_clamp 1
		.amdhsa_ieee_mode 1
		.amdhsa_fp16_overflow 0
		.amdhsa_workgroup_processor_mode 1
		.amdhsa_memory_ordered 1
		.amdhsa_forward_progress 0
		.amdhsa_shared_vgpr_count 0
		.amdhsa_exception_fp_ieee_invalid_op 0
		.amdhsa_exception_fp_denorm_src 0
		.amdhsa_exception_fp_ieee_div_zero 0
		.amdhsa_exception_fp_ieee_overflow 0
		.amdhsa_exception_fp_ieee_underflow 0
		.amdhsa_exception_fp_ieee_inexact 0
		.amdhsa_exception_int_div_zero 0
	.end_amdhsa_kernel
	.section	.text._ZN7rocprim17ROCPRIM_400000_NS6detail17trampoline_kernelINS0_14default_configENS1_25partition_config_selectorILNS1_17partition_subalgoE9EttbEEZZNS1_14partition_implILS5_9ELb0ES3_jN6thrust23THRUST_200600_302600_NS6detail15normal_iteratorINS9_10device_ptrItEEEESE_PNS0_10empty_typeENS0_5tupleIJSE_SF_EEENSH_IJSE_SG_EEENS0_18inequality_wrapperI22is_equal_div_10_uniqueItEEEPmJSF_EEE10hipError_tPvRmT3_T4_T5_T6_T7_T9_mT8_P12ihipStream_tbDpT10_ENKUlT_T0_E_clISt17integral_constantIbLb1EES18_EEDaS13_S14_EUlS13_E_NS1_11comp_targetILNS1_3genE4ELNS1_11target_archE910ELNS1_3gpuE8ELNS1_3repE0EEENS1_30default_config_static_selectorELNS0_4arch9wavefront6targetE0EEEvT1_,"axG",@progbits,_ZN7rocprim17ROCPRIM_400000_NS6detail17trampoline_kernelINS0_14default_configENS1_25partition_config_selectorILNS1_17partition_subalgoE9EttbEEZZNS1_14partition_implILS5_9ELb0ES3_jN6thrust23THRUST_200600_302600_NS6detail15normal_iteratorINS9_10device_ptrItEEEESE_PNS0_10empty_typeENS0_5tupleIJSE_SF_EEENSH_IJSE_SG_EEENS0_18inequality_wrapperI22is_equal_div_10_uniqueItEEEPmJSF_EEE10hipError_tPvRmT3_T4_T5_T6_T7_T9_mT8_P12ihipStream_tbDpT10_ENKUlT_T0_E_clISt17integral_constantIbLb1EES18_EEDaS13_S14_EUlS13_E_NS1_11comp_targetILNS1_3genE4ELNS1_11target_archE910ELNS1_3gpuE8ELNS1_3repE0EEENS1_30default_config_static_selectorELNS0_4arch9wavefront6targetE0EEEvT1_,comdat
.Lfunc_end317:
	.size	_ZN7rocprim17ROCPRIM_400000_NS6detail17trampoline_kernelINS0_14default_configENS1_25partition_config_selectorILNS1_17partition_subalgoE9EttbEEZZNS1_14partition_implILS5_9ELb0ES3_jN6thrust23THRUST_200600_302600_NS6detail15normal_iteratorINS9_10device_ptrItEEEESE_PNS0_10empty_typeENS0_5tupleIJSE_SF_EEENSH_IJSE_SG_EEENS0_18inequality_wrapperI22is_equal_div_10_uniqueItEEEPmJSF_EEE10hipError_tPvRmT3_T4_T5_T6_T7_T9_mT8_P12ihipStream_tbDpT10_ENKUlT_T0_E_clISt17integral_constantIbLb1EES18_EEDaS13_S14_EUlS13_E_NS1_11comp_targetILNS1_3genE4ELNS1_11target_archE910ELNS1_3gpuE8ELNS1_3repE0EEENS1_30default_config_static_selectorELNS0_4arch9wavefront6targetE0EEEvT1_, .Lfunc_end317-_ZN7rocprim17ROCPRIM_400000_NS6detail17trampoline_kernelINS0_14default_configENS1_25partition_config_selectorILNS1_17partition_subalgoE9EttbEEZZNS1_14partition_implILS5_9ELb0ES3_jN6thrust23THRUST_200600_302600_NS6detail15normal_iteratorINS9_10device_ptrItEEEESE_PNS0_10empty_typeENS0_5tupleIJSE_SF_EEENSH_IJSE_SG_EEENS0_18inequality_wrapperI22is_equal_div_10_uniqueItEEEPmJSF_EEE10hipError_tPvRmT3_T4_T5_T6_T7_T9_mT8_P12ihipStream_tbDpT10_ENKUlT_T0_E_clISt17integral_constantIbLb1EES18_EEDaS13_S14_EUlS13_E_NS1_11comp_targetILNS1_3genE4ELNS1_11target_archE910ELNS1_3gpuE8ELNS1_3repE0EEENS1_30default_config_static_selectorELNS0_4arch9wavefront6targetE0EEEvT1_
                                        ; -- End function
	.section	.AMDGPU.csdata,"",@progbits
; Kernel info:
; codeLenInByte = 0
; NumSgprs: 0
; NumVgprs: 0
; ScratchSize: 0
; MemoryBound: 0
; FloatMode: 240
; IeeeMode: 1
; LDSByteSize: 0 bytes/workgroup (compile time only)
; SGPRBlocks: 0
; VGPRBlocks: 0
; NumSGPRsForWavesPerEU: 1
; NumVGPRsForWavesPerEU: 1
; Occupancy: 16
; WaveLimiterHint : 0
; COMPUTE_PGM_RSRC2:SCRATCH_EN: 0
; COMPUTE_PGM_RSRC2:USER_SGPR: 15
; COMPUTE_PGM_RSRC2:TRAP_HANDLER: 0
; COMPUTE_PGM_RSRC2:TGID_X_EN: 1
; COMPUTE_PGM_RSRC2:TGID_Y_EN: 0
; COMPUTE_PGM_RSRC2:TGID_Z_EN: 0
; COMPUTE_PGM_RSRC2:TIDIG_COMP_CNT: 0
	.section	.text._ZN7rocprim17ROCPRIM_400000_NS6detail17trampoline_kernelINS0_14default_configENS1_25partition_config_selectorILNS1_17partition_subalgoE9EttbEEZZNS1_14partition_implILS5_9ELb0ES3_jN6thrust23THRUST_200600_302600_NS6detail15normal_iteratorINS9_10device_ptrItEEEESE_PNS0_10empty_typeENS0_5tupleIJSE_SF_EEENSH_IJSE_SG_EEENS0_18inequality_wrapperI22is_equal_div_10_uniqueItEEEPmJSF_EEE10hipError_tPvRmT3_T4_T5_T6_T7_T9_mT8_P12ihipStream_tbDpT10_ENKUlT_T0_E_clISt17integral_constantIbLb1EES18_EEDaS13_S14_EUlS13_E_NS1_11comp_targetILNS1_3genE3ELNS1_11target_archE908ELNS1_3gpuE7ELNS1_3repE0EEENS1_30default_config_static_selectorELNS0_4arch9wavefront6targetE0EEEvT1_,"axG",@progbits,_ZN7rocprim17ROCPRIM_400000_NS6detail17trampoline_kernelINS0_14default_configENS1_25partition_config_selectorILNS1_17partition_subalgoE9EttbEEZZNS1_14partition_implILS5_9ELb0ES3_jN6thrust23THRUST_200600_302600_NS6detail15normal_iteratorINS9_10device_ptrItEEEESE_PNS0_10empty_typeENS0_5tupleIJSE_SF_EEENSH_IJSE_SG_EEENS0_18inequality_wrapperI22is_equal_div_10_uniqueItEEEPmJSF_EEE10hipError_tPvRmT3_T4_T5_T6_T7_T9_mT8_P12ihipStream_tbDpT10_ENKUlT_T0_E_clISt17integral_constantIbLb1EES18_EEDaS13_S14_EUlS13_E_NS1_11comp_targetILNS1_3genE3ELNS1_11target_archE908ELNS1_3gpuE7ELNS1_3repE0EEENS1_30default_config_static_selectorELNS0_4arch9wavefront6targetE0EEEvT1_,comdat
	.protected	_ZN7rocprim17ROCPRIM_400000_NS6detail17trampoline_kernelINS0_14default_configENS1_25partition_config_selectorILNS1_17partition_subalgoE9EttbEEZZNS1_14partition_implILS5_9ELb0ES3_jN6thrust23THRUST_200600_302600_NS6detail15normal_iteratorINS9_10device_ptrItEEEESE_PNS0_10empty_typeENS0_5tupleIJSE_SF_EEENSH_IJSE_SG_EEENS0_18inequality_wrapperI22is_equal_div_10_uniqueItEEEPmJSF_EEE10hipError_tPvRmT3_T4_T5_T6_T7_T9_mT8_P12ihipStream_tbDpT10_ENKUlT_T0_E_clISt17integral_constantIbLb1EES18_EEDaS13_S14_EUlS13_E_NS1_11comp_targetILNS1_3genE3ELNS1_11target_archE908ELNS1_3gpuE7ELNS1_3repE0EEENS1_30default_config_static_selectorELNS0_4arch9wavefront6targetE0EEEvT1_ ; -- Begin function _ZN7rocprim17ROCPRIM_400000_NS6detail17trampoline_kernelINS0_14default_configENS1_25partition_config_selectorILNS1_17partition_subalgoE9EttbEEZZNS1_14partition_implILS5_9ELb0ES3_jN6thrust23THRUST_200600_302600_NS6detail15normal_iteratorINS9_10device_ptrItEEEESE_PNS0_10empty_typeENS0_5tupleIJSE_SF_EEENSH_IJSE_SG_EEENS0_18inequality_wrapperI22is_equal_div_10_uniqueItEEEPmJSF_EEE10hipError_tPvRmT3_T4_T5_T6_T7_T9_mT8_P12ihipStream_tbDpT10_ENKUlT_T0_E_clISt17integral_constantIbLb1EES18_EEDaS13_S14_EUlS13_E_NS1_11comp_targetILNS1_3genE3ELNS1_11target_archE908ELNS1_3gpuE7ELNS1_3repE0EEENS1_30default_config_static_selectorELNS0_4arch9wavefront6targetE0EEEvT1_
	.globl	_ZN7rocprim17ROCPRIM_400000_NS6detail17trampoline_kernelINS0_14default_configENS1_25partition_config_selectorILNS1_17partition_subalgoE9EttbEEZZNS1_14partition_implILS5_9ELb0ES3_jN6thrust23THRUST_200600_302600_NS6detail15normal_iteratorINS9_10device_ptrItEEEESE_PNS0_10empty_typeENS0_5tupleIJSE_SF_EEENSH_IJSE_SG_EEENS0_18inequality_wrapperI22is_equal_div_10_uniqueItEEEPmJSF_EEE10hipError_tPvRmT3_T4_T5_T6_T7_T9_mT8_P12ihipStream_tbDpT10_ENKUlT_T0_E_clISt17integral_constantIbLb1EES18_EEDaS13_S14_EUlS13_E_NS1_11comp_targetILNS1_3genE3ELNS1_11target_archE908ELNS1_3gpuE7ELNS1_3repE0EEENS1_30default_config_static_selectorELNS0_4arch9wavefront6targetE0EEEvT1_
	.p2align	8
	.type	_ZN7rocprim17ROCPRIM_400000_NS6detail17trampoline_kernelINS0_14default_configENS1_25partition_config_selectorILNS1_17partition_subalgoE9EttbEEZZNS1_14partition_implILS5_9ELb0ES3_jN6thrust23THRUST_200600_302600_NS6detail15normal_iteratorINS9_10device_ptrItEEEESE_PNS0_10empty_typeENS0_5tupleIJSE_SF_EEENSH_IJSE_SG_EEENS0_18inequality_wrapperI22is_equal_div_10_uniqueItEEEPmJSF_EEE10hipError_tPvRmT3_T4_T5_T6_T7_T9_mT8_P12ihipStream_tbDpT10_ENKUlT_T0_E_clISt17integral_constantIbLb1EES18_EEDaS13_S14_EUlS13_E_NS1_11comp_targetILNS1_3genE3ELNS1_11target_archE908ELNS1_3gpuE7ELNS1_3repE0EEENS1_30default_config_static_selectorELNS0_4arch9wavefront6targetE0EEEvT1_,@function
_ZN7rocprim17ROCPRIM_400000_NS6detail17trampoline_kernelINS0_14default_configENS1_25partition_config_selectorILNS1_17partition_subalgoE9EttbEEZZNS1_14partition_implILS5_9ELb0ES3_jN6thrust23THRUST_200600_302600_NS6detail15normal_iteratorINS9_10device_ptrItEEEESE_PNS0_10empty_typeENS0_5tupleIJSE_SF_EEENSH_IJSE_SG_EEENS0_18inequality_wrapperI22is_equal_div_10_uniqueItEEEPmJSF_EEE10hipError_tPvRmT3_T4_T5_T6_T7_T9_mT8_P12ihipStream_tbDpT10_ENKUlT_T0_E_clISt17integral_constantIbLb1EES18_EEDaS13_S14_EUlS13_E_NS1_11comp_targetILNS1_3genE3ELNS1_11target_archE908ELNS1_3gpuE7ELNS1_3repE0EEENS1_30default_config_static_selectorELNS0_4arch9wavefront6targetE0EEEvT1_: ; @_ZN7rocprim17ROCPRIM_400000_NS6detail17trampoline_kernelINS0_14default_configENS1_25partition_config_selectorILNS1_17partition_subalgoE9EttbEEZZNS1_14partition_implILS5_9ELb0ES3_jN6thrust23THRUST_200600_302600_NS6detail15normal_iteratorINS9_10device_ptrItEEEESE_PNS0_10empty_typeENS0_5tupleIJSE_SF_EEENSH_IJSE_SG_EEENS0_18inequality_wrapperI22is_equal_div_10_uniqueItEEEPmJSF_EEE10hipError_tPvRmT3_T4_T5_T6_T7_T9_mT8_P12ihipStream_tbDpT10_ENKUlT_T0_E_clISt17integral_constantIbLb1EES18_EEDaS13_S14_EUlS13_E_NS1_11comp_targetILNS1_3genE3ELNS1_11target_archE908ELNS1_3gpuE7ELNS1_3repE0EEENS1_30default_config_static_selectorELNS0_4arch9wavefront6targetE0EEEvT1_
; %bb.0:
	.section	.rodata,"a",@progbits
	.p2align	6, 0x0
	.amdhsa_kernel _ZN7rocprim17ROCPRIM_400000_NS6detail17trampoline_kernelINS0_14default_configENS1_25partition_config_selectorILNS1_17partition_subalgoE9EttbEEZZNS1_14partition_implILS5_9ELb0ES3_jN6thrust23THRUST_200600_302600_NS6detail15normal_iteratorINS9_10device_ptrItEEEESE_PNS0_10empty_typeENS0_5tupleIJSE_SF_EEENSH_IJSE_SG_EEENS0_18inequality_wrapperI22is_equal_div_10_uniqueItEEEPmJSF_EEE10hipError_tPvRmT3_T4_T5_T6_T7_T9_mT8_P12ihipStream_tbDpT10_ENKUlT_T0_E_clISt17integral_constantIbLb1EES18_EEDaS13_S14_EUlS13_E_NS1_11comp_targetILNS1_3genE3ELNS1_11target_archE908ELNS1_3gpuE7ELNS1_3repE0EEENS1_30default_config_static_selectorELNS0_4arch9wavefront6targetE0EEEvT1_
		.amdhsa_group_segment_fixed_size 0
		.amdhsa_private_segment_fixed_size 0
		.amdhsa_kernarg_size 128
		.amdhsa_user_sgpr_count 15
		.amdhsa_user_sgpr_dispatch_ptr 0
		.amdhsa_user_sgpr_queue_ptr 0
		.amdhsa_user_sgpr_kernarg_segment_ptr 1
		.amdhsa_user_sgpr_dispatch_id 0
		.amdhsa_user_sgpr_private_segment_size 0
		.amdhsa_wavefront_size32 1
		.amdhsa_uses_dynamic_stack 0
		.amdhsa_enable_private_segment 0
		.amdhsa_system_sgpr_workgroup_id_x 1
		.amdhsa_system_sgpr_workgroup_id_y 0
		.amdhsa_system_sgpr_workgroup_id_z 0
		.amdhsa_system_sgpr_workgroup_info 0
		.amdhsa_system_vgpr_workitem_id 0
		.amdhsa_next_free_vgpr 1
		.amdhsa_next_free_sgpr 1
		.amdhsa_reserve_vcc 0
		.amdhsa_float_round_mode_32 0
		.amdhsa_float_round_mode_16_64 0
		.amdhsa_float_denorm_mode_32 3
		.amdhsa_float_denorm_mode_16_64 3
		.amdhsa_dx10_clamp 1
		.amdhsa_ieee_mode 1
		.amdhsa_fp16_overflow 0
		.amdhsa_workgroup_processor_mode 1
		.amdhsa_memory_ordered 1
		.amdhsa_forward_progress 0
		.amdhsa_shared_vgpr_count 0
		.amdhsa_exception_fp_ieee_invalid_op 0
		.amdhsa_exception_fp_denorm_src 0
		.amdhsa_exception_fp_ieee_div_zero 0
		.amdhsa_exception_fp_ieee_overflow 0
		.amdhsa_exception_fp_ieee_underflow 0
		.amdhsa_exception_fp_ieee_inexact 0
		.amdhsa_exception_int_div_zero 0
	.end_amdhsa_kernel
	.section	.text._ZN7rocprim17ROCPRIM_400000_NS6detail17trampoline_kernelINS0_14default_configENS1_25partition_config_selectorILNS1_17partition_subalgoE9EttbEEZZNS1_14partition_implILS5_9ELb0ES3_jN6thrust23THRUST_200600_302600_NS6detail15normal_iteratorINS9_10device_ptrItEEEESE_PNS0_10empty_typeENS0_5tupleIJSE_SF_EEENSH_IJSE_SG_EEENS0_18inequality_wrapperI22is_equal_div_10_uniqueItEEEPmJSF_EEE10hipError_tPvRmT3_T4_T5_T6_T7_T9_mT8_P12ihipStream_tbDpT10_ENKUlT_T0_E_clISt17integral_constantIbLb1EES18_EEDaS13_S14_EUlS13_E_NS1_11comp_targetILNS1_3genE3ELNS1_11target_archE908ELNS1_3gpuE7ELNS1_3repE0EEENS1_30default_config_static_selectorELNS0_4arch9wavefront6targetE0EEEvT1_,"axG",@progbits,_ZN7rocprim17ROCPRIM_400000_NS6detail17trampoline_kernelINS0_14default_configENS1_25partition_config_selectorILNS1_17partition_subalgoE9EttbEEZZNS1_14partition_implILS5_9ELb0ES3_jN6thrust23THRUST_200600_302600_NS6detail15normal_iteratorINS9_10device_ptrItEEEESE_PNS0_10empty_typeENS0_5tupleIJSE_SF_EEENSH_IJSE_SG_EEENS0_18inequality_wrapperI22is_equal_div_10_uniqueItEEEPmJSF_EEE10hipError_tPvRmT3_T4_T5_T6_T7_T9_mT8_P12ihipStream_tbDpT10_ENKUlT_T0_E_clISt17integral_constantIbLb1EES18_EEDaS13_S14_EUlS13_E_NS1_11comp_targetILNS1_3genE3ELNS1_11target_archE908ELNS1_3gpuE7ELNS1_3repE0EEENS1_30default_config_static_selectorELNS0_4arch9wavefront6targetE0EEEvT1_,comdat
.Lfunc_end318:
	.size	_ZN7rocprim17ROCPRIM_400000_NS6detail17trampoline_kernelINS0_14default_configENS1_25partition_config_selectorILNS1_17partition_subalgoE9EttbEEZZNS1_14partition_implILS5_9ELb0ES3_jN6thrust23THRUST_200600_302600_NS6detail15normal_iteratorINS9_10device_ptrItEEEESE_PNS0_10empty_typeENS0_5tupleIJSE_SF_EEENSH_IJSE_SG_EEENS0_18inequality_wrapperI22is_equal_div_10_uniqueItEEEPmJSF_EEE10hipError_tPvRmT3_T4_T5_T6_T7_T9_mT8_P12ihipStream_tbDpT10_ENKUlT_T0_E_clISt17integral_constantIbLb1EES18_EEDaS13_S14_EUlS13_E_NS1_11comp_targetILNS1_3genE3ELNS1_11target_archE908ELNS1_3gpuE7ELNS1_3repE0EEENS1_30default_config_static_selectorELNS0_4arch9wavefront6targetE0EEEvT1_, .Lfunc_end318-_ZN7rocprim17ROCPRIM_400000_NS6detail17trampoline_kernelINS0_14default_configENS1_25partition_config_selectorILNS1_17partition_subalgoE9EttbEEZZNS1_14partition_implILS5_9ELb0ES3_jN6thrust23THRUST_200600_302600_NS6detail15normal_iteratorINS9_10device_ptrItEEEESE_PNS0_10empty_typeENS0_5tupleIJSE_SF_EEENSH_IJSE_SG_EEENS0_18inequality_wrapperI22is_equal_div_10_uniqueItEEEPmJSF_EEE10hipError_tPvRmT3_T4_T5_T6_T7_T9_mT8_P12ihipStream_tbDpT10_ENKUlT_T0_E_clISt17integral_constantIbLb1EES18_EEDaS13_S14_EUlS13_E_NS1_11comp_targetILNS1_3genE3ELNS1_11target_archE908ELNS1_3gpuE7ELNS1_3repE0EEENS1_30default_config_static_selectorELNS0_4arch9wavefront6targetE0EEEvT1_
                                        ; -- End function
	.section	.AMDGPU.csdata,"",@progbits
; Kernel info:
; codeLenInByte = 0
; NumSgprs: 0
; NumVgprs: 0
; ScratchSize: 0
; MemoryBound: 0
; FloatMode: 240
; IeeeMode: 1
; LDSByteSize: 0 bytes/workgroup (compile time only)
; SGPRBlocks: 0
; VGPRBlocks: 0
; NumSGPRsForWavesPerEU: 1
; NumVGPRsForWavesPerEU: 1
; Occupancy: 16
; WaveLimiterHint : 0
; COMPUTE_PGM_RSRC2:SCRATCH_EN: 0
; COMPUTE_PGM_RSRC2:USER_SGPR: 15
; COMPUTE_PGM_RSRC2:TRAP_HANDLER: 0
; COMPUTE_PGM_RSRC2:TGID_X_EN: 1
; COMPUTE_PGM_RSRC2:TGID_Y_EN: 0
; COMPUTE_PGM_RSRC2:TGID_Z_EN: 0
; COMPUTE_PGM_RSRC2:TIDIG_COMP_CNT: 0
	.section	.text._ZN7rocprim17ROCPRIM_400000_NS6detail17trampoline_kernelINS0_14default_configENS1_25partition_config_selectorILNS1_17partition_subalgoE9EttbEEZZNS1_14partition_implILS5_9ELb0ES3_jN6thrust23THRUST_200600_302600_NS6detail15normal_iteratorINS9_10device_ptrItEEEESE_PNS0_10empty_typeENS0_5tupleIJSE_SF_EEENSH_IJSE_SG_EEENS0_18inequality_wrapperI22is_equal_div_10_uniqueItEEEPmJSF_EEE10hipError_tPvRmT3_T4_T5_T6_T7_T9_mT8_P12ihipStream_tbDpT10_ENKUlT_T0_E_clISt17integral_constantIbLb1EES18_EEDaS13_S14_EUlS13_E_NS1_11comp_targetILNS1_3genE2ELNS1_11target_archE906ELNS1_3gpuE6ELNS1_3repE0EEENS1_30default_config_static_selectorELNS0_4arch9wavefront6targetE0EEEvT1_,"axG",@progbits,_ZN7rocprim17ROCPRIM_400000_NS6detail17trampoline_kernelINS0_14default_configENS1_25partition_config_selectorILNS1_17partition_subalgoE9EttbEEZZNS1_14partition_implILS5_9ELb0ES3_jN6thrust23THRUST_200600_302600_NS6detail15normal_iteratorINS9_10device_ptrItEEEESE_PNS0_10empty_typeENS0_5tupleIJSE_SF_EEENSH_IJSE_SG_EEENS0_18inequality_wrapperI22is_equal_div_10_uniqueItEEEPmJSF_EEE10hipError_tPvRmT3_T4_T5_T6_T7_T9_mT8_P12ihipStream_tbDpT10_ENKUlT_T0_E_clISt17integral_constantIbLb1EES18_EEDaS13_S14_EUlS13_E_NS1_11comp_targetILNS1_3genE2ELNS1_11target_archE906ELNS1_3gpuE6ELNS1_3repE0EEENS1_30default_config_static_selectorELNS0_4arch9wavefront6targetE0EEEvT1_,comdat
	.protected	_ZN7rocprim17ROCPRIM_400000_NS6detail17trampoline_kernelINS0_14default_configENS1_25partition_config_selectorILNS1_17partition_subalgoE9EttbEEZZNS1_14partition_implILS5_9ELb0ES3_jN6thrust23THRUST_200600_302600_NS6detail15normal_iteratorINS9_10device_ptrItEEEESE_PNS0_10empty_typeENS0_5tupleIJSE_SF_EEENSH_IJSE_SG_EEENS0_18inequality_wrapperI22is_equal_div_10_uniqueItEEEPmJSF_EEE10hipError_tPvRmT3_T4_T5_T6_T7_T9_mT8_P12ihipStream_tbDpT10_ENKUlT_T0_E_clISt17integral_constantIbLb1EES18_EEDaS13_S14_EUlS13_E_NS1_11comp_targetILNS1_3genE2ELNS1_11target_archE906ELNS1_3gpuE6ELNS1_3repE0EEENS1_30default_config_static_selectorELNS0_4arch9wavefront6targetE0EEEvT1_ ; -- Begin function _ZN7rocprim17ROCPRIM_400000_NS6detail17trampoline_kernelINS0_14default_configENS1_25partition_config_selectorILNS1_17partition_subalgoE9EttbEEZZNS1_14partition_implILS5_9ELb0ES3_jN6thrust23THRUST_200600_302600_NS6detail15normal_iteratorINS9_10device_ptrItEEEESE_PNS0_10empty_typeENS0_5tupleIJSE_SF_EEENSH_IJSE_SG_EEENS0_18inequality_wrapperI22is_equal_div_10_uniqueItEEEPmJSF_EEE10hipError_tPvRmT3_T4_T5_T6_T7_T9_mT8_P12ihipStream_tbDpT10_ENKUlT_T0_E_clISt17integral_constantIbLb1EES18_EEDaS13_S14_EUlS13_E_NS1_11comp_targetILNS1_3genE2ELNS1_11target_archE906ELNS1_3gpuE6ELNS1_3repE0EEENS1_30default_config_static_selectorELNS0_4arch9wavefront6targetE0EEEvT1_
	.globl	_ZN7rocprim17ROCPRIM_400000_NS6detail17trampoline_kernelINS0_14default_configENS1_25partition_config_selectorILNS1_17partition_subalgoE9EttbEEZZNS1_14partition_implILS5_9ELb0ES3_jN6thrust23THRUST_200600_302600_NS6detail15normal_iteratorINS9_10device_ptrItEEEESE_PNS0_10empty_typeENS0_5tupleIJSE_SF_EEENSH_IJSE_SG_EEENS0_18inequality_wrapperI22is_equal_div_10_uniqueItEEEPmJSF_EEE10hipError_tPvRmT3_T4_T5_T6_T7_T9_mT8_P12ihipStream_tbDpT10_ENKUlT_T0_E_clISt17integral_constantIbLb1EES18_EEDaS13_S14_EUlS13_E_NS1_11comp_targetILNS1_3genE2ELNS1_11target_archE906ELNS1_3gpuE6ELNS1_3repE0EEENS1_30default_config_static_selectorELNS0_4arch9wavefront6targetE0EEEvT1_
	.p2align	8
	.type	_ZN7rocprim17ROCPRIM_400000_NS6detail17trampoline_kernelINS0_14default_configENS1_25partition_config_selectorILNS1_17partition_subalgoE9EttbEEZZNS1_14partition_implILS5_9ELb0ES3_jN6thrust23THRUST_200600_302600_NS6detail15normal_iteratorINS9_10device_ptrItEEEESE_PNS0_10empty_typeENS0_5tupleIJSE_SF_EEENSH_IJSE_SG_EEENS0_18inequality_wrapperI22is_equal_div_10_uniqueItEEEPmJSF_EEE10hipError_tPvRmT3_T4_T5_T6_T7_T9_mT8_P12ihipStream_tbDpT10_ENKUlT_T0_E_clISt17integral_constantIbLb1EES18_EEDaS13_S14_EUlS13_E_NS1_11comp_targetILNS1_3genE2ELNS1_11target_archE906ELNS1_3gpuE6ELNS1_3repE0EEENS1_30default_config_static_selectorELNS0_4arch9wavefront6targetE0EEEvT1_,@function
_ZN7rocprim17ROCPRIM_400000_NS6detail17trampoline_kernelINS0_14default_configENS1_25partition_config_selectorILNS1_17partition_subalgoE9EttbEEZZNS1_14partition_implILS5_9ELb0ES3_jN6thrust23THRUST_200600_302600_NS6detail15normal_iteratorINS9_10device_ptrItEEEESE_PNS0_10empty_typeENS0_5tupleIJSE_SF_EEENSH_IJSE_SG_EEENS0_18inequality_wrapperI22is_equal_div_10_uniqueItEEEPmJSF_EEE10hipError_tPvRmT3_T4_T5_T6_T7_T9_mT8_P12ihipStream_tbDpT10_ENKUlT_T0_E_clISt17integral_constantIbLb1EES18_EEDaS13_S14_EUlS13_E_NS1_11comp_targetILNS1_3genE2ELNS1_11target_archE906ELNS1_3gpuE6ELNS1_3repE0EEENS1_30default_config_static_selectorELNS0_4arch9wavefront6targetE0EEEvT1_: ; @_ZN7rocprim17ROCPRIM_400000_NS6detail17trampoline_kernelINS0_14default_configENS1_25partition_config_selectorILNS1_17partition_subalgoE9EttbEEZZNS1_14partition_implILS5_9ELb0ES3_jN6thrust23THRUST_200600_302600_NS6detail15normal_iteratorINS9_10device_ptrItEEEESE_PNS0_10empty_typeENS0_5tupleIJSE_SF_EEENSH_IJSE_SG_EEENS0_18inequality_wrapperI22is_equal_div_10_uniqueItEEEPmJSF_EEE10hipError_tPvRmT3_T4_T5_T6_T7_T9_mT8_P12ihipStream_tbDpT10_ENKUlT_T0_E_clISt17integral_constantIbLb1EES18_EEDaS13_S14_EUlS13_E_NS1_11comp_targetILNS1_3genE2ELNS1_11target_archE906ELNS1_3gpuE6ELNS1_3repE0EEENS1_30default_config_static_selectorELNS0_4arch9wavefront6targetE0EEEvT1_
; %bb.0:
	.section	.rodata,"a",@progbits
	.p2align	6, 0x0
	.amdhsa_kernel _ZN7rocprim17ROCPRIM_400000_NS6detail17trampoline_kernelINS0_14default_configENS1_25partition_config_selectorILNS1_17partition_subalgoE9EttbEEZZNS1_14partition_implILS5_9ELb0ES3_jN6thrust23THRUST_200600_302600_NS6detail15normal_iteratorINS9_10device_ptrItEEEESE_PNS0_10empty_typeENS0_5tupleIJSE_SF_EEENSH_IJSE_SG_EEENS0_18inequality_wrapperI22is_equal_div_10_uniqueItEEEPmJSF_EEE10hipError_tPvRmT3_T4_T5_T6_T7_T9_mT8_P12ihipStream_tbDpT10_ENKUlT_T0_E_clISt17integral_constantIbLb1EES18_EEDaS13_S14_EUlS13_E_NS1_11comp_targetILNS1_3genE2ELNS1_11target_archE906ELNS1_3gpuE6ELNS1_3repE0EEENS1_30default_config_static_selectorELNS0_4arch9wavefront6targetE0EEEvT1_
		.amdhsa_group_segment_fixed_size 0
		.amdhsa_private_segment_fixed_size 0
		.amdhsa_kernarg_size 128
		.amdhsa_user_sgpr_count 15
		.amdhsa_user_sgpr_dispatch_ptr 0
		.amdhsa_user_sgpr_queue_ptr 0
		.amdhsa_user_sgpr_kernarg_segment_ptr 1
		.amdhsa_user_sgpr_dispatch_id 0
		.amdhsa_user_sgpr_private_segment_size 0
		.amdhsa_wavefront_size32 1
		.amdhsa_uses_dynamic_stack 0
		.amdhsa_enable_private_segment 0
		.amdhsa_system_sgpr_workgroup_id_x 1
		.amdhsa_system_sgpr_workgroup_id_y 0
		.amdhsa_system_sgpr_workgroup_id_z 0
		.amdhsa_system_sgpr_workgroup_info 0
		.amdhsa_system_vgpr_workitem_id 0
		.amdhsa_next_free_vgpr 1
		.amdhsa_next_free_sgpr 1
		.amdhsa_reserve_vcc 0
		.amdhsa_float_round_mode_32 0
		.amdhsa_float_round_mode_16_64 0
		.amdhsa_float_denorm_mode_32 3
		.amdhsa_float_denorm_mode_16_64 3
		.amdhsa_dx10_clamp 1
		.amdhsa_ieee_mode 1
		.amdhsa_fp16_overflow 0
		.amdhsa_workgroup_processor_mode 1
		.amdhsa_memory_ordered 1
		.amdhsa_forward_progress 0
		.amdhsa_shared_vgpr_count 0
		.amdhsa_exception_fp_ieee_invalid_op 0
		.amdhsa_exception_fp_denorm_src 0
		.amdhsa_exception_fp_ieee_div_zero 0
		.amdhsa_exception_fp_ieee_overflow 0
		.amdhsa_exception_fp_ieee_underflow 0
		.amdhsa_exception_fp_ieee_inexact 0
		.amdhsa_exception_int_div_zero 0
	.end_amdhsa_kernel
	.section	.text._ZN7rocprim17ROCPRIM_400000_NS6detail17trampoline_kernelINS0_14default_configENS1_25partition_config_selectorILNS1_17partition_subalgoE9EttbEEZZNS1_14partition_implILS5_9ELb0ES3_jN6thrust23THRUST_200600_302600_NS6detail15normal_iteratorINS9_10device_ptrItEEEESE_PNS0_10empty_typeENS0_5tupleIJSE_SF_EEENSH_IJSE_SG_EEENS0_18inequality_wrapperI22is_equal_div_10_uniqueItEEEPmJSF_EEE10hipError_tPvRmT3_T4_T5_T6_T7_T9_mT8_P12ihipStream_tbDpT10_ENKUlT_T0_E_clISt17integral_constantIbLb1EES18_EEDaS13_S14_EUlS13_E_NS1_11comp_targetILNS1_3genE2ELNS1_11target_archE906ELNS1_3gpuE6ELNS1_3repE0EEENS1_30default_config_static_selectorELNS0_4arch9wavefront6targetE0EEEvT1_,"axG",@progbits,_ZN7rocprim17ROCPRIM_400000_NS6detail17trampoline_kernelINS0_14default_configENS1_25partition_config_selectorILNS1_17partition_subalgoE9EttbEEZZNS1_14partition_implILS5_9ELb0ES3_jN6thrust23THRUST_200600_302600_NS6detail15normal_iteratorINS9_10device_ptrItEEEESE_PNS0_10empty_typeENS0_5tupleIJSE_SF_EEENSH_IJSE_SG_EEENS0_18inequality_wrapperI22is_equal_div_10_uniqueItEEEPmJSF_EEE10hipError_tPvRmT3_T4_T5_T6_T7_T9_mT8_P12ihipStream_tbDpT10_ENKUlT_T0_E_clISt17integral_constantIbLb1EES18_EEDaS13_S14_EUlS13_E_NS1_11comp_targetILNS1_3genE2ELNS1_11target_archE906ELNS1_3gpuE6ELNS1_3repE0EEENS1_30default_config_static_selectorELNS0_4arch9wavefront6targetE0EEEvT1_,comdat
.Lfunc_end319:
	.size	_ZN7rocprim17ROCPRIM_400000_NS6detail17trampoline_kernelINS0_14default_configENS1_25partition_config_selectorILNS1_17partition_subalgoE9EttbEEZZNS1_14partition_implILS5_9ELb0ES3_jN6thrust23THRUST_200600_302600_NS6detail15normal_iteratorINS9_10device_ptrItEEEESE_PNS0_10empty_typeENS0_5tupleIJSE_SF_EEENSH_IJSE_SG_EEENS0_18inequality_wrapperI22is_equal_div_10_uniqueItEEEPmJSF_EEE10hipError_tPvRmT3_T4_T5_T6_T7_T9_mT8_P12ihipStream_tbDpT10_ENKUlT_T0_E_clISt17integral_constantIbLb1EES18_EEDaS13_S14_EUlS13_E_NS1_11comp_targetILNS1_3genE2ELNS1_11target_archE906ELNS1_3gpuE6ELNS1_3repE0EEENS1_30default_config_static_selectorELNS0_4arch9wavefront6targetE0EEEvT1_, .Lfunc_end319-_ZN7rocprim17ROCPRIM_400000_NS6detail17trampoline_kernelINS0_14default_configENS1_25partition_config_selectorILNS1_17partition_subalgoE9EttbEEZZNS1_14partition_implILS5_9ELb0ES3_jN6thrust23THRUST_200600_302600_NS6detail15normal_iteratorINS9_10device_ptrItEEEESE_PNS0_10empty_typeENS0_5tupleIJSE_SF_EEENSH_IJSE_SG_EEENS0_18inequality_wrapperI22is_equal_div_10_uniqueItEEEPmJSF_EEE10hipError_tPvRmT3_T4_T5_T6_T7_T9_mT8_P12ihipStream_tbDpT10_ENKUlT_T0_E_clISt17integral_constantIbLb1EES18_EEDaS13_S14_EUlS13_E_NS1_11comp_targetILNS1_3genE2ELNS1_11target_archE906ELNS1_3gpuE6ELNS1_3repE0EEENS1_30default_config_static_selectorELNS0_4arch9wavefront6targetE0EEEvT1_
                                        ; -- End function
	.section	.AMDGPU.csdata,"",@progbits
; Kernel info:
; codeLenInByte = 0
; NumSgprs: 0
; NumVgprs: 0
; ScratchSize: 0
; MemoryBound: 0
; FloatMode: 240
; IeeeMode: 1
; LDSByteSize: 0 bytes/workgroup (compile time only)
; SGPRBlocks: 0
; VGPRBlocks: 0
; NumSGPRsForWavesPerEU: 1
; NumVGPRsForWavesPerEU: 1
; Occupancy: 16
; WaveLimiterHint : 0
; COMPUTE_PGM_RSRC2:SCRATCH_EN: 0
; COMPUTE_PGM_RSRC2:USER_SGPR: 15
; COMPUTE_PGM_RSRC2:TRAP_HANDLER: 0
; COMPUTE_PGM_RSRC2:TGID_X_EN: 1
; COMPUTE_PGM_RSRC2:TGID_Y_EN: 0
; COMPUTE_PGM_RSRC2:TGID_Z_EN: 0
; COMPUTE_PGM_RSRC2:TIDIG_COMP_CNT: 0
	.section	.text._ZN7rocprim17ROCPRIM_400000_NS6detail17trampoline_kernelINS0_14default_configENS1_25partition_config_selectorILNS1_17partition_subalgoE9EttbEEZZNS1_14partition_implILS5_9ELb0ES3_jN6thrust23THRUST_200600_302600_NS6detail15normal_iteratorINS9_10device_ptrItEEEESE_PNS0_10empty_typeENS0_5tupleIJSE_SF_EEENSH_IJSE_SG_EEENS0_18inequality_wrapperI22is_equal_div_10_uniqueItEEEPmJSF_EEE10hipError_tPvRmT3_T4_T5_T6_T7_T9_mT8_P12ihipStream_tbDpT10_ENKUlT_T0_E_clISt17integral_constantIbLb1EES18_EEDaS13_S14_EUlS13_E_NS1_11comp_targetILNS1_3genE10ELNS1_11target_archE1200ELNS1_3gpuE4ELNS1_3repE0EEENS1_30default_config_static_selectorELNS0_4arch9wavefront6targetE0EEEvT1_,"axG",@progbits,_ZN7rocprim17ROCPRIM_400000_NS6detail17trampoline_kernelINS0_14default_configENS1_25partition_config_selectorILNS1_17partition_subalgoE9EttbEEZZNS1_14partition_implILS5_9ELb0ES3_jN6thrust23THRUST_200600_302600_NS6detail15normal_iteratorINS9_10device_ptrItEEEESE_PNS0_10empty_typeENS0_5tupleIJSE_SF_EEENSH_IJSE_SG_EEENS0_18inequality_wrapperI22is_equal_div_10_uniqueItEEEPmJSF_EEE10hipError_tPvRmT3_T4_T5_T6_T7_T9_mT8_P12ihipStream_tbDpT10_ENKUlT_T0_E_clISt17integral_constantIbLb1EES18_EEDaS13_S14_EUlS13_E_NS1_11comp_targetILNS1_3genE10ELNS1_11target_archE1200ELNS1_3gpuE4ELNS1_3repE0EEENS1_30default_config_static_selectorELNS0_4arch9wavefront6targetE0EEEvT1_,comdat
	.protected	_ZN7rocprim17ROCPRIM_400000_NS6detail17trampoline_kernelINS0_14default_configENS1_25partition_config_selectorILNS1_17partition_subalgoE9EttbEEZZNS1_14partition_implILS5_9ELb0ES3_jN6thrust23THRUST_200600_302600_NS6detail15normal_iteratorINS9_10device_ptrItEEEESE_PNS0_10empty_typeENS0_5tupleIJSE_SF_EEENSH_IJSE_SG_EEENS0_18inequality_wrapperI22is_equal_div_10_uniqueItEEEPmJSF_EEE10hipError_tPvRmT3_T4_T5_T6_T7_T9_mT8_P12ihipStream_tbDpT10_ENKUlT_T0_E_clISt17integral_constantIbLb1EES18_EEDaS13_S14_EUlS13_E_NS1_11comp_targetILNS1_3genE10ELNS1_11target_archE1200ELNS1_3gpuE4ELNS1_3repE0EEENS1_30default_config_static_selectorELNS0_4arch9wavefront6targetE0EEEvT1_ ; -- Begin function _ZN7rocprim17ROCPRIM_400000_NS6detail17trampoline_kernelINS0_14default_configENS1_25partition_config_selectorILNS1_17partition_subalgoE9EttbEEZZNS1_14partition_implILS5_9ELb0ES3_jN6thrust23THRUST_200600_302600_NS6detail15normal_iteratorINS9_10device_ptrItEEEESE_PNS0_10empty_typeENS0_5tupleIJSE_SF_EEENSH_IJSE_SG_EEENS0_18inequality_wrapperI22is_equal_div_10_uniqueItEEEPmJSF_EEE10hipError_tPvRmT3_T4_T5_T6_T7_T9_mT8_P12ihipStream_tbDpT10_ENKUlT_T0_E_clISt17integral_constantIbLb1EES18_EEDaS13_S14_EUlS13_E_NS1_11comp_targetILNS1_3genE10ELNS1_11target_archE1200ELNS1_3gpuE4ELNS1_3repE0EEENS1_30default_config_static_selectorELNS0_4arch9wavefront6targetE0EEEvT1_
	.globl	_ZN7rocprim17ROCPRIM_400000_NS6detail17trampoline_kernelINS0_14default_configENS1_25partition_config_selectorILNS1_17partition_subalgoE9EttbEEZZNS1_14partition_implILS5_9ELb0ES3_jN6thrust23THRUST_200600_302600_NS6detail15normal_iteratorINS9_10device_ptrItEEEESE_PNS0_10empty_typeENS0_5tupleIJSE_SF_EEENSH_IJSE_SG_EEENS0_18inequality_wrapperI22is_equal_div_10_uniqueItEEEPmJSF_EEE10hipError_tPvRmT3_T4_T5_T6_T7_T9_mT8_P12ihipStream_tbDpT10_ENKUlT_T0_E_clISt17integral_constantIbLb1EES18_EEDaS13_S14_EUlS13_E_NS1_11comp_targetILNS1_3genE10ELNS1_11target_archE1200ELNS1_3gpuE4ELNS1_3repE0EEENS1_30default_config_static_selectorELNS0_4arch9wavefront6targetE0EEEvT1_
	.p2align	8
	.type	_ZN7rocprim17ROCPRIM_400000_NS6detail17trampoline_kernelINS0_14default_configENS1_25partition_config_selectorILNS1_17partition_subalgoE9EttbEEZZNS1_14partition_implILS5_9ELb0ES3_jN6thrust23THRUST_200600_302600_NS6detail15normal_iteratorINS9_10device_ptrItEEEESE_PNS0_10empty_typeENS0_5tupleIJSE_SF_EEENSH_IJSE_SG_EEENS0_18inequality_wrapperI22is_equal_div_10_uniqueItEEEPmJSF_EEE10hipError_tPvRmT3_T4_T5_T6_T7_T9_mT8_P12ihipStream_tbDpT10_ENKUlT_T0_E_clISt17integral_constantIbLb1EES18_EEDaS13_S14_EUlS13_E_NS1_11comp_targetILNS1_3genE10ELNS1_11target_archE1200ELNS1_3gpuE4ELNS1_3repE0EEENS1_30default_config_static_selectorELNS0_4arch9wavefront6targetE0EEEvT1_,@function
_ZN7rocprim17ROCPRIM_400000_NS6detail17trampoline_kernelINS0_14default_configENS1_25partition_config_selectorILNS1_17partition_subalgoE9EttbEEZZNS1_14partition_implILS5_9ELb0ES3_jN6thrust23THRUST_200600_302600_NS6detail15normal_iteratorINS9_10device_ptrItEEEESE_PNS0_10empty_typeENS0_5tupleIJSE_SF_EEENSH_IJSE_SG_EEENS0_18inequality_wrapperI22is_equal_div_10_uniqueItEEEPmJSF_EEE10hipError_tPvRmT3_T4_T5_T6_T7_T9_mT8_P12ihipStream_tbDpT10_ENKUlT_T0_E_clISt17integral_constantIbLb1EES18_EEDaS13_S14_EUlS13_E_NS1_11comp_targetILNS1_3genE10ELNS1_11target_archE1200ELNS1_3gpuE4ELNS1_3repE0EEENS1_30default_config_static_selectorELNS0_4arch9wavefront6targetE0EEEvT1_: ; @_ZN7rocprim17ROCPRIM_400000_NS6detail17trampoline_kernelINS0_14default_configENS1_25partition_config_selectorILNS1_17partition_subalgoE9EttbEEZZNS1_14partition_implILS5_9ELb0ES3_jN6thrust23THRUST_200600_302600_NS6detail15normal_iteratorINS9_10device_ptrItEEEESE_PNS0_10empty_typeENS0_5tupleIJSE_SF_EEENSH_IJSE_SG_EEENS0_18inequality_wrapperI22is_equal_div_10_uniqueItEEEPmJSF_EEE10hipError_tPvRmT3_T4_T5_T6_T7_T9_mT8_P12ihipStream_tbDpT10_ENKUlT_T0_E_clISt17integral_constantIbLb1EES18_EEDaS13_S14_EUlS13_E_NS1_11comp_targetILNS1_3genE10ELNS1_11target_archE1200ELNS1_3gpuE4ELNS1_3repE0EEENS1_30default_config_static_selectorELNS0_4arch9wavefront6targetE0EEEvT1_
; %bb.0:
	.section	.rodata,"a",@progbits
	.p2align	6, 0x0
	.amdhsa_kernel _ZN7rocprim17ROCPRIM_400000_NS6detail17trampoline_kernelINS0_14default_configENS1_25partition_config_selectorILNS1_17partition_subalgoE9EttbEEZZNS1_14partition_implILS5_9ELb0ES3_jN6thrust23THRUST_200600_302600_NS6detail15normal_iteratorINS9_10device_ptrItEEEESE_PNS0_10empty_typeENS0_5tupleIJSE_SF_EEENSH_IJSE_SG_EEENS0_18inequality_wrapperI22is_equal_div_10_uniqueItEEEPmJSF_EEE10hipError_tPvRmT3_T4_T5_T6_T7_T9_mT8_P12ihipStream_tbDpT10_ENKUlT_T0_E_clISt17integral_constantIbLb1EES18_EEDaS13_S14_EUlS13_E_NS1_11comp_targetILNS1_3genE10ELNS1_11target_archE1200ELNS1_3gpuE4ELNS1_3repE0EEENS1_30default_config_static_selectorELNS0_4arch9wavefront6targetE0EEEvT1_
		.amdhsa_group_segment_fixed_size 0
		.amdhsa_private_segment_fixed_size 0
		.amdhsa_kernarg_size 128
		.amdhsa_user_sgpr_count 15
		.amdhsa_user_sgpr_dispatch_ptr 0
		.amdhsa_user_sgpr_queue_ptr 0
		.amdhsa_user_sgpr_kernarg_segment_ptr 1
		.amdhsa_user_sgpr_dispatch_id 0
		.amdhsa_user_sgpr_private_segment_size 0
		.amdhsa_wavefront_size32 1
		.amdhsa_uses_dynamic_stack 0
		.amdhsa_enable_private_segment 0
		.amdhsa_system_sgpr_workgroup_id_x 1
		.amdhsa_system_sgpr_workgroup_id_y 0
		.amdhsa_system_sgpr_workgroup_id_z 0
		.amdhsa_system_sgpr_workgroup_info 0
		.amdhsa_system_vgpr_workitem_id 0
		.amdhsa_next_free_vgpr 1
		.amdhsa_next_free_sgpr 1
		.amdhsa_reserve_vcc 0
		.amdhsa_float_round_mode_32 0
		.amdhsa_float_round_mode_16_64 0
		.amdhsa_float_denorm_mode_32 3
		.amdhsa_float_denorm_mode_16_64 3
		.amdhsa_dx10_clamp 1
		.amdhsa_ieee_mode 1
		.amdhsa_fp16_overflow 0
		.amdhsa_workgroup_processor_mode 1
		.amdhsa_memory_ordered 1
		.amdhsa_forward_progress 0
		.amdhsa_shared_vgpr_count 0
		.amdhsa_exception_fp_ieee_invalid_op 0
		.amdhsa_exception_fp_denorm_src 0
		.amdhsa_exception_fp_ieee_div_zero 0
		.amdhsa_exception_fp_ieee_overflow 0
		.amdhsa_exception_fp_ieee_underflow 0
		.amdhsa_exception_fp_ieee_inexact 0
		.amdhsa_exception_int_div_zero 0
	.end_amdhsa_kernel
	.section	.text._ZN7rocprim17ROCPRIM_400000_NS6detail17trampoline_kernelINS0_14default_configENS1_25partition_config_selectorILNS1_17partition_subalgoE9EttbEEZZNS1_14partition_implILS5_9ELb0ES3_jN6thrust23THRUST_200600_302600_NS6detail15normal_iteratorINS9_10device_ptrItEEEESE_PNS0_10empty_typeENS0_5tupleIJSE_SF_EEENSH_IJSE_SG_EEENS0_18inequality_wrapperI22is_equal_div_10_uniqueItEEEPmJSF_EEE10hipError_tPvRmT3_T4_T5_T6_T7_T9_mT8_P12ihipStream_tbDpT10_ENKUlT_T0_E_clISt17integral_constantIbLb1EES18_EEDaS13_S14_EUlS13_E_NS1_11comp_targetILNS1_3genE10ELNS1_11target_archE1200ELNS1_3gpuE4ELNS1_3repE0EEENS1_30default_config_static_selectorELNS0_4arch9wavefront6targetE0EEEvT1_,"axG",@progbits,_ZN7rocprim17ROCPRIM_400000_NS6detail17trampoline_kernelINS0_14default_configENS1_25partition_config_selectorILNS1_17partition_subalgoE9EttbEEZZNS1_14partition_implILS5_9ELb0ES3_jN6thrust23THRUST_200600_302600_NS6detail15normal_iteratorINS9_10device_ptrItEEEESE_PNS0_10empty_typeENS0_5tupleIJSE_SF_EEENSH_IJSE_SG_EEENS0_18inequality_wrapperI22is_equal_div_10_uniqueItEEEPmJSF_EEE10hipError_tPvRmT3_T4_T5_T6_T7_T9_mT8_P12ihipStream_tbDpT10_ENKUlT_T0_E_clISt17integral_constantIbLb1EES18_EEDaS13_S14_EUlS13_E_NS1_11comp_targetILNS1_3genE10ELNS1_11target_archE1200ELNS1_3gpuE4ELNS1_3repE0EEENS1_30default_config_static_selectorELNS0_4arch9wavefront6targetE0EEEvT1_,comdat
.Lfunc_end320:
	.size	_ZN7rocprim17ROCPRIM_400000_NS6detail17trampoline_kernelINS0_14default_configENS1_25partition_config_selectorILNS1_17partition_subalgoE9EttbEEZZNS1_14partition_implILS5_9ELb0ES3_jN6thrust23THRUST_200600_302600_NS6detail15normal_iteratorINS9_10device_ptrItEEEESE_PNS0_10empty_typeENS0_5tupleIJSE_SF_EEENSH_IJSE_SG_EEENS0_18inequality_wrapperI22is_equal_div_10_uniqueItEEEPmJSF_EEE10hipError_tPvRmT3_T4_T5_T6_T7_T9_mT8_P12ihipStream_tbDpT10_ENKUlT_T0_E_clISt17integral_constantIbLb1EES18_EEDaS13_S14_EUlS13_E_NS1_11comp_targetILNS1_3genE10ELNS1_11target_archE1200ELNS1_3gpuE4ELNS1_3repE0EEENS1_30default_config_static_selectorELNS0_4arch9wavefront6targetE0EEEvT1_, .Lfunc_end320-_ZN7rocprim17ROCPRIM_400000_NS6detail17trampoline_kernelINS0_14default_configENS1_25partition_config_selectorILNS1_17partition_subalgoE9EttbEEZZNS1_14partition_implILS5_9ELb0ES3_jN6thrust23THRUST_200600_302600_NS6detail15normal_iteratorINS9_10device_ptrItEEEESE_PNS0_10empty_typeENS0_5tupleIJSE_SF_EEENSH_IJSE_SG_EEENS0_18inequality_wrapperI22is_equal_div_10_uniqueItEEEPmJSF_EEE10hipError_tPvRmT3_T4_T5_T6_T7_T9_mT8_P12ihipStream_tbDpT10_ENKUlT_T0_E_clISt17integral_constantIbLb1EES18_EEDaS13_S14_EUlS13_E_NS1_11comp_targetILNS1_3genE10ELNS1_11target_archE1200ELNS1_3gpuE4ELNS1_3repE0EEENS1_30default_config_static_selectorELNS0_4arch9wavefront6targetE0EEEvT1_
                                        ; -- End function
	.section	.AMDGPU.csdata,"",@progbits
; Kernel info:
; codeLenInByte = 0
; NumSgprs: 0
; NumVgprs: 0
; ScratchSize: 0
; MemoryBound: 0
; FloatMode: 240
; IeeeMode: 1
; LDSByteSize: 0 bytes/workgroup (compile time only)
; SGPRBlocks: 0
; VGPRBlocks: 0
; NumSGPRsForWavesPerEU: 1
; NumVGPRsForWavesPerEU: 1
; Occupancy: 16
; WaveLimiterHint : 0
; COMPUTE_PGM_RSRC2:SCRATCH_EN: 0
; COMPUTE_PGM_RSRC2:USER_SGPR: 15
; COMPUTE_PGM_RSRC2:TRAP_HANDLER: 0
; COMPUTE_PGM_RSRC2:TGID_X_EN: 1
; COMPUTE_PGM_RSRC2:TGID_Y_EN: 0
; COMPUTE_PGM_RSRC2:TGID_Z_EN: 0
; COMPUTE_PGM_RSRC2:TIDIG_COMP_CNT: 0
	.section	.text._ZN7rocprim17ROCPRIM_400000_NS6detail17trampoline_kernelINS0_14default_configENS1_25partition_config_selectorILNS1_17partition_subalgoE9EttbEEZZNS1_14partition_implILS5_9ELb0ES3_jN6thrust23THRUST_200600_302600_NS6detail15normal_iteratorINS9_10device_ptrItEEEESE_PNS0_10empty_typeENS0_5tupleIJSE_SF_EEENSH_IJSE_SG_EEENS0_18inequality_wrapperI22is_equal_div_10_uniqueItEEEPmJSF_EEE10hipError_tPvRmT3_T4_T5_T6_T7_T9_mT8_P12ihipStream_tbDpT10_ENKUlT_T0_E_clISt17integral_constantIbLb1EES18_EEDaS13_S14_EUlS13_E_NS1_11comp_targetILNS1_3genE9ELNS1_11target_archE1100ELNS1_3gpuE3ELNS1_3repE0EEENS1_30default_config_static_selectorELNS0_4arch9wavefront6targetE0EEEvT1_,"axG",@progbits,_ZN7rocprim17ROCPRIM_400000_NS6detail17trampoline_kernelINS0_14default_configENS1_25partition_config_selectorILNS1_17partition_subalgoE9EttbEEZZNS1_14partition_implILS5_9ELb0ES3_jN6thrust23THRUST_200600_302600_NS6detail15normal_iteratorINS9_10device_ptrItEEEESE_PNS0_10empty_typeENS0_5tupleIJSE_SF_EEENSH_IJSE_SG_EEENS0_18inequality_wrapperI22is_equal_div_10_uniqueItEEEPmJSF_EEE10hipError_tPvRmT3_T4_T5_T6_T7_T9_mT8_P12ihipStream_tbDpT10_ENKUlT_T0_E_clISt17integral_constantIbLb1EES18_EEDaS13_S14_EUlS13_E_NS1_11comp_targetILNS1_3genE9ELNS1_11target_archE1100ELNS1_3gpuE3ELNS1_3repE0EEENS1_30default_config_static_selectorELNS0_4arch9wavefront6targetE0EEEvT1_,comdat
	.protected	_ZN7rocprim17ROCPRIM_400000_NS6detail17trampoline_kernelINS0_14default_configENS1_25partition_config_selectorILNS1_17partition_subalgoE9EttbEEZZNS1_14partition_implILS5_9ELb0ES3_jN6thrust23THRUST_200600_302600_NS6detail15normal_iteratorINS9_10device_ptrItEEEESE_PNS0_10empty_typeENS0_5tupleIJSE_SF_EEENSH_IJSE_SG_EEENS0_18inequality_wrapperI22is_equal_div_10_uniqueItEEEPmJSF_EEE10hipError_tPvRmT3_T4_T5_T6_T7_T9_mT8_P12ihipStream_tbDpT10_ENKUlT_T0_E_clISt17integral_constantIbLb1EES18_EEDaS13_S14_EUlS13_E_NS1_11comp_targetILNS1_3genE9ELNS1_11target_archE1100ELNS1_3gpuE3ELNS1_3repE0EEENS1_30default_config_static_selectorELNS0_4arch9wavefront6targetE0EEEvT1_ ; -- Begin function _ZN7rocprim17ROCPRIM_400000_NS6detail17trampoline_kernelINS0_14default_configENS1_25partition_config_selectorILNS1_17partition_subalgoE9EttbEEZZNS1_14partition_implILS5_9ELb0ES3_jN6thrust23THRUST_200600_302600_NS6detail15normal_iteratorINS9_10device_ptrItEEEESE_PNS0_10empty_typeENS0_5tupleIJSE_SF_EEENSH_IJSE_SG_EEENS0_18inequality_wrapperI22is_equal_div_10_uniqueItEEEPmJSF_EEE10hipError_tPvRmT3_T4_T5_T6_T7_T9_mT8_P12ihipStream_tbDpT10_ENKUlT_T0_E_clISt17integral_constantIbLb1EES18_EEDaS13_S14_EUlS13_E_NS1_11comp_targetILNS1_3genE9ELNS1_11target_archE1100ELNS1_3gpuE3ELNS1_3repE0EEENS1_30default_config_static_selectorELNS0_4arch9wavefront6targetE0EEEvT1_
	.globl	_ZN7rocprim17ROCPRIM_400000_NS6detail17trampoline_kernelINS0_14default_configENS1_25partition_config_selectorILNS1_17partition_subalgoE9EttbEEZZNS1_14partition_implILS5_9ELb0ES3_jN6thrust23THRUST_200600_302600_NS6detail15normal_iteratorINS9_10device_ptrItEEEESE_PNS0_10empty_typeENS0_5tupleIJSE_SF_EEENSH_IJSE_SG_EEENS0_18inequality_wrapperI22is_equal_div_10_uniqueItEEEPmJSF_EEE10hipError_tPvRmT3_T4_T5_T6_T7_T9_mT8_P12ihipStream_tbDpT10_ENKUlT_T0_E_clISt17integral_constantIbLb1EES18_EEDaS13_S14_EUlS13_E_NS1_11comp_targetILNS1_3genE9ELNS1_11target_archE1100ELNS1_3gpuE3ELNS1_3repE0EEENS1_30default_config_static_selectorELNS0_4arch9wavefront6targetE0EEEvT1_
	.p2align	8
	.type	_ZN7rocprim17ROCPRIM_400000_NS6detail17trampoline_kernelINS0_14default_configENS1_25partition_config_selectorILNS1_17partition_subalgoE9EttbEEZZNS1_14partition_implILS5_9ELb0ES3_jN6thrust23THRUST_200600_302600_NS6detail15normal_iteratorINS9_10device_ptrItEEEESE_PNS0_10empty_typeENS0_5tupleIJSE_SF_EEENSH_IJSE_SG_EEENS0_18inequality_wrapperI22is_equal_div_10_uniqueItEEEPmJSF_EEE10hipError_tPvRmT3_T4_T5_T6_T7_T9_mT8_P12ihipStream_tbDpT10_ENKUlT_T0_E_clISt17integral_constantIbLb1EES18_EEDaS13_S14_EUlS13_E_NS1_11comp_targetILNS1_3genE9ELNS1_11target_archE1100ELNS1_3gpuE3ELNS1_3repE0EEENS1_30default_config_static_selectorELNS0_4arch9wavefront6targetE0EEEvT1_,@function
_ZN7rocprim17ROCPRIM_400000_NS6detail17trampoline_kernelINS0_14default_configENS1_25partition_config_selectorILNS1_17partition_subalgoE9EttbEEZZNS1_14partition_implILS5_9ELb0ES3_jN6thrust23THRUST_200600_302600_NS6detail15normal_iteratorINS9_10device_ptrItEEEESE_PNS0_10empty_typeENS0_5tupleIJSE_SF_EEENSH_IJSE_SG_EEENS0_18inequality_wrapperI22is_equal_div_10_uniqueItEEEPmJSF_EEE10hipError_tPvRmT3_T4_T5_T6_T7_T9_mT8_P12ihipStream_tbDpT10_ENKUlT_T0_E_clISt17integral_constantIbLb1EES18_EEDaS13_S14_EUlS13_E_NS1_11comp_targetILNS1_3genE9ELNS1_11target_archE1100ELNS1_3gpuE3ELNS1_3repE0EEENS1_30default_config_static_selectorELNS0_4arch9wavefront6targetE0EEEvT1_: ; @_ZN7rocprim17ROCPRIM_400000_NS6detail17trampoline_kernelINS0_14default_configENS1_25partition_config_selectorILNS1_17partition_subalgoE9EttbEEZZNS1_14partition_implILS5_9ELb0ES3_jN6thrust23THRUST_200600_302600_NS6detail15normal_iteratorINS9_10device_ptrItEEEESE_PNS0_10empty_typeENS0_5tupleIJSE_SF_EEENSH_IJSE_SG_EEENS0_18inequality_wrapperI22is_equal_div_10_uniqueItEEEPmJSF_EEE10hipError_tPvRmT3_T4_T5_T6_T7_T9_mT8_P12ihipStream_tbDpT10_ENKUlT_T0_E_clISt17integral_constantIbLb1EES18_EEDaS13_S14_EUlS13_E_NS1_11comp_targetILNS1_3genE9ELNS1_11target_archE1100ELNS1_3gpuE3ELNS1_3repE0EEENS1_30default_config_static_selectorELNS0_4arch9wavefront6targetE0EEEvT1_
; %bb.0:
	s_clause 0x4
	s_load_b128 s[4:7], s[0:1], 0x8
	s_load_b64 s[18:19], s[0:1], 0x18
	s_load_b128 s[8:11], s[0:1], 0x40
	s_load_b64 s[22:23], s[0:1], 0x50
	s_load_b64 s[16:17], s[0:1], 0x60
	v_cmp_ne_u32_e64 s3, 0, v0
	v_cmp_eq_u32_e64 s2, 0, v0
	s_delay_alu instid0(VALU_DEP_1)
	s_and_saveexec_b32 s12, s2
	s_cbranch_execz .LBB321_4
; %bb.1:
	s_mov_b32 s14, exec_lo
	s_mov_b32 s13, exec_lo
	v_mbcnt_lo_u32_b32 v1, s14, 0
                                        ; implicit-def: $vgpr2
	s_delay_alu instid0(VALU_DEP_1)
	v_cmpx_eq_u32_e32 0, v1
	s_cbranch_execz .LBB321_3
; %bb.2:
	s_load_b64 s[20:21], s[0:1], 0x70
	s_bcnt1_i32_b32 s14, s14
	s_delay_alu instid0(SALU_CYCLE_1)
	v_dual_mov_b32 v2, 0 :: v_dual_mov_b32 v3, s14
	s_waitcnt lgkmcnt(0)
	global_atomic_add_u32 v2, v2, v3, s[20:21] glc
.LBB321_3:
	s_or_b32 exec_lo, exec_lo, s13
	s_waitcnt vmcnt(0)
	v_readfirstlane_b32 s13, v2
	s_delay_alu instid0(VALU_DEP_1)
	v_dual_mov_b32 v2, 0 :: v_dual_add_nc_u32 v1, s13, v1
	ds_store_b32 v2, v1
.LBB321_4:
	s_or_b32 exec_lo, exec_lo, s12
	v_mov_b32_e32 v1, 0
	s_clause 0x1
	s_load_b128 s[12:15], s[0:1], 0x28
	s_load_b32 s0, s[0:1], 0x68
	s_waitcnt lgkmcnt(0)
	s_barrier
	buffer_gl0_inv
	ds_load_b32 v3, v1
	s_waitcnt lgkmcnt(0)
	s_barrier
	buffer_gl0_inv
	global_load_b64 v[1:2], v1, s[10:11]
	s_lshl_b64 s[20:21], s[6:7], 1
	s_mov_b32 s28, -1
	s_add_u32 s10, s4, s20
	s_addc_u32 s11, s5, s21
	s_mov_b32 s5, 0
	s_mul_i32 s1, s0, 0x600
	s_delay_alu instid0(SALU_CYCLE_1) | instskip(NEXT) | instid1(SALU_CYCLE_1)
	s_add_i32 s4, s1, s6
	s_sub_i32 s25, s22, s4
	s_add_i32 s4, s0, -1
	s_addk_i32 s25, 0x600
	s_add_u32 s0, s6, s1
	v_readfirstlane_b32 s24, v3
	s_addc_u32 s1, s7, 0
	s_delay_alu instid0(SALU_CYCLE_1) | instskip(NEXT) | instid1(VALU_DEP_2)
	v_cmp_ge_u64_e64 s0, s[0:1], s[22:23]
	s_cmp_eq_u32 s24, s4
	s_mul_i32 s4, s24, 0x600
	s_cselect_b32 s22, -1, 0
	s_lshl_b64 s[4:5], s[4:5], 1
	s_delay_alu instid0(VALU_DEP_1) | instskip(NEXT) | instid1(SALU_CYCLE_1)
	s_and_b32 s1, s0, s22
	s_xor_b32 s23, s1, -1
	s_add_u32 s27, s10, s4
	s_addc_u32 s26, s11, s5
	s_and_b32 vcc_lo, exec_lo, s23
	s_waitcnt vmcnt(0)
	v_readfirstlane_b32 s10, v1
	v_readfirstlane_b32 s11, v2
	s_cbranch_vccz .LBB321_6
; %bb.5:
	v_lshlrev_b32_e32 v3, 1, v0
	s_mov_b32 s28, 0
	s_delay_alu instid0(VALU_DEP_1) | instskip(NEXT) | instid1(VALU_DEP_1)
	v_add_co_u32 v1, s0, s27, v3
	v_add_co_ci_u32_e64 v2, null, s26, 0, s0
	s_clause 0xb
	flat_load_u16 v4, v[1:2]
	flat_load_u16 v5, v[1:2] offset:256
	flat_load_u16 v6, v[1:2] offset:512
	;; [unrolled: 1-line block ×11, first 2 shown]
	s_waitcnt vmcnt(11) lgkmcnt(11)
	ds_store_b16 v3, v4
	s_waitcnt vmcnt(10) lgkmcnt(11)
	ds_store_b16 v3, v5 offset:256
	s_waitcnt vmcnt(9) lgkmcnt(11)
	ds_store_b16 v3, v6 offset:512
	;; [unrolled: 2-line block ×11, first 2 shown]
	s_waitcnt lgkmcnt(0)
	s_barrier
.LBB321_6:
	v_cmp_gt_u32_e64 s0, s25, v0
	s_and_not1_b32 vcc_lo, exec_lo, s28
	s_cbranch_vccnz .LBB321_32
; %bb.7:
                                        ; implicit-def: $vgpr1_vgpr2_vgpr3_vgpr4_vgpr5_vgpr6_vgpr7_vgpr8
	s_delay_alu instid0(VALU_DEP_1)
	s_and_saveexec_b32 s28, s0
	s_cbranch_execz .LBB321_9
; %bb.8:
	v_lshlrev_b32_e32 v1, 1, v0
	s_delay_alu instid0(VALU_DEP_1) | instskip(NEXT) | instid1(VALU_DEP_1)
	v_add_co_u32 v1, s0, s27, v1
	v_add_co_ci_u32_e64 v2, null, s26, 0, s0
	flat_load_d16_b16 v1, v[1:2]
.LBB321_9:
	s_or_b32 exec_lo, exec_lo, s28
	v_or_b32_e32 v7, 0x80, v0
	s_mov_b32 s0, exec_lo
	s_delay_alu instid0(VALU_DEP_1)
	v_cmpx_gt_u32_e64 s25, v7
	s_cbranch_execz .LBB321_11
; %bb.10:
	v_lshlrev_b32_e32 v7, 1, v0
	s_delay_alu instid0(VALU_DEP_1) | instskip(NEXT) | instid1(VALU_DEP_1)
	v_add_co_u32 v7, s28, s27, v7
	v_add_co_ci_u32_e64 v8, null, s26, 0, s28
	s_waitcnt vmcnt(0) lgkmcnt(0)
	flat_load_d16_hi_b16 v1, v[7:8] offset:256
.LBB321_11:
	s_or_b32 exec_lo, exec_lo, s0
	v_or_b32_e32 v7, 0x100, v0
	s_mov_b32 s0, exec_lo
	s_delay_alu instid0(VALU_DEP_1)
	v_cmpx_gt_u32_e64 s25, v7
	s_cbranch_execz .LBB321_13
; %bb.12:
	v_lshlrev_b32_e32 v7, 1, v0
	s_delay_alu instid0(VALU_DEP_1) | instskip(NEXT) | instid1(VALU_DEP_1)
	v_add_co_u32 v7, s28, s27, v7
	v_add_co_ci_u32_e64 v8, null, s26, 0, s28
	flat_load_d16_b16 v2, v[7:8] offset:512
.LBB321_13:
	s_or_b32 exec_lo, exec_lo, s0
	v_or_b32_e32 v7, 0x180, v0
	s_mov_b32 s0, exec_lo
	s_delay_alu instid0(VALU_DEP_1)
	v_cmpx_gt_u32_e64 s25, v7
	s_cbranch_execz .LBB321_15
; %bb.14:
	v_lshlrev_b32_e32 v7, 1, v0
	s_delay_alu instid0(VALU_DEP_1) | instskip(NEXT) | instid1(VALU_DEP_1)
	v_add_co_u32 v7, s28, s27, v7
	v_add_co_ci_u32_e64 v8, null, s26, 0, s28
	s_waitcnt vmcnt(0) lgkmcnt(0)
	flat_load_d16_hi_b16 v2, v[7:8] offset:768
.LBB321_15:
	s_or_b32 exec_lo, exec_lo, s0
	v_or_b32_e32 v7, 0x200, v0
	s_mov_b32 s0, exec_lo
	s_delay_alu instid0(VALU_DEP_1)
	v_cmpx_gt_u32_e64 s25, v7
	s_cbranch_execz .LBB321_17
; %bb.16:
	v_lshlrev_b32_e32 v7, 1, v0
	s_delay_alu instid0(VALU_DEP_1) | instskip(NEXT) | instid1(VALU_DEP_1)
	v_add_co_u32 v7, s28, s27, v7
	v_add_co_ci_u32_e64 v8, null, s26, 0, s28
	flat_load_d16_b16 v3, v[7:8] offset:1024
.LBB321_17:
	;; [unrolled: 27-line block ×5, first 2 shown]
	s_or_b32 exec_lo, exec_lo, s0
	v_or_b32_e32 v7, 0x580, v0
	s_mov_b32 s0, exec_lo
	s_delay_alu instid0(VALU_DEP_1)
	v_cmpx_gt_u32_e64 s25, v7
	s_cbranch_execz .LBB321_31
; %bb.30:
	v_lshlrev_b32_e32 v7, 1, v0
	s_delay_alu instid0(VALU_DEP_1) | instskip(NEXT) | instid1(VALU_DEP_1)
	v_add_co_u32 v7, s28, s27, v7
	v_add_co_ci_u32_e64 v8, null, s26, 0, s28
	s_waitcnt vmcnt(0) lgkmcnt(0)
	flat_load_d16_hi_b16 v6, v[7:8] offset:2816
.LBB321_31:
	s_or_b32 exec_lo, exec_lo, s0
	v_lshlrev_b32_e32 v7, 1, v0
	s_waitcnt vmcnt(0) lgkmcnt(0)
	ds_store_b16 v7, v1
	ds_store_b16_d16_hi v7, v1 offset:256
	ds_store_b16 v7, v2 offset:512
	ds_store_b16_d16_hi v7, v2 offset:768
	ds_store_b16 v7, v3 offset:1024
	;; [unrolled: 2-line block ×5, first 2 shown]
	ds_store_b16_d16_hi v7, v6 offset:2816
	s_waitcnt lgkmcnt(0)
	s_barrier
.LBB321_32:
	v_mul_u32_u24_e32 v1, 12, v0
	buffer_gl0_inv
	s_add_u32 s0, s18, s20
	s_addc_u32 s18, s19, s21
	s_add_u32 s0, s0, s4
	v_lshlrev_b32_e32 v8, 1, v1
	s_addc_u32 s4, s18, s5
	s_and_b32 vcc_lo, exec_lo, s23
	s_mov_b32 s5, -1
	ds_load_2addr_b64 v[18:21], v8 offset1:1
	ds_load_b64 v[27:28], v8 offset:16
	s_waitcnt lgkmcnt(0)
	s_barrier
	buffer_gl0_inv
	s_cbranch_vccz .LBB321_34
; %bb.33:
	v_lshlrev_b32_e32 v4, 1, v0
	s_delay_alu instid0(VALU_DEP_1) | instskip(NEXT) | instid1(VALU_DEP_1)
	v_add_co_u32 v2, s5, s0, v4
	v_add_co_ci_u32_e64 v3, null, s4, 0, s5
	s_mov_b32 s5, 0
	s_clause 0xb
	flat_load_u16 v5, v[2:3]
	flat_load_u16 v6, v[2:3] offset:256
	flat_load_u16 v7, v[2:3] offset:512
	flat_load_u16 v9, v[2:3] offset:768
	flat_load_u16 v10, v[2:3] offset:1024
	flat_load_u16 v11, v[2:3] offset:1280
	flat_load_u16 v12, v[2:3] offset:1536
	flat_load_u16 v13, v[2:3] offset:1792
	flat_load_u16 v14, v[2:3] offset:2048
	flat_load_u16 v15, v[2:3] offset:2304
	flat_load_u16 v16, v[2:3] offset:2560
	flat_load_u16 v2, v[2:3] offset:2816
	s_waitcnt vmcnt(11) lgkmcnt(11)
	ds_store_b16 v4, v5
	s_waitcnt vmcnt(10) lgkmcnt(11)
	ds_store_b16 v4, v6 offset:256
	s_waitcnt vmcnt(9) lgkmcnt(11)
	ds_store_b16 v4, v7 offset:512
	;; [unrolled: 2-line block ×11, first 2 shown]
	s_waitcnt lgkmcnt(0)
	s_barrier
.LBB321_34:
	s_and_not1_b32 vcc_lo, exec_lo, s5
	s_cbranch_vccnz .LBB321_60
; %bb.35:
	s_mov_b32 s5, exec_lo
                                        ; implicit-def: $vgpr2
	v_cmpx_gt_u32_e64 s25, v0
	s_cbranch_execz .LBB321_37
; %bb.36:
	v_lshlrev_b32_e32 v2, 1, v0
	s_delay_alu instid0(VALU_DEP_1) | instskip(NEXT) | instid1(VALU_DEP_1)
	v_add_co_u32 v2, s18, s0, v2
	v_add_co_ci_u32_e64 v3, null, s4, 0, s18
	flat_load_u16 v2, v[2:3]
.LBB321_37:
	s_or_b32 exec_lo, exec_lo, s5
	v_or_b32_e32 v3, 0x80, v0
	s_delay_alu instid0(VALU_DEP_1)
	v_cmp_gt_u32_e32 vcc_lo, s25, v3
                                        ; implicit-def: $vgpr3
	s_and_saveexec_b32 s5, vcc_lo
	s_cbranch_execz .LBB321_39
; %bb.38:
	v_lshlrev_b32_e32 v3, 1, v0
	s_delay_alu instid0(VALU_DEP_1) | instskip(NEXT) | instid1(VALU_DEP_1)
	v_add_co_u32 v3, s18, s0, v3
	v_add_co_ci_u32_e64 v4, null, s4, 0, s18
	flat_load_u16 v3, v[3:4] offset:256
.LBB321_39:
	s_or_b32 exec_lo, exec_lo, s5
	v_or_b32_e32 v4, 0x100, v0
	s_delay_alu instid0(VALU_DEP_1)
	v_cmp_gt_u32_e32 vcc_lo, s25, v4
                                        ; implicit-def: $vgpr4
	s_and_saveexec_b32 s5, vcc_lo
	s_cbranch_execz .LBB321_41
; %bb.40:
	v_lshlrev_b32_e32 v4, 1, v0
	s_delay_alu instid0(VALU_DEP_1) | instskip(NEXT) | instid1(VALU_DEP_1)
	v_add_co_u32 v4, s18, s0, v4
	v_add_co_ci_u32_e64 v5, null, s4, 0, s18
	flat_load_u16 v4, v[4:5] offset:512
.LBB321_41:
	s_or_b32 exec_lo, exec_lo, s5
	v_or_b32_e32 v5, 0x180, v0
	s_delay_alu instid0(VALU_DEP_1)
	v_cmp_gt_u32_e32 vcc_lo, s25, v5
                                        ; implicit-def: $vgpr5
	s_and_saveexec_b32 s5, vcc_lo
	s_cbranch_execz .LBB321_43
; %bb.42:
	v_lshlrev_b32_e32 v5, 1, v0
	s_delay_alu instid0(VALU_DEP_1) | instskip(NEXT) | instid1(VALU_DEP_1)
	v_add_co_u32 v5, s18, s0, v5
	v_add_co_ci_u32_e64 v6, null, s4, 0, s18
	flat_load_u16 v5, v[5:6] offset:768
.LBB321_43:
	s_or_b32 exec_lo, exec_lo, s5
	v_or_b32_e32 v6, 0x200, v0
	s_delay_alu instid0(VALU_DEP_1)
	v_cmp_gt_u32_e32 vcc_lo, s25, v6
                                        ; implicit-def: $vgpr6
	s_and_saveexec_b32 s5, vcc_lo
	s_cbranch_execz .LBB321_45
; %bb.44:
	v_lshlrev_b32_e32 v6, 1, v0
	s_delay_alu instid0(VALU_DEP_1) | instskip(NEXT) | instid1(VALU_DEP_1)
	v_add_co_u32 v6, s18, s0, v6
	v_add_co_ci_u32_e64 v7, null, s4, 0, s18
	flat_load_u16 v6, v[6:7] offset:1024
.LBB321_45:
	s_or_b32 exec_lo, exec_lo, s5
	v_or_b32_e32 v7, 0x280, v0
	s_delay_alu instid0(VALU_DEP_1)
	v_cmp_gt_u32_e32 vcc_lo, s25, v7
                                        ; implicit-def: $vgpr7
	s_and_saveexec_b32 s5, vcc_lo
	s_cbranch_execz .LBB321_47
; %bb.46:
	v_lshlrev_b32_e32 v7, 1, v0
	s_delay_alu instid0(VALU_DEP_1) | instskip(NEXT) | instid1(VALU_DEP_1)
	v_add_co_u32 v9, s18, s0, v7
	v_add_co_ci_u32_e64 v10, null, s4, 0, s18
	flat_load_u16 v7, v[9:10] offset:1280
.LBB321_47:
	s_or_b32 exec_lo, exec_lo, s5
	v_or_b32_e32 v9, 0x300, v0
	s_delay_alu instid0(VALU_DEP_1)
	v_cmp_gt_u32_e32 vcc_lo, s25, v9
                                        ; implicit-def: $vgpr9
	s_and_saveexec_b32 s5, vcc_lo
	s_cbranch_execz .LBB321_49
; %bb.48:
	v_lshlrev_b32_e32 v9, 1, v0
	s_delay_alu instid0(VALU_DEP_1) | instskip(NEXT) | instid1(VALU_DEP_1)
	v_add_co_u32 v9, s18, s0, v9
	v_add_co_ci_u32_e64 v10, null, s4, 0, s18
	flat_load_u16 v9, v[9:10] offset:1536
.LBB321_49:
	s_or_b32 exec_lo, exec_lo, s5
	v_or_b32_e32 v10, 0x380, v0
	s_delay_alu instid0(VALU_DEP_1)
	v_cmp_gt_u32_e32 vcc_lo, s25, v10
                                        ; implicit-def: $vgpr10
	s_and_saveexec_b32 s5, vcc_lo
	s_cbranch_execz .LBB321_51
; %bb.50:
	v_lshlrev_b32_e32 v10, 1, v0
	s_delay_alu instid0(VALU_DEP_1) | instskip(NEXT) | instid1(VALU_DEP_1)
	v_add_co_u32 v10, s18, s0, v10
	v_add_co_ci_u32_e64 v11, null, s4, 0, s18
	flat_load_u16 v10, v[10:11] offset:1792
.LBB321_51:
	s_or_b32 exec_lo, exec_lo, s5
	v_or_b32_e32 v11, 0x400, v0
	s_delay_alu instid0(VALU_DEP_1)
	v_cmp_gt_u32_e32 vcc_lo, s25, v11
                                        ; implicit-def: $vgpr11
	s_and_saveexec_b32 s5, vcc_lo
	s_cbranch_execz .LBB321_53
; %bb.52:
	v_lshlrev_b32_e32 v11, 1, v0
	s_delay_alu instid0(VALU_DEP_1) | instskip(NEXT) | instid1(VALU_DEP_1)
	v_add_co_u32 v11, s18, s0, v11
	v_add_co_ci_u32_e64 v12, null, s4, 0, s18
	flat_load_u16 v11, v[11:12] offset:2048
.LBB321_53:
	s_or_b32 exec_lo, exec_lo, s5
	v_or_b32_e32 v12, 0x480, v0
	s_delay_alu instid0(VALU_DEP_1)
	v_cmp_gt_u32_e32 vcc_lo, s25, v12
                                        ; implicit-def: $vgpr12
	s_and_saveexec_b32 s5, vcc_lo
	s_cbranch_execz .LBB321_55
; %bb.54:
	v_lshlrev_b32_e32 v12, 1, v0
	s_delay_alu instid0(VALU_DEP_1) | instskip(NEXT) | instid1(VALU_DEP_1)
	v_add_co_u32 v12, s18, s0, v12
	v_add_co_ci_u32_e64 v13, null, s4, 0, s18
	flat_load_u16 v12, v[12:13] offset:2304
.LBB321_55:
	s_or_b32 exec_lo, exec_lo, s5
	v_or_b32_e32 v13, 0x500, v0
	s_delay_alu instid0(VALU_DEP_1)
	v_cmp_gt_u32_e32 vcc_lo, s25, v13
                                        ; implicit-def: $vgpr13
	s_and_saveexec_b32 s5, vcc_lo
	s_cbranch_execz .LBB321_57
; %bb.56:
	v_lshlrev_b32_e32 v13, 1, v0
	s_delay_alu instid0(VALU_DEP_1) | instskip(NEXT) | instid1(VALU_DEP_1)
	v_add_co_u32 v13, s18, s0, v13
	v_add_co_ci_u32_e64 v14, null, s4, 0, s18
	flat_load_u16 v13, v[13:14] offset:2560
.LBB321_57:
	s_or_b32 exec_lo, exec_lo, s5
	v_or_b32_e32 v14, 0x580, v0
	s_delay_alu instid0(VALU_DEP_1)
	v_cmp_gt_u32_e32 vcc_lo, s25, v14
                                        ; implicit-def: $vgpr14
	s_and_saveexec_b32 s5, vcc_lo
	s_cbranch_execz .LBB321_59
; %bb.58:
	v_lshlrev_b32_e32 v14, 1, v0
	s_delay_alu instid0(VALU_DEP_1) | instskip(NEXT) | instid1(VALU_DEP_1)
	v_add_co_u32 v14, s0, s0, v14
	v_add_co_ci_u32_e64 v15, null, s4, 0, s0
	flat_load_u16 v14, v[14:15] offset:2816
.LBB321_59:
	s_or_b32 exec_lo, exec_lo, s5
	v_mad_i32_i24 v15, 0xffffffea, v0, v8
	s_waitcnt vmcnt(0) lgkmcnt(0)
	ds_store_b16 v15, v2
	ds_store_b16 v15, v3 offset:256
	ds_store_b16 v15, v4 offset:512
	;; [unrolled: 1-line block ×11, first 2 shown]
	s_waitcnt lgkmcnt(0)
	s_barrier
.LBB321_60:
	buffer_gl0_inv
	ds_load_2addr_b64 v[14:17], v8 offset1:1
	ds_load_b64 v[25:26], v8 offset:16
	s_cmp_lg_u32 s24, 0
	v_lshrrev_b32_e32 v41, 16, v18
	s_cselect_b32 s18, -1, 0
	s_cmp_lg_u64 s[6:7], 0
	v_lshrrev_b32_e32 v40, 16, v19
	s_cselect_b32 s0, -1, 0
	v_lshrrev_b32_e32 v39, 16, v20
	v_lshrrev_b32_e32 v38, 16, v21
	v_or_b32_e32 v12, 1, v1
	v_or_b32_e32 v6, 2, v1
	;; [unrolled: 1-line block ×3, first 2 shown]
	v_add_nc_u32_e32 v7, 4, v1
	v_add_nc_u32_e32 v5, 5, v1
	;; [unrolled: 1-line block ×5, first 2 shown]
	v_lshrrev_b32_e32 v37, 16, v27
	v_lshrrev_b32_e32 v31, 16, v28
	v_add_nc_u32_e32 v10, 9, v1
	v_add_nc_u32_e32 v8, 10, v1
	;; [unrolled: 1-line block ×3, first 2 shown]
	s_or_b32 s0, s0, s18
	s_waitcnt lgkmcnt(0)
	s_and_b32 vcc_lo, exec_lo, s0
	s_mov_b32 s0, 0
	s_barrier
	buffer_gl0_inv
	s_cbranch_vccz .LBB321_65
; %bb.61:
	v_add_co_u32 v22, s0, -2, s27
	s_delay_alu instid0(VALU_DEP_1)
	v_add_co_ci_u32_e64 v23, null, -1, s26, s0
	v_lshlrev_b32_e32 v29, 1, v0
	s_mov_b32 s0, -1
	s_and_b32 vcc_lo, exec_lo, s23
	flat_load_u16 v13, v[22:23]
	ds_store_b16 v29, v31
	s_cbranch_vccz .LBB321_66
; %bb.62:
	s_waitcnt vmcnt(0) lgkmcnt(1)
	v_mov_b32_e32 v22, v13
	s_waitcnt lgkmcnt(0)
	s_barrier
	buffer_gl0_inv
	s_and_saveexec_b32 s0, s3
	s_cbranch_execz .LBB321_64
; %bb.63:
	v_add_nc_u32_e32 v22, -2, v29
	ds_load_u16 v22, v22
.LBB321_64:
	s_or_b32 exec_lo, exec_lo, s0
	v_and_b32_e32 v23, 0xffff, v28
	v_and_b32_e32 v24, 0xffff, v31
	v_and_b32_e32 v30, 0xffff, v37
	v_and_b32_e32 v32, 0xffff, v27
	v_and_b32_e32 v33, 0xffff, v38
	v_mul_u32_u24_e32 v23, 0xcccd, v23
	v_mul_u32_u24_e32 v24, 0xcccd, v24
	;; [unrolled: 1-line block ×4, first 2 shown]
	v_and_b32_e32 v34, 0xffff, v21
	v_lshrrev_b32_e32 v23, 19, v23
	v_lshrrev_b32_e32 v24, 19, v24
	v_lshrrev_b32_e32 v30, 19, v30
	v_mul_u32_u24_e32 v33, 0xcccd, v33
	v_lshrrev_b32_e32 v32, 19, v32
	v_mul_u32_u24_e32 v34, 0xcccd, v34
	v_cmp_ne_u16_e32 vcc_lo, v23, v24
	v_and_b32_e32 v35, 0xffff, v39
	v_lshrrev_b32_e32 v33, 19, v33
	v_and_b32_e32 v36, 0xffff, v40
	v_lshrrev_b32_e32 v34, 19, v34
	v_cndmask_b32_e64 v24, 0, 1, vcc_lo
	v_cmp_ne_u16_e32 vcc_lo, v30, v23
	v_and_b32_e32 v42, 0xffff, v19
	v_mul_u32_u24_e32 v35, 0xcccd, v35
	v_and_b32_e32 v44, 0xffff, v41
	v_mul_u32_u24_e32 v36, 0xcccd, v36
	v_cndmask_b32_e64 v23, 0, 1, vcc_lo
	v_cmp_ne_u16_e32 vcc_lo, v32, v30
	v_mul_u32_u24_e32 v42, 0xcccd, v42
	v_lshrrev_b32_e32 v35, 19, v35
	v_and_b32_e32 v43, 0xffff, v20
	v_mul_u32_u24_e32 v44, 0xcccd, v44
	v_cndmask_b32_e64 v30, 0, 1, vcc_lo
	v_cmp_ne_u16_e32 vcc_lo, v33, v32
	v_lshrrev_b32_e32 v36, 19, v36
	v_lshrrev_b32_e32 v42, 19, v42
	v_mul_u32_u24_e32 v43, 0xcccd, v43
	v_lshrrev_b32_e32 v44, 19, v44
	v_cndmask_b32_e64 v32, 0, 1, vcc_lo
	v_cmp_ne_u16_e32 vcc_lo, v34, v33
	v_and_b32_e32 v45, 0xffff, v18
	v_lshrrev_b32_e32 v43, 19, v43
	s_waitcnt lgkmcnt(0)
	v_and_b32_e32 v22, 0xffff, v22
	v_lshlrev_b16 v30, 8, v30
	v_cndmask_b32_e64 v33, 0, 1, vcc_lo
	v_cmp_ne_u16_e32 vcc_lo, v35, v34
	v_mul_u32_u24_e32 v45, 0xcccd, v45
	v_lshlrev_b16 v24, 8, v24
	v_mul_u32_u24_e32 v22, 0xcccd, v22
	v_lshlrev_b16 v33, 8, v33
	v_cndmask_b32_e64 v34, 0, 1, vcc_lo
	v_cmp_ne_u16_e32 vcc_lo, v42, v36
	v_lshrrev_b32_e32 v45, 19, v45
	v_or_b32_e32 v30, v32, v30
	v_or_b32_e32 v23, v23, v24
	;; [unrolled: 1-line block ×3, first 2 shown]
	v_cndmask_b32_e64 v46, 0, 1, vcc_lo
	v_cmp_ne_u16_e32 vcc_lo, v44, v42
	v_lshrrev_b32_e32 v22, 19, v22
	v_and_b32_e32 v30, 0xffff, v30
	v_lshlrev_b32_e32 v33, 16, v33
	v_lshlrev_b16 v46, 8, v46
	v_cndmask_b32_e64 v42, 0, 1, vcc_lo
	v_cmp_ne_u16_e32 vcc_lo, v43, v35
	v_lshlrev_b32_e32 v34, 16, v23
	v_cmp_ne_u16_e64 s4, v22, v45
	s_delay_alu instid0(VALU_DEP_4) | instskip(SKIP_2) | instid1(VALU_DEP_3)
	v_or_b32_e32 v42, v42, v46
	v_cndmask_b32_e64 v35, 0, 1, vcc_lo
	v_cmp_ne_u16_e32 vcc_lo, v36, v43
	v_lshlrev_b32_e32 v42, 16, v42
	s_delay_alu instid0(VALU_DEP_3) | instskip(SKIP_2) | instid1(VALU_DEP_2)
	v_lshlrev_b16 v35, 8, v35
	v_cndmask_b32_e64 v36, 0, 1, vcc_lo
	v_cmp_ne_u16_e32 vcc_lo, v45, v44
	v_or_b32_e32 v35, v36, v35
	v_cndmask_b32_e64 v43, 0, 1, vcc_lo
	v_or_b32_e32 v36, v30, v34
	s_delay_alu instid0(VALU_DEP_3) | instskip(NEXT) | instid1(VALU_DEP_3)
	v_and_b32_e32 v32, 0xffff, v35
	v_lshlrev_b16 v43, 8, v43
	s_delay_alu instid0(VALU_DEP_2) | instskip(NEXT) | instid1(VALU_DEP_2)
	v_or_b32_e32 v23, v32, v33
	v_and_b32_e32 v24, 0xffff, v43
	s_delay_alu instid0(VALU_DEP_1)
	v_or_b32_e32 v22, v24, v42
	s_branch .LBB321_94
.LBB321_65:
                                        ; implicit-def: $sgpr4
                                        ; implicit-def: $vgpr36
                                        ; implicit-def: $vgpr22_vgpr23_vgpr24
	s_branch .LBB321_95
.LBB321_66:
                                        ; implicit-def: $sgpr4
                                        ; implicit-def: $vgpr36
                                        ; implicit-def: $vgpr22_vgpr23_vgpr24
	s_and_b32 vcc_lo, exec_lo, s0
	s_cbranch_vccz .LBB321_94
; %bb.67:
	s_mov_b32 s4, 0
	s_mov_b32 s0, 0
	s_mov_b32 s5, exec_lo
	v_cmpx_gt_u32_e64 s25, v9
; %bb.68:
	v_and_b32_e32 v22, 0xffff, v28
	v_and_b32_e32 v23, 0xffff, v31
	s_delay_alu instid0(VALU_DEP_2) | instskip(NEXT) | instid1(VALU_DEP_2)
	v_mul_u32_u24_e32 v22, 0xcccd, v22
	v_mul_u32_u24_e32 v23, 0xcccd, v23
	s_delay_alu instid0(VALU_DEP_2) | instskip(NEXT) | instid1(VALU_DEP_2)
	v_lshrrev_b32_e32 v22, 19, v22
	v_lshrrev_b32_e32 v23, 19, v23
	s_delay_alu instid0(VALU_DEP_1)
	v_cmp_ne_u16_e32 vcc_lo, v22, v23
	s_and_b32 s0, vcc_lo, exec_lo
; %bb.69:
	s_or_b32 exec_lo, exec_lo, s5
	s_delay_alu instid0(SALU_CYCLE_1)
	s_mov_b32 s5, exec_lo
	v_cmpx_gt_u32_e64 s25, v8
; %bb.70:
	v_and_b32_e32 v22, 0xffff, v37
	v_and_b32_e32 v23, 0xffff, v28
	s_delay_alu instid0(VALU_DEP_2) | instskip(NEXT) | instid1(VALU_DEP_2)
	v_mul_u32_u24_e32 v22, 0xcccd, v22
	v_mul_u32_u24_e32 v23, 0xcccd, v23
	s_delay_alu instid0(VALU_DEP_2) | instskip(NEXT) | instid1(VALU_DEP_2)
	v_lshrrev_b32_e32 v22, 19, v22
	v_lshrrev_b32_e32 v23, 19, v23
	s_delay_alu instid0(VALU_DEP_1)
	v_cmp_ne_u16_e32 vcc_lo, v22, v23
	s_and_b32 s4, vcc_lo, exec_lo
; %bb.71:
	s_or_b32 exec_lo, exec_lo, s5
	s_mov_b32 s6, 0
	s_mov_b32 s5, 0
	s_mov_b32 s7, exec_lo
	v_cmpx_gt_u32_e64 s25, v10
; %bb.72:
	v_and_b32_e32 v22, 0xffff, v27
	v_and_b32_e32 v23, 0xffff, v37
	s_delay_alu instid0(VALU_DEP_2) | instskip(NEXT) | instid1(VALU_DEP_2)
	v_mul_u32_u24_e32 v22, 0xcccd, v22
	v_mul_u32_u24_e32 v23, 0xcccd, v23
	s_delay_alu instid0(VALU_DEP_2) | instskip(NEXT) | instid1(VALU_DEP_2)
	v_lshrrev_b32_e32 v22, 19, v22
	v_lshrrev_b32_e32 v23, 19, v23
	s_delay_alu instid0(VALU_DEP_1)
	v_cmp_ne_u16_e32 vcc_lo, v22, v23
	s_and_b32 s5, vcc_lo, exec_lo
; %bb.73:
	s_or_b32 exec_lo, exec_lo, s7
	s_delay_alu instid0(SALU_CYCLE_1)
	s_mov_b32 s7, exec_lo
	v_cmpx_gt_u32_e64 s25, v11
; %bb.74:
	v_and_b32_e32 v22, 0xffff, v38
	v_and_b32_e32 v23, 0xffff, v27
	s_delay_alu instid0(VALU_DEP_2) | instskip(NEXT) | instid1(VALU_DEP_2)
	v_mul_u32_u24_e32 v22, 0xcccd, v22
	v_mul_u32_u24_e32 v23, 0xcccd, v23
	s_delay_alu instid0(VALU_DEP_2) | instskip(NEXT) | instid1(VALU_DEP_2)
	v_lshrrev_b32_e32 v22, 19, v22
	v_lshrrev_b32_e32 v23, 19, v23
	s_delay_alu instid0(VALU_DEP_1)
	v_cmp_ne_u16_e32 vcc_lo, v22, v23
	s_and_b32 s6, vcc_lo, exec_lo
; %bb.75:
	s_or_b32 exec_lo, exec_lo, s7
	;; [unrolled: 35-line block ×5, first 2 shown]
	s_mov_b32 s28, 0
	s_mov_b32 s29, exec_lo
	v_cmpx_gt_u32_e64 s25, v12
; %bb.88:
	v_and_b32_e32 v22, 0xffff, v18
	v_and_b32_e32 v23, 0xffff, v41
	s_delay_alu instid0(VALU_DEP_2) | instskip(NEXT) | instid1(VALU_DEP_2)
	v_mul_u32_u24_e32 v22, 0xcccd, v22
	v_mul_u32_u24_e32 v23, 0xcccd, v23
	s_delay_alu instid0(VALU_DEP_2) | instskip(NEXT) | instid1(VALU_DEP_2)
	v_lshrrev_b32_e32 v22, 19, v22
	v_lshrrev_b32_e32 v23, 19, v23
	s_delay_alu instid0(VALU_DEP_1)
	v_cmp_ne_u16_e32 vcc_lo, v22, v23
	s_and_b32 s28, vcc_lo, exec_lo
; %bb.89:
	s_or_b32 exec_lo, exec_lo, s29
	s_waitcnt vmcnt(0) lgkmcnt(0)
	s_barrier
	buffer_gl0_inv
	s_and_saveexec_b32 s29, s3
	s_cbranch_execz .LBB321_91
; %bb.90:
	v_add_nc_u32_e32 v13, -2, v29
	ds_load_u16 v13, v13
.LBB321_91:
	s_or_b32 exec_lo, exec_lo, s29
	v_cndmask_b32_e64 v24, 0, 1, s26
	v_cndmask_b32_e64 v30, 0, 1, s20
	v_cndmask_b32_e64 v33, 0, 1, s7
	v_cndmask_b32_e64 v35, 0, 1, s5
	v_cndmask_b32_e64 v42, 0, 1, s0
	v_cndmask_b32_e64 v23, 0, 1, s27
	v_cndmask_b32_e64 v29, 0, 1, s21
	v_cndmask_b32_e64 v22, 0, 1, s28
	v_cndmask_b32_e64 v32, 0, 1, s19
	v_cndmask_b32_e64 v34, 0, 1, s6
	v_cndmask_b32_e64 v36, 0, 1, s4
	v_lshlrev_b16 v24, 8, v24
	v_lshlrev_b16 v30, 8, v30
	;; [unrolled: 1-line block ×6, first 2 shown]
	v_or_b32_e32 v23, v23, v24
	v_or_b32_e32 v24, v29, v30
	;; [unrolled: 1-line block ×5, first 2 shown]
	v_and_b32_e32 v22, 0xffff, v22
	v_lshlrev_b32_e32 v23, 16, v23
	v_and_b32_e32 v24, 0xffff, v24
	v_lshlrev_b32_e32 v29, 16, v29
	;; [unrolled: 2-line block ×3, first 2 shown]
	s_mov_b32 s4, 0
	s_mov_b32 s0, exec_lo
	v_cmpx_gt_u32_e64 s25, v1
	s_cbranch_execz .LBB321_93
; %bb.92:
	s_waitcnt lgkmcnt(0)
	v_and_b32_e32 v13, 0xffff, v13
	v_and_b32_e32 v33, 0xffff, v18
	s_delay_alu instid0(VALU_DEP_2) | instskip(NEXT) | instid1(VALU_DEP_2)
	v_mul_u32_u24_e32 v13, 0xcccd, v13
	v_mul_u32_u24_e32 v33, 0xcccd, v33
	s_delay_alu instid0(VALU_DEP_2) | instskip(NEXT) | instid1(VALU_DEP_2)
	v_lshrrev_b32_e32 v13, 19, v13
	v_lshrrev_b32_e32 v33, 19, v33
	s_delay_alu instid0(VALU_DEP_1)
	v_cmp_ne_u16_e32 vcc_lo, v13, v33
	s_and_b32 s4, vcc_lo, exec_lo
.LBB321_93:
	s_or_b32 exec_lo, exec_lo, s0
	v_or_b32_e32 v22, v22, v23
	v_or_b32_e32 v23, v24, v29
	;; [unrolled: 1-line block ×3, first 2 shown]
.LBB321_94:
	s_mov_b32 s0, -1
	s_cbranch_execnz .LBB321_127
.LBB321_95:
	s_waitcnt vmcnt(0) lgkmcnt(0)
	v_lshlrev_b32_e32 v13, 1, v0
	v_and_b32_e32 v45, 0xffff, v28
	v_and_b32_e32 v44, 0xffff, v37
	;; [unrolled: 1-line block ×10, first 2 shown]
	s_and_b32 vcc_lo, exec_lo, s23
	ds_store_b16 v13, v31
	s_cbranch_vccz .LBB321_99
; %bb.96:
	v_and_b32_e32 v22, 0xffff, v31
	v_mul_u32_u24_e32 v23, 0xcccd, v45
	v_mul_u32_u24_e32 v24, 0xcccd, v44
	;; [unrolled: 1-line block ×5, first 2 shown]
	v_lshrrev_b32_e32 v23, 19, v23
	v_lshrrev_b32_e32 v24, 19, v24
	;; [unrolled: 1-line block ×3, first 2 shown]
	v_mul_u32_u24_e32 v47, 0xcccd, v35
	v_lshrrev_b32_e32 v22, 19, v22
	v_lshrrev_b32_e32 v46, 19, v46
	v_cmp_ne_u16_e32 vcc_lo, v24, v23
	v_mul_u32_u24_e32 v49, 0xcccd, v33
	v_lshrrev_b32_e32 v47, 19, v47
	v_mul_u32_u24_e32 v50, 0xcccd, v32
	v_mul_u32_u24_e32 v51, 0xcccd, v30
	v_cndmask_b32_e64 v48, 0, 1, vcc_lo
	v_cmp_ne_u16_e32 vcc_lo, v23, v22
	v_lshrrev_b32_e32 v49, 19, v49
	v_lshrrev_b32_e32 v50, 19, v50
	v_and_b32_e32 v52, 0xffff, v18
	v_lshrrev_b32_e32 v51, 19, v51
	v_cndmask_b32_e64 v22, 0, 1, vcc_lo
	v_cmp_ne_u16_e32 vcc_lo, v36, v24
	v_mul_u32_u24_e32 v24, 0xcccd, v34
	v_mul_u32_u24_e32 v52, 0xcccd, v52
	s_waitcnt lgkmcnt(0)
	v_lshlrev_b16 v22, 8, v22
	v_cndmask_b32_e64 v23, 0, 1, vcc_lo
	v_cmp_ne_u16_e32 vcc_lo, v46, v36
	v_lshrrev_b32_e32 v24, 19, v24
	s_barrier
	v_or_b32_e32 v22, v48, v22
	v_lshlrev_b16 v23, 8, v23
	v_cndmask_b32_e64 v36, 0, 1, vcc_lo
	v_cmp_ne_u16_e32 vcc_lo, v47, v46
	buffer_gl0_inv
	v_lshlrev_b32_e32 v22, 16, v22
                                        ; implicit-def: $sgpr4
	v_or_b32_e32 v23, v36, v23
	v_cndmask_b32_e64 v46, 0, 1, vcc_lo
	v_cmp_ne_u16_e32 vcc_lo, v24, v47
	s_delay_alu instid0(VALU_DEP_3) | instskip(NEXT) | instid1(VALU_DEP_3)
	v_and_b32_e32 v23, 0xffff, v23
	v_lshlrev_b16 v46, 8, v46
	v_cndmask_b32_e64 v47, 0, 1, vcc_lo
	v_cmp_ne_u16_e32 vcc_lo, v49, v24
	v_mul_u32_u24_e32 v24, 0xcccd, v29
	s_delay_alu instid0(VALU_DEP_3) | instskip(SKIP_2) | instid1(VALU_DEP_4)
	v_or_b32_e32 v46, v47, v46
	v_cndmask_b32_e64 v53, 0, 1, vcc_lo
	v_cmp_ne_u16_e32 vcc_lo, v50, v49
	v_lshrrev_b32_e32 v54, 19, v24
	v_lshrrev_b32_e32 v24, 19, v52
	v_lshlrev_b32_e32 v46, 16, v46
	v_lshlrev_b16 v52, 8, v53
	v_cndmask_b32_e64 v49, 0, 1, vcc_lo
	v_cmp_ne_u16_e32 vcc_lo, v51, v50
	s_delay_alu instid0(VALU_DEP_2) | instskip(SKIP_2) | instid1(VALU_DEP_3)
	v_or_b32_e32 v48, v49, v52
	v_cndmask_b32_e64 v50, 0, 1, vcc_lo
	v_cmp_ne_u16_e32 vcc_lo, v54, v51
	v_and_b32_e32 v48, 0xffff, v48
	s_delay_alu instid0(VALU_DEP_3) | instskip(SKIP_2) | instid1(VALU_DEP_2)
	v_lshlrev_b16 v50, 8, v50
	v_cndmask_b32_e64 v36, 0, 1, vcc_lo
	v_cmp_ne_u16_e32 vcc_lo, v24, v54
	v_or_b32_e32 v36, v36, v50
	v_cndmask_b32_e64 v51, 0, 1, vcc_lo
	s_delay_alu instid0(VALU_DEP_2) | instskip(NEXT) | instid1(VALU_DEP_2)
	v_lshlrev_b32_e32 v49, 16, v36
	v_lshlrev_b16 v51, 8, v51
	v_or_b32_e32 v36, v23, v22
	v_or_b32_e32 v23, v48, v46
	s_delay_alu instid0(VALU_DEP_3) | instskip(NEXT) | instid1(VALU_DEP_1)
	v_or_b32_e32 v47, 1, v51
	v_and_b32_e32 v47, 0xffff, v47
	s_delay_alu instid0(VALU_DEP_1) | instskip(SKIP_1) | instid1(SALU_CYCLE_1)
	v_or_b32_e32 v22, v47, v49
	s_and_saveexec_b32 s5, s3
	s_xor_b32 s5, exec_lo, s5
	s_cbranch_execz .LBB321_98
; %bb.97:
	v_add_nc_u32_e32 v46, -2, v13
	s_or_b32 s0, s0, exec_lo
	ds_load_u16 v46, v46
	s_waitcnt lgkmcnt(0)
	v_mul_u32_u24_e32 v46, 0xcccd, v46
	s_delay_alu instid0(VALU_DEP_1) | instskip(NEXT) | instid1(VALU_DEP_1)
	v_lshrrev_b32_e32 v46, 19, v46
	v_cmp_ne_u16_e32 vcc_lo, v46, v24
	s_and_b32 s4, vcc_lo, exec_lo
.LBB321_98:
	s_or_b32 exec_lo, exec_lo, s5
	s_branch .LBB321_127
.LBB321_99:
                                        ; implicit-def: $sgpr4
                                        ; implicit-def: $vgpr36
                                        ; implicit-def: $vgpr22_vgpr23_vgpr24
	s_cbranch_execz .LBB321_127
; %bb.100:
	s_mov_b32 s4, 0
	s_mov_b32 s5, 0
	s_mov_b32 s6, exec_lo
	v_cmpx_gt_u32_e64 s25, v9
; %bb.101:
	v_and_b32_e32 v22, 0xffff, v31
	v_mul_u32_u24_e32 v23, 0xcccd, v45
	s_delay_alu instid0(VALU_DEP_2) | instskip(NEXT) | instid1(VALU_DEP_2)
	v_mul_u32_u24_e32 v22, 0xcccd, v22
	v_lshrrev_b32_e32 v23, 19, v23
	s_delay_alu instid0(VALU_DEP_2) | instskip(NEXT) | instid1(VALU_DEP_1)
	v_lshrrev_b32_e32 v22, 19, v22
	v_cmp_ne_u16_e32 vcc_lo, v23, v22
	s_and_b32 s5, vcc_lo, exec_lo
; %bb.102:
	s_or_b32 exec_lo, exec_lo, s6
	s_delay_alu instid0(SALU_CYCLE_1)
	s_mov_b32 s6, exec_lo
	v_cmpx_gt_u32_e64 s25, v8
; %bb.103:
	v_mul_u32_u24_e32 v22, 0xcccd, v44
	v_mul_u32_u24_e32 v23, 0xcccd, v45
	s_delay_alu instid0(VALU_DEP_2) | instskip(NEXT) | instid1(VALU_DEP_2)
	v_lshrrev_b32_e32 v22, 19, v22
	v_lshrrev_b32_e32 v23, 19, v23
	s_delay_alu instid0(VALU_DEP_1)
	v_cmp_ne_u16_e32 vcc_lo, v22, v23
	s_and_b32 s4, vcc_lo, exec_lo
; %bb.104:
	s_or_b32 exec_lo, exec_lo, s6
	s_mov_b32 s6, 0
	s_mov_b32 s7, 0
	s_mov_b32 s19, exec_lo
	v_cmpx_gt_u32_e64 s25, v10
; %bb.105:
	v_mul_u32_u24_e32 v22, 0xcccd, v43
	v_mul_u32_u24_e32 v23, 0xcccd, v44
	s_delay_alu instid0(VALU_DEP_2) | instskip(NEXT) | instid1(VALU_DEP_2)
	v_lshrrev_b32_e32 v22, 19, v22
	v_lshrrev_b32_e32 v23, 19, v23
	s_delay_alu instid0(VALU_DEP_1)
	v_cmp_ne_u16_e32 vcc_lo, v22, v23
	s_and_b32 s7, vcc_lo, exec_lo
; %bb.106:
	s_or_b32 exec_lo, exec_lo, s19
	s_delay_alu instid0(SALU_CYCLE_1)
	s_mov_b32 s19, exec_lo
	v_cmpx_gt_u32_e64 s25, v11
; %bb.107:
	v_mul_u32_u24_e32 v22, 0xcccd, v42
	v_mul_u32_u24_e32 v23, 0xcccd, v43
	s_delay_alu instid0(VALU_DEP_2) | instskip(NEXT) | instid1(VALU_DEP_2)
	v_lshrrev_b32_e32 v22, 19, v22
	v_lshrrev_b32_e32 v23, 19, v23
	s_delay_alu instid0(VALU_DEP_1)
	v_cmp_ne_u16_e32 vcc_lo, v22, v23
	s_and_b32 s6, vcc_lo, exec_lo
; %bb.108:
	s_or_b32 exec_lo, exec_lo, s19
	s_mov_b32 s20, 0
	s_mov_b32 s19, 0
	s_mov_b32 s21, exec_lo
	v_cmpx_gt_u32_e64 s25, v2
; %bb.109:
	v_mul_u32_u24_e32 v22, 0xcccd, v35
	v_mul_u32_u24_e32 v23, 0xcccd, v42
	s_delay_alu instid0(VALU_DEP_2) | instskip(NEXT) | instid1(VALU_DEP_2)
	v_lshrrev_b32_e32 v22, 19, v22
	v_lshrrev_b32_e32 v23, 19, v23
	s_delay_alu instid0(VALU_DEP_1)
	;; [unrolled: 29-line block ×4, first 2 shown]
	v_cmp_ne_u16_e32 vcc_lo, v22, v23
	s_and_b32 s27, vcc_lo, exec_lo
; %bb.118:
	s_or_b32 exec_lo, exec_lo, s29
	s_delay_alu instid0(SALU_CYCLE_1)
	s_mov_b32 s29, exec_lo
	v_cmpx_gt_u32_e64 s25, v6
; %bb.119:
	v_mul_u32_u24_e32 v22, 0xcccd, v29
	v_mul_u32_u24_e32 v23, 0xcccd, v30
	s_delay_alu instid0(VALU_DEP_2) | instskip(NEXT) | instid1(VALU_DEP_2)
	v_lshrrev_b32_e32 v22, 19, v22
	v_lshrrev_b32_e32 v23, 19, v23
	s_delay_alu instid0(VALU_DEP_1)
	v_cmp_ne_u16_e32 vcc_lo, v22, v23
	s_and_b32 s28, vcc_lo, exec_lo
; %bb.120:
	s_or_b32 exec_lo, exec_lo, s29
	s_mov_b32 s29, 0
	s_mov_b32 s30, exec_lo
	v_cmpx_gt_u32_e64 s25, v12
; %bb.121:
	v_and_b32_e32 v22, 0xffff, v18
	v_mul_u32_u24_e32 v23, 0xcccd, v29
	s_delay_alu instid0(VALU_DEP_2) | instskip(NEXT) | instid1(VALU_DEP_2)
	v_mul_u32_u24_e32 v22, 0xcccd, v22
	v_lshrrev_b32_e32 v23, 19, v23
	s_delay_alu instid0(VALU_DEP_2) | instskip(NEXT) | instid1(VALU_DEP_1)
	v_lshrrev_b32_e32 v22, 19, v22
	v_cmp_ne_u16_e32 vcc_lo, v22, v23
	s_and_b32 s29, vcc_lo, exec_lo
; %bb.122:
	s_or_b32 exec_lo, exec_lo, s30
	v_cndmask_b32_e64 v22, 0, 1, s7
	v_cndmask_b32_e64 v24, 0, 1, s27
	;; [unrolled: 1-line block ×5, first 2 shown]
	v_lshlrev_b16 v22, 8, v22
	v_cndmask_b32_e64 v35, 0, 1, s19
	v_cndmask_b32_e64 v36, 0, 1, s29
	;; [unrolled: 1-line block ×5, first 2 shown]
	v_or_b32_e32 v22, v30, v22
	v_cndmask_b32_e64 v30, 0, 1, s4
	v_lshlrev_b16 v34, 8, v34
	v_lshlrev_b16 v32, 8, v32
	v_lshlrev_b16 v35, 8, v35
	v_lshlrev_b16 v36, 8, v36
	v_lshlrev_b16 v24, 8, v24
	v_or_b32_e32 v30, v30, v34
	v_or_b32_e32 v29, v29, v32
	;; [unrolled: 1-line block ×5, first 2 shown]
	v_and_b32_e32 v22, 0xffff, v22
	v_lshlrev_b32_e32 v24, 16, v30
	v_and_b32_e32 v29, 0xffff, v29
	v_lshlrev_b32_e32 v30, 16, v32
	;; [unrolled: 2-line block ×3, first 2 shown]
	v_or_b32_e32 v36, v22, v24
	s_waitcnt lgkmcnt(0)
	v_or_b32_e32 v23, v29, v30
	s_barrier
	v_or_b32_e32 v22, v32, v33
	buffer_gl0_inv
                                        ; implicit-def: $sgpr4
	s_and_saveexec_b32 s5, s3
	s_cbranch_execz .LBB321_126
; %bb.123:
	s_mov_b32 s4, 0
	s_mov_b32 s3, exec_lo
	v_cmpx_gt_u32_e64 s25, v1
	s_cbranch_execz .LBB321_125
; %bb.124:
	v_add_nc_u32_e32 v13, -2, v13
	v_and_b32_e32 v24, 0xffff, v18
	ds_load_u16 v13, v13
	v_mul_u32_u24_e32 v24, 0xcccd, v24
	s_delay_alu instid0(VALU_DEP_1) | instskip(SKIP_2) | instid1(VALU_DEP_1)
	v_lshrrev_b32_e32 v24, 19, v24
	s_waitcnt lgkmcnt(0)
	v_mul_u32_u24_e32 v13, 0xcccd, v13
	v_lshrrev_b32_e32 v13, 19, v13
	s_delay_alu instid0(VALU_DEP_1)
	v_cmp_ne_u16_e32 vcc_lo, v13, v24
	s_and_b32 s4, vcc_lo, exec_lo
.LBB321_125:
	s_or_b32 exec_lo, exec_lo, s3
	s_delay_alu instid0(SALU_CYCLE_1)
	s_and_b32 s4, s4, exec_lo
	s_or_b32 s0, s0, exec_lo
.LBB321_126:
	s_or_b32 exec_lo, exec_lo, s5
.LBB321_127:
	s_and_saveexec_b32 s3, s0
	s_cbranch_execz .LBB321_129
; %bb.128:
	s_waitcnt vmcnt(0) lgkmcnt(0)
	v_and_b32_e32 v13, 0xffffff00, v22
	v_cndmask_b32_e64 v24, 0, 1, s4
	s_delay_alu instid0(VALU_DEP_1) | instskip(NEXT) | instid1(VALU_DEP_1)
	v_or_b32_e32 v13, v24, v13
	v_and_b32_e32 v13, 0xffff, v13
	s_delay_alu instid0(VALU_DEP_1)
	v_and_or_b32 v22, 0xffff0000, v22, v13
.LBB321_129:
	s_or_b32 exec_lo, exec_lo, s3
	s_delay_alu instid0(SALU_CYCLE_1)
	s_and_not1_b32 vcc_lo, exec_lo, s1
	s_cbranch_vccnz .LBB321_131
; %bb.130:
	v_cmp_gt_u32_e32 vcc_lo, s25, v1
	v_cmp_gt_u32_e64 s1, s25, v6
	v_cmp_gt_u32_e64 s4, s25, v4
	;; [unrolled: 1-line block ×4, first 2 shown]
	v_cndmask_b32_e32 v1, 0, v22, vcc_lo
	v_cmp_gt_u32_e32 vcc_lo, s25, v12
	v_and_b32_e32 v12, 0xffffff00, v23
	v_cmp_gt_u32_e64 s5, s25, v3
	s_delay_alu instid0(VALU_DEP_4) | instskip(NEXT) | instid1(VALU_DEP_3)
	v_and_b32_e32 v1, 0xff, v1
	v_cndmask_b32_e64 v7, v12, v23, s0
	s_delay_alu instid0(VALU_DEP_2) | instskip(SKIP_1) | instid1(VALU_DEP_3)
	v_cndmask_b32_e32 v1, v1, v22, vcc_lo
	v_cmp_gt_u32_e32 vcc_lo, s25, v11
	v_and_b32_e32 v7, 0xffff00ff, v7
	s_delay_alu instid0(VALU_DEP_3) | instskip(SKIP_1) | instid1(VALU_DEP_3)
	v_and_b32_e32 v1, 0xffff, v1
	v_cndmask_b32_e32 v11, 0, v36, vcc_lo
	v_cndmask_b32_e64 v5, v7, v23, s3
	s_delay_alu instid0(VALU_DEP_3) | instskip(SKIP_1) | instid1(VALU_DEP_3)
	v_cndmask_b32_e64 v1, v1, v22, s1
	v_cmp_gt_u32_e64 s1, s25, v10
	v_and_b32_e32 v5, 0xff00ffff, v5
	s_delay_alu instid0(VALU_DEP_3) | instskip(NEXT) | instid1(VALU_DEP_2)
	v_and_b32_e32 v1, 0xffffff, v1
	v_cndmask_b32_e64 v3, v5, v23, s5
	s_delay_alu instid0(VALU_DEP_2) | instskip(SKIP_1) | instid1(VALU_DEP_2)
	v_cndmask_b32_e64 v1, v1, v22, s4
	v_cmp_gt_u32_e64 s4, s25, v8
	v_cndmask_b32_e64 v1, v1, v22, s0
	v_cmp_gt_u32_e64 s0, s25, v9
	s_delay_alu instid0(VALU_DEP_2) | instskip(SKIP_2) | instid1(VALU_DEP_3)
	v_cndmask_b32_e64 v1, v1, v22, s3
	v_cmp_gt_u32_e64 s3, s25, v2
	v_and_b32_e32 v2, 0xffffff, v3
	v_cndmask_b32_e64 v1, v1, v22, s5
	v_and_b32_e32 v11, 0xff, v11
	s_delay_alu instid0(VALU_DEP_1) | instskip(NEXT) | instid1(VALU_DEP_1)
	v_cndmask_b32_e64 v6, v11, v36, s1
	v_and_b32_e32 v6, 0xffff, v6
	s_delay_alu instid0(VALU_DEP_1) | instskip(NEXT) | instid1(VALU_DEP_1)
	v_cndmask_b32_e64 v4, v6, v36, s4
	v_and_b32_e32 v4, 0xffffff, v4
	s_delay_alu instid0(VALU_DEP_1) | instskip(SKIP_1) | instid1(SALU_CYCLE_1)
	v_cndmask_b32_e64 v36, v4, v36, s0
	s_or_b32 s0, s0, s4
	s_or_b32 s0, s0, s1
	s_delay_alu instid0(SALU_CYCLE_1) | instskip(NEXT) | instid1(SALU_CYCLE_1)
	s_or_b32 s0, s0, vcc_lo
	s_or_b32 vcc_lo, s0, s3
	v_dual_cndmask_b32 v22, v1, v22 :: v_dual_cndmask_b32 v23, v2, v23
.LBB321_131:
	s_delay_alu instid0(VALU_DEP_1) | instskip(NEXT) | instid1(VALU_DEP_2)
	v_and_b32_e32 v42, 0xff, v22
	v_alignbit_b32 v1, v23, v22, 24
	v_bfe_u32 v43, v22, 8, 8
	v_bfe_u32 v44, v22, 16, 8
	v_and_b32_e32 v46, 0xff, v23
	v_bfe_u32 v47, v23, 8, 8
	v_and_b32_e32 v45, 0xff, v1
	v_dual_mov_b32 v1, v36 :: v_dual_add_nc_u32 v2, v43, v42
	v_bfe_u32 v48, v23, 16, 8
	v_lshrrev_b32_e32 v24, 24, v23
	v_and_b32_e32 v49, 0xff, v36
	v_mbcnt_lo_u32_b32 v52, -1, 0
	v_add3_u32 v2, v2, v44, v45
	v_bfe_u32 v50, v36, 8, 8
	v_alignbit_b32 v3, s0, v36, 24
	v_bfe_u32 v51, v36, 16, 8
	v_and_b32_e32 v4, 15, v52
	v_add3_u32 v2, v2, v46, v47
	v_or_b32_e32 v5, 31, v0
	v_and_b32_e32 v3, 0xff, v3
	v_and_b32_e32 v6, 16, v52
	v_cmp_eq_u32_e64 s6, 0, v4
	v_add3_u32 v2, v2, v48, v24
	v_cmp_lt_u32_e64 s5, 1, v4
	v_cmp_lt_u32_e64 s4, 3, v4
	;; [unrolled: 1-line block ×3, first 2 shown]
	v_cmp_eq_u32_e64 s1, 0, v6
	v_add3_u32 v2, v2, v49, v50
	v_lshrrev_b32_e32 v53, 5, v0
	v_cmp_eq_u32_e64 s0, v5, v0
	s_and_b32 vcc_lo, exec_lo, s18
	s_mov_b32 s7, -1
	v_add3_u32 v54, v2, v51, v3
	s_waitcnt vmcnt(0) lgkmcnt(0)
	s_barrier
	buffer_gl0_inv
	s_cbranch_vccz .LBB321_162
; %bb.132:
	v_mov_b32_dpp v2, v54 row_shr:1 row_mask:0xf bank_mask:0xf
	s_delay_alu instid0(VALU_DEP_1) | instskip(NEXT) | instid1(VALU_DEP_1)
	v_cndmask_b32_e64 v2, v2, 0, s6
	v_add_nc_u32_e32 v2, v2, v54
	s_delay_alu instid0(VALU_DEP_1) | instskip(NEXT) | instid1(VALU_DEP_1)
	v_mov_b32_dpp v3, v2 row_shr:2 row_mask:0xf bank_mask:0xf
	v_cndmask_b32_e64 v3, 0, v3, s5
	s_delay_alu instid0(VALU_DEP_1) | instskip(NEXT) | instid1(VALU_DEP_1)
	v_add_nc_u32_e32 v2, v2, v3
	v_mov_b32_dpp v3, v2 row_shr:4 row_mask:0xf bank_mask:0xf
	s_delay_alu instid0(VALU_DEP_1) | instskip(NEXT) | instid1(VALU_DEP_1)
	v_cndmask_b32_e64 v3, 0, v3, s4
	v_add_nc_u32_e32 v2, v2, v3
	s_delay_alu instid0(VALU_DEP_1) | instskip(NEXT) | instid1(VALU_DEP_1)
	v_mov_b32_dpp v3, v2 row_shr:8 row_mask:0xf bank_mask:0xf
	v_cndmask_b32_e64 v3, 0, v3, s3
	s_delay_alu instid0(VALU_DEP_1) | instskip(SKIP_3) | instid1(VALU_DEP_1)
	v_add_nc_u32_e32 v2, v2, v3
	ds_swizzle_b32 v3, v2 offset:swizzle(BROADCAST,32,15)
	s_waitcnt lgkmcnt(0)
	v_cndmask_b32_e64 v3, v3, 0, s1
	v_add_nc_u32_e32 v2, v2, v3
	s_and_saveexec_b32 s7, s0
	s_cbranch_execz .LBB321_134
; %bb.133:
	v_lshlrev_b32_e32 v3, 2, v53
	ds_store_b32 v3, v2
.LBB321_134:
	s_or_b32 exec_lo, exec_lo, s7
	s_delay_alu instid0(SALU_CYCLE_1)
	s_mov_b32 s7, exec_lo
	s_waitcnt lgkmcnt(0)
	s_barrier
	buffer_gl0_inv
	v_cmpx_gt_u32_e32 4, v0
	s_cbranch_execz .LBB321_136
; %bb.135:
	v_and_b32_e32 v5, 3, v52
	s_delay_alu instid0(VALU_DEP_1) | instskip(SKIP_4) | instid1(VALU_DEP_1)
	v_cmp_ne_u32_e32 vcc_lo, 0, v5
	v_lshlrev_b32_e32 v3, 2, v0
	ds_load_b32 v4, v3
	s_waitcnt lgkmcnt(0)
	v_mov_b32_dpp v6, v4 row_shr:1 row_mask:0xf bank_mask:0xf
	v_cndmask_b32_e32 v6, 0, v6, vcc_lo
	v_cmp_lt_u32_e32 vcc_lo, 1, v5
	s_delay_alu instid0(VALU_DEP_2) | instskip(NEXT) | instid1(VALU_DEP_1)
	v_add_nc_u32_e32 v4, v6, v4
	v_mov_b32_dpp v6, v4 row_shr:2 row_mask:0xf bank_mask:0xf
	s_delay_alu instid0(VALU_DEP_1) | instskip(NEXT) | instid1(VALU_DEP_1)
	v_cndmask_b32_e32 v5, 0, v6, vcc_lo
	v_add_nc_u32_e32 v4, v4, v5
	ds_store_b32 v3, v4
.LBB321_136:
	s_or_b32 exec_lo, exec_lo, s7
	v_cmp_gt_u32_e32 vcc_lo, 32, v0
	s_mov_b32 s18, exec_lo
	s_waitcnt lgkmcnt(0)
	s_barrier
	buffer_gl0_inv
                                        ; implicit-def: $vgpr10
	v_cmpx_lt_u32_e32 31, v0
	s_cbranch_execz .LBB321_138
; %bb.137:
	v_lshl_add_u32 v3, v53, 2, -4
	ds_load_b32 v10, v3
	s_waitcnt lgkmcnt(0)
	v_add_nc_u32_e32 v2, v10, v2
.LBB321_138:
	s_or_b32 exec_lo, exec_lo, s18
	v_add_nc_u32_e32 v3, -1, v52
	s_delay_alu instid0(VALU_DEP_1) | instskip(NEXT) | instid1(VALU_DEP_1)
	v_cmp_gt_i32_e64 s7, 0, v3
	v_cndmask_b32_e64 v3, v3, v52, s7
	v_cmp_eq_u32_e64 s7, 0, v52
	s_delay_alu instid0(VALU_DEP_2)
	v_lshlrev_b32_e32 v3, 2, v3
	ds_bpermute_b32 v11, v3, v2
	s_and_saveexec_b32 s18, vcc_lo
	s_cbranch_execz .LBB321_161
; %bb.139:
	v_mov_b32_e32 v6, 0
	ds_load_b32 v2, v6 offset:12
	s_and_saveexec_b32 s19, s7
	s_cbranch_execz .LBB321_141
; %bb.140:
	s_add_i32 s20, s24, 32
	s_mov_b32 s21, 0
	v_mov_b32_e32 v3, 1
	s_lshl_b64 s[20:21], s[20:21], 3
	s_delay_alu instid0(SALU_CYCLE_1)
	s_add_u32 s20, s16, s20
	s_addc_u32 s21, s17, s21
	s_waitcnt lgkmcnt(0)
	global_store_b64 v6, v[2:3], s[20:21]
.LBB321_141:
	s_or_b32 exec_lo, exec_lo, s19
	v_xad_u32 v4, v52, -1, s24
	s_mov_b32 s20, 0
	s_mov_b32 s19, exec_lo
	s_delay_alu instid0(VALU_DEP_1) | instskip(NEXT) | instid1(VALU_DEP_1)
	v_add_nc_u32_e32 v5, 32, v4
	v_lshlrev_b64 v[5:6], 3, v[5:6]
	s_delay_alu instid0(VALU_DEP_1) | instskip(NEXT) | instid1(VALU_DEP_2)
	v_add_co_u32 v8, vcc_lo, s16, v5
	v_add_co_ci_u32_e32 v9, vcc_lo, s17, v6, vcc_lo
	global_load_b64 v[6:7], v[8:9], off glc
	s_waitcnt vmcnt(0)
	v_and_b32_e32 v3, 0xff, v7
	s_delay_alu instid0(VALU_DEP_1)
	v_cmpx_eq_u16_e32 0, v3
	s_cbranch_execz .LBB321_147
; %bb.142:
	s_mov_b32 s21, 1
	.p2align	6
.LBB321_143:                            ; =>This Loop Header: Depth=1
                                        ;     Child Loop BB321_144 Depth 2
	s_delay_alu instid0(SALU_CYCLE_1)
	s_max_u32 s25, s21, 1
.LBB321_144:                            ;   Parent Loop BB321_143 Depth=1
                                        ; =>  This Inner Loop Header: Depth=2
	s_delay_alu instid0(SALU_CYCLE_1)
	s_add_i32 s25, s25, -1
	s_sleep 1
	s_cmp_eq_u32 s25, 0
	s_cbranch_scc0 .LBB321_144
; %bb.145:                              ;   in Loop: Header=BB321_143 Depth=1
	global_load_b64 v[6:7], v[8:9], off glc
	s_cmp_lt_u32 s21, 32
	s_cselect_b32 s25, -1, 0
	s_delay_alu instid0(SALU_CYCLE_1) | instskip(SKIP_3) | instid1(VALU_DEP_1)
	s_cmp_lg_u32 s25, 0
	s_addc_u32 s21, s21, 0
	s_waitcnt vmcnt(0)
	v_and_b32_e32 v3, 0xff, v7
	v_cmp_ne_u16_e32 vcc_lo, 0, v3
	s_or_b32 s20, vcc_lo, s20
	s_delay_alu instid0(SALU_CYCLE_1)
	s_and_not1_b32 exec_lo, exec_lo, s20
	s_cbranch_execnz .LBB321_143
; %bb.146:
	s_or_b32 exec_lo, exec_lo, s20
.LBB321_147:
	s_delay_alu instid0(SALU_CYCLE_1)
	s_or_b32 exec_lo, exec_lo, s19
	v_cmp_ne_u32_e32 vcc_lo, 31, v52
	v_lshlrev_b32_e64 v13, v52, -1
	v_add_nc_u32_e32 v30, 2, v52
	v_add_nc_u32_e32 v56, 16, v52
	v_add_co_ci_u32_e32 v3, vcc_lo, 0, v52, vcc_lo
	s_delay_alu instid0(VALU_DEP_1)
	v_lshlrev_b32_e32 v12, 2, v3
	v_and_b32_e32 v3, 0xff, v7
	ds_bpermute_b32 v5, v12, v6
	v_cmp_eq_u16_e32 vcc_lo, 2, v3
	v_and_or_b32 v3, vcc_lo, v13, 0x80000000
	v_cmp_gt_u32_e32 vcc_lo, 30, v52
	s_delay_alu instid0(VALU_DEP_2) | instskip(SKIP_1) | instid1(VALU_DEP_2)
	v_ctz_i32_b32_e32 v3, v3
	v_cndmask_b32_e64 v8, 0, 1, vcc_lo
	v_cmp_lt_u32_e32 vcc_lo, v52, v3
	s_waitcnt lgkmcnt(0)
	s_delay_alu instid0(VALU_DEP_2) | instskip(NEXT) | instid1(VALU_DEP_1)
	v_dual_cndmask_b32 v5, 0, v5 :: v_dual_lshlrev_b32 v8, 1, v8
	v_add_lshl_u32 v29, v8, v52, 2
	v_cmp_gt_u32_e32 vcc_lo, 28, v52
	s_delay_alu instid0(VALU_DEP_3) | instskip(SKIP_4) | instid1(VALU_DEP_1)
	v_add_nc_u32_e32 v5, v5, v6
	v_cndmask_b32_e64 v8, 0, 1, vcc_lo
	v_cmp_le_u32_e32 vcc_lo, v30, v3
	ds_bpermute_b32 v6, v29, v5
	v_lshlrev_b32_e32 v8, 2, v8
	v_add_lshl_u32 v32, v8, v52, 2
	s_waitcnt lgkmcnt(0)
	v_cndmask_b32_e32 v6, 0, v6, vcc_lo
	v_cmp_gt_u32_e32 vcc_lo, 24, v52
	s_delay_alu instid0(VALU_DEP_2) | instskip(SKIP_4) | instid1(VALU_DEP_2)
	v_add_nc_u32_e32 v5, v5, v6
	v_cndmask_b32_e64 v8, 0, 1, vcc_lo
	ds_bpermute_b32 v6, v32, v5
	v_add_nc_u32_e32 v33, 4, v52
	v_lshlrev_b32_e32 v8, 3, v8
	v_cmp_le_u32_e32 vcc_lo, v33, v3
	s_delay_alu instid0(VALU_DEP_2) | instskip(SKIP_3) | instid1(VALU_DEP_2)
	v_add_lshl_u32 v34, v8, v52, 2
	s_waitcnt lgkmcnt(0)
	v_cndmask_b32_e32 v6, 0, v6, vcc_lo
	v_cmp_gt_u32_e32 vcc_lo, 16, v52
	v_add_nc_u32_e32 v5, v5, v6
	v_cndmask_b32_e64 v8, 0, 1, vcc_lo
	ds_bpermute_b32 v6, v34, v5
	v_add_nc_u32_e32 v35, 8, v52
	v_lshlrev_b32_e32 v8, 4, v8
	s_delay_alu instid0(VALU_DEP_2) | instskip(NEXT) | instid1(VALU_DEP_2)
	v_cmp_le_u32_e32 vcc_lo, v35, v3
	v_add_lshl_u32 v55, v8, v52, 2
	s_waitcnt lgkmcnt(0)
	v_cndmask_b32_e32 v6, 0, v6, vcc_lo
	v_cmp_le_u32_e32 vcc_lo, v56, v3
	s_delay_alu instid0(VALU_DEP_2) | instskip(SKIP_3) | instid1(VALU_DEP_1)
	v_add_nc_u32_e32 v5, v5, v6
	ds_bpermute_b32 v6, v55, v5
	s_waitcnt lgkmcnt(0)
	v_cndmask_b32_e32 v3, 0, v6, vcc_lo
	v_dual_mov_b32 v5, 0 :: v_dual_add_nc_u32 v6, v5, v3
	s_branch .LBB321_149
.LBB321_148:                            ;   in Loop: Header=BB321_149 Depth=1
	s_or_b32 exec_lo, exec_lo, s19
	ds_bpermute_b32 v9, v12, v6
	v_and_b32_e32 v8, 0xff, v7
	v_subrev_nc_u32_e32 v4, 32, v4
	s_delay_alu instid0(VALU_DEP_2) | instskip(SKIP_1) | instid1(VALU_DEP_1)
	v_cmp_eq_u16_e32 vcc_lo, 2, v8
	v_and_or_b32 v8, vcc_lo, v13, 0x80000000
	v_ctz_i32_b32_e32 v8, v8
	s_delay_alu instid0(VALU_DEP_1) | instskip(SKIP_3) | instid1(VALU_DEP_2)
	v_cmp_lt_u32_e32 vcc_lo, v52, v8
	s_waitcnt lgkmcnt(0)
	v_cndmask_b32_e32 v9, 0, v9, vcc_lo
	v_cmp_le_u32_e32 vcc_lo, v30, v8
	v_add_nc_u32_e32 v6, v9, v6
	ds_bpermute_b32 v9, v29, v6
	s_waitcnt lgkmcnt(0)
	v_cndmask_b32_e32 v9, 0, v9, vcc_lo
	v_cmp_le_u32_e32 vcc_lo, v33, v8
	s_delay_alu instid0(VALU_DEP_2) | instskip(SKIP_4) | instid1(VALU_DEP_2)
	v_add_nc_u32_e32 v6, v6, v9
	ds_bpermute_b32 v9, v32, v6
	s_waitcnt lgkmcnt(0)
	v_cndmask_b32_e32 v9, 0, v9, vcc_lo
	v_cmp_le_u32_e32 vcc_lo, v35, v8
	v_add_nc_u32_e32 v6, v6, v9
	ds_bpermute_b32 v9, v34, v6
	s_waitcnt lgkmcnt(0)
	v_cndmask_b32_e32 v9, 0, v9, vcc_lo
	v_cmp_le_u32_e32 vcc_lo, v56, v8
	s_delay_alu instid0(VALU_DEP_2) | instskip(SKIP_3) | instid1(VALU_DEP_1)
	v_add_nc_u32_e32 v6, v6, v9
	ds_bpermute_b32 v9, v55, v6
	s_waitcnt lgkmcnt(0)
	v_cndmask_b32_e32 v8, 0, v9, vcc_lo
	v_add3_u32 v6, v8, v3, v6
.LBB321_149:                            ; =>This Loop Header: Depth=1
                                        ;     Child Loop BB321_152 Depth 2
                                        ;       Child Loop BB321_153 Depth 3
	v_and_b32_e32 v3, 0xff, v7
	s_delay_alu instid0(VALU_DEP_1) | instskip(SKIP_2) | instid1(VALU_DEP_1)
	v_cmp_ne_u16_e32 vcc_lo, 2, v3
	v_cndmask_b32_e64 v3, 0, 1, vcc_lo
	;;#ASMSTART
	;;#ASMEND
	v_cmp_ne_u32_e32 vcc_lo, 0, v3
	v_mov_b32_e32 v3, v6
	s_cmp_lg_u32 vcc_lo, exec_lo
	s_cbranch_scc1 .LBB321_156
; %bb.150:                              ;   in Loop: Header=BB321_149 Depth=1
	v_lshlrev_b64 v[6:7], 3, v[4:5]
	s_mov_b32 s19, exec_lo
	s_delay_alu instid0(VALU_DEP_1) | instskip(NEXT) | instid1(VALU_DEP_2)
	v_add_co_u32 v8, vcc_lo, s16, v6
	v_add_co_ci_u32_e32 v9, vcc_lo, s17, v7, vcc_lo
	global_load_b64 v[6:7], v[8:9], off glc
	s_waitcnt vmcnt(0)
	v_and_b32_e32 v57, 0xff, v7
	s_delay_alu instid0(VALU_DEP_1)
	v_cmpx_eq_u16_e32 0, v57
	s_cbranch_execz .LBB321_148
; %bb.151:                              ;   in Loop: Header=BB321_149 Depth=1
	s_mov_b32 s21, 1
	s_mov_b32 s20, 0
	.p2align	6
.LBB321_152:                            ;   Parent Loop BB321_149 Depth=1
                                        ; =>  This Loop Header: Depth=2
                                        ;       Child Loop BB321_153 Depth 3
	s_max_u32 s25, s21, 1
.LBB321_153:                            ;   Parent Loop BB321_149 Depth=1
                                        ;     Parent Loop BB321_152 Depth=2
                                        ; =>    This Inner Loop Header: Depth=3
	s_delay_alu instid0(SALU_CYCLE_1)
	s_add_i32 s25, s25, -1
	s_sleep 1
	s_cmp_eq_u32 s25, 0
	s_cbranch_scc0 .LBB321_153
; %bb.154:                              ;   in Loop: Header=BB321_152 Depth=2
	global_load_b64 v[6:7], v[8:9], off glc
	s_cmp_lt_u32 s21, 32
	s_cselect_b32 s25, -1, 0
	s_delay_alu instid0(SALU_CYCLE_1) | instskip(SKIP_3) | instid1(VALU_DEP_1)
	s_cmp_lg_u32 s25, 0
	s_addc_u32 s21, s21, 0
	s_waitcnt vmcnt(0)
	v_and_b32_e32 v57, 0xff, v7
	v_cmp_ne_u16_e32 vcc_lo, 0, v57
	s_or_b32 s20, vcc_lo, s20
	s_delay_alu instid0(SALU_CYCLE_1)
	s_and_not1_b32 exec_lo, exec_lo, s20
	s_cbranch_execnz .LBB321_152
; %bb.155:                              ;   in Loop: Header=BB321_149 Depth=1
	s_or_b32 exec_lo, exec_lo, s20
	s_branch .LBB321_148
.LBB321_156:                            ;   in Loop: Header=BB321_149 Depth=1
                                        ; implicit-def: $vgpr6
                                        ; implicit-def: $vgpr7
	s_cbranch_execz .LBB321_149
; %bb.157:
	s_and_saveexec_b32 s19, s7
	s_cbranch_execz .LBB321_159
; %bb.158:
	s_add_i32 s20, s24, 32
	s_mov_b32 s21, 0
	v_dual_mov_b32 v5, 2 :: v_dual_add_nc_u32 v4, v3, v2
	s_lshl_b64 s[20:21], s[20:21], 3
	v_mov_b32_e32 v6, 0
	s_add_u32 s20, s16, s20
	s_addc_u32 s21, s17, s21
	global_store_b64 v6, v[4:5], s[20:21]
	ds_store_b64 v6, v[2:3] offset:3072
.LBB321_159:
	s_or_b32 exec_lo, exec_lo, s19
	s_delay_alu instid0(SALU_CYCLE_1)
	s_and_b32 exec_lo, exec_lo, s2
	s_cbranch_execz .LBB321_161
; %bb.160:
	v_mov_b32_e32 v2, 0
	ds_store_b32 v2, v3 offset:12
.LBB321_161:
	s_or_b32 exec_lo, exec_lo, s18
	v_mov_b32_e32 v12, 0
	s_waitcnt lgkmcnt(0)
	s_waitcnt_vscnt null, 0x0
	s_barrier
	buffer_gl0_inv
	v_cndmask_b32_e64 v3, v11, v10, s7
	ds_load_b32 v2, v12 offset:12
	s_waitcnt lgkmcnt(0)
	s_barrier
	buffer_gl0_inv
	v_cndmask_b32_e64 v3, v3, 0, s2
	s_delay_alu instid0(VALU_DEP_1) | instskip(NEXT) | instid1(VALU_DEP_1)
	v_add_nc_u32_e32 v2, v2, v3
	v_add_nc_u32_e32 v3, v2, v42
	ds_load_b64 v[29:30], v12 offset:3072
	v_add_nc_u32_e32 v4, v3, v43
	s_delay_alu instid0(VALU_DEP_1) | instskip(NEXT) | instid1(VALU_DEP_1)
	v_add_nc_u32_e32 v5, v4, v44
	v_add_nc_u32_e32 v6, v5, v45
	s_delay_alu instid0(VALU_DEP_1) | instskip(NEXT) | instid1(VALU_DEP_1)
	v_add_nc_u32_e32 v7, v6, v46
	;; [unrolled: 3-line block ×4, first 2 shown]
	v_add_nc_u32_e32 v12, v11, v50
	s_delay_alu instid0(VALU_DEP_1)
	v_add_nc_u32_e32 v13, v12, v51
	v_lshrrev_b64 v[34:35], 24, v[22:23]
	v_lshrrev_b64 v[32:33], 24, v[1:2]
	s_branch .LBB321_172
.LBB321_162:
                                        ; implicit-def: $vgpr30
                                        ; implicit-def: $vgpr2_vgpr3_vgpr4_vgpr5_vgpr6_vgpr7_vgpr8_vgpr9_vgpr10_vgpr11_vgpr12_vgpr13
                                        ; implicit-def: $vgpr29
	v_lshrrev_b64 v[34:35], 24, v[22:23]
	v_lshrrev_b64 v[32:33], 24, v[1:2]
	s_and_b32 vcc_lo, exec_lo, s7
	s_cbranch_vccz .LBB321_172
; %bb.163:
	v_mov_b32_dpp v1, v54 row_shr:1 row_mask:0xf bank_mask:0xf
	s_delay_alu instid0(VALU_DEP_1) | instskip(NEXT) | instid1(VALU_DEP_1)
	v_cndmask_b32_e64 v1, v1, 0, s6
	v_add_nc_u32_e32 v1, v1, v54
	s_delay_alu instid0(VALU_DEP_1) | instskip(NEXT) | instid1(VALU_DEP_1)
	v_mov_b32_dpp v2, v1 row_shr:2 row_mask:0xf bank_mask:0xf
	v_cndmask_b32_e64 v2, 0, v2, s5
	s_delay_alu instid0(VALU_DEP_1) | instskip(NEXT) | instid1(VALU_DEP_1)
	v_add_nc_u32_e32 v1, v1, v2
	v_mov_b32_dpp v2, v1 row_shr:4 row_mask:0xf bank_mask:0xf
	s_delay_alu instid0(VALU_DEP_1) | instskip(NEXT) | instid1(VALU_DEP_1)
	v_cndmask_b32_e64 v2, 0, v2, s4
	v_add_nc_u32_e32 v1, v1, v2
	s_delay_alu instid0(VALU_DEP_1) | instskip(NEXT) | instid1(VALU_DEP_1)
	v_mov_b32_dpp v2, v1 row_shr:8 row_mask:0xf bank_mask:0xf
	v_cndmask_b32_e64 v2, 0, v2, s3
	s_delay_alu instid0(VALU_DEP_1) | instskip(SKIP_3) | instid1(VALU_DEP_1)
	v_add_nc_u32_e32 v1, v1, v2
	ds_swizzle_b32 v2, v1 offset:swizzle(BROADCAST,32,15)
	s_waitcnt lgkmcnt(0)
	v_cndmask_b32_e64 v2, v2, 0, s1
	v_add_nc_u32_e32 v1, v1, v2
	s_and_saveexec_b32 s1, s0
	s_cbranch_execz .LBB321_165
; %bb.164:
	v_lshlrev_b32_e32 v2, 2, v53
	ds_store_b32 v2, v1
.LBB321_165:
	s_or_b32 exec_lo, exec_lo, s1
	s_delay_alu instid0(SALU_CYCLE_1)
	s_mov_b32 s0, exec_lo
	s_waitcnt lgkmcnt(0)
	s_barrier
	buffer_gl0_inv
	v_cmpx_gt_u32_e32 4, v0
	s_cbranch_execz .LBB321_167
; %bb.166:
	v_and_b32_e32 v4, 3, v52
	s_delay_alu instid0(VALU_DEP_1) | instskip(SKIP_4) | instid1(VALU_DEP_1)
	v_cmp_ne_u32_e32 vcc_lo, 0, v4
	v_lshlrev_b32_e32 v2, 2, v0
	ds_load_b32 v3, v2
	s_waitcnt lgkmcnt(0)
	v_mov_b32_dpp v5, v3 row_shr:1 row_mask:0xf bank_mask:0xf
	v_cndmask_b32_e32 v5, 0, v5, vcc_lo
	v_cmp_lt_u32_e32 vcc_lo, 1, v4
	s_delay_alu instid0(VALU_DEP_2) | instskip(NEXT) | instid1(VALU_DEP_1)
	v_add_nc_u32_e32 v3, v5, v3
	v_mov_b32_dpp v5, v3 row_shr:2 row_mask:0xf bank_mask:0xf
	s_delay_alu instid0(VALU_DEP_1) | instskip(NEXT) | instid1(VALU_DEP_1)
	v_cndmask_b32_e32 v4, 0, v5, vcc_lo
	v_add_nc_u32_e32 v3, v3, v4
	ds_store_b32 v2, v3
.LBB321_167:
	s_or_b32 exec_lo, exec_lo, s0
	v_dual_mov_b32 v3, 0 :: v_dual_mov_b32 v2, 0
	s_mov_b32 s0, exec_lo
	s_waitcnt lgkmcnt(0)
	s_barrier
	buffer_gl0_inv
	v_cmpx_lt_u32_e32 31, v0
	s_cbranch_execz .LBB321_169
; %bb.168:
	v_lshl_add_u32 v2, v53, 2, -4
	ds_load_b32 v2, v2
.LBB321_169:
	s_or_b32 exec_lo, exec_lo, s0
	v_add_nc_u32_e32 v4, -1, v52
	ds_load_b32 v29, v3 offset:12
	s_waitcnt lgkmcnt(1)
	v_add_nc_u32_e32 v1, v2, v1
	v_cmp_gt_i32_e32 vcc_lo, 0, v4
	v_cndmask_b32_e32 v4, v4, v52, vcc_lo
	s_delay_alu instid0(VALU_DEP_1)
	v_lshlrev_b32_e32 v4, 2, v4
	ds_bpermute_b32 v1, v4, v1
	s_and_saveexec_b32 s0, s2
	s_cbranch_execz .LBB321_171
; %bb.170:
	v_dual_mov_b32 v3, 0 :: v_dual_mov_b32 v30, 2
	s_waitcnt lgkmcnt(1)
	global_store_b64 v3, v[29:30], s[16:17] offset:256
.LBB321_171:
	s_or_b32 exec_lo, exec_lo, s0
	v_cmp_eq_u32_e32 vcc_lo, 0, v52
	s_waitcnt lgkmcnt(0)
	s_waitcnt_vscnt null, 0x0
	s_barrier
	buffer_gl0_inv
	v_dual_mov_b32 v30, 0 :: v_dual_cndmask_b32 v1, v1, v2
	s_delay_alu instid0(VALU_DEP_1) | instskip(NEXT) | instid1(VALU_DEP_1)
	v_cndmask_b32_e64 v2, v1, 0, s2
	v_add_nc_u32_e32 v3, v2, v42
	s_delay_alu instid0(VALU_DEP_1) | instskip(NEXT) | instid1(VALU_DEP_1)
	v_add_nc_u32_e32 v4, v3, v43
	v_add_nc_u32_e32 v5, v4, v44
	s_delay_alu instid0(VALU_DEP_1) | instskip(NEXT) | instid1(VALU_DEP_1)
	v_add_nc_u32_e32 v6, v5, v45
	;; [unrolled: 3-line block ×5, first 2 shown]
	v_add_nc_u32_e32 v13, v12, v51
.LBB321_172:
	s_waitcnt lgkmcnt(0)
	v_add_nc_u32_e32 v46, v30, v29
	v_cmp_gt_u32_e64 s0, 0x81, v29
	v_lshrrev_b32_e32 v33, 16, v36
	v_lshrrev_b32_e32 v44, 16, v22
	;; [unrolled: 1-line block ×6, first 2 shown]
	v_cmp_lt_u32_e64 s1, v2, v46
	s_and_b32 vcc_lo, exec_lo, s0
	s_mov_b32 s3, -1
	s_cbranch_vccz .LBB321_210
; %bb.173:
	s_lshl_b64 s[4:5], s[10:11], 1
	s_delay_alu instid0(SALU_CYCLE_1) | instskip(SKIP_2) | instid1(SALU_CYCLE_1)
	s_add_u32 s3, s12, s4
	s_addc_u32 s4, s13, s5
	s_or_b32 s5, s23, s1
	s_and_saveexec_b32 s1, s5
	s_cbranch_execz .LBB321_176
; %bb.174:
	v_and_b32_e32 v1, 1, v22
	s_delay_alu instid0(VALU_DEP_1)
	v_cmp_eq_u32_e32 vcc_lo, 1, v1
	s_and_b32 exec_lo, exec_lo, vcc_lo
	s_cbranch_execz .LBB321_176
; %bb.175:
	v_dual_mov_b32 v48, 0 :: v_dual_mov_b32 v47, v2
	s_delay_alu instid0(VALU_DEP_1) | instskip(NEXT) | instid1(VALU_DEP_1)
	v_lshlrev_b64 v[47:48], 1, v[47:48]
	v_add_co_u32 v47, vcc_lo, s3, v47
	s_delay_alu instid0(VALU_DEP_2)
	v_add_co_ci_u32_e32 v48, vcc_lo, s4, v48, vcc_lo
	global_store_b16 v[47:48], v18, off
.LBB321_176:
	s_or_b32 exec_lo, exec_lo, s1
	v_cmp_lt_u32_e32 vcc_lo, v3, v46
	s_or_b32 s5, s23, vcc_lo
	s_delay_alu instid0(SALU_CYCLE_1)
	s_and_saveexec_b32 s1, s5
	s_cbranch_execz .LBB321_179
; %bb.177:
	v_and_b32_e32 v1, 1, v45
	s_delay_alu instid0(VALU_DEP_1)
	v_cmp_eq_u32_e32 vcc_lo, 1, v1
	s_and_b32 exec_lo, exec_lo, vcc_lo
	s_cbranch_execz .LBB321_179
; %bb.178:
	v_dual_mov_b32 v48, 0 :: v_dual_mov_b32 v47, v3
	s_delay_alu instid0(VALU_DEP_1) | instskip(NEXT) | instid1(VALU_DEP_1)
	v_lshlrev_b64 v[47:48], 1, v[47:48]
	v_add_co_u32 v47, vcc_lo, s3, v47
	s_delay_alu instid0(VALU_DEP_2)
	v_add_co_ci_u32_e32 v48, vcc_lo, s4, v48, vcc_lo
	global_store_b16 v[47:48], v41, off
.LBB321_179:
	s_or_b32 exec_lo, exec_lo, s1
	v_cmp_lt_u32_e32 vcc_lo, v4, v46
	s_or_b32 s5, s23, vcc_lo
	s_delay_alu instid0(SALU_CYCLE_1)
	;; [unrolled: 21-line block ×11, first 2 shown]
	s_and_saveexec_b32 s1, s5
	s_cbranch_execz .LBB321_209
; %bb.207:
	v_and_b32_e32 v1, 1, v32
	s_delay_alu instid0(VALU_DEP_1)
	v_cmp_eq_u32_e32 vcc_lo, 1, v1
	s_and_b32 exec_lo, exec_lo, vcc_lo
	s_cbranch_execz .LBB321_209
; %bb.208:
	v_dual_mov_b32 v48, 0 :: v_dual_mov_b32 v47, v13
	s_delay_alu instid0(VALU_DEP_1) | instskip(NEXT) | instid1(VALU_DEP_1)
	v_lshlrev_b64 v[47:48], 1, v[47:48]
	v_add_co_u32 v47, vcc_lo, s3, v47
	s_delay_alu instid0(VALU_DEP_2)
	v_add_co_ci_u32_e32 v48, vcc_lo, s4, v48, vcc_lo
	global_store_b16 v[47:48], v31, off
.LBB321_209:
	s_or_b32 exec_lo, exec_lo, s1
	s_mov_b32 s3, 0
.LBB321_210:
	v_and_b32_e32 v22, 1, v22
	s_and_b32 vcc_lo, exec_lo, s3
	s_delay_alu instid0(VALU_DEP_1)
	v_cmp_eq_u32_e64 s1, 1, v22
	s_cbranch_vccz .LBB321_251
; %bb.211:
	s_delay_alu instid0(VALU_DEP_1)
	s_and_saveexec_b32 s3, s1
	s_cbranch_execz .LBB321_213
; %bb.212:
	v_sub_nc_u32_e32 v1, v2, v30
	s_delay_alu instid0(VALU_DEP_1)
	v_lshlrev_b32_e32 v1, 1, v1
	ds_store_b16 v1, v18
.LBB321_213:
	s_or_b32 exec_lo, exec_lo, s3
	v_and_b32_e32 v1, 1, v45
	s_mov_b32 s1, exec_lo
	s_delay_alu instid0(VALU_DEP_1)
	v_cmpx_eq_u32_e32 1, v1
	s_cbranch_execz .LBB321_215
; %bb.214:
	v_sub_nc_u32_e32 v1, v3, v30
	s_delay_alu instid0(VALU_DEP_1)
	v_lshlrev_b32_e32 v1, 1, v1
	ds_store_b16 v1, v41
.LBB321_215:
	s_or_b32 exec_lo, exec_lo, s1
	v_and_b32_e32 v1, 1, v44
	s_mov_b32 s1, exec_lo
	s_delay_alu instid0(VALU_DEP_1)
	v_cmpx_eq_u32_e32 1, v1
	;; [unrolled: 12-line block ×11, first 2 shown]
	s_cbranch_execz .LBB321_235
; %bb.234:
	v_sub_nc_u32_e32 v1, v13, v30
	s_delay_alu instid0(VALU_DEP_1)
	v_lshlrev_b32_e32 v1, 1, v1
	ds_store_b16 v1, v31
.LBB321_235:
	s_or_b32 exec_lo, exec_lo, s1
	s_delay_alu instid0(SALU_CYCLE_1)
	s_mov_b32 s4, exec_lo
	s_waitcnt lgkmcnt(0)
	s_waitcnt_vscnt null, 0x0
	s_barrier
	buffer_gl0_inv
	v_cmpx_lt_u32_e64 v0, v29
	s_cbranch_execz .LBB321_250
; %bb.236:
	v_mov_b32_e32 v31, 0
	s_lshl_b64 s[6:7], s[10:11], 1
	v_xad_u32 v1, v0, -1, v29
	s_add_u32 s3, s12, s6
	s_addc_u32 s5, s13, s7
	v_lshlrev_b64 v[18:19], 1, v[30:31]
	s_delay_alu instid0(VALU_DEP_2) | instskip(NEXT) | instid1(VALU_DEP_2)
	v_cmp_gt_u32_e32 vcc_lo, 0xc80, v1
	v_add_co_u32 v27, s3, s3, v18
	v_mov_b32_e32 v18, v0
	s_delay_alu instid0(VALU_DEP_4)
	v_add_co_ci_u32_e64 v28, s3, s5, v19, s3
	s_mov_b32 s3, -1
	s_mov_b32 s5, exec_lo
	v_cmpx_lt_u32_e32 0xc7f, v1
	s_cbranch_execz .LBB321_247
; %bb.237:
	v_sub_nc_u32_e32 v18, v0, v29
	s_delay_alu instid0(VALU_DEP_1) | instskip(NEXT) | instid1(VALU_DEP_1)
	v_or_b32_e32 v18, 0x7f, v18
	v_cmp_ge_u32_e64 s1, v18, v0
	v_mov_b32_e32 v18, v0
	s_delay_alu instid0(VALU_DEP_2)
	s_and_saveexec_b32 s6, s1
	s_cbranch_execz .LBB321_246
; %bb.238:
	v_lshrrev_b32_e32 v31, 7, v1
	v_or_b32_e32 v1, 0x80, v0
	s_delay_alu instid0(VALU_DEP_2) | instskip(NEXT) | instid1(VALU_DEP_1)
	v_add_nc_u32_e32 v18, -1, v31
	v_lshrrev_b32_e32 v19, 1, v18
	v_mov_b32_e32 v40, 0
	v_cmp_lt_u32_e64 s1, 13, v18
	s_delay_alu instid0(VALU_DEP_3) | instskip(SKIP_1) | instid1(VALU_DEP_3)
	v_add_nc_u32_e32 v37, 1, v19
	v_dual_mov_b32 v19, v1 :: v_dual_mov_b32 v18, v0
	s_and_saveexec_b32 s3, s1
	s_cbranch_execz .LBB321_242
; %bb.239:
	s_delay_alu instid0(VALU_DEP_2)
	v_dual_mov_b32 v19, v1 :: v_dual_and_b32 v38, -8, v37
	v_mov_b32_e32 v21, 0
	v_dual_mov_b32 v18, v0 :: v_dual_lshlrev_b32 v39, 1, v0
	s_mov_b32 s7, 0
	s_mov_b32 s12, 0
.LBB321_240:                            ; =>This Inner Loop Header: Depth=1
	s_delay_alu instid0(VALU_DEP_1) | instskip(SKIP_2) | instid1(VALU_DEP_3)
	v_dual_mov_b32 v20, v18 :: v_dual_add_nc_u32 v47, 0x100, v19
	v_add_nc_u32_e32 v38, -8, v38
	v_dual_mov_b32 v48, v21 :: v_dual_add_nc_u32 v49, 0x200, v19
	v_lshlrev_b64 v[61:62], 1, v[20:21]
	v_dual_mov_b32 v50, v21 :: v_dual_add_nc_u32 v51, 0x300, v19
	s_delay_alu instid0(VALU_DEP_4) | instskip(NEXT) | instid1(VALU_DEP_4)
	v_cmp_eq_u32_e64 s1, 0, v38
	v_lshlrev_b64 v[47:48], 1, v[47:48]
	v_dual_mov_b32 v52, v21 :: v_dual_add_nc_u32 v53, 0x400, v19
	s_add_i32 s12, s12, 16
	v_lshlrev_b64 v[49:50], 1, v[49:50]
	s_or_b32 s7, s1, s7
	v_add_co_u32 v61, s1, v27, v61
	v_dual_mov_b32 v54, v21 :: v_dual_add_nc_u32 v55, 0x500, v19
	v_add_co_ci_u32_e64 v62, s1, v28, v62, s1
	v_lshlrev_b64 v[51:52], 1, v[51:52]
	v_add_co_u32 v47, s1, v27, v47
	v_dual_mov_b32 v56, v21 :: v_dual_add_nc_u32 v57, 0x600, v19
	v_add_co_ci_u32_e64 v48, s1, v28, v48, s1
	v_lshlrev_b64 v[53:54], 1, v[53:54]
	;; [unrolled: 4-line block ×3, first 2 shown]
	v_add_co_u32 v51, s1, v27, v51
	v_mov_b32_e32 v60, v21
	v_mov_b32_e32 v20, v19
	v_add_co_ci_u32_e64 v52, s1, v28, v52, s1
	v_lshlrev_b64 v[57:58], 1, v[57:58]
	v_add_co_u32 v53, s1, v27, v53
	ds_load_u16 v1, v39
	ds_load_u16 v41, v39 offset:256
	ds_load_u16 v67, v39 offset:512
	;; [unrolled: 1-line block ×7, first 2 shown]
	v_add_co_ci_u32_e64 v54, s1, v28, v54, s1
	ds_load_u16 v73, v39 offset:2048
	ds_load_u16 v74, v39 offset:2304
	;; [unrolled: 1-line block ×8, first 2 shown]
	v_add_nc_u32_e32 v39, 0x1000, v39
	v_lshlrev_b64 v[59:60], 1, v[59:60]
	v_add_co_u32 v55, s1, v27, v55
	v_lshlrev_b64 v[63:64], 1, v[20:21]
	v_add_nc_u32_e32 v20, 0x100, v18
	v_add_co_ci_u32_e64 v56, s1, v28, v56, s1
	v_add_co_u32 v57, s1, v27, v57
	s_delay_alu instid0(VALU_DEP_1)
	v_add_co_ci_u32_e64 v58, s1, v28, v58, s1
	v_add_co_u32 v59, s1, v27, v59
	v_lshlrev_b64 v[65:66], 1, v[20:21]
	v_add_nc_u32_e32 v20, 0x200, v18
	v_add_co_ci_u32_e64 v60, s1, v28, v60, s1
	v_add_co_u32 v63, s1, v27, v63
	s_delay_alu instid0(VALU_DEP_1)
	v_add_co_ci_u32_e64 v64, s1, v28, v64, s1
	s_waitcnt lgkmcnt(15)
	global_store_b16 v[61:62], v1, off
	v_lshlrev_b64 v[61:62], 1, v[20:21]
	v_add_nc_u32_e32 v20, 0x300, v18
	v_add_co_u32 v65, s1, v27, v65
	s_delay_alu instid0(VALU_DEP_1)
	v_add_co_ci_u32_e64 v66, s1, v28, v66, s1
	s_waitcnt lgkmcnt(14)
	global_store_b16 v[63:64], v41, off
	v_lshlrev_b64 v[63:64], 1, v[20:21]
	v_add_nc_u32_e32 v20, 0x400, v18
	s_waitcnt lgkmcnt(13)
	global_store_b16 v[65:66], v67, off
	s_waitcnt lgkmcnt(12)
	global_store_b16 v[47:48], v68, off
	v_add_co_u32 v47, s1, v27, v61
	s_delay_alu instid0(VALU_DEP_1) | instskip(SKIP_3) | instid1(VALU_DEP_1)
	v_add_co_ci_u32_e64 v48, s1, v28, v62, s1
	v_lshlrev_b64 v[61:62], 1, v[20:21]
	v_add_nc_u32_e32 v20, 0x500, v18
	v_add_co_u32 v63, s1, v27, v63
	v_add_co_ci_u32_e64 v64, s1, v28, v64, s1
	s_waitcnt lgkmcnt(11)
	global_store_b16 v[47:48], v69, off
	s_waitcnt lgkmcnt(10)
	global_store_b16 v[49:50], v70, off
	v_lshlrev_b64 v[47:48], 1, v[20:21]
	v_add_nc_u32_e32 v20, 0x600, v18
	v_add_co_u32 v49, s1, v27, v61
	s_waitcnt lgkmcnt(9)
	global_store_b16 v[63:64], v71, off
	s_waitcnt lgkmcnt(8)
	global_store_b16 v[51:52], v72, off
	v_add_co_ci_u32_e64 v50, s1, v28, v62, s1
	v_lshlrev_b64 v[51:52], 1, v[20:21]
	v_add_nc_u32_e32 v20, 0x700, v18
	v_add_co_u32 v47, s1, v27, v47
	s_delay_alu instid0(VALU_DEP_1)
	v_add_co_ci_u32_e64 v48, s1, v28, v48, s1
	s_waitcnt lgkmcnt(7)
	global_store_b16 v[49:50], v73, off
	s_waitcnt lgkmcnt(6)
	global_store_b16 v[53:54], v74, off
	v_lshlrev_b64 v[49:50], 1, v[20:21]
	v_dual_mov_b32 v40, s12 :: v_dual_add_nc_u32 v19, 0x800, v19
	s_waitcnt lgkmcnt(5)
	global_store_b16 v[47:48], v75, off
	v_add_co_u32 v47, s1, v27, v51
	v_add_nc_u32_e32 v18, 0x800, v18
	v_add_co_ci_u32_e64 v48, s1, v28, v52, s1
	v_add_co_u32 v49, s1, v27, v49
	s_delay_alu instid0(VALU_DEP_1)
	v_add_co_ci_u32_e64 v50, s1, v28, v50, s1
	s_waitcnt lgkmcnt(4)
	global_store_b16 v[55:56], v76, off
	s_waitcnt lgkmcnt(3)
	global_store_b16 v[47:48], v77, off
	;; [unrolled: 2-line block ×5, first 2 shown]
	s_and_not1_b32 exec_lo, exec_lo, s7
	s_cbranch_execnz .LBB321_240
; %bb.241:
	s_or_b32 exec_lo, exec_lo, s7
.LBB321_242:
	s_delay_alu instid0(SALU_CYCLE_1) | instskip(SKIP_3) | instid1(VALU_DEP_1)
	s_or_b32 exec_lo, exec_lo, s3
	v_and_b32_e32 v1, 7, v37
	s_mov_b32 s12, 0
	s_mov_b32 s7, exec_lo
	v_cmpx_ne_u32_e32 0, v1
	s_cbranch_execz .LBB321_245
; %bb.243:
	v_dual_mov_b32 v21, 0 :: v_dual_lshlrev_b32 v20, 1, v0
	s_delay_alu instid0(VALU_DEP_1)
	v_lshl_or_b32 v37, v40, 8, v20
	s_set_inst_prefetch_distance 0x1
	.p2align	6
.LBB321_244:                            ; =>This Inner Loop Header: Depth=1
	v_dual_mov_b32 v20, v18 :: v_dual_add_nc_u32 v1, -1, v1
	ds_load_u16 v47, v37
	ds_load_u16 v48, v37 offset:256
	v_add_nc_u32_e32 v18, 0x100, v18
	v_add_nc_u32_e32 v37, 0x200, v37
	v_lshlrev_b64 v[38:39], 1, v[20:21]
	v_mov_b32_e32 v20, v19
	v_cmp_eq_u32_e64 s1, 0, v1
	v_add_nc_u32_e32 v19, 0x100, v19
	s_delay_alu instid0(VALU_DEP_3) | instskip(SKIP_1) | instid1(VALU_DEP_1)
	v_lshlrev_b64 v[40:41], 1, v[20:21]
	v_add_co_u32 v38, s3, v27, v38
	v_add_co_ci_u32_e64 v39, s3, v28, v39, s3
	s_or_b32 s12, s1, s12
	s_delay_alu instid0(VALU_DEP_3) | instskip(NEXT) | instid1(VALU_DEP_1)
	v_add_co_u32 v40, s3, v27, v40
	v_add_co_ci_u32_e64 v41, s3, v28, v41, s3
	s_waitcnt lgkmcnt(1)
	global_store_b16 v[38:39], v47, off
	s_waitcnt lgkmcnt(0)
	global_store_b16 v[40:41], v48, off
	s_and_not1_b32 exec_lo, exec_lo, s12
	s_cbranch_execnz .LBB321_244
.LBB321_245:
	s_set_inst_prefetch_distance 0x2
	s_or_b32 exec_lo, exec_lo, s7
	v_add_nc_u32_e32 v1, 1, v31
	s_delay_alu instid0(VALU_DEP_1) | instskip(NEXT) | instid1(VALU_DEP_1)
	v_and_b32_e32 v18, 0x3fffffe, v1
	v_cmp_ne_u32_e64 s1, v1, v18
	v_lshl_or_b32 v18, v18, 7, v0
	s_delay_alu instid0(VALU_DEP_2)
	s_or_not1_b32 s3, s1, exec_lo
.LBB321_246:
	s_or_b32 exec_lo, exec_lo, s6
	s_delay_alu instid0(SALU_CYCLE_1) | instskip(SKIP_1) | instid1(SALU_CYCLE_1)
	s_and_not1_b32 s1, vcc_lo, exec_lo
	s_and_b32 s3, s3, exec_lo
	s_or_b32 vcc_lo, s1, s3
.LBB321_247:
	s_or_b32 exec_lo, exec_lo, s5
	s_delay_alu instid0(SALU_CYCLE_1)
	s_and_b32 exec_lo, exec_lo, vcc_lo
	s_cbranch_execz .LBB321_250
; %bb.248:
	v_lshlrev_b32_e32 v1, 1, v18
	v_mov_b32_e32 v19, 0
	s_mov_b32 s3, 0
	.p2align	6
.LBB321_249:                            ; =>This Inner Loop Header: Depth=1
	ds_load_u16 v31, v1
	v_lshlrev_b64 v[20:21], 1, v[18:19]
	v_add_nc_u32_e32 v18, 0x80, v18
	v_add_nc_u32_e32 v1, 0x100, v1
	s_delay_alu instid0(VALU_DEP_2) | instskip(NEXT) | instid1(VALU_DEP_4)
	v_cmp_ge_u32_e32 vcc_lo, v18, v29
	v_add_co_u32 v20, s1, v27, v20
	s_delay_alu instid0(VALU_DEP_1)
	v_add_co_ci_u32_e64 v21, s1, v28, v21, s1
	s_or_b32 s3, vcc_lo, s3
	s_waitcnt lgkmcnt(0)
	global_store_b16 v[20:21], v31, off
	s_and_not1_b32 exec_lo, exec_lo, s3
	s_cbranch_execnz .LBB321_249
.LBB321_250:
	s_or_b32 exec_lo, exec_lo, s4
.LBB321_251:
	v_lshrrev_b32_e32 v27, 16, v14
	v_lshrrev_b32_e32 v21, 16, v15
	v_lshrrev_b32_e32 v20, 16, v16
	v_lshrrev_b32_e32 v19, 16, v17
	v_lshrrev_b32_e32 v18, 16, v25
	v_lshrrev_b32_e32 v1, 16, v26
	s_and_b32 vcc_lo, exec_lo, s0
	s_mov_b32 s0, -1
	s_waitcnt_vscnt null, 0x0
	s_barrier
	buffer_gl0_inv
	s_cbranch_vccnz .LBB321_255
; %bb.252:
	s_and_b32 vcc_lo, exec_lo, s0
	s_cbranch_vccnz .LBB321_292
.LBB321_253:
	s_and_b32 s0, s2, s22
	s_delay_alu instid0(SALU_CYCLE_1)
	s_and_saveexec_b32 s1, s0
	s_cbranch_execnz .LBB321_332
.LBB321_254:
	s_nop 0
	s_sendmsg sendmsg(MSG_DEALLOC_VGPRS)
	s_endpgm
.LBB321_255:
	v_cmp_lt_u32_e32 vcc_lo, v2, v46
	s_lshl_b64 s[0:1], s[10:11], 1
	s_delay_alu instid0(SALU_CYCLE_1) | instskip(SKIP_2) | instid1(SALU_CYCLE_1)
	s_add_u32 s0, s14, s0
	s_addc_u32 s1, s15, s1
	s_or_b32 s4, s23, vcc_lo
	s_and_saveexec_b32 s3, s4
	s_cbranch_execz .LBB321_258
; %bb.256:
	v_cmp_eq_u32_e32 vcc_lo, 1, v22
	s_and_b32 exec_lo, exec_lo, vcc_lo
	s_cbranch_execz .LBB321_258
; %bb.257:
	v_dual_mov_b32 v38, 0 :: v_dual_mov_b32 v37, v2
	s_delay_alu instid0(VALU_DEP_1) | instskip(NEXT) | instid1(VALU_DEP_1)
	v_lshlrev_b64 v[37:38], 1, v[37:38]
	v_add_co_u32 v37, vcc_lo, s0, v37
	s_delay_alu instid0(VALU_DEP_2)
	v_add_co_ci_u32_e32 v38, vcc_lo, s1, v38, vcc_lo
	global_store_b16 v[37:38], v14, off
.LBB321_258:
	s_or_b32 exec_lo, exec_lo, s3
	v_cmp_lt_u32_e32 vcc_lo, v3, v46
	s_or_b32 s4, s23, vcc_lo
	s_delay_alu instid0(SALU_CYCLE_1)
	s_and_saveexec_b32 s3, s4
	s_cbranch_execz .LBB321_261
; %bb.259:
	v_and_b32_e32 v28, 1, v45
	s_delay_alu instid0(VALU_DEP_1)
	v_cmp_eq_u32_e32 vcc_lo, 1, v28
	s_and_b32 exec_lo, exec_lo, vcc_lo
	s_cbranch_execz .LBB321_261
; %bb.260:
	v_dual_mov_b32 v38, 0 :: v_dual_mov_b32 v37, v3
	s_delay_alu instid0(VALU_DEP_1) | instskip(NEXT) | instid1(VALU_DEP_1)
	v_lshlrev_b64 v[37:38], 1, v[37:38]
	v_add_co_u32 v37, vcc_lo, s0, v37
	s_delay_alu instid0(VALU_DEP_2)
	v_add_co_ci_u32_e32 v38, vcc_lo, s1, v38, vcc_lo
	global_store_b16 v[37:38], v27, off
.LBB321_261:
	s_or_b32 exec_lo, exec_lo, s3
	v_cmp_lt_u32_e32 vcc_lo, v4, v46
	s_or_b32 s4, s23, vcc_lo
	s_delay_alu instid0(SALU_CYCLE_1)
	s_and_saveexec_b32 s3, s4
	s_cbranch_execz .LBB321_264
; %bb.262:
	v_and_b32_e32 v28, 1, v44
	s_delay_alu instid0(VALU_DEP_1)
	v_cmp_eq_u32_e32 vcc_lo, 1, v28
	s_and_b32 exec_lo, exec_lo, vcc_lo
	s_cbranch_execz .LBB321_264
; %bb.263:
	v_dual_mov_b32 v38, 0 :: v_dual_mov_b32 v37, v4
	s_delay_alu instid0(VALU_DEP_1) | instskip(NEXT) | instid1(VALU_DEP_1)
	v_lshlrev_b64 v[37:38], 1, v[37:38]
	v_add_co_u32 v37, vcc_lo, s0, v37
	s_delay_alu instid0(VALU_DEP_2)
	v_add_co_ci_u32_e32 v38, vcc_lo, s1, v38, vcc_lo
	global_store_b16 v[37:38], v15, off
.LBB321_264:
	;; [unrolled: 21-line block ×11, first 2 shown]
	s_or_b32 exec_lo, exec_lo, s3
	s_branch .LBB321_253
.LBB321_292:
	s_mov_b32 s0, exec_lo
	v_cmpx_eq_u32_e32 1, v22
	s_cbranch_execz .LBB321_294
; %bb.293:
	v_sub_nc_u32_e32 v2, v2, v30
	s_delay_alu instid0(VALU_DEP_1)
	v_lshlrev_b32_e32 v2, 1, v2
	ds_store_b16 v2, v14
.LBB321_294:
	s_or_b32 exec_lo, exec_lo, s0
	v_and_b32_e32 v2, 1, v45
	s_mov_b32 s0, exec_lo
	s_delay_alu instid0(VALU_DEP_1)
	v_cmpx_eq_u32_e32 1, v2
	s_cbranch_execz .LBB321_296
; %bb.295:
	v_sub_nc_u32_e32 v2, v3, v30
	s_delay_alu instid0(VALU_DEP_1)
	v_lshlrev_b32_e32 v2, 1, v2
	ds_store_b16 v2, v27
.LBB321_296:
	s_or_b32 exec_lo, exec_lo, s0
	v_and_b32_e32 v2, 1, v44
	s_mov_b32 s0, exec_lo
	s_delay_alu instid0(VALU_DEP_1)
	;; [unrolled: 12-line block ×11, first 2 shown]
	v_cmpx_eq_u32_e32 1, v2
	s_cbranch_execz .LBB321_316
; %bb.315:
	v_sub_nc_u32_e32 v2, v13, v30
	s_delay_alu instid0(VALU_DEP_1)
	v_lshlrev_b32_e32 v2, 1, v2
	ds_store_b16 v2, v1
.LBB321_316:
	s_or_b32 exec_lo, exec_lo, s0
	s_delay_alu instid0(SALU_CYCLE_1)
	s_mov_b32 s3, exec_lo
	s_waitcnt lgkmcnt(0)
	s_waitcnt_vscnt null, 0x0
	s_barrier
	buffer_gl0_inv
	v_cmpx_lt_u32_e64 v0, v29
	s_cbranch_execz .LBB321_331
; %bb.317:
	v_mov_b32_e32 v31, 0
	s_lshl_b64 s[0:1], s[10:11], 1
	v_xad_u32 v1, v0, -1, v29
	s_add_u32 s0, s14, s0
	s_addc_u32 s1, s15, s1
	v_lshlrev_b64 v[2:3], 1, v[30:31]
	s_mov_b32 s4, exec_lo
	v_cmp_gt_u32_e32 vcc_lo, 0xc80, v1
	s_delay_alu instid0(VALU_DEP_2) | instskip(NEXT) | instid1(VALU_DEP_1)
	v_add_co_u32 v6, s0, s0, v2
	v_add_co_ci_u32_e64 v7, s0, s1, v3, s0
	s_mov_b32 s1, -1
	v_cmpx_lt_u32_e32 0xc7f, v1
	s_cbranch_execz .LBB321_328
; %bb.318:
	v_sub_nc_u32_e32 v2, v0, v29
	s_mov_b32 s5, exec_lo
	s_delay_alu instid0(VALU_DEP_1) | instskip(NEXT) | instid1(VALU_DEP_1)
	v_or_b32_e32 v2, 0x7f, v2
	v_cmpx_ge_u32_e64 v2, v0
	s_cbranch_execz .LBB321_327
; %bb.319:
	v_lshrrev_b32_e32 v8, 7, v1
	v_or_b32_e32 v1, 0x80, v0
	v_lshlrev_b32_e32 v9, 1, v0
	s_delay_alu instid0(VALU_DEP_3) | instskip(NEXT) | instid1(VALU_DEP_1)
	v_dual_mov_b32 v13, 0 :: v_dual_add_nc_u32 v2, -1, v8
	v_lshrrev_b32_e32 v3, 1, v2
	v_cmp_lt_u32_e64 s0, 13, v2
	s_delay_alu instid0(VALU_DEP_2) | instskip(SKIP_1) | instid1(VALU_DEP_3)
	v_dual_mov_b32 v3, v1 :: v_dual_add_nc_u32 v10, 1, v3
	v_mov_b32_e32 v2, v0
	s_and_saveexec_b32 s1, s0
	s_cbranch_execz .LBB321_323
; %bb.320:
	v_mov_b32_e32 v3, v1
	v_dual_mov_b32 v12, v9 :: v_dual_and_b32 v11, -8, v10
	v_dual_mov_b32 v5, 0 :: v_dual_mov_b32 v2, v0
	s_mov_b32 s6, 0
	s_mov_b32 s7, 0
.LBB321_321:                            ; =>This Inner Loop Header: Depth=1
	s_delay_alu instid0(VALU_DEP_1) | instskip(SKIP_2) | instid1(VALU_DEP_3)
	v_dual_mov_b32 v4, v2 :: v_dual_mov_b32 v15, v5
	v_add_nc_u32_e32 v11, -8, v11
	v_dual_mov_b32 v17, v5 :: v_dual_add_nc_u32 v14, 0x100, v3
	v_lshlrev_b64 v[31:32], 1, v[4:5]
	v_dual_mov_b32 v19, v5 :: v_dual_add_nc_u32 v16, 0x200, v3
	v_mov_b32_e32 v4, v3
	v_cmp_eq_u32_e64 s0, 0, v11
	v_lshlrev_b64 v[14:15], 1, v[14:15]
	v_dual_mov_b32 v21, v5 :: v_dual_add_nc_u32 v18, 0x300, v3
	s_add_i32 s7, s7, 16
	v_lshlrev_b64 v[16:17], 1, v[16:17]
	s_or_b32 s6, s0, s6
	v_add_co_u32 v31, s0, v6, v31
	v_dual_mov_b32 v23, v5 :: v_dual_add_nc_u32 v20, 0x400, v3
	v_add_co_ci_u32_e64 v32, s0, v7, v32, s0
	v_lshlrev_b64 v[18:19], 1, v[18:19]
	v_add_co_u32 v14, s0, v6, v14
	v_dual_mov_b32 v25, v5 :: v_dual_add_nc_u32 v22, 0x500, v3
	v_add_co_ci_u32_e64 v15, s0, v7, v15, s0
	v_lshlrev_b64 v[20:21], 1, v[20:21]
	;; [unrolled: 4-line block ×4, first 2 shown]
	v_add_co_u32 v20, s0, v6, v20
	ds_load_u16 v1, v12
	ds_load_u16 v28, v12 offset:256
	ds_load_u16 v37, v12 offset:512
	;; [unrolled: 1-line block ×7, first 2 shown]
	v_add_co_ci_u32_e64 v21, s0, v7, v21, s0
	v_lshlrev_b64 v[26:27], 1, v[26:27]
	v_add_co_u32 v22, s0, v6, v22
	v_lshlrev_b64 v[33:34], 1, v[4:5]
	v_add_nc_u32_e32 v4, 0x100, v2
	v_add_co_ci_u32_e64 v23, s0, v7, v23, s0
	v_add_co_u32 v24, s0, v6, v24
	s_delay_alu instid0(VALU_DEP_1)
	v_add_co_ci_u32_e64 v25, s0, v7, v25, s0
	v_add_co_u32 v26, s0, v6, v26
	v_lshlrev_b64 v[35:36], 1, v[4:5]
	v_add_nc_u32_e32 v4, 0x200, v2
	v_add_co_ci_u32_e64 v27, s0, v7, v27, s0
	v_add_co_u32 v33, s0, v6, v33
	ds_load_u16 v43, v12 offset:2048
	ds_load_u16 v44, v12 offset:2304
	;; [unrolled: 1-line block ×8, first 2 shown]
	v_add_co_ci_u32_e64 v34, s0, v7, v34, s0
	s_waitcnt lgkmcnt(15)
	global_store_b16 v[31:32], v1, off
	v_lshlrev_b64 v[31:32], 1, v[4:5]
	v_add_nc_u32_e32 v4, 0x300, v2
	v_add_co_u32 v35, s0, v6, v35
	s_delay_alu instid0(VALU_DEP_1)
	v_add_co_ci_u32_e64 v36, s0, v7, v36, s0
	s_waitcnt lgkmcnt(14)
	global_store_b16 v[33:34], v28, off
	v_lshlrev_b64 v[33:34], 1, v[4:5]
	v_add_nc_u32_e32 v4, 0x400, v2
	s_waitcnt lgkmcnt(13)
	global_store_b16 v[35:36], v37, off
	s_waitcnt lgkmcnt(12)
	global_store_b16 v[14:15], v38, off
	v_add_co_u32 v14, s0, v6, v31
	s_delay_alu instid0(VALU_DEP_1) | instskip(SKIP_3) | instid1(VALU_DEP_1)
	v_add_co_ci_u32_e64 v15, s0, v7, v32, s0
	v_lshlrev_b64 v[31:32], 1, v[4:5]
	v_add_nc_u32_e32 v4, 0x500, v2
	v_add_co_u32 v33, s0, v6, v33
	v_add_co_ci_u32_e64 v34, s0, v7, v34, s0
	s_waitcnt lgkmcnt(11)
	global_store_b16 v[14:15], v39, off
	s_waitcnt lgkmcnt(10)
	global_store_b16 v[16:17], v40, off
	v_lshlrev_b64 v[14:15], 1, v[4:5]
	v_add_nc_u32_e32 v4, 0x600, v2
	v_add_co_u32 v16, s0, v6, v31
	s_waitcnt lgkmcnt(9)
	global_store_b16 v[33:34], v41, off
	s_waitcnt lgkmcnt(8)
	global_store_b16 v[18:19], v42, off
	v_add_co_ci_u32_e64 v17, s0, v7, v32, s0
	v_lshlrev_b64 v[18:19], 1, v[4:5]
	v_add_nc_u32_e32 v4, 0x700, v2
	v_add_co_u32 v14, s0, v6, v14
	s_delay_alu instid0(VALU_DEP_1)
	v_add_co_ci_u32_e64 v15, s0, v7, v15, s0
	s_waitcnt lgkmcnt(7)
	global_store_b16 v[16:17], v43, off
	s_waitcnt lgkmcnt(6)
	global_store_b16 v[20:21], v44, off
	v_lshlrev_b64 v[16:17], 1, v[4:5]
	v_add_nc_u32_e32 v12, 0x1000, v12
	s_waitcnt lgkmcnt(5)
	global_store_b16 v[14:15], v45, off
	v_add_co_u32 v14, s0, v6, v18
	v_add_nc_u32_e32 v3, 0x800, v3
	v_add_nc_u32_e32 v2, 0x800, v2
	v_add_co_ci_u32_e64 v15, s0, v7, v19, s0
	v_add_co_u32 v16, s0, v6, v16
	s_delay_alu instid0(VALU_DEP_1)
	v_add_co_ci_u32_e64 v17, s0, v7, v17, s0
	s_waitcnt lgkmcnt(4)
	global_store_b16 v[22:23], v46, off
	s_waitcnt lgkmcnt(3)
	global_store_b16 v[14:15], v47, off
	;; [unrolled: 2-line block ×5, first 2 shown]
	s_and_not1_b32 exec_lo, exec_lo, s6
	s_cbranch_execnz .LBB321_321
; %bb.322:
	s_or_b32 exec_lo, exec_lo, s6
.LBB321_323:
	s_delay_alu instid0(SALU_CYCLE_1) | instskip(SKIP_3) | instid1(VALU_DEP_1)
	s_or_b32 exec_lo, exec_lo, s1
	v_and_b32_e32 v1, 7, v10
	s_mov_b32 s7, 0
	s_mov_b32 s6, exec_lo
	v_cmpx_ne_u32_e32 0, v1
	s_cbranch_execz .LBB321_326
; %bb.324:
	v_lshl_or_b32 v9, v13, 8, v9
	v_mov_b32_e32 v5, 0
	s_set_inst_prefetch_distance 0x1
	.p2align	6
.LBB321_325:                            ; =>This Inner Loop Header: Depth=1
	v_dual_mov_b32 v4, v2 :: v_dual_add_nc_u32 v1, -1, v1
	ds_load_u16 v14, v9
	ds_load_u16 v15, v9 offset:256
	v_add_nc_u32_e32 v2, 0x100, v2
	v_add_nc_u32_e32 v9, 0x200, v9
	v_lshlrev_b64 v[10:11], 1, v[4:5]
	v_mov_b32_e32 v4, v3
	v_cmp_eq_u32_e64 s0, 0, v1
	v_add_nc_u32_e32 v3, 0x100, v3
	s_delay_alu instid0(VALU_DEP_3) | instskip(SKIP_1) | instid1(VALU_DEP_1)
	v_lshlrev_b64 v[12:13], 1, v[4:5]
	v_add_co_u32 v10, s1, v6, v10
	v_add_co_ci_u32_e64 v11, s1, v7, v11, s1
	s_or_b32 s7, s0, s7
	s_delay_alu instid0(VALU_DEP_3) | instskip(NEXT) | instid1(VALU_DEP_1)
	v_add_co_u32 v12, s1, v6, v12
	v_add_co_ci_u32_e64 v13, s1, v7, v13, s1
	s_waitcnt lgkmcnt(1)
	global_store_b16 v[10:11], v14, off
	s_waitcnt lgkmcnt(0)
	global_store_b16 v[12:13], v15, off
	s_and_not1_b32 exec_lo, exec_lo, s7
	s_cbranch_execnz .LBB321_325
.LBB321_326:
	s_set_inst_prefetch_distance 0x2
	s_or_b32 exec_lo, exec_lo, s6
	v_add_nc_u32_e32 v1, 1, v8
	s_delay_alu instid0(VALU_DEP_1) | instskip(NEXT) | instid1(VALU_DEP_1)
	v_and_b32_e32 v2, 0x3fffffe, v1
	v_cmp_ne_u32_e64 s0, v1, v2
	v_lshl_or_b32 v0, v2, 7, v0
	s_delay_alu instid0(VALU_DEP_2)
	s_or_not1_b32 s1, s0, exec_lo
.LBB321_327:
	s_or_b32 exec_lo, exec_lo, s5
	s_delay_alu instid0(SALU_CYCLE_1) | instskip(SKIP_1) | instid1(SALU_CYCLE_1)
	s_and_not1_b32 s0, vcc_lo, exec_lo
	s_and_b32 s1, s1, exec_lo
	s_or_b32 vcc_lo, s0, s1
.LBB321_328:
	s_or_b32 exec_lo, exec_lo, s4
	s_delay_alu instid0(SALU_CYCLE_1)
	s_and_b32 exec_lo, exec_lo, vcc_lo
	s_cbranch_execz .LBB321_331
; %bb.329:
	v_dual_mov_b32 v1, 0 :: v_dual_lshlrev_b32 v2, 1, v0
	s_mov_b32 s1, 0
	.p2align	6
.LBB321_330:                            ; =>This Inner Loop Header: Depth=1
	ds_load_u16 v5, v2
	v_lshlrev_b64 v[3:4], 1, v[0:1]
	v_add_nc_u32_e32 v0, 0x80, v0
	v_add_nc_u32_e32 v2, 0x100, v2
	s_delay_alu instid0(VALU_DEP_2) | instskip(NEXT) | instid1(VALU_DEP_4)
	v_cmp_ge_u32_e32 vcc_lo, v0, v29
	v_add_co_u32 v3, s0, v6, v3
	s_delay_alu instid0(VALU_DEP_1)
	v_add_co_ci_u32_e64 v4, s0, v7, v4, s0
	s_or_b32 s1, vcc_lo, s1
	s_waitcnt lgkmcnt(0)
	global_store_b16 v[3:4], v5, off
	s_and_not1_b32 exec_lo, exec_lo, s1
	s_cbranch_execnz .LBB321_330
.LBB321_331:
	s_or_b32 exec_lo, exec_lo, s3
	s_and_b32 s0, s2, s22
	s_delay_alu instid0(SALU_CYCLE_1)
	s_and_saveexec_b32 s1, s0
	s_cbranch_execz .LBB321_254
.LBB321_332:
	v_add_co_u32 v0, s0, s10, v29
	s_delay_alu instid0(VALU_DEP_1) | instskip(SKIP_1) | instid1(VALU_DEP_3)
	v_add_co_ci_u32_e64 v1, null, s11, 0, s0
	v_mov_b32_e32 v2, 0
	v_add_co_u32 v0, vcc_lo, v0, v30
	s_delay_alu instid0(VALU_DEP_3)
	v_add_co_ci_u32_e32 v1, vcc_lo, 0, v1, vcc_lo
	global_store_b64 v2, v[0:1], s[8:9]
	s_nop 0
	s_sendmsg sendmsg(MSG_DEALLOC_VGPRS)
	s_endpgm
	.section	.rodata,"a",@progbits
	.p2align	6, 0x0
	.amdhsa_kernel _ZN7rocprim17ROCPRIM_400000_NS6detail17trampoline_kernelINS0_14default_configENS1_25partition_config_selectorILNS1_17partition_subalgoE9EttbEEZZNS1_14partition_implILS5_9ELb0ES3_jN6thrust23THRUST_200600_302600_NS6detail15normal_iteratorINS9_10device_ptrItEEEESE_PNS0_10empty_typeENS0_5tupleIJSE_SF_EEENSH_IJSE_SG_EEENS0_18inequality_wrapperI22is_equal_div_10_uniqueItEEEPmJSF_EEE10hipError_tPvRmT3_T4_T5_T6_T7_T9_mT8_P12ihipStream_tbDpT10_ENKUlT_T0_E_clISt17integral_constantIbLb1EES18_EEDaS13_S14_EUlS13_E_NS1_11comp_targetILNS1_3genE9ELNS1_11target_archE1100ELNS1_3gpuE3ELNS1_3repE0EEENS1_30default_config_static_selectorELNS0_4arch9wavefront6targetE0EEEvT1_
		.amdhsa_group_segment_fixed_size 3080
		.amdhsa_private_segment_fixed_size 0
		.amdhsa_kernarg_size 128
		.amdhsa_user_sgpr_count 15
		.amdhsa_user_sgpr_dispatch_ptr 0
		.amdhsa_user_sgpr_queue_ptr 0
		.amdhsa_user_sgpr_kernarg_segment_ptr 1
		.amdhsa_user_sgpr_dispatch_id 0
		.amdhsa_user_sgpr_private_segment_size 0
		.amdhsa_wavefront_size32 1
		.amdhsa_uses_dynamic_stack 0
		.amdhsa_enable_private_segment 0
		.amdhsa_system_sgpr_workgroup_id_x 1
		.amdhsa_system_sgpr_workgroup_id_y 0
		.amdhsa_system_sgpr_workgroup_id_z 0
		.amdhsa_system_sgpr_workgroup_info 0
		.amdhsa_system_vgpr_workitem_id 0
		.amdhsa_next_free_vgpr 81
		.amdhsa_next_free_sgpr 31
		.amdhsa_reserve_vcc 1
		.amdhsa_float_round_mode_32 0
		.amdhsa_float_round_mode_16_64 0
		.amdhsa_float_denorm_mode_32 3
		.amdhsa_float_denorm_mode_16_64 3
		.amdhsa_dx10_clamp 1
		.amdhsa_ieee_mode 1
		.amdhsa_fp16_overflow 0
		.amdhsa_workgroup_processor_mode 1
		.amdhsa_memory_ordered 1
		.amdhsa_forward_progress 0
		.amdhsa_shared_vgpr_count 0
		.amdhsa_exception_fp_ieee_invalid_op 0
		.amdhsa_exception_fp_denorm_src 0
		.amdhsa_exception_fp_ieee_div_zero 0
		.amdhsa_exception_fp_ieee_overflow 0
		.amdhsa_exception_fp_ieee_underflow 0
		.amdhsa_exception_fp_ieee_inexact 0
		.amdhsa_exception_int_div_zero 0
	.end_amdhsa_kernel
	.section	.text._ZN7rocprim17ROCPRIM_400000_NS6detail17trampoline_kernelINS0_14default_configENS1_25partition_config_selectorILNS1_17partition_subalgoE9EttbEEZZNS1_14partition_implILS5_9ELb0ES3_jN6thrust23THRUST_200600_302600_NS6detail15normal_iteratorINS9_10device_ptrItEEEESE_PNS0_10empty_typeENS0_5tupleIJSE_SF_EEENSH_IJSE_SG_EEENS0_18inequality_wrapperI22is_equal_div_10_uniqueItEEEPmJSF_EEE10hipError_tPvRmT3_T4_T5_T6_T7_T9_mT8_P12ihipStream_tbDpT10_ENKUlT_T0_E_clISt17integral_constantIbLb1EES18_EEDaS13_S14_EUlS13_E_NS1_11comp_targetILNS1_3genE9ELNS1_11target_archE1100ELNS1_3gpuE3ELNS1_3repE0EEENS1_30default_config_static_selectorELNS0_4arch9wavefront6targetE0EEEvT1_,"axG",@progbits,_ZN7rocprim17ROCPRIM_400000_NS6detail17trampoline_kernelINS0_14default_configENS1_25partition_config_selectorILNS1_17partition_subalgoE9EttbEEZZNS1_14partition_implILS5_9ELb0ES3_jN6thrust23THRUST_200600_302600_NS6detail15normal_iteratorINS9_10device_ptrItEEEESE_PNS0_10empty_typeENS0_5tupleIJSE_SF_EEENSH_IJSE_SG_EEENS0_18inequality_wrapperI22is_equal_div_10_uniqueItEEEPmJSF_EEE10hipError_tPvRmT3_T4_T5_T6_T7_T9_mT8_P12ihipStream_tbDpT10_ENKUlT_T0_E_clISt17integral_constantIbLb1EES18_EEDaS13_S14_EUlS13_E_NS1_11comp_targetILNS1_3genE9ELNS1_11target_archE1100ELNS1_3gpuE3ELNS1_3repE0EEENS1_30default_config_static_selectorELNS0_4arch9wavefront6targetE0EEEvT1_,comdat
.Lfunc_end321:
	.size	_ZN7rocprim17ROCPRIM_400000_NS6detail17trampoline_kernelINS0_14default_configENS1_25partition_config_selectorILNS1_17partition_subalgoE9EttbEEZZNS1_14partition_implILS5_9ELb0ES3_jN6thrust23THRUST_200600_302600_NS6detail15normal_iteratorINS9_10device_ptrItEEEESE_PNS0_10empty_typeENS0_5tupleIJSE_SF_EEENSH_IJSE_SG_EEENS0_18inequality_wrapperI22is_equal_div_10_uniqueItEEEPmJSF_EEE10hipError_tPvRmT3_T4_T5_T6_T7_T9_mT8_P12ihipStream_tbDpT10_ENKUlT_T0_E_clISt17integral_constantIbLb1EES18_EEDaS13_S14_EUlS13_E_NS1_11comp_targetILNS1_3genE9ELNS1_11target_archE1100ELNS1_3gpuE3ELNS1_3repE0EEENS1_30default_config_static_selectorELNS0_4arch9wavefront6targetE0EEEvT1_, .Lfunc_end321-_ZN7rocprim17ROCPRIM_400000_NS6detail17trampoline_kernelINS0_14default_configENS1_25partition_config_selectorILNS1_17partition_subalgoE9EttbEEZZNS1_14partition_implILS5_9ELb0ES3_jN6thrust23THRUST_200600_302600_NS6detail15normal_iteratorINS9_10device_ptrItEEEESE_PNS0_10empty_typeENS0_5tupleIJSE_SF_EEENSH_IJSE_SG_EEENS0_18inequality_wrapperI22is_equal_div_10_uniqueItEEEPmJSF_EEE10hipError_tPvRmT3_T4_T5_T6_T7_T9_mT8_P12ihipStream_tbDpT10_ENKUlT_T0_E_clISt17integral_constantIbLb1EES18_EEDaS13_S14_EUlS13_E_NS1_11comp_targetILNS1_3genE9ELNS1_11target_archE1100ELNS1_3gpuE3ELNS1_3repE0EEENS1_30default_config_static_selectorELNS0_4arch9wavefront6targetE0EEEvT1_
                                        ; -- End function
	.section	.AMDGPU.csdata,"",@progbits
; Kernel info:
; codeLenInByte = 15812
; NumSgprs: 33
; NumVgprs: 81
; ScratchSize: 0
; MemoryBound: 0
; FloatMode: 240
; IeeeMode: 1
; LDSByteSize: 3080 bytes/workgroup (compile time only)
; SGPRBlocks: 4
; VGPRBlocks: 10
; NumSGPRsForWavesPerEU: 33
; NumVGPRsForWavesPerEU: 81
; Occupancy: 16
; WaveLimiterHint : 1
; COMPUTE_PGM_RSRC2:SCRATCH_EN: 0
; COMPUTE_PGM_RSRC2:USER_SGPR: 15
; COMPUTE_PGM_RSRC2:TRAP_HANDLER: 0
; COMPUTE_PGM_RSRC2:TGID_X_EN: 1
; COMPUTE_PGM_RSRC2:TGID_Y_EN: 0
; COMPUTE_PGM_RSRC2:TGID_Z_EN: 0
; COMPUTE_PGM_RSRC2:TIDIG_COMP_CNT: 0
	.section	.text._ZN7rocprim17ROCPRIM_400000_NS6detail17trampoline_kernelINS0_14default_configENS1_25partition_config_selectorILNS1_17partition_subalgoE9EttbEEZZNS1_14partition_implILS5_9ELb0ES3_jN6thrust23THRUST_200600_302600_NS6detail15normal_iteratorINS9_10device_ptrItEEEESE_PNS0_10empty_typeENS0_5tupleIJSE_SF_EEENSH_IJSE_SG_EEENS0_18inequality_wrapperI22is_equal_div_10_uniqueItEEEPmJSF_EEE10hipError_tPvRmT3_T4_T5_T6_T7_T9_mT8_P12ihipStream_tbDpT10_ENKUlT_T0_E_clISt17integral_constantIbLb1EES18_EEDaS13_S14_EUlS13_E_NS1_11comp_targetILNS1_3genE8ELNS1_11target_archE1030ELNS1_3gpuE2ELNS1_3repE0EEENS1_30default_config_static_selectorELNS0_4arch9wavefront6targetE0EEEvT1_,"axG",@progbits,_ZN7rocprim17ROCPRIM_400000_NS6detail17trampoline_kernelINS0_14default_configENS1_25partition_config_selectorILNS1_17partition_subalgoE9EttbEEZZNS1_14partition_implILS5_9ELb0ES3_jN6thrust23THRUST_200600_302600_NS6detail15normal_iteratorINS9_10device_ptrItEEEESE_PNS0_10empty_typeENS0_5tupleIJSE_SF_EEENSH_IJSE_SG_EEENS0_18inequality_wrapperI22is_equal_div_10_uniqueItEEEPmJSF_EEE10hipError_tPvRmT3_T4_T5_T6_T7_T9_mT8_P12ihipStream_tbDpT10_ENKUlT_T0_E_clISt17integral_constantIbLb1EES18_EEDaS13_S14_EUlS13_E_NS1_11comp_targetILNS1_3genE8ELNS1_11target_archE1030ELNS1_3gpuE2ELNS1_3repE0EEENS1_30default_config_static_selectorELNS0_4arch9wavefront6targetE0EEEvT1_,comdat
	.protected	_ZN7rocprim17ROCPRIM_400000_NS6detail17trampoline_kernelINS0_14default_configENS1_25partition_config_selectorILNS1_17partition_subalgoE9EttbEEZZNS1_14partition_implILS5_9ELb0ES3_jN6thrust23THRUST_200600_302600_NS6detail15normal_iteratorINS9_10device_ptrItEEEESE_PNS0_10empty_typeENS0_5tupleIJSE_SF_EEENSH_IJSE_SG_EEENS0_18inequality_wrapperI22is_equal_div_10_uniqueItEEEPmJSF_EEE10hipError_tPvRmT3_T4_T5_T6_T7_T9_mT8_P12ihipStream_tbDpT10_ENKUlT_T0_E_clISt17integral_constantIbLb1EES18_EEDaS13_S14_EUlS13_E_NS1_11comp_targetILNS1_3genE8ELNS1_11target_archE1030ELNS1_3gpuE2ELNS1_3repE0EEENS1_30default_config_static_selectorELNS0_4arch9wavefront6targetE0EEEvT1_ ; -- Begin function _ZN7rocprim17ROCPRIM_400000_NS6detail17trampoline_kernelINS0_14default_configENS1_25partition_config_selectorILNS1_17partition_subalgoE9EttbEEZZNS1_14partition_implILS5_9ELb0ES3_jN6thrust23THRUST_200600_302600_NS6detail15normal_iteratorINS9_10device_ptrItEEEESE_PNS0_10empty_typeENS0_5tupleIJSE_SF_EEENSH_IJSE_SG_EEENS0_18inequality_wrapperI22is_equal_div_10_uniqueItEEEPmJSF_EEE10hipError_tPvRmT3_T4_T5_T6_T7_T9_mT8_P12ihipStream_tbDpT10_ENKUlT_T0_E_clISt17integral_constantIbLb1EES18_EEDaS13_S14_EUlS13_E_NS1_11comp_targetILNS1_3genE8ELNS1_11target_archE1030ELNS1_3gpuE2ELNS1_3repE0EEENS1_30default_config_static_selectorELNS0_4arch9wavefront6targetE0EEEvT1_
	.globl	_ZN7rocprim17ROCPRIM_400000_NS6detail17trampoline_kernelINS0_14default_configENS1_25partition_config_selectorILNS1_17partition_subalgoE9EttbEEZZNS1_14partition_implILS5_9ELb0ES3_jN6thrust23THRUST_200600_302600_NS6detail15normal_iteratorINS9_10device_ptrItEEEESE_PNS0_10empty_typeENS0_5tupleIJSE_SF_EEENSH_IJSE_SG_EEENS0_18inequality_wrapperI22is_equal_div_10_uniqueItEEEPmJSF_EEE10hipError_tPvRmT3_T4_T5_T6_T7_T9_mT8_P12ihipStream_tbDpT10_ENKUlT_T0_E_clISt17integral_constantIbLb1EES18_EEDaS13_S14_EUlS13_E_NS1_11comp_targetILNS1_3genE8ELNS1_11target_archE1030ELNS1_3gpuE2ELNS1_3repE0EEENS1_30default_config_static_selectorELNS0_4arch9wavefront6targetE0EEEvT1_
	.p2align	8
	.type	_ZN7rocprim17ROCPRIM_400000_NS6detail17trampoline_kernelINS0_14default_configENS1_25partition_config_selectorILNS1_17partition_subalgoE9EttbEEZZNS1_14partition_implILS5_9ELb0ES3_jN6thrust23THRUST_200600_302600_NS6detail15normal_iteratorINS9_10device_ptrItEEEESE_PNS0_10empty_typeENS0_5tupleIJSE_SF_EEENSH_IJSE_SG_EEENS0_18inequality_wrapperI22is_equal_div_10_uniqueItEEEPmJSF_EEE10hipError_tPvRmT3_T4_T5_T6_T7_T9_mT8_P12ihipStream_tbDpT10_ENKUlT_T0_E_clISt17integral_constantIbLb1EES18_EEDaS13_S14_EUlS13_E_NS1_11comp_targetILNS1_3genE8ELNS1_11target_archE1030ELNS1_3gpuE2ELNS1_3repE0EEENS1_30default_config_static_selectorELNS0_4arch9wavefront6targetE0EEEvT1_,@function
_ZN7rocprim17ROCPRIM_400000_NS6detail17trampoline_kernelINS0_14default_configENS1_25partition_config_selectorILNS1_17partition_subalgoE9EttbEEZZNS1_14partition_implILS5_9ELb0ES3_jN6thrust23THRUST_200600_302600_NS6detail15normal_iteratorINS9_10device_ptrItEEEESE_PNS0_10empty_typeENS0_5tupleIJSE_SF_EEENSH_IJSE_SG_EEENS0_18inequality_wrapperI22is_equal_div_10_uniqueItEEEPmJSF_EEE10hipError_tPvRmT3_T4_T5_T6_T7_T9_mT8_P12ihipStream_tbDpT10_ENKUlT_T0_E_clISt17integral_constantIbLb1EES18_EEDaS13_S14_EUlS13_E_NS1_11comp_targetILNS1_3genE8ELNS1_11target_archE1030ELNS1_3gpuE2ELNS1_3repE0EEENS1_30default_config_static_selectorELNS0_4arch9wavefront6targetE0EEEvT1_: ; @_ZN7rocprim17ROCPRIM_400000_NS6detail17trampoline_kernelINS0_14default_configENS1_25partition_config_selectorILNS1_17partition_subalgoE9EttbEEZZNS1_14partition_implILS5_9ELb0ES3_jN6thrust23THRUST_200600_302600_NS6detail15normal_iteratorINS9_10device_ptrItEEEESE_PNS0_10empty_typeENS0_5tupleIJSE_SF_EEENSH_IJSE_SG_EEENS0_18inequality_wrapperI22is_equal_div_10_uniqueItEEEPmJSF_EEE10hipError_tPvRmT3_T4_T5_T6_T7_T9_mT8_P12ihipStream_tbDpT10_ENKUlT_T0_E_clISt17integral_constantIbLb1EES18_EEDaS13_S14_EUlS13_E_NS1_11comp_targetILNS1_3genE8ELNS1_11target_archE1030ELNS1_3gpuE2ELNS1_3repE0EEENS1_30default_config_static_selectorELNS0_4arch9wavefront6targetE0EEEvT1_
; %bb.0:
	.section	.rodata,"a",@progbits
	.p2align	6, 0x0
	.amdhsa_kernel _ZN7rocprim17ROCPRIM_400000_NS6detail17trampoline_kernelINS0_14default_configENS1_25partition_config_selectorILNS1_17partition_subalgoE9EttbEEZZNS1_14partition_implILS5_9ELb0ES3_jN6thrust23THRUST_200600_302600_NS6detail15normal_iteratorINS9_10device_ptrItEEEESE_PNS0_10empty_typeENS0_5tupleIJSE_SF_EEENSH_IJSE_SG_EEENS0_18inequality_wrapperI22is_equal_div_10_uniqueItEEEPmJSF_EEE10hipError_tPvRmT3_T4_T5_T6_T7_T9_mT8_P12ihipStream_tbDpT10_ENKUlT_T0_E_clISt17integral_constantIbLb1EES18_EEDaS13_S14_EUlS13_E_NS1_11comp_targetILNS1_3genE8ELNS1_11target_archE1030ELNS1_3gpuE2ELNS1_3repE0EEENS1_30default_config_static_selectorELNS0_4arch9wavefront6targetE0EEEvT1_
		.amdhsa_group_segment_fixed_size 0
		.amdhsa_private_segment_fixed_size 0
		.amdhsa_kernarg_size 128
		.amdhsa_user_sgpr_count 15
		.amdhsa_user_sgpr_dispatch_ptr 0
		.amdhsa_user_sgpr_queue_ptr 0
		.amdhsa_user_sgpr_kernarg_segment_ptr 1
		.amdhsa_user_sgpr_dispatch_id 0
		.amdhsa_user_sgpr_private_segment_size 0
		.amdhsa_wavefront_size32 1
		.amdhsa_uses_dynamic_stack 0
		.amdhsa_enable_private_segment 0
		.amdhsa_system_sgpr_workgroup_id_x 1
		.amdhsa_system_sgpr_workgroup_id_y 0
		.amdhsa_system_sgpr_workgroup_id_z 0
		.amdhsa_system_sgpr_workgroup_info 0
		.amdhsa_system_vgpr_workitem_id 0
		.amdhsa_next_free_vgpr 1
		.amdhsa_next_free_sgpr 1
		.amdhsa_reserve_vcc 0
		.amdhsa_float_round_mode_32 0
		.amdhsa_float_round_mode_16_64 0
		.amdhsa_float_denorm_mode_32 3
		.amdhsa_float_denorm_mode_16_64 3
		.amdhsa_dx10_clamp 1
		.amdhsa_ieee_mode 1
		.amdhsa_fp16_overflow 0
		.amdhsa_workgroup_processor_mode 1
		.amdhsa_memory_ordered 1
		.amdhsa_forward_progress 0
		.amdhsa_shared_vgpr_count 0
		.amdhsa_exception_fp_ieee_invalid_op 0
		.amdhsa_exception_fp_denorm_src 0
		.amdhsa_exception_fp_ieee_div_zero 0
		.amdhsa_exception_fp_ieee_overflow 0
		.amdhsa_exception_fp_ieee_underflow 0
		.amdhsa_exception_fp_ieee_inexact 0
		.amdhsa_exception_int_div_zero 0
	.end_amdhsa_kernel
	.section	.text._ZN7rocprim17ROCPRIM_400000_NS6detail17trampoline_kernelINS0_14default_configENS1_25partition_config_selectorILNS1_17partition_subalgoE9EttbEEZZNS1_14partition_implILS5_9ELb0ES3_jN6thrust23THRUST_200600_302600_NS6detail15normal_iteratorINS9_10device_ptrItEEEESE_PNS0_10empty_typeENS0_5tupleIJSE_SF_EEENSH_IJSE_SG_EEENS0_18inequality_wrapperI22is_equal_div_10_uniqueItEEEPmJSF_EEE10hipError_tPvRmT3_T4_T5_T6_T7_T9_mT8_P12ihipStream_tbDpT10_ENKUlT_T0_E_clISt17integral_constantIbLb1EES18_EEDaS13_S14_EUlS13_E_NS1_11comp_targetILNS1_3genE8ELNS1_11target_archE1030ELNS1_3gpuE2ELNS1_3repE0EEENS1_30default_config_static_selectorELNS0_4arch9wavefront6targetE0EEEvT1_,"axG",@progbits,_ZN7rocprim17ROCPRIM_400000_NS6detail17trampoline_kernelINS0_14default_configENS1_25partition_config_selectorILNS1_17partition_subalgoE9EttbEEZZNS1_14partition_implILS5_9ELb0ES3_jN6thrust23THRUST_200600_302600_NS6detail15normal_iteratorINS9_10device_ptrItEEEESE_PNS0_10empty_typeENS0_5tupleIJSE_SF_EEENSH_IJSE_SG_EEENS0_18inequality_wrapperI22is_equal_div_10_uniqueItEEEPmJSF_EEE10hipError_tPvRmT3_T4_T5_T6_T7_T9_mT8_P12ihipStream_tbDpT10_ENKUlT_T0_E_clISt17integral_constantIbLb1EES18_EEDaS13_S14_EUlS13_E_NS1_11comp_targetILNS1_3genE8ELNS1_11target_archE1030ELNS1_3gpuE2ELNS1_3repE0EEENS1_30default_config_static_selectorELNS0_4arch9wavefront6targetE0EEEvT1_,comdat
.Lfunc_end322:
	.size	_ZN7rocprim17ROCPRIM_400000_NS6detail17trampoline_kernelINS0_14default_configENS1_25partition_config_selectorILNS1_17partition_subalgoE9EttbEEZZNS1_14partition_implILS5_9ELb0ES3_jN6thrust23THRUST_200600_302600_NS6detail15normal_iteratorINS9_10device_ptrItEEEESE_PNS0_10empty_typeENS0_5tupleIJSE_SF_EEENSH_IJSE_SG_EEENS0_18inequality_wrapperI22is_equal_div_10_uniqueItEEEPmJSF_EEE10hipError_tPvRmT3_T4_T5_T6_T7_T9_mT8_P12ihipStream_tbDpT10_ENKUlT_T0_E_clISt17integral_constantIbLb1EES18_EEDaS13_S14_EUlS13_E_NS1_11comp_targetILNS1_3genE8ELNS1_11target_archE1030ELNS1_3gpuE2ELNS1_3repE0EEENS1_30default_config_static_selectorELNS0_4arch9wavefront6targetE0EEEvT1_, .Lfunc_end322-_ZN7rocprim17ROCPRIM_400000_NS6detail17trampoline_kernelINS0_14default_configENS1_25partition_config_selectorILNS1_17partition_subalgoE9EttbEEZZNS1_14partition_implILS5_9ELb0ES3_jN6thrust23THRUST_200600_302600_NS6detail15normal_iteratorINS9_10device_ptrItEEEESE_PNS0_10empty_typeENS0_5tupleIJSE_SF_EEENSH_IJSE_SG_EEENS0_18inequality_wrapperI22is_equal_div_10_uniqueItEEEPmJSF_EEE10hipError_tPvRmT3_T4_T5_T6_T7_T9_mT8_P12ihipStream_tbDpT10_ENKUlT_T0_E_clISt17integral_constantIbLb1EES18_EEDaS13_S14_EUlS13_E_NS1_11comp_targetILNS1_3genE8ELNS1_11target_archE1030ELNS1_3gpuE2ELNS1_3repE0EEENS1_30default_config_static_selectorELNS0_4arch9wavefront6targetE0EEEvT1_
                                        ; -- End function
	.section	.AMDGPU.csdata,"",@progbits
; Kernel info:
; codeLenInByte = 0
; NumSgprs: 0
; NumVgprs: 0
; ScratchSize: 0
; MemoryBound: 0
; FloatMode: 240
; IeeeMode: 1
; LDSByteSize: 0 bytes/workgroup (compile time only)
; SGPRBlocks: 0
; VGPRBlocks: 0
; NumSGPRsForWavesPerEU: 1
; NumVGPRsForWavesPerEU: 1
; Occupancy: 15
; WaveLimiterHint : 0
; COMPUTE_PGM_RSRC2:SCRATCH_EN: 0
; COMPUTE_PGM_RSRC2:USER_SGPR: 15
; COMPUTE_PGM_RSRC2:TRAP_HANDLER: 0
; COMPUTE_PGM_RSRC2:TGID_X_EN: 1
; COMPUTE_PGM_RSRC2:TGID_Y_EN: 0
; COMPUTE_PGM_RSRC2:TGID_Z_EN: 0
; COMPUTE_PGM_RSRC2:TIDIG_COMP_CNT: 0
	.section	.text._ZN7rocprim17ROCPRIM_400000_NS6detail17trampoline_kernelINS0_14default_configENS1_25partition_config_selectorILNS1_17partition_subalgoE9EttbEEZZNS1_14partition_implILS5_9ELb0ES3_jN6thrust23THRUST_200600_302600_NS6detail15normal_iteratorINS9_10device_ptrItEEEESE_PNS0_10empty_typeENS0_5tupleIJSE_SF_EEENSH_IJSE_SG_EEENS0_18inequality_wrapperI22is_equal_div_10_uniqueItEEEPmJSF_EEE10hipError_tPvRmT3_T4_T5_T6_T7_T9_mT8_P12ihipStream_tbDpT10_ENKUlT_T0_E_clISt17integral_constantIbLb1EES17_IbLb0EEEEDaS13_S14_EUlS13_E_NS1_11comp_targetILNS1_3genE0ELNS1_11target_archE4294967295ELNS1_3gpuE0ELNS1_3repE0EEENS1_30default_config_static_selectorELNS0_4arch9wavefront6targetE0EEEvT1_,"axG",@progbits,_ZN7rocprim17ROCPRIM_400000_NS6detail17trampoline_kernelINS0_14default_configENS1_25partition_config_selectorILNS1_17partition_subalgoE9EttbEEZZNS1_14partition_implILS5_9ELb0ES3_jN6thrust23THRUST_200600_302600_NS6detail15normal_iteratorINS9_10device_ptrItEEEESE_PNS0_10empty_typeENS0_5tupleIJSE_SF_EEENSH_IJSE_SG_EEENS0_18inequality_wrapperI22is_equal_div_10_uniqueItEEEPmJSF_EEE10hipError_tPvRmT3_T4_T5_T6_T7_T9_mT8_P12ihipStream_tbDpT10_ENKUlT_T0_E_clISt17integral_constantIbLb1EES17_IbLb0EEEEDaS13_S14_EUlS13_E_NS1_11comp_targetILNS1_3genE0ELNS1_11target_archE4294967295ELNS1_3gpuE0ELNS1_3repE0EEENS1_30default_config_static_selectorELNS0_4arch9wavefront6targetE0EEEvT1_,comdat
	.protected	_ZN7rocprim17ROCPRIM_400000_NS6detail17trampoline_kernelINS0_14default_configENS1_25partition_config_selectorILNS1_17partition_subalgoE9EttbEEZZNS1_14partition_implILS5_9ELb0ES3_jN6thrust23THRUST_200600_302600_NS6detail15normal_iteratorINS9_10device_ptrItEEEESE_PNS0_10empty_typeENS0_5tupleIJSE_SF_EEENSH_IJSE_SG_EEENS0_18inequality_wrapperI22is_equal_div_10_uniqueItEEEPmJSF_EEE10hipError_tPvRmT3_T4_T5_T6_T7_T9_mT8_P12ihipStream_tbDpT10_ENKUlT_T0_E_clISt17integral_constantIbLb1EES17_IbLb0EEEEDaS13_S14_EUlS13_E_NS1_11comp_targetILNS1_3genE0ELNS1_11target_archE4294967295ELNS1_3gpuE0ELNS1_3repE0EEENS1_30default_config_static_selectorELNS0_4arch9wavefront6targetE0EEEvT1_ ; -- Begin function _ZN7rocprim17ROCPRIM_400000_NS6detail17trampoline_kernelINS0_14default_configENS1_25partition_config_selectorILNS1_17partition_subalgoE9EttbEEZZNS1_14partition_implILS5_9ELb0ES3_jN6thrust23THRUST_200600_302600_NS6detail15normal_iteratorINS9_10device_ptrItEEEESE_PNS0_10empty_typeENS0_5tupleIJSE_SF_EEENSH_IJSE_SG_EEENS0_18inequality_wrapperI22is_equal_div_10_uniqueItEEEPmJSF_EEE10hipError_tPvRmT3_T4_T5_T6_T7_T9_mT8_P12ihipStream_tbDpT10_ENKUlT_T0_E_clISt17integral_constantIbLb1EES17_IbLb0EEEEDaS13_S14_EUlS13_E_NS1_11comp_targetILNS1_3genE0ELNS1_11target_archE4294967295ELNS1_3gpuE0ELNS1_3repE0EEENS1_30default_config_static_selectorELNS0_4arch9wavefront6targetE0EEEvT1_
	.globl	_ZN7rocprim17ROCPRIM_400000_NS6detail17trampoline_kernelINS0_14default_configENS1_25partition_config_selectorILNS1_17partition_subalgoE9EttbEEZZNS1_14partition_implILS5_9ELb0ES3_jN6thrust23THRUST_200600_302600_NS6detail15normal_iteratorINS9_10device_ptrItEEEESE_PNS0_10empty_typeENS0_5tupleIJSE_SF_EEENSH_IJSE_SG_EEENS0_18inequality_wrapperI22is_equal_div_10_uniqueItEEEPmJSF_EEE10hipError_tPvRmT3_T4_T5_T6_T7_T9_mT8_P12ihipStream_tbDpT10_ENKUlT_T0_E_clISt17integral_constantIbLb1EES17_IbLb0EEEEDaS13_S14_EUlS13_E_NS1_11comp_targetILNS1_3genE0ELNS1_11target_archE4294967295ELNS1_3gpuE0ELNS1_3repE0EEENS1_30default_config_static_selectorELNS0_4arch9wavefront6targetE0EEEvT1_
	.p2align	8
	.type	_ZN7rocprim17ROCPRIM_400000_NS6detail17trampoline_kernelINS0_14default_configENS1_25partition_config_selectorILNS1_17partition_subalgoE9EttbEEZZNS1_14partition_implILS5_9ELb0ES3_jN6thrust23THRUST_200600_302600_NS6detail15normal_iteratorINS9_10device_ptrItEEEESE_PNS0_10empty_typeENS0_5tupleIJSE_SF_EEENSH_IJSE_SG_EEENS0_18inequality_wrapperI22is_equal_div_10_uniqueItEEEPmJSF_EEE10hipError_tPvRmT3_T4_T5_T6_T7_T9_mT8_P12ihipStream_tbDpT10_ENKUlT_T0_E_clISt17integral_constantIbLb1EES17_IbLb0EEEEDaS13_S14_EUlS13_E_NS1_11comp_targetILNS1_3genE0ELNS1_11target_archE4294967295ELNS1_3gpuE0ELNS1_3repE0EEENS1_30default_config_static_selectorELNS0_4arch9wavefront6targetE0EEEvT1_,@function
_ZN7rocprim17ROCPRIM_400000_NS6detail17trampoline_kernelINS0_14default_configENS1_25partition_config_selectorILNS1_17partition_subalgoE9EttbEEZZNS1_14partition_implILS5_9ELb0ES3_jN6thrust23THRUST_200600_302600_NS6detail15normal_iteratorINS9_10device_ptrItEEEESE_PNS0_10empty_typeENS0_5tupleIJSE_SF_EEENSH_IJSE_SG_EEENS0_18inequality_wrapperI22is_equal_div_10_uniqueItEEEPmJSF_EEE10hipError_tPvRmT3_T4_T5_T6_T7_T9_mT8_P12ihipStream_tbDpT10_ENKUlT_T0_E_clISt17integral_constantIbLb1EES17_IbLb0EEEEDaS13_S14_EUlS13_E_NS1_11comp_targetILNS1_3genE0ELNS1_11target_archE4294967295ELNS1_3gpuE0ELNS1_3repE0EEENS1_30default_config_static_selectorELNS0_4arch9wavefront6targetE0EEEvT1_: ; @_ZN7rocprim17ROCPRIM_400000_NS6detail17trampoline_kernelINS0_14default_configENS1_25partition_config_selectorILNS1_17partition_subalgoE9EttbEEZZNS1_14partition_implILS5_9ELb0ES3_jN6thrust23THRUST_200600_302600_NS6detail15normal_iteratorINS9_10device_ptrItEEEESE_PNS0_10empty_typeENS0_5tupleIJSE_SF_EEENSH_IJSE_SG_EEENS0_18inequality_wrapperI22is_equal_div_10_uniqueItEEEPmJSF_EEE10hipError_tPvRmT3_T4_T5_T6_T7_T9_mT8_P12ihipStream_tbDpT10_ENKUlT_T0_E_clISt17integral_constantIbLb1EES17_IbLb0EEEEDaS13_S14_EUlS13_E_NS1_11comp_targetILNS1_3genE0ELNS1_11target_archE4294967295ELNS1_3gpuE0ELNS1_3repE0EEENS1_30default_config_static_selectorELNS0_4arch9wavefront6targetE0EEEvT1_
; %bb.0:
	.section	.rodata,"a",@progbits
	.p2align	6, 0x0
	.amdhsa_kernel _ZN7rocprim17ROCPRIM_400000_NS6detail17trampoline_kernelINS0_14default_configENS1_25partition_config_selectorILNS1_17partition_subalgoE9EttbEEZZNS1_14partition_implILS5_9ELb0ES3_jN6thrust23THRUST_200600_302600_NS6detail15normal_iteratorINS9_10device_ptrItEEEESE_PNS0_10empty_typeENS0_5tupleIJSE_SF_EEENSH_IJSE_SG_EEENS0_18inequality_wrapperI22is_equal_div_10_uniqueItEEEPmJSF_EEE10hipError_tPvRmT3_T4_T5_T6_T7_T9_mT8_P12ihipStream_tbDpT10_ENKUlT_T0_E_clISt17integral_constantIbLb1EES17_IbLb0EEEEDaS13_S14_EUlS13_E_NS1_11comp_targetILNS1_3genE0ELNS1_11target_archE4294967295ELNS1_3gpuE0ELNS1_3repE0EEENS1_30default_config_static_selectorELNS0_4arch9wavefront6targetE0EEEvT1_
		.amdhsa_group_segment_fixed_size 0
		.amdhsa_private_segment_fixed_size 0
		.amdhsa_kernarg_size 112
		.amdhsa_user_sgpr_count 15
		.amdhsa_user_sgpr_dispatch_ptr 0
		.amdhsa_user_sgpr_queue_ptr 0
		.amdhsa_user_sgpr_kernarg_segment_ptr 1
		.amdhsa_user_sgpr_dispatch_id 0
		.amdhsa_user_sgpr_private_segment_size 0
		.amdhsa_wavefront_size32 1
		.amdhsa_uses_dynamic_stack 0
		.amdhsa_enable_private_segment 0
		.amdhsa_system_sgpr_workgroup_id_x 1
		.amdhsa_system_sgpr_workgroup_id_y 0
		.amdhsa_system_sgpr_workgroup_id_z 0
		.amdhsa_system_sgpr_workgroup_info 0
		.amdhsa_system_vgpr_workitem_id 0
		.amdhsa_next_free_vgpr 1
		.amdhsa_next_free_sgpr 1
		.amdhsa_reserve_vcc 0
		.amdhsa_float_round_mode_32 0
		.amdhsa_float_round_mode_16_64 0
		.amdhsa_float_denorm_mode_32 3
		.amdhsa_float_denorm_mode_16_64 3
		.amdhsa_dx10_clamp 1
		.amdhsa_ieee_mode 1
		.amdhsa_fp16_overflow 0
		.amdhsa_workgroup_processor_mode 1
		.amdhsa_memory_ordered 1
		.amdhsa_forward_progress 0
		.amdhsa_shared_vgpr_count 0
		.amdhsa_exception_fp_ieee_invalid_op 0
		.amdhsa_exception_fp_denorm_src 0
		.amdhsa_exception_fp_ieee_div_zero 0
		.amdhsa_exception_fp_ieee_overflow 0
		.amdhsa_exception_fp_ieee_underflow 0
		.amdhsa_exception_fp_ieee_inexact 0
		.amdhsa_exception_int_div_zero 0
	.end_amdhsa_kernel
	.section	.text._ZN7rocprim17ROCPRIM_400000_NS6detail17trampoline_kernelINS0_14default_configENS1_25partition_config_selectorILNS1_17partition_subalgoE9EttbEEZZNS1_14partition_implILS5_9ELb0ES3_jN6thrust23THRUST_200600_302600_NS6detail15normal_iteratorINS9_10device_ptrItEEEESE_PNS0_10empty_typeENS0_5tupleIJSE_SF_EEENSH_IJSE_SG_EEENS0_18inequality_wrapperI22is_equal_div_10_uniqueItEEEPmJSF_EEE10hipError_tPvRmT3_T4_T5_T6_T7_T9_mT8_P12ihipStream_tbDpT10_ENKUlT_T0_E_clISt17integral_constantIbLb1EES17_IbLb0EEEEDaS13_S14_EUlS13_E_NS1_11comp_targetILNS1_3genE0ELNS1_11target_archE4294967295ELNS1_3gpuE0ELNS1_3repE0EEENS1_30default_config_static_selectorELNS0_4arch9wavefront6targetE0EEEvT1_,"axG",@progbits,_ZN7rocprim17ROCPRIM_400000_NS6detail17trampoline_kernelINS0_14default_configENS1_25partition_config_selectorILNS1_17partition_subalgoE9EttbEEZZNS1_14partition_implILS5_9ELb0ES3_jN6thrust23THRUST_200600_302600_NS6detail15normal_iteratorINS9_10device_ptrItEEEESE_PNS0_10empty_typeENS0_5tupleIJSE_SF_EEENSH_IJSE_SG_EEENS0_18inequality_wrapperI22is_equal_div_10_uniqueItEEEPmJSF_EEE10hipError_tPvRmT3_T4_T5_T6_T7_T9_mT8_P12ihipStream_tbDpT10_ENKUlT_T0_E_clISt17integral_constantIbLb1EES17_IbLb0EEEEDaS13_S14_EUlS13_E_NS1_11comp_targetILNS1_3genE0ELNS1_11target_archE4294967295ELNS1_3gpuE0ELNS1_3repE0EEENS1_30default_config_static_selectorELNS0_4arch9wavefront6targetE0EEEvT1_,comdat
.Lfunc_end323:
	.size	_ZN7rocprim17ROCPRIM_400000_NS6detail17trampoline_kernelINS0_14default_configENS1_25partition_config_selectorILNS1_17partition_subalgoE9EttbEEZZNS1_14partition_implILS5_9ELb0ES3_jN6thrust23THRUST_200600_302600_NS6detail15normal_iteratorINS9_10device_ptrItEEEESE_PNS0_10empty_typeENS0_5tupleIJSE_SF_EEENSH_IJSE_SG_EEENS0_18inequality_wrapperI22is_equal_div_10_uniqueItEEEPmJSF_EEE10hipError_tPvRmT3_T4_T5_T6_T7_T9_mT8_P12ihipStream_tbDpT10_ENKUlT_T0_E_clISt17integral_constantIbLb1EES17_IbLb0EEEEDaS13_S14_EUlS13_E_NS1_11comp_targetILNS1_3genE0ELNS1_11target_archE4294967295ELNS1_3gpuE0ELNS1_3repE0EEENS1_30default_config_static_selectorELNS0_4arch9wavefront6targetE0EEEvT1_, .Lfunc_end323-_ZN7rocprim17ROCPRIM_400000_NS6detail17trampoline_kernelINS0_14default_configENS1_25partition_config_selectorILNS1_17partition_subalgoE9EttbEEZZNS1_14partition_implILS5_9ELb0ES3_jN6thrust23THRUST_200600_302600_NS6detail15normal_iteratorINS9_10device_ptrItEEEESE_PNS0_10empty_typeENS0_5tupleIJSE_SF_EEENSH_IJSE_SG_EEENS0_18inequality_wrapperI22is_equal_div_10_uniqueItEEEPmJSF_EEE10hipError_tPvRmT3_T4_T5_T6_T7_T9_mT8_P12ihipStream_tbDpT10_ENKUlT_T0_E_clISt17integral_constantIbLb1EES17_IbLb0EEEEDaS13_S14_EUlS13_E_NS1_11comp_targetILNS1_3genE0ELNS1_11target_archE4294967295ELNS1_3gpuE0ELNS1_3repE0EEENS1_30default_config_static_selectorELNS0_4arch9wavefront6targetE0EEEvT1_
                                        ; -- End function
	.section	.AMDGPU.csdata,"",@progbits
; Kernel info:
; codeLenInByte = 0
; NumSgprs: 0
; NumVgprs: 0
; ScratchSize: 0
; MemoryBound: 0
; FloatMode: 240
; IeeeMode: 1
; LDSByteSize: 0 bytes/workgroup (compile time only)
; SGPRBlocks: 0
; VGPRBlocks: 0
; NumSGPRsForWavesPerEU: 1
; NumVGPRsForWavesPerEU: 1
; Occupancy: 16
; WaveLimiterHint : 0
; COMPUTE_PGM_RSRC2:SCRATCH_EN: 0
; COMPUTE_PGM_RSRC2:USER_SGPR: 15
; COMPUTE_PGM_RSRC2:TRAP_HANDLER: 0
; COMPUTE_PGM_RSRC2:TGID_X_EN: 1
; COMPUTE_PGM_RSRC2:TGID_Y_EN: 0
; COMPUTE_PGM_RSRC2:TGID_Z_EN: 0
; COMPUTE_PGM_RSRC2:TIDIG_COMP_CNT: 0
	.section	.text._ZN7rocprim17ROCPRIM_400000_NS6detail17trampoline_kernelINS0_14default_configENS1_25partition_config_selectorILNS1_17partition_subalgoE9EttbEEZZNS1_14partition_implILS5_9ELb0ES3_jN6thrust23THRUST_200600_302600_NS6detail15normal_iteratorINS9_10device_ptrItEEEESE_PNS0_10empty_typeENS0_5tupleIJSE_SF_EEENSH_IJSE_SG_EEENS0_18inequality_wrapperI22is_equal_div_10_uniqueItEEEPmJSF_EEE10hipError_tPvRmT3_T4_T5_T6_T7_T9_mT8_P12ihipStream_tbDpT10_ENKUlT_T0_E_clISt17integral_constantIbLb1EES17_IbLb0EEEEDaS13_S14_EUlS13_E_NS1_11comp_targetILNS1_3genE5ELNS1_11target_archE942ELNS1_3gpuE9ELNS1_3repE0EEENS1_30default_config_static_selectorELNS0_4arch9wavefront6targetE0EEEvT1_,"axG",@progbits,_ZN7rocprim17ROCPRIM_400000_NS6detail17trampoline_kernelINS0_14default_configENS1_25partition_config_selectorILNS1_17partition_subalgoE9EttbEEZZNS1_14partition_implILS5_9ELb0ES3_jN6thrust23THRUST_200600_302600_NS6detail15normal_iteratorINS9_10device_ptrItEEEESE_PNS0_10empty_typeENS0_5tupleIJSE_SF_EEENSH_IJSE_SG_EEENS0_18inequality_wrapperI22is_equal_div_10_uniqueItEEEPmJSF_EEE10hipError_tPvRmT3_T4_T5_T6_T7_T9_mT8_P12ihipStream_tbDpT10_ENKUlT_T0_E_clISt17integral_constantIbLb1EES17_IbLb0EEEEDaS13_S14_EUlS13_E_NS1_11comp_targetILNS1_3genE5ELNS1_11target_archE942ELNS1_3gpuE9ELNS1_3repE0EEENS1_30default_config_static_selectorELNS0_4arch9wavefront6targetE0EEEvT1_,comdat
	.protected	_ZN7rocprim17ROCPRIM_400000_NS6detail17trampoline_kernelINS0_14default_configENS1_25partition_config_selectorILNS1_17partition_subalgoE9EttbEEZZNS1_14partition_implILS5_9ELb0ES3_jN6thrust23THRUST_200600_302600_NS6detail15normal_iteratorINS9_10device_ptrItEEEESE_PNS0_10empty_typeENS0_5tupleIJSE_SF_EEENSH_IJSE_SG_EEENS0_18inequality_wrapperI22is_equal_div_10_uniqueItEEEPmJSF_EEE10hipError_tPvRmT3_T4_T5_T6_T7_T9_mT8_P12ihipStream_tbDpT10_ENKUlT_T0_E_clISt17integral_constantIbLb1EES17_IbLb0EEEEDaS13_S14_EUlS13_E_NS1_11comp_targetILNS1_3genE5ELNS1_11target_archE942ELNS1_3gpuE9ELNS1_3repE0EEENS1_30default_config_static_selectorELNS0_4arch9wavefront6targetE0EEEvT1_ ; -- Begin function _ZN7rocprim17ROCPRIM_400000_NS6detail17trampoline_kernelINS0_14default_configENS1_25partition_config_selectorILNS1_17partition_subalgoE9EttbEEZZNS1_14partition_implILS5_9ELb0ES3_jN6thrust23THRUST_200600_302600_NS6detail15normal_iteratorINS9_10device_ptrItEEEESE_PNS0_10empty_typeENS0_5tupleIJSE_SF_EEENSH_IJSE_SG_EEENS0_18inequality_wrapperI22is_equal_div_10_uniqueItEEEPmJSF_EEE10hipError_tPvRmT3_T4_T5_T6_T7_T9_mT8_P12ihipStream_tbDpT10_ENKUlT_T0_E_clISt17integral_constantIbLb1EES17_IbLb0EEEEDaS13_S14_EUlS13_E_NS1_11comp_targetILNS1_3genE5ELNS1_11target_archE942ELNS1_3gpuE9ELNS1_3repE0EEENS1_30default_config_static_selectorELNS0_4arch9wavefront6targetE0EEEvT1_
	.globl	_ZN7rocprim17ROCPRIM_400000_NS6detail17trampoline_kernelINS0_14default_configENS1_25partition_config_selectorILNS1_17partition_subalgoE9EttbEEZZNS1_14partition_implILS5_9ELb0ES3_jN6thrust23THRUST_200600_302600_NS6detail15normal_iteratorINS9_10device_ptrItEEEESE_PNS0_10empty_typeENS0_5tupleIJSE_SF_EEENSH_IJSE_SG_EEENS0_18inequality_wrapperI22is_equal_div_10_uniqueItEEEPmJSF_EEE10hipError_tPvRmT3_T4_T5_T6_T7_T9_mT8_P12ihipStream_tbDpT10_ENKUlT_T0_E_clISt17integral_constantIbLb1EES17_IbLb0EEEEDaS13_S14_EUlS13_E_NS1_11comp_targetILNS1_3genE5ELNS1_11target_archE942ELNS1_3gpuE9ELNS1_3repE0EEENS1_30default_config_static_selectorELNS0_4arch9wavefront6targetE0EEEvT1_
	.p2align	8
	.type	_ZN7rocprim17ROCPRIM_400000_NS6detail17trampoline_kernelINS0_14default_configENS1_25partition_config_selectorILNS1_17partition_subalgoE9EttbEEZZNS1_14partition_implILS5_9ELb0ES3_jN6thrust23THRUST_200600_302600_NS6detail15normal_iteratorINS9_10device_ptrItEEEESE_PNS0_10empty_typeENS0_5tupleIJSE_SF_EEENSH_IJSE_SG_EEENS0_18inequality_wrapperI22is_equal_div_10_uniqueItEEEPmJSF_EEE10hipError_tPvRmT3_T4_T5_T6_T7_T9_mT8_P12ihipStream_tbDpT10_ENKUlT_T0_E_clISt17integral_constantIbLb1EES17_IbLb0EEEEDaS13_S14_EUlS13_E_NS1_11comp_targetILNS1_3genE5ELNS1_11target_archE942ELNS1_3gpuE9ELNS1_3repE0EEENS1_30default_config_static_selectorELNS0_4arch9wavefront6targetE0EEEvT1_,@function
_ZN7rocprim17ROCPRIM_400000_NS6detail17trampoline_kernelINS0_14default_configENS1_25partition_config_selectorILNS1_17partition_subalgoE9EttbEEZZNS1_14partition_implILS5_9ELb0ES3_jN6thrust23THRUST_200600_302600_NS6detail15normal_iteratorINS9_10device_ptrItEEEESE_PNS0_10empty_typeENS0_5tupleIJSE_SF_EEENSH_IJSE_SG_EEENS0_18inequality_wrapperI22is_equal_div_10_uniqueItEEEPmJSF_EEE10hipError_tPvRmT3_T4_T5_T6_T7_T9_mT8_P12ihipStream_tbDpT10_ENKUlT_T0_E_clISt17integral_constantIbLb1EES17_IbLb0EEEEDaS13_S14_EUlS13_E_NS1_11comp_targetILNS1_3genE5ELNS1_11target_archE942ELNS1_3gpuE9ELNS1_3repE0EEENS1_30default_config_static_selectorELNS0_4arch9wavefront6targetE0EEEvT1_: ; @_ZN7rocprim17ROCPRIM_400000_NS6detail17trampoline_kernelINS0_14default_configENS1_25partition_config_selectorILNS1_17partition_subalgoE9EttbEEZZNS1_14partition_implILS5_9ELb0ES3_jN6thrust23THRUST_200600_302600_NS6detail15normal_iteratorINS9_10device_ptrItEEEESE_PNS0_10empty_typeENS0_5tupleIJSE_SF_EEENSH_IJSE_SG_EEENS0_18inequality_wrapperI22is_equal_div_10_uniqueItEEEPmJSF_EEE10hipError_tPvRmT3_T4_T5_T6_T7_T9_mT8_P12ihipStream_tbDpT10_ENKUlT_T0_E_clISt17integral_constantIbLb1EES17_IbLb0EEEEDaS13_S14_EUlS13_E_NS1_11comp_targetILNS1_3genE5ELNS1_11target_archE942ELNS1_3gpuE9ELNS1_3repE0EEENS1_30default_config_static_selectorELNS0_4arch9wavefront6targetE0EEEvT1_
; %bb.0:
	.section	.rodata,"a",@progbits
	.p2align	6, 0x0
	.amdhsa_kernel _ZN7rocprim17ROCPRIM_400000_NS6detail17trampoline_kernelINS0_14default_configENS1_25partition_config_selectorILNS1_17partition_subalgoE9EttbEEZZNS1_14partition_implILS5_9ELb0ES3_jN6thrust23THRUST_200600_302600_NS6detail15normal_iteratorINS9_10device_ptrItEEEESE_PNS0_10empty_typeENS0_5tupleIJSE_SF_EEENSH_IJSE_SG_EEENS0_18inequality_wrapperI22is_equal_div_10_uniqueItEEEPmJSF_EEE10hipError_tPvRmT3_T4_T5_T6_T7_T9_mT8_P12ihipStream_tbDpT10_ENKUlT_T0_E_clISt17integral_constantIbLb1EES17_IbLb0EEEEDaS13_S14_EUlS13_E_NS1_11comp_targetILNS1_3genE5ELNS1_11target_archE942ELNS1_3gpuE9ELNS1_3repE0EEENS1_30default_config_static_selectorELNS0_4arch9wavefront6targetE0EEEvT1_
		.amdhsa_group_segment_fixed_size 0
		.amdhsa_private_segment_fixed_size 0
		.amdhsa_kernarg_size 112
		.amdhsa_user_sgpr_count 15
		.amdhsa_user_sgpr_dispatch_ptr 0
		.amdhsa_user_sgpr_queue_ptr 0
		.amdhsa_user_sgpr_kernarg_segment_ptr 1
		.amdhsa_user_sgpr_dispatch_id 0
		.amdhsa_user_sgpr_private_segment_size 0
		.amdhsa_wavefront_size32 1
		.amdhsa_uses_dynamic_stack 0
		.amdhsa_enable_private_segment 0
		.amdhsa_system_sgpr_workgroup_id_x 1
		.amdhsa_system_sgpr_workgroup_id_y 0
		.amdhsa_system_sgpr_workgroup_id_z 0
		.amdhsa_system_sgpr_workgroup_info 0
		.amdhsa_system_vgpr_workitem_id 0
		.amdhsa_next_free_vgpr 1
		.amdhsa_next_free_sgpr 1
		.amdhsa_reserve_vcc 0
		.amdhsa_float_round_mode_32 0
		.amdhsa_float_round_mode_16_64 0
		.amdhsa_float_denorm_mode_32 3
		.amdhsa_float_denorm_mode_16_64 3
		.amdhsa_dx10_clamp 1
		.amdhsa_ieee_mode 1
		.amdhsa_fp16_overflow 0
		.amdhsa_workgroup_processor_mode 1
		.amdhsa_memory_ordered 1
		.amdhsa_forward_progress 0
		.amdhsa_shared_vgpr_count 0
		.amdhsa_exception_fp_ieee_invalid_op 0
		.amdhsa_exception_fp_denorm_src 0
		.amdhsa_exception_fp_ieee_div_zero 0
		.amdhsa_exception_fp_ieee_overflow 0
		.amdhsa_exception_fp_ieee_underflow 0
		.amdhsa_exception_fp_ieee_inexact 0
		.amdhsa_exception_int_div_zero 0
	.end_amdhsa_kernel
	.section	.text._ZN7rocprim17ROCPRIM_400000_NS6detail17trampoline_kernelINS0_14default_configENS1_25partition_config_selectorILNS1_17partition_subalgoE9EttbEEZZNS1_14partition_implILS5_9ELb0ES3_jN6thrust23THRUST_200600_302600_NS6detail15normal_iteratorINS9_10device_ptrItEEEESE_PNS0_10empty_typeENS0_5tupleIJSE_SF_EEENSH_IJSE_SG_EEENS0_18inequality_wrapperI22is_equal_div_10_uniqueItEEEPmJSF_EEE10hipError_tPvRmT3_T4_T5_T6_T7_T9_mT8_P12ihipStream_tbDpT10_ENKUlT_T0_E_clISt17integral_constantIbLb1EES17_IbLb0EEEEDaS13_S14_EUlS13_E_NS1_11comp_targetILNS1_3genE5ELNS1_11target_archE942ELNS1_3gpuE9ELNS1_3repE0EEENS1_30default_config_static_selectorELNS0_4arch9wavefront6targetE0EEEvT1_,"axG",@progbits,_ZN7rocprim17ROCPRIM_400000_NS6detail17trampoline_kernelINS0_14default_configENS1_25partition_config_selectorILNS1_17partition_subalgoE9EttbEEZZNS1_14partition_implILS5_9ELb0ES3_jN6thrust23THRUST_200600_302600_NS6detail15normal_iteratorINS9_10device_ptrItEEEESE_PNS0_10empty_typeENS0_5tupleIJSE_SF_EEENSH_IJSE_SG_EEENS0_18inequality_wrapperI22is_equal_div_10_uniqueItEEEPmJSF_EEE10hipError_tPvRmT3_T4_T5_T6_T7_T9_mT8_P12ihipStream_tbDpT10_ENKUlT_T0_E_clISt17integral_constantIbLb1EES17_IbLb0EEEEDaS13_S14_EUlS13_E_NS1_11comp_targetILNS1_3genE5ELNS1_11target_archE942ELNS1_3gpuE9ELNS1_3repE0EEENS1_30default_config_static_selectorELNS0_4arch9wavefront6targetE0EEEvT1_,comdat
.Lfunc_end324:
	.size	_ZN7rocprim17ROCPRIM_400000_NS6detail17trampoline_kernelINS0_14default_configENS1_25partition_config_selectorILNS1_17partition_subalgoE9EttbEEZZNS1_14partition_implILS5_9ELb0ES3_jN6thrust23THRUST_200600_302600_NS6detail15normal_iteratorINS9_10device_ptrItEEEESE_PNS0_10empty_typeENS0_5tupleIJSE_SF_EEENSH_IJSE_SG_EEENS0_18inequality_wrapperI22is_equal_div_10_uniqueItEEEPmJSF_EEE10hipError_tPvRmT3_T4_T5_T6_T7_T9_mT8_P12ihipStream_tbDpT10_ENKUlT_T0_E_clISt17integral_constantIbLb1EES17_IbLb0EEEEDaS13_S14_EUlS13_E_NS1_11comp_targetILNS1_3genE5ELNS1_11target_archE942ELNS1_3gpuE9ELNS1_3repE0EEENS1_30default_config_static_selectorELNS0_4arch9wavefront6targetE0EEEvT1_, .Lfunc_end324-_ZN7rocprim17ROCPRIM_400000_NS6detail17trampoline_kernelINS0_14default_configENS1_25partition_config_selectorILNS1_17partition_subalgoE9EttbEEZZNS1_14partition_implILS5_9ELb0ES3_jN6thrust23THRUST_200600_302600_NS6detail15normal_iteratorINS9_10device_ptrItEEEESE_PNS0_10empty_typeENS0_5tupleIJSE_SF_EEENSH_IJSE_SG_EEENS0_18inequality_wrapperI22is_equal_div_10_uniqueItEEEPmJSF_EEE10hipError_tPvRmT3_T4_T5_T6_T7_T9_mT8_P12ihipStream_tbDpT10_ENKUlT_T0_E_clISt17integral_constantIbLb1EES17_IbLb0EEEEDaS13_S14_EUlS13_E_NS1_11comp_targetILNS1_3genE5ELNS1_11target_archE942ELNS1_3gpuE9ELNS1_3repE0EEENS1_30default_config_static_selectorELNS0_4arch9wavefront6targetE0EEEvT1_
                                        ; -- End function
	.section	.AMDGPU.csdata,"",@progbits
; Kernel info:
; codeLenInByte = 0
; NumSgprs: 0
; NumVgprs: 0
; ScratchSize: 0
; MemoryBound: 0
; FloatMode: 240
; IeeeMode: 1
; LDSByteSize: 0 bytes/workgroup (compile time only)
; SGPRBlocks: 0
; VGPRBlocks: 0
; NumSGPRsForWavesPerEU: 1
; NumVGPRsForWavesPerEU: 1
; Occupancy: 16
; WaveLimiterHint : 0
; COMPUTE_PGM_RSRC2:SCRATCH_EN: 0
; COMPUTE_PGM_RSRC2:USER_SGPR: 15
; COMPUTE_PGM_RSRC2:TRAP_HANDLER: 0
; COMPUTE_PGM_RSRC2:TGID_X_EN: 1
; COMPUTE_PGM_RSRC2:TGID_Y_EN: 0
; COMPUTE_PGM_RSRC2:TGID_Z_EN: 0
; COMPUTE_PGM_RSRC2:TIDIG_COMP_CNT: 0
	.section	.text._ZN7rocprim17ROCPRIM_400000_NS6detail17trampoline_kernelINS0_14default_configENS1_25partition_config_selectorILNS1_17partition_subalgoE9EttbEEZZNS1_14partition_implILS5_9ELb0ES3_jN6thrust23THRUST_200600_302600_NS6detail15normal_iteratorINS9_10device_ptrItEEEESE_PNS0_10empty_typeENS0_5tupleIJSE_SF_EEENSH_IJSE_SG_EEENS0_18inequality_wrapperI22is_equal_div_10_uniqueItEEEPmJSF_EEE10hipError_tPvRmT3_T4_T5_T6_T7_T9_mT8_P12ihipStream_tbDpT10_ENKUlT_T0_E_clISt17integral_constantIbLb1EES17_IbLb0EEEEDaS13_S14_EUlS13_E_NS1_11comp_targetILNS1_3genE4ELNS1_11target_archE910ELNS1_3gpuE8ELNS1_3repE0EEENS1_30default_config_static_selectorELNS0_4arch9wavefront6targetE0EEEvT1_,"axG",@progbits,_ZN7rocprim17ROCPRIM_400000_NS6detail17trampoline_kernelINS0_14default_configENS1_25partition_config_selectorILNS1_17partition_subalgoE9EttbEEZZNS1_14partition_implILS5_9ELb0ES3_jN6thrust23THRUST_200600_302600_NS6detail15normal_iteratorINS9_10device_ptrItEEEESE_PNS0_10empty_typeENS0_5tupleIJSE_SF_EEENSH_IJSE_SG_EEENS0_18inequality_wrapperI22is_equal_div_10_uniqueItEEEPmJSF_EEE10hipError_tPvRmT3_T4_T5_T6_T7_T9_mT8_P12ihipStream_tbDpT10_ENKUlT_T0_E_clISt17integral_constantIbLb1EES17_IbLb0EEEEDaS13_S14_EUlS13_E_NS1_11comp_targetILNS1_3genE4ELNS1_11target_archE910ELNS1_3gpuE8ELNS1_3repE0EEENS1_30default_config_static_selectorELNS0_4arch9wavefront6targetE0EEEvT1_,comdat
	.protected	_ZN7rocprim17ROCPRIM_400000_NS6detail17trampoline_kernelINS0_14default_configENS1_25partition_config_selectorILNS1_17partition_subalgoE9EttbEEZZNS1_14partition_implILS5_9ELb0ES3_jN6thrust23THRUST_200600_302600_NS6detail15normal_iteratorINS9_10device_ptrItEEEESE_PNS0_10empty_typeENS0_5tupleIJSE_SF_EEENSH_IJSE_SG_EEENS0_18inequality_wrapperI22is_equal_div_10_uniqueItEEEPmJSF_EEE10hipError_tPvRmT3_T4_T5_T6_T7_T9_mT8_P12ihipStream_tbDpT10_ENKUlT_T0_E_clISt17integral_constantIbLb1EES17_IbLb0EEEEDaS13_S14_EUlS13_E_NS1_11comp_targetILNS1_3genE4ELNS1_11target_archE910ELNS1_3gpuE8ELNS1_3repE0EEENS1_30default_config_static_selectorELNS0_4arch9wavefront6targetE0EEEvT1_ ; -- Begin function _ZN7rocprim17ROCPRIM_400000_NS6detail17trampoline_kernelINS0_14default_configENS1_25partition_config_selectorILNS1_17partition_subalgoE9EttbEEZZNS1_14partition_implILS5_9ELb0ES3_jN6thrust23THRUST_200600_302600_NS6detail15normal_iteratorINS9_10device_ptrItEEEESE_PNS0_10empty_typeENS0_5tupleIJSE_SF_EEENSH_IJSE_SG_EEENS0_18inequality_wrapperI22is_equal_div_10_uniqueItEEEPmJSF_EEE10hipError_tPvRmT3_T4_T5_T6_T7_T9_mT8_P12ihipStream_tbDpT10_ENKUlT_T0_E_clISt17integral_constantIbLb1EES17_IbLb0EEEEDaS13_S14_EUlS13_E_NS1_11comp_targetILNS1_3genE4ELNS1_11target_archE910ELNS1_3gpuE8ELNS1_3repE0EEENS1_30default_config_static_selectorELNS0_4arch9wavefront6targetE0EEEvT1_
	.globl	_ZN7rocprim17ROCPRIM_400000_NS6detail17trampoline_kernelINS0_14default_configENS1_25partition_config_selectorILNS1_17partition_subalgoE9EttbEEZZNS1_14partition_implILS5_9ELb0ES3_jN6thrust23THRUST_200600_302600_NS6detail15normal_iteratorINS9_10device_ptrItEEEESE_PNS0_10empty_typeENS0_5tupleIJSE_SF_EEENSH_IJSE_SG_EEENS0_18inequality_wrapperI22is_equal_div_10_uniqueItEEEPmJSF_EEE10hipError_tPvRmT3_T4_T5_T6_T7_T9_mT8_P12ihipStream_tbDpT10_ENKUlT_T0_E_clISt17integral_constantIbLb1EES17_IbLb0EEEEDaS13_S14_EUlS13_E_NS1_11comp_targetILNS1_3genE4ELNS1_11target_archE910ELNS1_3gpuE8ELNS1_3repE0EEENS1_30default_config_static_selectorELNS0_4arch9wavefront6targetE0EEEvT1_
	.p2align	8
	.type	_ZN7rocprim17ROCPRIM_400000_NS6detail17trampoline_kernelINS0_14default_configENS1_25partition_config_selectorILNS1_17partition_subalgoE9EttbEEZZNS1_14partition_implILS5_9ELb0ES3_jN6thrust23THRUST_200600_302600_NS6detail15normal_iteratorINS9_10device_ptrItEEEESE_PNS0_10empty_typeENS0_5tupleIJSE_SF_EEENSH_IJSE_SG_EEENS0_18inequality_wrapperI22is_equal_div_10_uniqueItEEEPmJSF_EEE10hipError_tPvRmT3_T4_T5_T6_T7_T9_mT8_P12ihipStream_tbDpT10_ENKUlT_T0_E_clISt17integral_constantIbLb1EES17_IbLb0EEEEDaS13_S14_EUlS13_E_NS1_11comp_targetILNS1_3genE4ELNS1_11target_archE910ELNS1_3gpuE8ELNS1_3repE0EEENS1_30default_config_static_selectorELNS0_4arch9wavefront6targetE0EEEvT1_,@function
_ZN7rocprim17ROCPRIM_400000_NS6detail17trampoline_kernelINS0_14default_configENS1_25partition_config_selectorILNS1_17partition_subalgoE9EttbEEZZNS1_14partition_implILS5_9ELb0ES3_jN6thrust23THRUST_200600_302600_NS6detail15normal_iteratorINS9_10device_ptrItEEEESE_PNS0_10empty_typeENS0_5tupleIJSE_SF_EEENSH_IJSE_SG_EEENS0_18inequality_wrapperI22is_equal_div_10_uniqueItEEEPmJSF_EEE10hipError_tPvRmT3_T4_T5_T6_T7_T9_mT8_P12ihipStream_tbDpT10_ENKUlT_T0_E_clISt17integral_constantIbLb1EES17_IbLb0EEEEDaS13_S14_EUlS13_E_NS1_11comp_targetILNS1_3genE4ELNS1_11target_archE910ELNS1_3gpuE8ELNS1_3repE0EEENS1_30default_config_static_selectorELNS0_4arch9wavefront6targetE0EEEvT1_: ; @_ZN7rocprim17ROCPRIM_400000_NS6detail17trampoline_kernelINS0_14default_configENS1_25partition_config_selectorILNS1_17partition_subalgoE9EttbEEZZNS1_14partition_implILS5_9ELb0ES3_jN6thrust23THRUST_200600_302600_NS6detail15normal_iteratorINS9_10device_ptrItEEEESE_PNS0_10empty_typeENS0_5tupleIJSE_SF_EEENSH_IJSE_SG_EEENS0_18inequality_wrapperI22is_equal_div_10_uniqueItEEEPmJSF_EEE10hipError_tPvRmT3_T4_T5_T6_T7_T9_mT8_P12ihipStream_tbDpT10_ENKUlT_T0_E_clISt17integral_constantIbLb1EES17_IbLb0EEEEDaS13_S14_EUlS13_E_NS1_11comp_targetILNS1_3genE4ELNS1_11target_archE910ELNS1_3gpuE8ELNS1_3repE0EEENS1_30default_config_static_selectorELNS0_4arch9wavefront6targetE0EEEvT1_
; %bb.0:
	.section	.rodata,"a",@progbits
	.p2align	6, 0x0
	.amdhsa_kernel _ZN7rocprim17ROCPRIM_400000_NS6detail17trampoline_kernelINS0_14default_configENS1_25partition_config_selectorILNS1_17partition_subalgoE9EttbEEZZNS1_14partition_implILS5_9ELb0ES3_jN6thrust23THRUST_200600_302600_NS6detail15normal_iteratorINS9_10device_ptrItEEEESE_PNS0_10empty_typeENS0_5tupleIJSE_SF_EEENSH_IJSE_SG_EEENS0_18inequality_wrapperI22is_equal_div_10_uniqueItEEEPmJSF_EEE10hipError_tPvRmT3_T4_T5_T6_T7_T9_mT8_P12ihipStream_tbDpT10_ENKUlT_T0_E_clISt17integral_constantIbLb1EES17_IbLb0EEEEDaS13_S14_EUlS13_E_NS1_11comp_targetILNS1_3genE4ELNS1_11target_archE910ELNS1_3gpuE8ELNS1_3repE0EEENS1_30default_config_static_selectorELNS0_4arch9wavefront6targetE0EEEvT1_
		.amdhsa_group_segment_fixed_size 0
		.amdhsa_private_segment_fixed_size 0
		.amdhsa_kernarg_size 112
		.amdhsa_user_sgpr_count 15
		.amdhsa_user_sgpr_dispatch_ptr 0
		.amdhsa_user_sgpr_queue_ptr 0
		.amdhsa_user_sgpr_kernarg_segment_ptr 1
		.amdhsa_user_sgpr_dispatch_id 0
		.amdhsa_user_sgpr_private_segment_size 0
		.amdhsa_wavefront_size32 1
		.amdhsa_uses_dynamic_stack 0
		.amdhsa_enable_private_segment 0
		.amdhsa_system_sgpr_workgroup_id_x 1
		.amdhsa_system_sgpr_workgroup_id_y 0
		.amdhsa_system_sgpr_workgroup_id_z 0
		.amdhsa_system_sgpr_workgroup_info 0
		.amdhsa_system_vgpr_workitem_id 0
		.amdhsa_next_free_vgpr 1
		.amdhsa_next_free_sgpr 1
		.amdhsa_reserve_vcc 0
		.amdhsa_float_round_mode_32 0
		.amdhsa_float_round_mode_16_64 0
		.amdhsa_float_denorm_mode_32 3
		.amdhsa_float_denorm_mode_16_64 3
		.amdhsa_dx10_clamp 1
		.amdhsa_ieee_mode 1
		.amdhsa_fp16_overflow 0
		.amdhsa_workgroup_processor_mode 1
		.amdhsa_memory_ordered 1
		.amdhsa_forward_progress 0
		.amdhsa_shared_vgpr_count 0
		.amdhsa_exception_fp_ieee_invalid_op 0
		.amdhsa_exception_fp_denorm_src 0
		.amdhsa_exception_fp_ieee_div_zero 0
		.amdhsa_exception_fp_ieee_overflow 0
		.amdhsa_exception_fp_ieee_underflow 0
		.amdhsa_exception_fp_ieee_inexact 0
		.amdhsa_exception_int_div_zero 0
	.end_amdhsa_kernel
	.section	.text._ZN7rocprim17ROCPRIM_400000_NS6detail17trampoline_kernelINS0_14default_configENS1_25partition_config_selectorILNS1_17partition_subalgoE9EttbEEZZNS1_14partition_implILS5_9ELb0ES3_jN6thrust23THRUST_200600_302600_NS6detail15normal_iteratorINS9_10device_ptrItEEEESE_PNS0_10empty_typeENS0_5tupleIJSE_SF_EEENSH_IJSE_SG_EEENS0_18inequality_wrapperI22is_equal_div_10_uniqueItEEEPmJSF_EEE10hipError_tPvRmT3_T4_T5_T6_T7_T9_mT8_P12ihipStream_tbDpT10_ENKUlT_T0_E_clISt17integral_constantIbLb1EES17_IbLb0EEEEDaS13_S14_EUlS13_E_NS1_11comp_targetILNS1_3genE4ELNS1_11target_archE910ELNS1_3gpuE8ELNS1_3repE0EEENS1_30default_config_static_selectorELNS0_4arch9wavefront6targetE0EEEvT1_,"axG",@progbits,_ZN7rocprim17ROCPRIM_400000_NS6detail17trampoline_kernelINS0_14default_configENS1_25partition_config_selectorILNS1_17partition_subalgoE9EttbEEZZNS1_14partition_implILS5_9ELb0ES3_jN6thrust23THRUST_200600_302600_NS6detail15normal_iteratorINS9_10device_ptrItEEEESE_PNS0_10empty_typeENS0_5tupleIJSE_SF_EEENSH_IJSE_SG_EEENS0_18inequality_wrapperI22is_equal_div_10_uniqueItEEEPmJSF_EEE10hipError_tPvRmT3_T4_T5_T6_T7_T9_mT8_P12ihipStream_tbDpT10_ENKUlT_T0_E_clISt17integral_constantIbLb1EES17_IbLb0EEEEDaS13_S14_EUlS13_E_NS1_11comp_targetILNS1_3genE4ELNS1_11target_archE910ELNS1_3gpuE8ELNS1_3repE0EEENS1_30default_config_static_selectorELNS0_4arch9wavefront6targetE0EEEvT1_,comdat
.Lfunc_end325:
	.size	_ZN7rocprim17ROCPRIM_400000_NS6detail17trampoline_kernelINS0_14default_configENS1_25partition_config_selectorILNS1_17partition_subalgoE9EttbEEZZNS1_14partition_implILS5_9ELb0ES3_jN6thrust23THRUST_200600_302600_NS6detail15normal_iteratorINS9_10device_ptrItEEEESE_PNS0_10empty_typeENS0_5tupleIJSE_SF_EEENSH_IJSE_SG_EEENS0_18inequality_wrapperI22is_equal_div_10_uniqueItEEEPmJSF_EEE10hipError_tPvRmT3_T4_T5_T6_T7_T9_mT8_P12ihipStream_tbDpT10_ENKUlT_T0_E_clISt17integral_constantIbLb1EES17_IbLb0EEEEDaS13_S14_EUlS13_E_NS1_11comp_targetILNS1_3genE4ELNS1_11target_archE910ELNS1_3gpuE8ELNS1_3repE0EEENS1_30default_config_static_selectorELNS0_4arch9wavefront6targetE0EEEvT1_, .Lfunc_end325-_ZN7rocprim17ROCPRIM_400000_NS6detail17trampoline_kernelINS0_14default_configENS1_25partition_config_selectorILNS1_17partition_subalgoE9EttbEEZZNS1_14partition_implILS5_9ELb0ES3_jN6thrust23THRUST_200600_302600_NS6detail15normal_iteratorINS9_10device_ptrItEEEESE_PNS0_10empty_typeENS0_5tupleIJSE_SF_EEENSH_IJSE_SG_EEENS0_18inequality_wrapperI22is_equal_div_10_uniqueItEEEPmJSF_EEE10hipError_tPvRmT3_T4_T5_T6_T7_T9_mT8_P12ihipStream_tbDpT10_ENKUlT_T0_E_clISt17integral_constantIbLb1EES17_IbLb0EEEEDaS13_S14_EUlS13_E_NS1_11comp_targetILNS1_3genE4ELNS1_11target_archE910ELNS1_3gpuE8ELNS1_3repE0EEENS1_30default_config_static_selectorELNS0_4arch9wavefront6targetE0EEEvT1_
                                        ; -- End function
	.section	.AMDGPU.csdata,"",@progbits
; Kernel info:
; codeLenInByte = 0
; NumSgprs: 0
; NumVgprs: 0
; ScratchSize: 0
; MemoryBound: 0
; FloatMode: 240
; IeeeMode: 1
; LDSByteSize: 0 bytes/workgroup (compile time only)
; SGPRBlocks: 0
; VGPRBlocks: 0
; NumSGPRsForWavesPerEU: 1
; NumVGPRsForWavesPerEU: 1
; Occupancy: 16
; WaveLimiterHint : 0
; COMPUTE_PGM_RSRC2:SCRATCH_EN: 0
; COMPUTE_PGM_RSRC2:USER_SGPR: 15
; COMPUTE_PGM_RSRC2:TRAP_HANDLER: 0
; COMPUTE_PGM_RSRC2:TGID_X_EN: 1
; COMPUTE_PGM_RSRC2:TGID_Y_EN: 0
; COMPUTE_PGM_RSRC2:TGID_Z_EN: 0
; COMPUTE_PGM_RSRC2:TIDIG_COMP_CNT: 0
	.section	.text._ZN7rocprim17ROCPRIM_400000_NS6detail17trampoline_kernelINS0_14default_configENS1_25partition_config_selectorILNS1_17partition_subalgoE9EttbEEZZNS1_14partition_implILS5_9ELb0ES3_jN6thrust23THRUST_200600_302600_NS6detail15normal_iteratorINS9_10device_ptrItEEEESE_PNS0_10empty_typeENS0_5tupleIJSE_SF_EEENSH_IJSE_SG_EEENS0_18inequality_wrapperI22is_equal_div_10_uniqueItEEEPmJSF_EEE10hipError_tPvRmT3_T4_T5_T6_T7_T9_mT8_P12ihipStream_tbDpT10_ENKUlT_T0_E_clISt17integral_constantIbLb1EES17_IbLb0EEEEDaS13_S14_EUlS13_E_NS1_11comp_targetILNS1_3genE3ELNS1_11target_archE908ELNS1_3gpuE7ELNS1_3repE0EEENS1_30default_config_static_selectorELNS0_4arch9wavefront6targetE0EEEvT1_,"axG",@progbits,_ZN7rocprim17ROCPRIM_400000_NS6detail17trampoline_kernelINS0_14default_configENS1_25partition_config_selectorILNS1_17partition_subalgoE9EttbEEZZNS1_14partition_implILS5_9ELb0ES3_jN6thrust23THRUST_200600_302600_NS6detail15normal_iteratorINS9_10device_ptrItEEEESE_PNS0_10empty_typeENS0_5tupleIJSE_SF_EEENSH_IJSE_SG_EEENS0_18inequality_wrapperI22is_equal_div_10_uniqueItEEEPmJSF_EEE10hipError_tPvRmT3_T4_T5_T6_T7_T9_mT8_P12ihipStream_tbDpT10_ENKUlT_T0_E_clISt17integral_constantIbLb1EES17_IbLb0EEEEDaS13_S14_EUlS13_E_NS1_11comp_targetILNS1_3genE3ELNS1_11target_archE908ELNS1_3gpuE7ELNS1_3repE0EEENS1_30default_config_static_selectorELNS0_4arch9wavefront6targetE0EEEvT1_,comdat
	.protected	_ZN7rocprim17ROCPRIM_400000_NS6detail17trampoline_kernelINS0_14default_configENS1_25partition_config_selectorILNS1_17partition_subalgoE9EttbEEZZNS1_14partition_implILS5_9ELb0ES3_jN6thrust23THRUST_200600_302600_NS6detail15normal_iteratorINS9_10device_ptrItEEEESE_PNS0_10empty_typeENS0_5tupleIJSE_SF_EEENSH_IJSE_SG_EEENS0_18inequality_wrapperI22is_equal_div_10_uniqueItEEEPmJSF_EEE10hipError_tPvRmT3_T4_T5_T6_T7_T9_mT8_P12ihipStream_tbDpT10_ENKUlT_T0_E_clISt17integral_constantIbLb1EES17_IbLb0EEEEDaS13_S14_EUlS13_E_NS1_11comp_targetILNS1_3genE3ELNS1_11target_archE908ELNS1_3gpuE7ELNS1_3repE0EEENS1_30default_config_static_selectorELNS0_4arch9wavefront6targetE0EEEvT1_ ; -- Begin function _ZN7rocprim17ROCPRIM_400000_NS6detail17trampoline_kernelINS0_14default_configENS1_25partition_config_selectorILNS1_17partition_subalgoE9EttbEEZZNS1_14partition_implILS5_9ELb0ES3_jN6thrust23THRUST_200600_302600_NS6detail15normal_iteratorINS9_10device_ptrItEEEESE_PNS0_10empty_typeENS0_5tupleIJSE_SF_EEENSH_IJSE_SG_EEENS0_18inequality_wrapperI22is_equal_div_10_uniqueItEEEPmJSF_EEE10hipError_tPvRmT3_T4_T5_T6_T7_T9_mT8_P12ihipStream_tbDpT10_ENKUlT_T0_E_clISt17integral_constantIbLb1EES17_IbLb0EEEEDaS13_S14_EUlS13_E_NS1_11comp_targetILNS1_3genE3ELNS1_11target_archE908ELNS1_3gpuE7ELNS1_3repE0EEENS1_30default_config_static_selectorELNS0_4arch9wavefront6targetE0EEEvT1_
	.globl	_ZN7rocprim17ROCPRIM_400000_NS6detail17trampoline_kernelINS0_14default_configENS1_25partition_config_selectorILNS1_17partition_subalgoE9EttbEEZZNS1_14partition_implILS5_9ELb0ES3_jN6thrust23THRUST_200600_302600_NS6detail15normal_iteratorINS9_10device_ptrItEEEESE_PNS0_10empty_typeENS0_5tupleIJSE_SF_EEENSH_IJSE_SG_EEENS0_18inequality_wrapperI22is_equal_div_10_uniqueItEEEPmJSF_EEE10hipError_tPvRmT3_T4_T5_T6_T7_T9_mT8_P12ihipStream_tbDpT10_ENKUlT_T0_E_clISt17integral_constantIbLb1EES17_IbLb0EEEEDaS13_S14_EUlS13_E_NS1_11comp_targetILNS1_3genE3ELNS1_11target_archE908ELNS1_3gpuE7ELNS1_3repE0EEENS1_30default_config_static_selectorELNS0_4arch9wavefront6targetE0EEEvT1_
	.p2align	8
	.type	_ZN7rocprim17ROCPRIM_400000_NS6detail17trampoline_kernelINS0_14default_configENS1_25partition_config_selectorILNS1_17partition_subalgoE9EttbEEZZNS1_14partition_implILS5_9ELb0ES3_jN6thrust23THRUST_200600_302600_NS6detail15normal_iteratorINS9_10device_ptrItEEEESE_PNS0_10empty_typeENS0_5tupleIJSE_SF_EEENSH_IJSE_SG_EEENS0_18inequality_wrapperI22is_equal_div_10_uniqueItEEEPmJSF_EEE10hipError_tPvRmT3_T4_T5_T6_T7_T9_mT8_P12ihipStream_tbDpT10_ENKUlT_T0_E_clISt17integral_constantIbLb1EES17_IbLb0EEEEDaS13_S14_EUlS13_E_NS1_11comp_targetILNS1_3genE3ELNS1_11target_archE908ELNS1_3gpuE7ELNS1_3repE0EEENS1_30default_config_static_selectorELNS0_4arch9wavefront6targetE0EEEvT1_,@function
_ZN7rocprim17ROCPRIM_400000_NS6detail17trampoline_kernelINS0_14default_configENS1_25partition_config_selectorILNS1_17partition_subalgoE9EttbEEZZNS1_14partition_implILS5_9ELb0ES3_jN6thrust23THRUST_200600_302600_NS6detail15normal_iteratorINS9_10device_ptrItEEEESE_PNS0_10empty_typeENS0_5tupleIJSE_SF_EEENSH_IJSE_SG_EEENS0_18inequality_wrapperI22is_equal_div_10_uniqueItEEEPmJSF_EEE10hipError_tPvRmT3_T4_T5_T6_T7_T9_mT8_P12ihipStream_tbDpT10_ENKUlT_T0_E_clISt17integral_constantIbLb1EES17_IbLb0EEEEDaS13_S14_EUlS13_E_NS1_11comp_targetILNS1_3genE3ELNS1_11target_archE908ELNS1_3gpuE7ELNS1_3repE0EEENS1_30default_config_static_selectorELNS0_4arch9wavefront6targetE0EEEvT1_: ; @_ZN7rocprim17ROCPRIM_400000_NS6detail17trampoline_kernelINS0_14default_configENS1_25partition_config_selectorILNS1_17partition_subalgoE9EttbEEZZNS1_14partition_implILS5_9ELb0ES3_jN6thrust23THRUST_200600_302600_NS6detail15normal_iteratorINS9_10device_ptrItEEEESE_PNS0_10empty_typeENS0_5tupleIJSE_SF_EEENSH_IJSE_SG_EEENS0_18inequality_wrapperI22is_equal_div_10_uniqueItEEEPmJSF_EEE10hipError_tPvRmT3_T4_T5_T6_T7_T9_mT8_P12ihipStream_tbDpT10_ENKUlT_T0_E_clISt17integral_constantIbLb1EES17_IbLb0EEEEDaS13_S14_EUlS13_E_NS1_11comp_targetILNS1_3genE3ELNS1_11target_archE908ELNS1_3gpuE7ELNS1_3repE0EEENS1_30default_config_static_selectorELNS0_4arch9wavefront6targetE0EEEvT1_
; %bb.0:
	.section	.rodata,"a",@progbits
	.p2align	6, 0x0
	.amdhsa_kernel _ZN7rocprim17ROCPRIM_400000_NS6detail17trampoline_kernelINS0_14default_configENS1_25partition_config_selectorILNS1_17partition_subalgoE9EttbEEZZNS1_14partition_implILS5_9ELb0ES3_jN6thrust23THRUST_200600_302600_NS6detail15normal_iteratorINS9_10device_ptrItEEEESE_PNS0_10empty_typeENS0_5tupleIJSE_SF_EEENSH_IJSE_SG_EEENS0_18inequality_wrapperI22is_equal_div_10_uniqueItEEEPmJSF_EEE10hipError_tPvRmT3_T4_T5_T6_T7_T9_mT8_P12ihipStream_tbDpT10_ENKUlT_T0_E_clISt17integral_constantIbLb1EES17_IbLb0EEEEDaS13_S14_EUlS13_E_NS1_11comp_targetILNS1_3genE3ELNS1_11target_archE908ELNS1_3gpuE7ELNS1_3repE0EEENS1_30default_config_static_selectorELNS0_4arch9wavefront6targetE0EEEvT1_
		.amdhsa_group_segment_fixed_size 0
		.amdhsa_private_segment_fixed_size 0
		.amdhsa_kernarg_size 112
		.amdhsa_user_sgpr_count 15
		.amdhsa_user_sgpr_dispatch_ptr 0
		.amdhsa_user_sgpr_queue_ptr 0
		.amdhsa_user_sgpr_kernarg_segment_ptr 1
		.amdhsa_user_sgpr_dispatch_id 0
		.amdhsa_user_sgpr_private_segment_size 0
		.amdhsa_wavefront_size32 1
		.amdhsa_uses_dynamic_stack 0
		.amdhsa_enable_private_segment 0
		.amdhsa_system_sgpr_workgroup_id_x 1
		.amdhsa_system_sgpr_workgroup_id_y 0
		.amdhsa_system_sgpr_workgroup_id_z 0
		.amdhsa_system_sgpr_workgroup_info 0
		.amdhsa_system_vgpr_workitem_id 0
		.amdhsa_next_free_vgpr 1
		.amdhsa_next_free_sgpr 1
		.amdhsa_reserve_vcc 0
		.amdhsa_float_round_mode_32 0
		.amdhsa_float_round_mode_16_64 0
		.amdhsa_float_denorm_mode_32 3
		.amdhsa_float_denorm_mode_16_64 3
		.amdhsa_dx10_clamp 1
		.amdhsa_ieee_mode 1
		.amdhsa_fp16_overflow 0
		.amdhsa_workgroup_processor_mode 1
		.amdhsa_memory_ordered 1
		.amdhsa_forward_progress 0
		.amdhsa_shared_vgpr_count 0
		.amdhsa_exception_fp_ieee_invalid_op 0
		.amdhsa_exception_fp_denorm_src 0
		.amdhsa_exception_fp_ieee_div_zero 0
		.amdhsa_exception_fp_ieee_overflow 0
		.amdhsa_exception_fp_ieee_underflow 0
		.amdhsa_exception_fp_ieee_inexact 0
		.amdhsa_exception_int_div_zero 0
	.end_amdhsa_kernel
	.section	.text._ZN7rocprim17ROCPRIM_400000_NS6detail17trampoline_kernelINS0_14default_configENS1_25partition_config_selectorILNS1_17partition_subalgoE9EttbEEZZNS1_14partition_implILS5_9ELb0ES3_jN6thrust23THRUST_200600_302600_NS6detail15normal_iteratorINS9_10device_ptrItEEEESE_PNS0_10empty_typeENS0_5tupleIJSE_SF_EEENSH_IJSE_SG_EEENS0_18inequality_wrapperI22is_equal_div_10_uniqueItEEEPmJSF_EEE10hipError_tPvRmT3_T4_T5_T6_T7_T9_mT8_P12ihipStream_tbDpT10_ENKUlT_T0_E_clISt17integral_constantIbLb1EES17_IbLb0EEEEDaS13_S14_EUlS13_E_NS1_11comp_targetILNS1_3genE3ELNS1_11target_archE908ELNS1_3gpuE7ELNS1_3repE0EEENS1_30default_config_static_selectorELNS0_4arch9wavefront6targetE0EEEvT1_,"axG",@progbits,_ZN7rocprim17ROCPRIM_400000_NS6detail17trampoline_kernelINS0_14default_configENS1_25partition_config_selectorILNS1_17partition_subalgoE9EttbEEZZNS1_14partition_implILS5_9ELb0ES3_jN6thrust23THRUST_200600_302600_NS6detail15normal_iteratorINS9_10device_ptrItEEEESE_PNS0_10empty_typeENS0_5tupleIJSE_SF_EEENSH_IJSE_SG_EEENS0_18inequality_wrapperI22is_equal_div_10_uniqueItEEEPmJSF_EEE10hipError_tPvRmT3_T4_T5_T6_T7_T9_mT8_P12ihipStream_tbDpT10_ENKUlT_T0_E_clISt17integral_constantIbLb1EES17_IbLb0EEEEDaS13_S14_EUlS13_E_NS1_11comp_targetILNS1_3genE3ELNS1_11target_archE908ELNS1_3gpuE7ELNS1_3repE0EEENS1_30default_config_static_selectorELNS0_4arch9wavefront6targetE0EEEvT1_,comdat
.Lfunc_end326:
	.size	_ZN7rocprim17ROCPRIM_400000_NS6detail17trampoline_kernelINS0_14default_configENS1_25partition_config_selectorILNS1_17partition_subalgoE9EttbEEZZNS1_14partition_implILS5_9ELb0ES3_jN6thrust23THRUST_200600_302600_NS6detail15normal_iteratorINS9_10device_ptrItEEEESE_PNS0_10empty_typeENS0_5tupleIJSE_SF_EEENSH_IJSE_SG_EEENS0_18inequality_wrapperI22is_equal_div_10_uniqueItEEEPmJSF_EEE10hipError_tPvRmT3_T4_T5_T6_T7_T9_mT8_P12ihipStream_tbDpT10_ENKUlT_T0_E_clISt17integral_constantIbLb1EES17_IbLb0EEEEDaS13_S14_EUlS13_E_NS1_11comp_targetILNS1_3genE3ELNS1_11target_archE908ELNS1_3gpuE7ELNS1_3repE0EEENS1_30default_config_static_selectorELNS0_4arch9wavefront6targetE0EEEvT1_, .Lfunc_end326-_ZN7rocprim17ROCPRIM_400000_NS6detail17trampoline_kernelINS0_14default_configENS1_25partition_config_selectorILNS1_17partition_subalgoE9EttbEEZZNS1_14partition_implILS5_9ELb0ES3_jN6thrust23THRUST_200600_302600_NS6detail15normal_iteratorINS9_10device_ptrItEEEESE_PNS0_10empty_typeENS0_5tupleIJSE_SF_EEENSH_IJSE_SG_EEENS0_18inequality_wrapperI22is_equal_div_10_uniqueItEEEPmJSF_EEE10hipError_tPvRmT3_T4_T5_T6_T7_T9_mT8_P12ihipStream_tbDpT10_ENKUlT_T0_E_clISt17integral_constantIbLb1EES17_IbLb0EEEEDaS13_S14_EUlS13_E_NS1_11comp_targetILNS1_3genE3ELNS1_11target_archE908ELNS1_3gpuE7ELNS1_3repE0EEENS1_30default_config_static_selectorELNS0_4arch9wavefront6targetE0EEEvT1_
                                        ; -- End function
	.section	.AMDGPU.csdata,"",@progbits
; Kernel info:
; codeLenInByte = 0
; NumSgprs: 0
; NumVgprs: 0
; ScratchSize: 0
; MemoryBound: 0
; FloatMode: 240
; IeeeMode: 1
; LDSByteSize: 0 bytes/workgroup (compile time only)
; SGPRBlocks: 0
; VGPRBlocks: 0
; NumSGPRsForWavesPerEU: 1
; NumVGPRsForWavesPerEU: 1
; Occupancy: 16
; WaveLimiterHint : 0
; COMPUTE_PGM_RSRC2:SCRATCH_EN: 0
; COMPUTE_PGM_RSRC2:USER_SGPR: 15
; COMPUTE_PGM_RSRC2:TRAP_HANDLER: 0
; COMPUTE_PGM_RSRC2:TGID_X_EN: 1
; COMPUTE_PGM_RSRC2:TGID_Y_EN: 0
; COMPUTE_PGM_RSRC2:TGID_Z_EN: 0
; COMPUTE_PGM_RSRC2:TIDIG_COMP_CNT: 0
	.section	.text._ZN7rocprim17ROCPRIM_400000_NS6detail17trampoline_kernelINS0_14default_configENS1_25partition_config_selectorILNS1_17partition_subalgoE9EttbEEZZNS1_14partition_implILS5_9ELb0ES3_jN6thrust23THRUST_200600_302600_NS6detail15normal_iteratorINS9_10device_ptrItEEEESE_PNS0_10empty_typeENS0_5tupleIJSE_SF_EEENSH_IJSE_SG_EEENS0_18inequality_wrapperI22is_equal_div_10_uniqueItEEEPmJSF_EEE10hipError_tPvRmT3_T4_T5_T6_T7_T9_mT8_P12ihipStream_tbDpT10_ENKUlT_T0_E_clISt17integral_constantIbLb1EES17_IbLb0EEEEDaS13_S14_EUlS13_E_NS1_11comp_targetILNS1_3genE2ELNS1_11target_archE906ELNS1_3gpuE6ELNS1_3repE0EEENS1_30default_config_static_selectorELNS0_4arch9wavefront6targetE0EEEvT1_,"axG",@progbits,_ZN7rocprim17ROCPRIM_400000_NS6detail17trampoline_kernelINS0_14default_configENS1_25partition_config_selectorILNS1_17partition_subalgoE9EttbEEZZNS1_14partition_implILS5_9ELb0ES3_jN6thrust23THRUST_200600_302600_NS6detail15normal_iteratorINS9_10device_ptrItEEEESE_PNS0_10empty_typeENS0_5tupleIJSE_SF_EEENSH_IJSE_SG_EEENS0_18inequality_wrapperI22is_equal_div_10_uniqueItEEEPmJSF_EEE10hipError_tPvRmT3_T4_T5_T6_T7_T9_mT8_P12ihipStream_tbDpT10_ENKUlT_T0_E_clISt17integral_constantIbLb1EES17_IbLb0EEEEDaS13_S14_EUlS13_E_NS1_11comp_targetILNS1_3genE2ELNS1_11target_archE906ELNS1_3gpuE6ELNS1_3repE0EEENS1_30default_config_static_selectorELNS0_4arch9wavefront6targetE0EEEvT1_,comdat
	.protected	_ZN7rocprim17ROCPRIM_400000_NS6detail17trampoline_kernelINS0_14default_configENS1_25partition_config_selectorILNS1_17partition_subalgoE9EttbEEZZNS1_14partition_implILS5_9ELb0ES3_jN6thrust23THRUST_200600_302600_NS6detail15normal_iteratorINS9_10device_ptrItEEEESE_PNS0_10empty_typeENS0_5tupleIJSE_SF_EEENSH_IJSE_SG_EEENS0_18inequality_wrapperI22is_equal_div_10_uniqueItEEEPmJSF_EEE10hipError_tPvRmT3_T4_T5_T6_T7_T9_mT8_P12ihipStream_tbDpT10_ENKUlT_T0_E_clISt17integral_constantIbLb1EES17_IbLb0EEEEDaS13_S14_EUlS13_E_NS1_11comp_targetILNS1_3genE2ELNS1_11target_archE906ELNS1_3gpuE6ELNS1_3repE0EEENS1_30default_config_static_selectorELNS0_4arch9wavefront6targetE0EEEvT1_ ; -- Begin function _ZN7rocprim17ROCPRIM_400000_NS6detail17trampoline_kernelINS0_14default_configENS1_25partition_config_selectorILNS1_17partition_subalgoE9EttbEEZZNS1_14partition_implILS5_9ELb0ES3_jN6thrust23THRUST_200600_302600_NS6detail15normal_iteratorINS9_10device_ptrItEEEESE_PNS0_10empty_typeENS0_5tupleIJSE_SF_EEENSH_IJSE_SG_EEENS0_18inequality_wrapperI22is_equal_div_10_uniqueItEEEPmJSF_EEE10hipError_tPvRmT3_T4_T5_T6_T7_T9_mT8_P12ihipStream_tbDpT10_ENKUlT_T0_E_clISt17integral_constantIbLb1EES17_IbLb0EEEEDaS13_S14_EUlS13_E_NS1_11comp_targetILNS1_3genE2ELNS1_11target_archE906ELNS1_3gpuE6ELNS1_3repE0EEENS1_30default_config_static_selectorELNS0_4arch9wavefront6targetE0EEEvT1_
	.globl	_ZN7rocprim17ROCPRIM_400000_NS6detail17trampoline_kernelINS0_14default_configENS1_25partition_config_selectorILNS1_17partition_subalgoE9EttbEEZZNS1_14partition_implILS5_9ELb0ES3_jN6thrust23THRUST_200600_302600_NS6detail15normal_iteratorINS9_10device_ptrItEEEESE_PNS0_10empty_typeENS0_5tupleIJSE_SF_EEENSH_IJSE_SG_EEENS0_18inequality_wrapperI22is_equal_div_10_uniqueItEEEPmJSF_EEE10hipError_tPvRmT3_T4_T5_T6_T7_T9_mT8_P12ihipStream_tbDpT10_ENKUlT_T0_E_clISt17integral_constantIbLb1EES17_IbLb0EEEEDaS13_S14_EUlS13_E_NS1_11comp_targetILNS1_3genE2ELNS1_11target_archE906ELNS1_3gpuE6ELNS1_3repE0EEENS1_30default_config_static_selectorELNS0_4arch9wavefront6targetE0EEEvT1_
	.p2align	8
	.type	_ZN7rocprim17ROCPRIM_400000_NS6detail17trampoline_kernelINS0_14default_configENS1_25partition_config_selectorILNS1_17partition_subalgoE9EttbEEZZNS1_14partition_implILS5_9ELb0ES3_jN6thrust23THRUST_200600_302600_NS6detail15normal_iteratorINS9_10device_ptrItEEEESE_PNS0_10empty_typeENS0_5tupleIJSE_SF_EEENSH_IJSE_SG_EEENS0_18inequality_wrapperI22is_equal_div_10_uniqueItEEEPmJSF_EEE10hipError_tPvRmT3_T4_T5_T6_T7_T9_mT8_P12ihipStream_tbDpT10_ENKUlT_T0_E_clISt17integral_constantIbLb1EES17_IbLb0EEEEDaS13_S14_EUlS13_E_NS1_11comp_targetILNS1_3genE2ELNS1_11target_archE906ELNS1_3gpuE6ELNS1_3repE0EEENS1_30default_config_static_selectorELNS0_4arch9wavefront6targetE0EEEvT1_,@function
_ZN7rocprim17ROCPRIM_400000_NS6detail17trampoline_kernelINS0_14default_configENS1_25partition_config_selectorILNS1_17partition_subalgoE9EttbEEZZNS1_14partition_implILS5_9ELb0ES3_jN6thrust23THRUST_200600_302600_NS6detail15normal_iteratorINS9_10device_ptrItEEEESE_PNS0_10empty_typeENS0_5tupleIJSE_SF_EEENSH_IJSE_SG_EEENS0_18inequality_wrapperI22is_equal_div_10_uniqueItEEEPmJSF_EEE10hipError_tPvRmT3_T4_T5_T6_T7_T9_mT8_P12ihipStream_tbDpT10_ENKUlT_T0_E_clISt17integral_constantIbLb1EES17_IbLb0EEEEDaS13_S14_EUlS13_E_NS1_11comp_targetILNS1_3genE2ELNS1_11target_archE906ELNS1_3gpuE6ELNS1_3repE0EEENS1_30default_config_static_selectorELNS0_4arch9wavefront6targetE0EEEvT1_: ; @_ZN7rocprim17ROCPRIM_400000_NS6detail17trampoline_kernelINS0_14default_configENS1_25partition_config_selectorILNS1_17partition_subalgoE9EttbEEZZNS1_14partition_implILS5_9ELb0ES3_jN6thrust23THRUST_200600_302600_NS6detail15normal_iteratorINS9_10device_ptrItEEEESE_PNS0_10empty_typeENS0_5tupleIJSE_SF_EEENSH_IJSE_SG_EEENS0_18inequality_wrapperI22is_equal_div_10_uniqueItEEEPmJSF_EEE10hipError_tPvRmT3_T4_T5_T6_T7_T9_mT8_P12ihipStream_tbDpT10_ENKUlT_T0_E_clISt17integral_constantIbLb1EES17_IbLb0EEEEDaS13_S14_EUlS13_E_NS1_11comp_targetILNS1_3genE2ELNS1_11target_archE906ELNS1_3gpuE6ELNS1_3repE0EEENS1_30default_config_static_selectorELNS0_4arch9wavefront6targetE0EEEvT1_
; %bb.0:
	.section	.rodata,"a",@progbits
	.p2align	6, 0x0
	.amdhsa_kernel _ZN7rocprim17ROCPRIM_400000_NS6detail17trampoline_kernelINS0_14default_configENS1_25partition_config_selectorILNS1_17partition_subalgoE9EttbEEZZNS1_14partition_implILS5_9ELb0ES3_jN6thrust23THRUST_200600_302600_NS6detail15normal_iteratorINS9_10device_ptrItEEEESE_PNS0_10empty_typeENS0_5tupleIJSE_SF_EEENSH_IJSE_SG_EEENS0_18inequality_wrapperI22is_equal_div_10_uniqueItEEEPmJSF_EEE10hipError_tPvRmT3_T4_T5_T6_T7_T9_mT8_P12ihipStream_tbDpT10_ENKUlT_T0_E_clISt17integral_constantIbLb1EES17_IbLb0EEEEDaS13_S14_EUlS13_E_NS1_11comp_targetILNS1_3genE2ELNS1_11target_archE906ELNS1_3gpuE6ELNS1_3repE0EEENS1_30default_config_static_selectorELNS0_4arch9wavefront6targetE0EEEvT1_
		.amdhsa_group_segment_fixed_size 0
		.amdhsa_private_segment_fixed_size 0
		.amdhsa_kernarg_size 112
		.amdhsa_user_sgpr_count 15
		.amdhsa_user_sgpr_dispatch_ptr 0
		.amdhsa_user_sgpr_queue_ptr 0
		.amdhsa_user_sgpr_kernarg_segment_ptr 1
		.amdhsa_user_sgpr_dispatch_id 0
		.amdhsa_user_sgpr_private_segment_size 0
		.amdhsa_wavefront_size32 1
		.amdhsa_uses_dynamic_stack 0
		.amdhsa_enable_private_segment 0
		.amdhsa_system_sgpr_workgroup_id_x 1
		.amdhsa_system_sgpr_workgroup_id_y 0
		.amdhsa_system_sgpr_workgroup_id_z 0
		.amdhsa_system_sgpr_workgroup_info 0
		.amdhsa_system_vgpr_workitem_id 0
		.amdhsa_next_free_vgpr 1
		.amdhsa_next_free_sgpr 1
		.amdhsa_reserve_vcc 0
		.amdhsa_float_round_mode_32 0
		.amdhsa_float_round_mode_16_64 0
		.amdhsa_float_denorm_mode_32 3
		.amdhsa_float_denorm_mode_16_64 3
		.amdhsa_dx10_clamp 1
		.amdhsa_ieee_mode 1
		.amdhsa_fp16_overflow 0
		.amdhsa_workgroup_processor_mode 1
		.amdhsa_memory_ordered 1
		.amdhsa_forward_progress 0
		.amdhsa_shared_vgpr_count 0
		.amdhsa_exception_fp_ieee_invalid_op 0
		.amdhsa_exception_fp_denorm_src 0
		.amdhsa_exception_fp_ieee_div_zero 0
		.amdhsa_exception_fp_ieee_overflow 0
		.amdhsa_exception_fp_ieee_underflow 0
		.amdhsa_exception_fp_ieee_inexact 0
		.amdhsa_exception_int_div_zero 0
	.end_amdhsa_kernel
	.section	.text._ZN7rocprim17ROCPRIM_400000_NS6detail17trampoline_kernelINS0_14default_configENS1_25partition_config_selectorILNS1_17partition_subalgoE9EttbEEZZNS1_14partition_implILS5_9ELb0ES3_jN6thrust23THRUST_200600_302600_NS6detail15normal_iteratorINS9_10device_ptrItEEEESE_PNS0_10empty_typeENS0_5tupleIJSE_SF_EEENSH_IJSE_SG_EEENS0_18inequality_wrapperI22is_equal_div_10_uniqueItEEEPmJSF_EEE10hipError_tPvRmT3_T4_T5_T6_T7_T9_mT8_P12ihipStream_tbDpT10_ENKUlT_T0_E_clISt17integral_constantIbLb1EES17_IbLb0EEEEDaS13_S14_EUlS13_E_NS1_11comp_targetILNS1_3genE2ELNS1_11target_archE906ELNS1_3gpuE6ELNS1_3repE0EEENS1_30default_config_static_selectorELNS0_4arch9wavefront6targetE0EEEvT1_,"axG",@progbits,_ZN7rocprim17ROCPRIM_400000_NS6detail17trampoline_kernelINS0_14default_configENS1_25partition_config_selectorILNS1_17partition_subalgoE9EttbEEZZNS1_14partition_implILS5_9ELb0ES3_jN6thrust23THRUST_200600_302600_NS6detail15normal_iteratorINS9_10device_ptrItEEEESE_PNS0_10empty_typeENS0_5tupleIJSE_SF_EEENSH_IJSE_SG_EEENS0_18inequality_wrapperI22is_equal_div_10_uniqueItEEEPmJSF_EEE10hipError_tPvRmT3_T4_T5_T6_T7_T9_mT8_P12ihipStream_tbDpT10_ENKUlT_T0_E_clISt17integral_constantIbLb1EES17_IbLb0EEEEDaS13_S14_EUlS13_E_NS1_11comp_targetILNS1_3genE2ELNS1_11target_archE906ELNS1_3gpuE6ELNS1_3repE0EEENS1_30default_config_static_selectorELNS0_4arch9wavefront6targetE0EEEvT1_,comdat
.Lfunc_end327:
	.size	_ZN7rocprim17ROCPRIM_400000_NS6detail17trampoline_kernelINS0_14default_configENS1_25partition_config_selectorILNS1_17partition_subalgoE9EttbEEZZNS1_14partition_implILS5_9ELb0ES3_jN6thrust23THRUST_200600_302600_NS6detail15normal_iteratorINS9_10device_ptrItEEEESE_PNS0_10empty_typeENS0_5tupleIJSE_SF_EEENSH_IJSE_SG_EEENS0_18inequality_wrapperI22is_equal_div_10_uniqueItEEEPmJSF_EEE10hipError_tPvRmT3_T4_T5_T6_T7_T9_mT8_P12ihipStream_tbDpT10_ENKUlT_T0_E_clISt17integral_constantIbLb1EES17_IbLb0EEEEDaS13_S14_EUlS13_E_NS1_11comp_targetILNS1_3genE2ELNS1_11target_archE906ELNS1_3gpuE6ELNS1_3repE0EEENS1_30default_config_static_selectorELNS0_4arch9wavefront6targetE0EEEvT1_, .Lfunc_end327-_ZN7rocprim17ROCPRIM_400000_NS6detail17trampoline_kernelINS0_14default_configENS1_25partition_config_selectorILNS1_17partition_subalgoE9EttbEEZZNS1_14partition_implILS5_9ELb0ES3_jN6thrust23THRUST_200600_302600_NS6detail15normal_iteratorINS9_10device_ptrItEEEESE_PNS0_10empty_typeENS0_5tupleIJSE_SF_EEENSH_IJSE_SG_EEENS0_18inequality_wrapperI22is_equal_div_10_uniqueItEEEPmJSF_EEE10hipError_tPvRmT3_T4_T5_T6_T7_T9_mT8_P12ihipStream_tbDpT10_ENKUlT_T0_E_clISt17integral_constantIbLb1EES17_IbLb0EEEEDaS13_S14_EUlS13_E_NS1_11comp_targetILNS1_3genE2ELNS1_11target_archE906ELNS1_3gpuE6ELNS1_3repE0EEENS1_30default_config_static_selectorELNS0_4arch9wavefront6targetE0EEEvT1_
                                        ; -- End function
	.section	.AMDGPU.csdata,"",@progbits
; Kernel info:
; codeLenInByte = 0
; NumSgprs: 0
; NumVgprs: 0
; ScratchSize: 0
; MemoryBound: 0
; FloatMode: 240
; IeeeMode: 1
; LDSByteSize: 0 bytes/workgroup (compile time only)
; SGPRBlocks: 0
; VGPRBlocks: 0
; NumSGPRsForWavesPerEU: 1
; NumVGPRsForWavesPerEU: 1
; Occupancy: 16
; WaveLimiterHint : 0
; COMPUTE_PGM_RSRC2:SCRATCH_EN: 0
; COMPUTE_PGM_RSRC2:USER_SGPR: 15
; COMPUTE_PGM_RSRC2:TRAP_HANDLER: 0
; COMPUTE_PGM_RSRC2:TGID_X_EN: 1
; COMPUTE_PGM_RSRC2:TGID_Y_EN: 0
; COMPUTE_PGM_RSRC2:TGID_Z_EN: 0
; COMPUTE_PGM_RSRC2:TIDIG_COMP_CNT: 0
	.section	.text._ZN7rocprim17ROCPRIM_400000_NS6detail17trampoline_kernelINS0_14default_configENS1_25partition_config_selectorILNS1_17partition_subalgoE9EttbEEZZNS1_14partition_implILS5_9ELb0ES3_jN6thrust23THRUST_200600_302600_NS6detail15normal_iteratorINS9_10device_ptrItEEEESE_PNS0_10empty_typeENS0_5tupleIJSE_SF_EEENSH_IJSE_SG_EEENS0_18inequality_wrapperI22is_equal_div_10_uniqueItEEEPmJSF_EEE10hipError_tPvRmT3_T4_T5_T6_T7_T9_mT8_P12ihipStream_tbDpT10_ENKUlT_T0_E_clISt17integral_constantIbLb1EES17_IbLb0EEEEDaS13_S14_EUlS13_E_NS1_11comp_targetILNS1_3genE10ELNS1_11target_archE1200ELNS1_3gpuE4ELNS1_3repE0EEENS1_30default_config_static_selectorELNS0_4arch9wavefront6targetE0EEEvT1_,"axG",@progbits,_ZN7rocprim17ROCPRIM_400000_NS6detail17trampoline_kernelINS0_14default_configENS1_25partition_config_selectorILNS1_17partition_subalgoE9EttbEEZZNS1_14partition_implILS5_9ELb0ES3_jN6thrust23THRUST_200600_302600_NS6detail15normal_iteratorINS9_10device_ptrItEEEESE_PNS0_10empty_typeENS0_5tupleIJSE_SF_EEENSH_IJSE_SG_EEENS0_18inequality_wrapperI22is_equal_div_10_uniqueItEEEPmJSF_EEE10hipError_tPvRmT3_T4_T5_T6_T7_T9_mT8_P12ihipStream_tbDpT10_ENKUlT_T0_E_clISt17integral_constantIbLb1EES17_IbLb0EEEEDaS13_S14_EUlS13_E_NS1_11comp_targetILNS1_3genE10ELNS1_11target_archE1200ELNS1_3gpuE4ELNS1_3repE0EEENS1_30default_config_static_selectorELNS0_4arch9wavefront6targetE0EEEvT1_,comdat
	.protected	_ZN7rocprim17ROCPRIM_400000_NS6detail17trampoline_kernelINS0_14default_configENS1_25partition_config_selectorILNS1_17partition_subalgoE9EttbEEZZNS1_14partition_implILS5_9ELb0ES3_jN6thrust23THRUST_200600_302600_NS6detail15normal_iteratorINS9_10device_ptrItEEEESE_PNS0_10empty_typeENS0_5tupleIJSE_SF_EEENSH_IJSE_SG_EEENS0_18inequality_wrapperI22is_equal_div_10_uniqueItEEEPmJSF_EEE10hipError_tPvRmT3_T4_T5_T6_T7_T9_mT8_P12ihipStream_tbDpT10_ENKUlT_T0_E_clISt17integral_constantIbLb1EES17_IbLb0EEEEDaS13_S14_EUlS13_E_NS1_11comp_targetILNS1_3genE10ELNS1_11target_archE1200ELNS1_3gpuE4ELNS1_3repE0EEENS1_30default_config_static_selectorELNS0_4arch9wavefront6targetE0EEEvT1_ ; -- Begin function _ZN7rocprim17ROCPRIM_400000_NS6detail17trampoline_kernelINS0_14default_configENS1_25partition_config_selectorILNS1_17partition_subalgoE9EttbEEZZNS1_14partition_implILS5_9ELb0ES3_jN6thrust23THRUST_200600_302600_NS6detail15normal_iteratorINS9_10device_ptrItEEEESE_PNS0_10empty_typeENS0_5tupleIJSE_SF_EEENSH_IJSE_SG_EEENS0_18inequality_wrapperI22is_equal_div_10_uniqueItEEEPmJSF_EEE10hipError_tPvRmT3_T4_T5_T6_T7_T9_mT8_P12ihipStream_tbDpT10_ENKUlT_T0_E_clISt17integral_constantIbLb1EES17_IbLb0EEEEDaS13_S14_EUlS13_E_NS1_11comp_targetILNS1_3genE10ELNS1_11target_archE1200ELNS1_3gpuE4ELNS1_3repE0EEENS1_30default_config_static_selectorELNS0_4arch9wavefront6targetE0EEEvT1_
	.globl	_ZN7rocprim17ROCPRIM_400000_NS6detail17trampoline_kernelINS0_14default_configENS1_25partition_config_selectorILNS1_17partition_subalgoE9EttbEEZZNS1_14partition_implILS5_9ELb0ES3_jN6thrust23THRUST_200600_302600_NS6detail15normal_iteratorINS9_10device_ptrItEEEESE_PNS0_10empty_typeENS0_5tupleIJSE_SF_EEENSH_IJSE_SG_EEENS0_18inequality_wrapperI22is_equal_div_10_uniqueItEEEPmJSF_EEE10hipError_tPvRmT3_T4_T5_T6_T7_T9_mT8_P12ihipStream_tbDpT10_ENKUlT_T0_E_clISt17integral_constantIbLb1EES17_IbLb0EEEEDaS13_S14_EUlS13_E_NS1_11comp_targetILNS1_3genE10ELNS1_11target_archE1200ELNS1_3gpuE4ELNS1_3repE0EEENS1_30default_config_static_selectorELNS0_4arch9wavefront6targetE0EEEvT1_
	.p2align	8
	.type	_ZN7rocprim17ROCPRIM_400000_NS6detail17trampoline_kernelINS0_14default_configENS1_25partition_config_selectorILNS1_17partition_subalgoE9EttbEEZZNS1_14partition_implILS5_9ELb0ES3_jN6thrust23THRUST_200600_302600_NS6detail15normal_iteratorINS9_10device_ptrItEEEESE_PNS0_10empty_typeENS0_5tupleIJSE_SF_EEENSH_IJSE_SG_EEENS0_18inequality_wrapperI22is_equal_div_10_uniqueItEEEPmJSF_EEE10hipError_tPvRmT3_T4_T5_T6_T7_T9_mT8_P12ihipStream_tbDpT10_ENKUlT_T0_E_clISt17integral_constantIbLb1EES17_IbLb0EEEEDaS13_S14_EUlS13_E_NS1_11comp_targetILNS1_3genE10ELNS1_11target_archE1200ELNS1_3gpuE4ELNS1_3repE0EEENS1_30default_config_static_selectorELNS0_4arch9wavefront6targetE0EEEvT1_,@function
_ZN7rocprim17ROCPRIM_400000_NS6detail17trampoline_kernelINS0_14default_configENS1_25partition_config_selectorILNS1_17partition_subalgoE9EttbEEZZNS1_14partition_implILS5_9ELb0ES3_jN6thrust23THRUST_200600_302600_NS6detail15normal_iteratorINS9_10device_ptrItEEEESE_PNS0_10empty_typeENS0_5tupleIJSE_SF_EEENSH_IJSE_SG_EEENS0_18inequality_wrapperI22is_equal_div_10_uniqueItEEEPmJSF_EEE10hipError_tPvRmT3_T4_T5_T6_T7_T9_mT8_P12ihipStream_tbDpT10_ENKUlT_T0_E_clISt17integral_constantIbLb1EES17_IbLb0EEEEDaS13_S14_EUlS13_E_NS1_11comp_targetILNS1_3genE10ELNS1_11target_archE1200ELNS1_3gpuE4ELNS1_3repE0EEENS1_30default_config_static_selectorELNS0_4arch9wavefront6targetE0EEEvT1_: ; @_ZN7rocprim17ROCPRIM_400000_NS6detail17trampoline_kernelINS0_14default_configENS1_25partition_config_selectorILNS1_17partition_subalgoE9EttbEEZZNS1_14partition_implILS5_9ELb0ES3_jN6thrust23THRUST_200600_302600_NS6detail15normal_iteratorINS9_10device_ptrItEEEESE_PNS0_10empty_typeENS0_5tupleIJSE_SF_EEENSH_IJSE_SG_EEENS0_18inequality_wrapperI22is_equal_div_10_uniqueItEEEPmJSF_EEE10hipError_tPvRmT3_T4_T5_T6_T7_T9_mT8_P12ihipStream_tbDpT10_ENKUlT_T0_E_clISt17integral_constantIbLb1EES17_IbLb0EEEEDaS13_S14_EUlS13_E_NS1_11comp_targetILNS1_3genE10ELNS1_11target_archE1200ELNS1_3gpuE4ELNS1_3repE0EEENS1_30default_config_static_selectorELNS0_4arch9wavefront6targetE0EEEvT1_
; %bb.0:
	.section	.rodata,"a",@progbits
	.p2align	6, 0x0
	.amdhsa_kernel _ZN7rocprim17ROCPRIM_400000_NS6detail17trampoline_kernelINS0_14default_configENS1_25partition_config_selectorILNS1_17partition_subalgoE9EttbEEZZNS1_14partition_implILS5_9ELb0ES3_jN6thrust23THRUST_200600_302600_NS6detail15normal_iteratorINS9_10device_ptrItEEEESE_PNS0_10empty_typeENS0_5tupleIJSE_SF_EEENSH_IJSE_SG_EEENS0_18inequality_wrapperI22is_equal_div_10_uniqueItEEEPmJSF_EEE10hipError_tPvRmT3_T4_T5_T6_T7_T9_mT8_P12ihipStream_tbDpT10_ENKUlT_T0_E_clISt17integral_constantIbLb1EES17_IbLb0EEEEDaS13_S14_EUlS13_E_NS1_11comp_targetILNS1_3genE10ELNS1_11target_archE1200ELNS1_3gpuE4ELNS1_3repE0EEENS1_30default_config_static_selectorELNS0_4arch9wavefront6targetE0EEEvT1_
		.amdhsa_group_segment_fixed_size 0
		.amdhsa_private_segment_fixed_size 0
		.amdhsa_kernarg_size 112
		.amdhsa_user_sgpr_count 15
		.amdhsa_user_sgpr_dispatch_ptr 0
		.amdhsa_user_sgpr_queue_ptr 0
		.amdhsa_user_sgpr_kernarg_segment_ptr 1
		.amdhsa_user_sgpr_dispatch_id 0
		.amdhsa_user_sgpr_private_segment_size 0
		.amdhsa_wavefront_size32 1
		.amdhsa_uses_dynamic_stack 0
		.amdhsa_enable_private_segment 0
		.amdhsa_system_sgpr_workgroup_id_x 1
		.amdhsa_system_sgpr_workgroup_id_y 0
		.amdhsa_system_sgpr_workgroup_id_z 0
		.amdhsa_system_sgpr_workgroup_info 0
		.amdhsa_system_vgpr_workitem_id 0
		.amdhsa_next_free_vgpr 1
		.amdhsa_next_free_sgpr 1
		.amdhsa_reserve_vcc 0
		.amdhsa_float_round_mode_32 0
		.amdhsa_float_round_mode_16_64 0
		.amdhsa_float_denorm_mode_32 3
		.amdhsa_float_denorm_mode_16_64 3
		.amdhsa_dx10_clamp 1
		.amdhsa_ieee_mode 1
		.amdhsa_fp16_overflow 0
		.amdhsa_workgroup_processor_mode 1
		.amdhsa_memory_ordered 1
		.amdhsa_forward_progress 0
		.amdhsa_shared_vgpr_count 0
		.amdhsa_exception_fp_ieee_invalid_op 0
		.amdhsa_exception_fp_denorm_src 0
		.amdhsa_exception_fp_ieee_div_zero 0
		.amdhsa_exception_fp_ieee_overflow 0
		.amdhsa_exception_fp_ieee_underflow 0
		.amdhsa_exception_fp_ieee_inexact 0
		.amdhsa_exception_int_div_zero 0
	.end_amdhsa_kernel
	.section	.text._ZN7rocprim17ROCPRIM_400000_NS6detail17trampoline_kernelINS0_14default_configENS1_25partition_config_selectorILNS1_17partition_subalgoE9EttbEEZZNS1_14partition_implILS5_9ELb0ES3_jN6thrust23THRUST_200600_302600_NS6detail15normal_iteratorINS9_10device_ptrItEEEESE_PNS0_10empty_typeENS0_5tupleIJSE_SF_EEENSH_IJSE_SG_EEENS0_18inequality_wrapperI22is_equal_div_10_uniqueItEEEPmJSF_EEE10hipError_tPvRmT3_T4_T5_T6_T7_T9_mT8_P12ihipStream_tbDpT10_ENKUlT_T0_E_clISt17integral_constantIbLb1EES17_IbLb0EEEEDaS13_S14_EUlS13_E_NS1_11comp_targetILNS1_3genE10ELNS1_11target_archE1200ELNS1_3gpuE4ELNS1_3repE0EEENS1_30default_config_static_selectorELNS0_4arch9wavefront6targetE0EEEvT1_,"axG",@progbits,_ZN7rocprim17ROCPRIM_400000_NS6detail17trampoline_kernelINS0_14default_configENS1_25partition_config_selectorILNS1_17partition_subalgoE9EttbEEZZNS1_14partition_implILS5_9ELb0ES3_jN6thrust23THRUST_200600_302600_NS6detail15normal_iteratorINS9_10device_ptrItEEEESE_PNS0_10empty_typeENS0_5tupleIJSE_SF_EEENSH_IJSE_SG_EEENS0_18inequality_wrapperI22is_equal_div_10_uniqueItEEEPmJSF_EEE10hipError_tPvRmT3_T4_T5_T6_T7_T9_mT8_P12ihipStream_tbDpT10_ENKUlT_T0_E_clISt17integral_constantIbLb1EES17_IbLb0EEEEDaS13_S14_EUlS13_E_NS1_11comp_targetILNS1_3genE10ELNS1_11target_archE1200ELNS1_3gpuE4ELNS1_3repE0EEENS1_30default_config_static_selectorELNS0_4arch9wavefront6targetE0EEEvT1_,comdat
.Lfunc_end328:
	.size	_ZN7rocprim17ROCPRIM_400000_NS6detail17trampoline_kernelINS0_14default_configENS1_25partition_config_selectorILNS1_17partition_subalgoE9EttbEEZZNS1_14partition_implILS5_9ELb0ES3_jN6thrust23THRUST_200600_302600_NS6detail15normal_iteratorINS9_10device_ptrItEEEESE_PNS0_10empty_typeENS0_5tupleIJSE_SF_EEENSH_IJSE_SG_EEENS0_18inequality_wrapperI22is_equal_div_10_uniqueItEEEPmJSF_EEE10hipError_tPvRmT3_T4_T5_T6_T7_T9_mT8_P12ihipStream_tbDpT10_ENKUlT_T0_E_clISt17integral_constantIbLb1EES17_IbLb0EEEEDaS13_S14_EUlS13_E_NS1_11comp_targetILNS1_3genE10ELNS1_11target_archE1200ELNS1_3gpuE4ELNS1_3repE0EEENS1_30default_config_static_selectorELNS0_4arch9wavefront6targetE0EEEvT1_, .Lfunc_end328-_ZN7rocprim17ROCPRIM_400000_NS6detail17trampoline_kernelINS0_14default_configENS1_25partition_config_selectorILNS1_17partition_subalgoE9EttbEEZZNS1_14partition_implILS5_9ELb0ES3_jN6thrust23THRUST_200600_302600_NS6detail15normal_iteratorINS9_10device_ptrItEEEESE_PNS0_10empty_typeENS0_5tupleIJSE_SF_EEENSH_IJSE_SG_EEENS0_18inequality_wrapperI22is_equal_div_10_uniqueItEEEPmJSF_EEE10hipError_tPvRmT3_T4_T5_T6_T7_T9_mT8_P12ihipStream_tbDpT10_ENKUlT_T0_E_clISt17integral_constantIbLb1EES17_IbLb0EEEEDaS13_S14_EUlS13_E_NS1_11comp_targetILNS1_3genE10ELNS1_11target_archE1200ELNS1_3gpuE4ELNS1_3repE0EEENS1_30default_config_static_selectorELNS0_4arch9wavefront6targetE0EEEvT1_
                                        ; -- End function
	.section	.AMDGPU.csdata,"",@progbits
; Kernel info:
; codeLenInByte = 0
; NumSgprs: 0
; NumVgprs: 0
; ScratchSize: 0
; MemoryBound: 0
; FloatMode: 240
; IeeeMode: 1
; LDSByteSize: 0 bytes/workgroup (compile time only)
; SGPRBlocks: 0
; VGPRBlocks: 0
; NumSGPRsForWavesPerEU: 1
; NumVGPRsForWavesPerEU: 1
; Occupancy: 16
; WaveLimiterHint : 0
; COMPUTE_PGM_RSRC2:SCRATCH_EN: 0
; COMPUTE_PGM_RSRC2:USER_SGPR: 15
; COMPUTE_PGM_RSRC2:TRAP_HANDLER: 0
; COMPUTE_PGM_RSRC2:TGID_X_EN: 1
; COMPUTE_PGM_RSRC2:TGID_Y_EN: 0
; COMPUTE_PGM_RSRC2:TGID_Z_EN: 0
; COMPUTE_PGM_RSRC2:TIDIG_COMP_CNT: 0
	.section	.text._ZN7rocprim17ROCPRIM_400000_NS6detail17trampoline_kernelINS0_14default_configENS1_25partition_config_selectorILNS1_17partition_subalgoE9EttbEEZZNS1_14partition_implILS5_9ELb0ES3_jN6thrust23THRUST_200600_302600_NS6detail15normal_iteratorINS9_10device_ptrItEEEESE_PNS0_10empty_typeENS0_5tupleIJSE_SF_EEENSH_IJSE_SG_EEENS0_18inequality_wrapperI22is_equal_div_10_uniqueItEEEPmJSF_EEE10hipError_tPvRmT3_T4_T5_T6_T7_T9_mT8_P12ihipStream_tbDpT10_ENKUlT_T0_E_clISt17integral_constantIbLb1EES17_IbLb0EEEEDaS13_S14_EUlS13_E_NS1_11comp_targetILNS1_3genE9ELNS1_11target_archE1100ELNS1_3gpuE3ELNS1_3repE0EEENS1_30default_config_static_selectorELNS0_4arch9wavefront6targetE0EEEvT1_,"axG",@progbits,_ZN7rocprim17ROCPRIM_400000_NS6detail17trampoline_kernelINS0_14default_configENS1_25partition_config_selectorILNS1_17partition_subalgoE9EttbEEZZNS1_14partition_implILS5_9ELb0ES3_jN6thrust23THRUST_200600_302600_NS6detail15normal_iteratorINS9_10device_ptrItEEEESE_PNS0_10empty_typeENS0_5tupleIJSE_SF_EEENSH_IJSE_SG_EEENS0_18inequality_wrapperI22is_equal_div_10_uniqueItEEEPmJSF_EEE10hipError_tPvRmT3_T4_T5_T6_T7_T9_mT8_P12ihipStream_tbDpT10_ENKUlT_T0_E_clISt17integral_constantIbLb1EES17_IbLb0EEEEDaS13_S14_EUlS13_E_NS1_11comp_targetILNS1_3genE9ELNS1_11target_archE1100ELNS1_3gpuE3ELNS1_3repE0EEENS1_30default_config_static_selectorELNS0_4arch9wavefront6targetE0EEEvT1_,comdat
	.protected	_ZN7rocprim17ROCPRIM_400000_NS6detail17trampoline_kernelINS0_14default_configENS1_25partition_config_selectorILNS1_17partition_subalgoE9EttbEEZZNS1_14partition_implILS5_9ELb0ES3_jN6thrust23THRUST_200600_302600_NS6detail15normal_iteratorINS9_10device_ptrItEEEESE_PNS0_10empty_typeENS0_5tupleIJSE_SF_EEENSH_IJSE_SG_EEENS0_18inequality_wrapperI22is_equal_div_10_uniqueItEEEPmJSF_EEE10hipError_tPvRmT3_T4_T5_T6_T7_T9_mT8_P12ihipStream_tbDpT10_ENKUlT_T0_E_clISt17integral_constantIbLb1EES17_IbLb0EEEEDaS13_S14_EUlS13_E_NS1_11comp_targetILNS1_3genE9ELNS1_11target_archE1100ELNS1_3gpuE3ELNS1_3repE0EEENS1_30default_config_static_selectorELNS0_4arch9wavefront6targetE0EEEvT1_ ; -- Begin function _ZN7rocprim17ROCPRIM_400000_NS6detail17trampoline_kernelINS0_14default_configENS1_25partition_config_selectorILNS1_17partition_subalgoE9EttbEEZZNS1_14partition_implILS5_9ELb0ES3_jN6thrust23THRUST_200600_302600_NS6detail15normal_iteratorINS9_10device_ptrItEEEESE_PNS0_10empty_typeENS0_5tupleIJSE_SF_EEENSH_IJSE_SG_EEENS0_18inequality_wrapperI22is_equal_div_10_uniqueItEEEPmJSF_EEE10hipError_tPvRmT3_T4_T5_T6_T7_T9_mT8_P12ihipStream_tbDpT10_ENKUlT_T0_E_clISt17integral_constantIbLb1EES17_IbLb0EEEEDaS13_S14_EUlS13_E_NS1_11comp_targetILNS1_3genE9ELNS1_11target_archE1100ELNS1_3gpuE3ELNS1_3repE0EEENS1_30default_config_static_selectorELNS0_4arch9wavefront6targetE0EEEvT1_
	.globl	_ZN7rocprim17ROCPRIM_400000_NS6detail17trampoline_kernelINS0_14default_configENS1_25partition_config_selectorILNS1_17partition_subalgoE9EttbEEZZNS1_14partition_implILS5_9ELb0ES3_jN6thrust23THRUST_200600_302600_NS6detail15normal_iteratorINS9_10device_ptrItEEEESE_PNS0_10empty_typeENS0_5tupleIJSE_SF_EEENSH_IJSE_SG_EEENS0_18inequality_wrapperI22is_equal_div_10_uniqueItEEEPmJSF_EEE10hipError_tPvRmT3_T4_T5_T6_T7_T9_mT8_P12ihipStream_tbDpT10_ENKUlT_T0_E_clISt17integral_constantIbLb1EES17_IbLb0EEEEDaS13_S14_EUlS13_E_NS1_11comp_targetILNS1_3genE9ELNS1_11target_archE1100ELNS1_3gpuE3ELNS1_3repE0EEENS1_30default_config_static_selectorELNS0_4arch9wavefront6targetE0EEEvT1_
	.p2align	8
	.type	_ZN7rocprim17ROCPRIM_400000_NS6detail17trampoline_kernelINS0_14default_configENS1_25partition_config_selectorILNS1_17partition_subalgoE9EttbEEZZNS1_14partition_implILS5_9ELb0ES3_jN6thrust23THRUST_200600_302600_NS6detail15normal_iteratorINS9_10device_ptrItEEEESE_PNS0_10empty_typeENS0_5tupleIJSE_SF_EEENSH_IJSE_SG_EEENS0_18inequality_wrapperI22is_equal_div_10_uniqueItEEEPmJSF_EEE10hipError_tPvRmT3_T4_T5_T6_T7_T9_mT8_P12ihipStream_tbDpT10_ENKUlT_T0_E_clISt17integral_constantIbLb1EES17_IbLb0EEEEDaS13_S14_EUlS13_E_NS1_11comp_targetILNS1_3genE9ELNS1_11target_archE1100ELNS1_3gpuE3ELNS1_3repE0EEENS1_30default_config_static_selectorELNS0_4arch9wavefront6targetE0EEEvT1_,@function
_ZN7rocprim17ROCPRIM_400000_NS6detail17trampoline_kernelINS0_14default_configENS1_25partition_config_selectorILNS1_17partition_subalgoE9EttbEEZZNS1_14partition_implILS5_9ELb0ES3_jN6thrust23THRUST_200600_302600_NS6detail15normal_iteratorINS9_10device_ptrItEEEESE_PNS0_10empty_typeENS0_5tupleIJSE_SF_EEENSH_IJSE_SG_EEENS0_18inequality_wrapperI22is_equal_div_10_uniqueItEEEPmJSF_EEE10hipError_tPvRmT3_T4_T5_T6_T7_T9_mT8_P12ihipStream_tbDpT10_ENKUlT_T0_E_clISt17integral_constantIbLb1EES17_IbLb0EEEEDaS13_S14_EUlS13_E_NS1_11comp_targetILNS1_3genE9ELNS1_11target_archE1100ELNS1_3gpuE3ELNS1_3repE0EEENS1_30default_config_static_selectorELNS0_4arch9wavefront6targetE0EEEvT1_: ; @_ZN7rocprim17ROCPRIM_400000_NS6detail17trampoline_kernelINS0_14default_configENS1_25partition_config_selectorILNS1_17partition_subalgoE9EttbEEZZNS1_14partition_implILS5_9ELb0ES3_jN6thrust23THRUST_200600_302600_NS6detail15normal_iteratorINS9_10device_ptrItEEEESE_PNS0_10empty_typeENS0_5tupleIJSE_SF_EEENSH_IJSE_SG_EEENS0_18inequality_wrapperI22is_equal_div_10_uniqueItEEEPmJSF_EEE10hipError_tPvRmT3_T4_T5_T6_T7_T9_mT8_P12ihipStream_tbDpT10_ENKUlT_T0_E_clISt17integral_constantIbLb1EES17_IbLb0EEEEDaS13_S14_EUlS13_E_NS1_11comp_targetILNS1_3genE9ELNS1_11target_archE1100ELNS1_3gpuE3ELNS1_3repE0EEENS1_30default_config_static_selectorELNS0_4arch9wavefront6targetE0EEEvT1_
; %bb.0:
	s_clause 0x4
	s_load_b128 s[4:7], s[0:1], 0x8
	s_load_b32 s14, s[0:1], 0x68
	s_load_b128 s[16:19], s[0:1], 0x40
	s_load_b64 s[2:3], s[0:1], 0x50
	s_load_b64 s[8:9], s[0:1], 0x18
	s_waitcnt lgkmcnt(0)
	s_lshl_b64 s[12:13], s[6:7], 1
	s_mul_i32 s20, s14, 0x600
	s_add_u32 s21, s4, s12
	s_addc_u32 s22, s5, s13
	s_add_i32 s4, s20, s6
	s_load_b64 s[10:11], s[18:19], 0x0
	s_sub_i32 s19, s2, s4
	s_add_i32 s14, s14, -1
	s_addk_i32 s19, 0x600
	s_add_u32 s4, s6, s20
	s_addc_u32 s5, s7, 0
	s_cmp_eq_u32 s15, s14
	v_cmp_ge_u64_e64 s2, s[4:5], s[2:3]
	s_cselect_b32 s14, -1, 0
	s_mov_b32 s5, 0
	s_mul_i32 s4, s15, 0x600
	s_delay_alu instid0(SALU_CYCLE_1) | instskip(NEXT) | instid1(VALU_DEP_1)
	s_lshl_b64 s[4:5], s[4:5], 1
	s_and_b32 s3, s14, s2
	s_delay_alu instid0(SALU_CYCLE_1)
	s_xor_b32 s18, s3, -1
	s_add_u32 s21, s21, s4
	s_addc_u32 s20, s22, s5
	s_and_b32 vcc_lo, exec_lo, s18
	s_mov_b32 s22, -1
	s_cbranch_vccz .LBB329_2
; %bb.1:
	v_lshlrev_b32_e32 v3, 1, v0
	s_mov_b32 s22, 0
	s_delay_alu instid0(VALU_DEP_1) | instskip(NEXT) | instid1(VALU_DEP_1)
	v_add_co_u32 v1, s2, s21, v3
	v_add_co_ci_u32_e64 v2, null, s20, 0, s2
	s_clause 0xb
	flat_load_u16 v4, v[1:2]
	flat_load_u16 v5, v[1:2] offset:256
	flat_load_u16 v6, v[1:2] offset:512
	;; [unrolled: 1-line block ×11, first 2 shown]
	s_waitcnt vmcnt(11) lgkmcnt(0)
	ds_store_b16 v3, v4
	s_waitcnt vmcnt(10)
	ds_store_b16 v3, v5 offset:256
	s_waitcnt vmcnt(9)
	ds_store_b16 v3, v6 offset:512
	;; [unrolled: 2-line block ×11, first 2 shown]
	s_waitcnt lgkmcnt(0)
	s_barrier
.LBB329_2:
	v_cmp_gt_u32_e64 s2, s19, v0
	s_and_not1_b32 vcc_lo, exec_lo, s22
	s_cbranch_vccnz .LBB329_28
; %bb.3:
                                        ; implicit-def: $vgpr1_vgpr2_vgpr3_vgpr4_vgpr5_vgpr6_vgpr7_vgpr8
	s_delay_alu instid0(VALU_DEP_1)
	s_and_saveexec_b32 s22, s2
	s_cbranch_execz .LBB329_5
; %bb.4:
	v_lshlrev_b32_e32 v1, 1, v0
	s_delay_alu instid0(VALU_DEP_1) | instskip(NEXT) | instid1(VALU_DEP_1)
	v_add_co_u32 v1, s2, s21, v1
	v_add_co_ci_u32_e64 v2, null, s20, 0, s2
	flat_load_d16_b16 v1, v[1:2]
.LBB329_5:
	s_or_b32 exec_lo, exec_lo, s22
	v_or_b32_e32 v7, 0x80, v0
	s_mov_b32 s2, exec_lo
	s_delay_alu instid0(VALU_DEP_1)
	v_cmpx_gt_u32_e64 s19, v7
	s_cbranch_execz .LBB329_7
; %bb.6:
	v_lshlrev_b32_e32 v7, 1, v0
	s_delay_alu instid0(VALU_DEP_1) | instskip(NEXT) | instid1(VALU_DEP_1)
	v_add_co_u32 v7, s22, s21, v7
	v_add_co_ci_u32_e64 v8, null, s20, 0, s22
	s_waitcnt vmcnt(0) lgkmcnt(0)
	flat_load_d16_hi_b16 v1, v[7:8] offset:256
.LBB329_7:
	s_or_b32 exec_lo, exec_lo, s2
	v_or_b32_e32 v7, 0x100, v0
	s_mov_b32 s2, exec_lo
	s_delay_alu instid0(VALU_DEP_1)
	v_cmpx_gt_u32_e64 s19, v7
	s_cbranch_execz .LBB329_9
; %bb.8:
	v_lshlrev_b32_e32 v7, 1, v0
	s_delay_alu instid0(VALU_DEP_1) | instskip(NEXT) | instid1(VALU_DEP_1)
	v_add_co_u32 v7, s22, s21, v7
	v_add_co_ci_u32_e64 v8, null, s20, 0, s22
	flat_load_d16_b16 v2, v[7:8] offset:512
.LBB329_9:
	s_or_b32 exec_lo, exec_lo, s2
	v_or_b32_e32 v7, 0x180, v0
	s_mov_b32 s2, exec_lo
	s_delay_alu instid0(VALU_DEP_1)
	v_cmpx_gt_u32_e64 s19, v7
	s_cbranch_execz .LBB329_11
; %bb.10:
	v_lshlrev_b32_e32 v7, 1, v0
	s_delay_alu instid0(VALU_DEP_1) | instskip(NEXT) | instid1(VALU_DEP_1)
	v_add_co_u32 v7, s22, s21, v7
	v_add_co_ci_u32_e64 v8, null, s20, 0, s22
	s_waitcnt vmcnt(0) lgkmcnt(0)
	flat_load_d16_hi_b16 v2, v[7:8] offset:768
.LBB329_11:
	s_or_b32 exec_lo, exec_lo, s2
	v_or_b32_e32 v7, 0x200, v0
	s_mov_b32 s2, exec_lo
	s_delay_alu instid0(VALU_DEP_1)
	v_cmpx_gt_u32_e64 s19, v7
	s_cbranch_execz .LBB329_13
; %bb.12:
	v_lshlrev_b32_e32 v7, 1, v0
	s_delay_alu instid0(VALU_DEP_1) | instskip(NEXT) | instid1(VALU_DEP_1)
	v_add_co_u32 v7, s22, s21, v7
	v_add_co_ci_u32_e64 v8, null, s20, 0, s22
	flat_load_d16_b16 v3, v[7:8] offset:1024
.LBB329_13:
	;; [unrolled: 27-line block ×5, first 2 shown]
	s_or_b32 exec_lo, exec_lo, s2
	v_or_b32_e32 v7, 0x580, v0
	s_mov_b32 s2, exec_lo
	s_delay_alu instid0(VALU_DEP_1)
	v_cmpx_gt_u32_e64 s19, v7
	s_cbranch_execz .LBB329_27
; %bb.26:
	v_lshlrev_b32_e32 v7, 1, v0
	s_delay_alu instid0(VALU_DEP_1) | instskip(NEXT) | instid1(VALU_DEP_1)
	v_add_co_u32 v7, s22, s21, v7
	v_add_co_ci_u32_e64 v8, null, s20, 0, s22
	s_waitcnt vmcnt(0) lgkmcnt(0)
	flat_load_d16_hi_b16 v6, v[7:8] offset:2816
.LBB329_27:
	s_or_b32 exec_lo, exec_lo, s2
	v_lshlrev_b32_e32 v7, 1, v0
	s_waitcnt vmcnt(0) lgkmcnt(0)
	ds_store_b16 v7, v1
	ds_store_b16_d16_hi v7, v1 offset:256
	ds_store_b16 v7, v2 offset:512
	ds_store_b16_d16_hi v7, v2 offset:768
	ds_store_b16 v7, v3 offset:1024
	;; [unrolled: 2-line block ×5, first 2 shown]
	ds_store_b16_d16_hi v7, v6 offset:2816
	s_waitcnt lgkmcnt(0)
	s_barrier
.LBB329_28:
	v_mul_u32_u24_e32 v1, 12, v0
	s_waitcnt lgkmcnt(0)
	buffer_gl0_inv
	s_add_u32 s2, s8, s12
	s_addc_u32 s8, s9, s13
	s_add_u32 s2, s2, s4
	v_lshlrev_b32_e32 v8, 1, v1
	s_addc_u32 s4, s8, s5
	s_and_b32 vcc_lo, exec_lo, s18
	s_mov_b32 s5, -1
	ds_load_2addr_b64 v[18:21], v8 offset1:1
	ds_load_b64 v[27:28], v8 offset:16
	s_waitcnt lgkmcnt(0)
	s_barrier
	buffer_gl0_inv
	s_cbranch_vccz .LBB329_30
; %bb.29:
	v_lshlrev_b32_e32 v4, 1, v0
	s_delay_alu instid0(VALU_DEP_1) | instskip(NEXT) | instid1(VALU_DEP_1)
	v_add_co_u32 v2, s5, s2, v4
	v_add_co_ci_u32_e64 v3, null, s4, 0, s5
	s_mov_b32 s5, 0
	s_clause 0xb
	flat_load_u16 v5, v[2:3]
	flat_load_u16 v6, v[2:3] offset:256
	flat_load_u16 v7, v[2:3] offset:512
	;; [unrolled: 1-line block ×11, first 2 shown]
	s_waitcnt vmcnt(11) lgkmcnt(11)
	ds_store_b16 v4, v5
	s_waitcnt vmcnt(10) lgkmcnt(11)
	ds_store_b16 v4, v6 offset:256
	s_waitcnt vmcnt(9) lgkmcnt(11)
	ds_store_b16 v4, v7 offset:512
	;; [unrolled: 2-line block ×11, first 2 shown]
	s_waitcnt lgkmcnt(0)
	s_barrier
.LBB329_30:
	s_and_not1_b32 vcc_lo, exec_lo, s5
	s_cbranch_vccnz .LBB329_56
; %bb.31:
	s_mov_b32 s5, exec_lo
                                        ; implicit-def: $vgpr2
	v_cmpx_gt_u32_e64 s19, v0
	s_cbranch_execz .LBB329_33
; %bb.32:
	v_lshlrev_b32_e32 v2, 1, v0
	s_delay_alu instid0(VALU_DEP_1) | instskip(NEXT) | instid1(VALU_DEP_1)
	v_add_co_u32 v2, s8, s2, v2
	v_add_co_ci_u32_e64 v3, null, s4, 0, s8
	flat_load_u16 v2, v[2:3]
.LBB329_33:
	s_or_b32 exec_lo, exec_lo, s5
	v_or_b32_e32 v3, 0x80, v0
	s_delay_alu instid0(VALU_DEP_1)
	v_cmp_gt_u32_e32 vcc_lo, s19, v3
                                        ; implicit-def: $vgpr3
	s_and_saveexec_b32 s5, vcc_lo
	s_cbranch_execz .LBB329_35
; %bb.34:
	v_lshlrev_b32_e32 v3, 1, v0
	s_delay_alu instid0(VALU_DEP_1) | instskip(NEXT) | instid1(VALU_DEP_1)
	v_add_co_u32 v3, s8, s2, v3
	v_add_co_ci_u32_e64 v4, null, s4, 0, s8
	flat_load_u16 v3, v[3:4] offset:256
.LBB329_35:
	s_or_b32 exec_lo, exec_lo, s5
	v_or_b32_e32 v4, 0x100, v0
	s_delay_alu instid0(VALU_DEP_1)
	v_cmp_gt_u32_e32 vcc_lo, s19, v4
                                        ; implicit-def: $vgpr4
	s_and_saveexec_b32 s5, vcc_lo
	s_cbranch_execz .LBB329_37
; %bb.36:
	v_lshlrev_b32_e32 v4, 1, v0
	s_delay_alu instid0(VALU_DEP_1) | instskip(NEXT) | instid1(VALU_DEP_1)
	v_add_co_u32 v4, s8, s2, v4
	v_add_co_ci_u32_e64 v5, null, s4, 0, s8
	flat_load_u16 v4, v[4:5] offset:512
.LBB329_37:
	s_or_b32 exec_lo, exec_lo, s5
	v_or_b32_e32 v5, 0x180, v0
	s_delay_alu instid0(VALU_DEP_1)
	v_cmp_gt_u32_e32 vcc_lo, s19, v5
                                        ; implicit-def: $vgpr5
	s_and_saveexec_b32 s5, vcc_lo
	s_cbranch_execz .LBB329_39
; %bb.38:
	v_lshlrev_b32_e32 v5, 1, v0
	s_delay_alu instid0(VALU_DEP_1) | instskip(NEXT) | instid1(VALU_DEP_1)
	v_add_co_u32 v5, s8, s2, v5
	v_add_co_ci_u32_e64 v6, null, s4, 0, s8
	flat_load_u16 v5, v[5:6] offset:768
.LBB329_39:
	s_or_b32 exec_lo, exec_lo, s5
	v_or_b32_e32 v6, 0x200, v0
	s_delay_alu instid0(VALU_DEP_1)
	v_cmp_gt_u32_e32 vcc_lo, s19, v6
                                        ; implicit-def: $vgpr6
	s_and_saveexec_b32 s5, vcc_lo
	s_cbranch_execz .LBB329_41
; %bb.40:
	v_lshlrev_b32_e32 v6, 1, v0
	s_delay_alu instid0(VALU_DEP_1) | instskip(NEXT) | instid1(VALU_DEP_1)
	v_add_co_u32 v6, s8, s2, v6
	v_add_co_ci_u32_e64 v7, null, s4, 0, s8
	flat_load_u16 v6, v[6:7] offset:1024
.LBB329_41:
	s_or_b32 exec_lo, exec_lo, s5
	v_or_b32_e32 v7, 0x280, v0
	s_delay_alu instid0(VALU_DEP_1)
	v_cmp_gt_u32_e32 vcc_lo, s19, v7
                                        ; implicit-def: $vgpr7
	s_and_saveexec_b32 s5, vcc_lo
	s_cbranch_execz .LBB329_43
; %bb.42:
	v_lshlrev_b32_e32 v7, 1, v0
	s_delay_alu instid0(VALU_DEP_1) | instskip(NEXT) | instid1(VALU_DEP_1)
	v_add_co_u32 v9, s8, s2, v7
	v_add_co_ci_u32_e64 v10, null, s4, 0, s8
	flat_load_u16 v7, v[9:10] offset:1280
.LBB329_43:
	s_or_b32 exec_lo, exec_lo, s5
	v_or_b32_e32 v9, 0x300, v0
	s_delay_alu instid0(VALU_DEP_1)
	v_cmp_gt_u32_e32 vcc_lo, s19, v9
                                        ; implicit-def: $vgpr9
	s_and_saveexec_b32 s5, vcc_lo
	s_cbranch_execz .LBB329_45
; %bb.44:
	v_lshlrev_b32_e32 v9, 1, v0
	s_delay_alu instid0(VALU_DEP_1) | instskip(NEXT) | instid1(VALU_DEP_1)
	v_add_co_u32 v9, s8, s2, v9
	v_add_co_ci_u32_e64 v10, null, s4, 0, s8
	flat_load_u16 v9, v[9:10] offset:1536
.LBB329_45:
	s_or_b32 exec_lo, exec_lo, s5
	v_or_b32_e32 v10, 0x380, v0
	s_delay_alu instid0(VALU_DEP_1)
	v_cmp_gt_u32_e32 vcc_lo, s19, v10
                                        ; implicit-def: $vgpr10
	s_and_saveexec_b32 s5, vcc_lo
	s_cbranch_execz .LBB329_47
; %bb.46:
	v_lshlrev_b32_e32 v10, 1, v0
	s_delay_alu instid0(VALU_DEP_1) | instskip(NEXT) | instid1(VALU_DEP_1)
	v_add_co_u32 v10, s8, s2, v10
	v_add_co_ci_u32_e64 v11, null, s4, 0, s8
	flat_load_u16 v10, v[10:11] offset:1792
.LBB329_47:
	s_or_b32 exec_lo, exec_lo, s5
	v_or_b32_e32 v11, 0x400, v0
	s_delay_alu instid0(VALU_DEP_1)
	v_cmp_gt_u32_e32 vcc_lo, s19, v11
                                        ; implicit-def: $vgpr11
	s_and_saveexec_b32 s5, vcc_lo
	s_cbranch_execz .LBB329_49
; %bb.48:
	v_lshlrev_b32_e32 v11, 1, v0
	s_delay_alu instid0(VALU_DEP_1) | instskip(NEXT) | instid1(VALU_DEP_1)
	v_add_co_u32 v11, s8, s2, v11
	v_add_co_ci_u32_e64 v12, null, s4, 0, s8
	flat_load_u16 v11, v[11:12] offset:2048
.LBB329_49:
	s_or_b32 exec_lo, exec_lo, s5
	v_or_b32_e32 v12, 0x480, v0
	s_delay_alu instid0(VALU_DEP_1)
	v_cmp_gt_u32_e32 vcc_lo, s19, v12
                                        ; implicit-def: $vgpr12
	s_and_saveexec_b32 s5, vcc_lo
	s_cbranch_execz .LBB329_51
; %bb.50:
	v_lshlrev_b32_e32 v12, 1, v0
	s_delay_alu instid0(VALU_DEP_1) | instskip(NEXT) | instid1(VALU_DEP_1)
	v_add_co_u32 v12, s8, s2, v12
	v_add_co_ci_u32_e64 v13, null, s4, 0, s8
	flat_load_u16 v12, v[12:13] offset:2304
.LBB329_51:
	s_or_b32 exec_lo, exec_lo, s5
	v_or_b32_e32 v13, 0x500, v0
	s_delay_alu instid0(VALU_DEP_1)
	v_cmp_gt_u32_e32 vcc_lo, s19, v13
                                        ; implicit-def: $vgpr13
	s_and_saveexec_b32 s5, vcc_lo
	s_cbranch_execz .LBB329_53
; %bb.52:
	v_lshlrev_b32_e32 v13, 1, v0
	s_delay_alu instid0(VALU_DEP_1) | instskip(NEXT) | instid1(VALU_DEP_1)
	v_add_co_u32 v13, s8, s2, v13
	v_add_co_ci_u32_e64 v14, null, s4, 0, s8
	flat_load_u16 v13, v[13:14] offset:2560
.LBB329_53:
	s_or_b32 exec_lo, exec_lo, s5
	v_or_b32_e32 v14, 0x580, v0
	s_delay_alu instid0(VALU_DEP_1)
	v_cmp_gt_u32_e32 vcc_lo, s19, v14
                                        ; implicit-def: $vgpr14
	s_and_saveexec_b32 s5, vcc_lo
	s_cbranch_execz .LBB329_55
; %bb.54:
	v_lshlrev_b32_e32 v14, 1, v0
	s_delay_alu instid0(VALU_DEP_1) | instskip(NEXT) | instid1(VALU_DEP_1)
	v_add_co_u32 v14, s2, s2, v14
	v_add_co_ci_u32_e64 v15, null, s4, 0, s2
	flat_load_u16 v14, v[14:15] offset:2816
.LBB329_55:
	s_or_b32 exec_lo, exec_lo, s5
	v_mad_i32_i24 v15, 0xffffffea, v0, v8
	s_waitcnt vmcnt(0) lgkmcnt(0)
	ds_store_b16 v15, v2
	ds_store_b16 v15, v3 offset:256
	ds_store_b16 v15, v4 offset:512
	;; [unrolled: 1-line block ×11, first 2 shown]
	s_waitcnt lgkmcnt(0)
	s_barrier
.LBB329_56:
	buffer_gl0_inv
	ds_load_2addr_b64 v[14:17], v8 offset1:1
	ds_load_b64 v[25:26], v8 offset:16
	s_cmp_lg_u32 s15, 0
	v_lshrrev_b32_e32 v41, 16, v18
	s_cselect_b32 s8, -1, 0
	s_cmp_lg_u64 s[6:7], 0
	v_lshrrev_b32_e32 v40, 16, v19
	s_cselect_b32 s2, -1, 0
	v_lshrrev_b32_e32 v39, 16, v20
	v_lshrrev_b32_e32 v38, 16, v21
	v_or_b32_e32 v12, 1, v1
	v_or_b32_e32 v6, 2, v1
	;; [unrolled: 1-line block ×3, first 2 shown]
	v_add_nc_u32_e32 v7, 4, v1
	v_add_nc_u32_e32 v5, 5, v1
	;; [unrolled: 1-line block ×5, first 2 shown]
	v_lshrrev_b32_e32 v37, 16, v27
	v_lshrrev_b32_e32 v31, 16, v28
	v_add_nc_u32_e32 v10, 9, v1
	v_add_nc_u32_e32 v8, 10, v1
	;; [unrolled: 1-line block ×3, first 2 shown]
	s_or_b32 s2, s8, s2
	s_waitcnt lgkmcnt(0)
	s_and_b32 vcc_lo, exec_lo, s2
	s_mov_b32 s2, 0
	s_barrier
	buffer_gl0_inv
	s_cbranch_vccz .LBB329_61
; %bb.57:
	v_add_co_u32 v22, s2, -2, s21
	s_delay_alu instid0(VALU_DEP_1)
	v_add_co_ci_u32_e64 v23, null, -1, s20, s2
	v_lshlrev_b32_e32 v29, 1, v0
	s_mov_b32 s2, -1
	s_and_b32 vcc_lo, exec_lo, s18
	flat_load_u16 v13, v[22:23]
	ds_store_b16 v29, v31
	s_cbranch_vccz .LBB329_62
; %bb.58:
	s_waitcnt vmcnt(0) lgkmcnt(1)
	v_mov_b32_e32 v22, v13
	s_mov_b32 s2, 0
	s_mov_b32 s4, exec_lo
	s_waitcnt lgkmcnt(0)
	s_barrier
	buffer_gl0_inv
	v_cmpx_ne_u32_e32 0, v0
	s_cbranch_execz .LBB329_60
; %bb.59:
	v_add_nc_u32_e32 v22, -2, v29
	ds_load_u16 v22, v22
.LBB329_60:
	s_or_b32 exec_lo, exec_lo, s4
	v_and_b32_e32 v23, 0xffff, v28
	v_and_b32_e32 v24, 0xffff, v31
	;; [unrolled: 1-line block ×5, first 2 shown]
	v_mul_u32_u24_e32 v23, 0xcccd, v23
	v_mul_u32_u24_e32 v24, 0xcccd, v24
	;; [unrolled: 1-line block ×4, first 2 shown]
	v_and_b32_e32 v34, 0xffff, v21
	v_lshrrev_b32_e32 v23, 19, v23
	v_lshrrev_b32_e32 v24, 19, v24
	;; [unrolled: 1-line block ×3, first 2 shown]
	v_mul_u32_u24_e32 v33, 0xcccd, v33
	v_lshrrev_b32_e32 v32, 19, v32
	v_mul_u32_u24_e32 v34, 0xcccd, v34
	v_cmp_ne_u16_e32 vcc_lo, v23, v24
	v_and_b32_e32 v35, 0xffff, v39
	v_lshrrev_b32_e32 v33, 19, v33
	v_and_b32_e32 v36, 0xffff, v40
	v_lshrrev_b32_e32 v34, 19, v34
	v_cndmask_b32_e64 v24, 0, 1, vcc_lo
	v_cmp_ne_u16_e32 vcc_lo, v30, v23
	v_and_b32_e32 v42, 0xffff, v19
	v_mul_u32_u24_e32 v35, 0xcccd, v35
	v_and_b32_e32 v44, 0xffff, v41
	v_mul_u32_u24_e32 v36, 0xcccd, v36
	v_cndmask_b32_e64 v23, 0, 1, vcc_lo
	v_cmp_ne_u16_e32 vcc_lo, v32, v30
	v_mul_u32_u24_e32 v42, 0xcccd, v42
	v_lshrrev_b32_e32 v35, 19, v35
	v_and_b32_e32 v43, 0xffff, v20
	v_mul_u32_u24_e32 v44, 0xcccd, v44
	v_cndmask_b32_e64 v30, 0, 1, vcc_lo
	v_cmp_ne_u16_e32 vcc_lo, v33, v32
	v_lshrrev_b32_e32 v36, 19, v36
	v_lshrrev_b32_e32 v42, 19, v42
	v_mul_u32_u24_e32 v43, 0xcccd, v43
	v_lshrrev_b32_e32 v44, 19, v44
	v_cndmask_b32_e64 v32, 0, 1, vcc_lo
	v_cmp_ne_u16_e32 vcc_lo, v34, v33
	v_and_b32_e32 v45, 0xffff, v18
	v_lshrrev_b32_e32 v43, 19, v43
	s_waitcnt lgkmcnt(0)
	v_and_b32_e32 v22, 0xffff, v22
	v_lshlrev_b16 v30, 8, v30
	v_cndmask_b32_e64 v33, 0, 1, vcc_lo
	v_cmp_ne_u16_e32 vcc_lo, v35, v34
	v_mul_u32_u24_e32 v45, 0xcccd, v45
	v_lshlrev_b16 v24, 8, v24
	v_mul_u32_u24_e32 v22, 0xcccd, v22
	v_lshlrev_b16 v33, 8, v33
	v_cndmask_b32_e64 v34, 0, 1, vcc_lo
	v_cmp_ne_u16_e32 vcc_lo, v42, v36
	v_lshrrev_b32_e32 v45, 19, v45
	v_or_b32_e32 v30, v32, v30
	v_or_b32_e32 v23, v23, v24
	;; [unrolled: 1-line block ×3, first 2 shown]
	v_cndmask_b32_e64 v46, 0, 1, vcc_lo
	v_cmp_ne_u16_e32 vcc_lo, v44, v42
	v_lshrrev_b32_e32 v22, 19, v22
	v_and_b32_e32 v30, 0xffff, v30
	v_lshlrev_b32_e32 v33, 16, v33
	v_lshlrev_b16 v46, 8, v46
	v_cndmask_b32_e64 v42, 0, 1, vcc_lo
	v_cmp_ne_u16_e32 vcc_lo, v43, v35
	v_lshlrev_b32_e32 v34, 16, v23
	v_cmp_ne_u16_e64 s4, v22, v45
	s_delay_alu instid0(VALU_DEP_4) | instskip(SKIP_2) | instid1(VALU_DEP_3)
	v_or_b32_e32 v42, v42, v46
	v_cndmask_b32_e64 v35, 0, 1, vcc_lo
	v_cmp_ne_u16_e32 vcc_lo, v36, v43
	v_lshlrev_b32_e32 v42, 16, v42
	s_delay_alu instid0(VALU_DEP_3) | instskip(SKIP_2) | instid1(VALU_DEP_2)
	v_lshlrev_b16 v35, 8, v35
	v_cndmask_b32_e64 v36, 0, 1, vcc_lo
	v_cmp_ne_u16_e32 vcc_lo, v45, v44
	v_or_b32_e32 v35, v36, v35
	v_cndmask_b32_e64 v43, 0, 1, vcc_lo
	v_or_b32_e32 v36, v30, v34
	s_delay_alu instid0(VALU_DEP_3) | instskip(NEXT) | instid1(VALU_DEP_3)
	v_and_b32_e32 v32, 0xffff, v35
	v_lshlrev_b16 v43, 8, v43
	s_delay_alu instid0(VALU_DEP_2) | instskip(NEXT) | instid1(VALU_DEP_2)
	v_or_b32_e32 v23, v32, v33
	v_and_b32_e32 v24, 0xffff, v43
	s_delay_alu instid0(VALU_DEP_1)
	v_or_b32_e32 v22, v24, v42
	s_and_b32 vcc_lo, exec_lo, s2
	s_cbranch_vccnz .LBB329_63
	s_branch .LBB329_90
.LBB329_61:
                                        ; implicit-def: $sgpr4
                                        ; implicit-def: $vgpr36
                                        ; implicit-def: $vgpr22_vgpr23_vgpr24
	s_branch .LBB329_91
.LBB329_62:
                                        ; implicit-def: $sgpr4
                                        ; implicit-def: $vgpr36
                                        ; implicit-def: $vgpr22_vgpr23_vgpr24
	s_and_b32 vcc_lo, exec_lo, s2
	s_cbranch_vccz .LBB329_90
.LBB329_63:
	s_mov_b32 s4, 0
	s_mov_b32 s2, 0
	s_mov_b32 s5, exec_lo
	v_cmpx_gt_u32_e64 s19, v9
; %bb.64:
	v_and_b32_e32 v22, 0xffff, v28
	v_and_b32_e32 v23, 0xffff, v31
	s_delay_alu instid0(VALU_DEP_2) | instskip(NEXT) | instid1(VALU_DEP_2)
	v_mul_u32_u24_e32 v22, 0xcccd, v22
	v_mul_u32_u24_e32 v23, 0xcccd, v23
	s_delay_alu instid0(VALU_DEP_2) | instskip(NEXT) | instid1(VALU_DEP_2)
	v_lshrrev_b32_e32 v22, 19, v22
	v_lshrrev_b32_e32 v23, 19, v23
	s_delay_alu instid0(VALU_DEP_1)
	v_cmp_ne_u16_e32 vcc_lo, v22, v23
	s_and_b32 s2, vcc_lo, exec_lo
; %bb.65:
	s_or_b32 exec_lo, exec_lo, s5
	s_delay_alu instid0(SALU_CYCLE_1)
	s_mov_b32 s5, exec_lo
	v_cmpx_gt_u32_e64 s19, v8
; %bb.66:
	v_and_b32_e32 v22, 0xffff, v37
	v_and_b32_e32 v23, 0xffff, v28
	s_delay_alu instid0(VALU_DEP_2) | instskip(NEXT) | instid1(VALU_DEP_2)
	v_mul_u32_u24_e32 v22, 0xcccd, v22
	v_mul_u32_u24_e32 v23, 0xcccd, v23
	s_delay_alu instid0(VALU_DEP_2) | instskip(NEXT) | instid1(VALU_DEP_2)
	v_lshrrev_b32_e32 v22, 19, v22
	v_lshrrev_b32_e32 v23, 19, v23
	s_delay_alu instid0(VALU_DEP_1)
	v_cmp_ne_u16_e32 vcc_lo, v22, v23
	s_and_b32 s4, vcc_lo, exec_lo
; %bb.67:
	s_or_b32 exec_lo, exec_lo, s5
	s_mov_b32 s6, 0
	s_mov_b32 s5, 0
	s_mov_b32 s7, exec_lo
	v_cmpx_gt_u32_e64 s19, v10
; %bb.68:
	v_and_b32_e32 v22, 0xffff, v27
	v_and_b32_e32 v23, 0xffff, v37
	s_delay_alu instid0(VALU_DEP_2) | instskip(NEXT) | instid1(VALU_DEP_2)
	v_mul_u32_u24_e32 v22, 0xcccd, v22
	v_mul_u32_u24_e32 v23, 0xcccd, v23
	s_delay_alu instid0(VALU_DEP_2) | instskip(NEXT) | instid1(VALU_DEP_2)
	v_lshrrev_b32_e32 v22, 19, v22
	v_lshrrev_b32_e32 v23, 19, v23
	s_delay_alu instid0(VALU_DEP_1)
	v_cmp_ne_u16_e32 vcc_lo, v22, v23
	s_and_b32 s5, vcc_lo, exec_lo
; %bb.69:
	s_or_b32 exec_lo, exec_lo, s7
	s_delay_alu instid0(SALU_CYCLE_1)
	s_mov_b32 s7, exec_lo
	v_cmpx_gt_u32_e64 s19, v11
; %bb.70:
	v_and_b32_e32 v22, 0xffff, v38
	v_and_b32_e32 v23, 0xffff, v27
	s_delay_alu instid0(VALU_DEP_2) | instskip(NEXT) | instid1(VALU_DEP_2)
	v_mul_u32_u24_e32 v22, 0xcccd, v22
	v_mul_u32_u24_e32 v23, 0xcccd, v23
	s_delay_alu instid0(VALU_DEP_2) | instskip(NEXT) | instid1(VALU_DEP_2)
	v_lshrrev_b32_e32 v22, 19, v22
	v_lshrrev_b32_e32 v23, 19, v23
	s_delay_alu instid0(VALU_DEP_1)
	v_cmp_ne_u16_e32 vcc_lo, v22, v23
	s_and_b32 s6, vcc_lo, exec_lo
; %bb.71:
	s_or_b32 exec_lo, exec_lo, s7
	;; [unrolled: 35-line block ×5, first 2 shown]
	s_mov_b32 s22, 0
	s_mov_b32 s23, exec_lo
	v_cmpx_gt_u32_e64 s19, v12
; %bb.84:
	v_and_b32_e32 v22, 0xffff, v18
	v_and_b32_e32 v23, 0xffff, v41
	s_delay_alu instid0(VALU_DEP_2) | instskip(NEXT) | instid1(VALU_DEP_2)
	v_mul_u32_u24_e32 v22, 0xcccd, v22
	v_mul_u32_u24_e32 v23, 0xcccd, v23
	s_delay_alu instid0(VALU_DEP_2) | instskip(NEXT) | instid1(VALU_DEP_2)
	v_lshrrev_b32_e32 v22, 19, v22
	v_lshrrev_b32_e32 v23, 19, v23
	s_delay_alu instid0(VALU_DEP_1)
	v_cmp_ne_u16_e32 vcc_lo, v22, v23
	s_and_b32 s22, vcc_lo, exec_lo
; %bb.85:
	s_or_b32 exec_lo, exec_lo, s23
	s_delay_alu instid0(SALU_CYCLE_1)
	s_mov_b32 s23, exec_lo
	s_waitcnt vmcnt(0) lgkmcnt(0)
	s_barrier
	buffer_gl0_inv
	v_cmpx_ne_u32_e32 0, v0
	s_cbranch_execz .LBB329_87
; %bb.86:
	v_add_nc_u32_e32 v13, -2, v29
	ds_load_u16 v13, v13
.LBB329_87:
	s_or_b32 exec_lo, exec_lo, s23
	v_cndmask_b32_e64 v24, 0, 1, s20
	v_cndmask_b32_e64 v30, 0, 1, s12
	;; [unrolled: 1-line block ×11, first 2 shown]
	v_lshlrev_b16 v24, 8, v24
	v_lshlrev_b16 v30, 8, v30
	;; [unrolled: 1-line block ×6, first 2 shown]
	v_or_b32_e32 v23, v23, v24
	v_or_b32_e32 v24, v29, v30
	v_or_b32_e32 v29, v32, v33
	v_or_b32_e32 v30, v34, v35
	v_or_b32_e32 v32, v36, v42
	v_and_b32_e32 v22, 0xffff, v22
	v_lshlrev_b32_e32 v23, 16, v23
	v_and_b32_e32 v24, 0xffff, v24
	v_lshlrev_b32_e32 v29, 16, v29
	;; [unrolled: 2-line block ×3, first 2 shown]
	s_mov_b32 s4, 0
	s_mov_b32 s2, exec_lo
	v_cmpx_gt_u32_e64 s19, v1
	s_cbranch_execz .LBB329_89
; %bb.88:
	s_waitcnt lgkmcnt(0)
	v_and_b32_e32 v13, 0xffff, v13
	v_and_b32_e32 v33, 0xffff, v18
	s_delay_alu instid0(VALU_DEP_2) | instskip(NEXT) | instid1(VALU_DEP_2)
	v_mul_u32_u24_e32 v13, 0xcccd, v13
	v_mul_u32_u24_e32 v33, 0xcccd, v33
	s_delay_alu instid0(VALU_DEP_2) | instskip(NEXT) | instid1(VALU_DEP_2)
	v_lshrrev_b32_e32 v13, 19, v13
	v_lshrrev_b32_e32 v33, 19, v33
	s_delay_alu instid0(VALU_DEP_1)
	v_cmp_ne_u16_e32 vcc_lo, v13, v33
	s_and_b32 s4, vcc_lo, exec_lo
.LBB329_89:
	s_or_b32 exec_lo, exec_lo, s2
	v_or_b32_e32 v22, v22, v23
	v_or_b32_e32 v23, v24, v29
	;; [unrolled: 1-line block ×3, first 2 shown]
.LBB329_90:
	s_mov_b32 s2, -1
	s_cbranch_execnz .LBB329_123
.LBB329_91:
	s_waitcnt vmcnt(0) lgkmcnt(0)
	v_lshlrev_b32_e32 v13, 1, v0
	v_and_b32_e32 v45, 0xffff, v28
	v_and_b32_e32 v44, 0xffff, v37
	;; [unrolled: 1-line block ×10, first 2 shown]
	s_and_b32 vcc_lo, exec_lo, s18
	ds_store_b16 v13, v31
	s_cbranch_vccz .LBB329_95
; %bb.92:
	v_and_b32_e32 v22, 0xffff, v31
	v_mul_u32_u24_e32 v23, 0xcccd, v45
	v_mul_u32_u24_e32 v24, 0xcccd, v44
	v_mul_u32_u24_e32 v36, 0xcccd, v43
	v_mul_u32_u24_e32 v46, 0xcccd, v42
	v_mul_u32_u24_e32 v22, 0xcccd, v22
	v_lshrrev_b32_e32 v23, 19, v23
	v_lshrrev_b32_e32 v24, 19, v24
	;; [unrolled: 1-line block ×3, first 2 shown]
	v_mul_u32_u24_e32 v47, 0xcccd, v35
	v_lshrrev_b32_e32 v22, 19, v22
	v_lshrrev_b32_e32 v46, 19, v46
	v_cmp_ne_u16_e32 vcc_lo, v24, v23
	v_mul_u32_u24_e32 v49, 0xcccd, v33
	v_lshrrev_b32_e32 v47, 19, v47
	v_mul_u32_u24_e32 v50, 0xcccd, v32
	v_mul_u32_u24_e32 v51, 0xcccd, v30
	v_cndmask_b32_e64 v48, 0, 1, vcc_lo
	v_cmp_ne_u16_e32 vcc_lo, v23, v22
	v_lshrrev_b32_e32 v49, 19, v49
	v_lshrrev_b32_e32 v50, 19, v50
	v_and_b32_e32 v52, 0xffff, v18
	v_lshrrev_b32_e32 v51, 19, v51
	v_cndmask_b32_e64 v22, 0, 1, vcc_lo
	v_cmp_ne_u16_e32 vcc_lo, v36, v24
	v_mul_u32_u24_e32 v24, 0xcccd, v34
	v_mul_u32_u24_e32 v52, 0xcccd, v52
	s_mov_b32 s5, 0
	v_lshlrev_b16 v22, 8, v22
	v_cndmask_b32_e64 v23, 0, 1, vcc_lo
	v_cmp_ne_u16_e32 vcc_lo, v46, v36
	v_lshrrev_b32_e32 v24, 19, v24
	s_mov_b32 s6, exec_lo
	v_or_b32_e32 v22, v48, v22
	v_lshlrev_b16 v23, 8, v23
	v_cndmask_b32_e64 v36, 0, 1, vcc_lo
	v_cmp_ne_u16_e32 vcc_lo, v47, v46
	s_waitcnt lgkmcnt(0)
	v_lshlrev_b32_e32 v22, 16, v22
	s_barrier
	v_or_b32_e32 v23, v36, v23
	v_cndmask_b32_e64 v46, 0, 1, vcc_lo
	v_cmp_ne_u16_e32 vcc_lo, v24, v47
	buffer_gl0_inv
                                        ; implicit-def: $sgpr4
	v_and_b32_e32 v23, 0xffff, v23
	v_lshlrev_b16 v46, 8, v46
	v_cndmask_b32_e64 v47, 0, 1, vcc_lo
	v_cmp_ne_u16_e32 vcc_lo, v49, v24
	v_mul_u32_u24_e32 v24, 0xcccd, v29
	s_delay_alu instid0(VALU_DEP_3) | instskip(SKIP_2) | instid1(VALU_DEP_4)
	v_or_b32_e32 v46, v47, v46
	v_cndmask_b32_e64 v53, 0, 1, vcc_lo
	v_cmp_ne_u16_e32 vcc_lo, v50, v49
	v_lshrrev_b32_e32 v54, 19, v24
	v_lshrrev_b32_e32 v24, 19, v52
	v_lshlrev_b32_e32 v46, 16, v46
	v_lshlrev_b16 v52, 8, v53
	v_cndmask_b32_e64 v49, 0, 1, vcc_lo
	v_cmp_ne_u16_e32 vcc_lo, v51, v50
	s_delay_alu instid0(VALU_DEP_2) | instskip(SKIP_2) | instid1(VALU_DEP_3)
	v_or_b32_e32 v48, v49, v52
	v_cndmask_b32_e64 v50, 0, 1, vcc_lo
	v_cmp_ne_u16_e32 vcc_lo, v54, v51
	v_and_b32_e32 v48, 0xffff, v48
	s_delay_alu instid0(VALU_DEP_3) | instskip(SKIP_2) | instid1(VALU_DEP_2)
	v_lshlrev_b16 v50, 8, v50
	v_cndmask_b32_e64 v36, 0, 1, vcc_lo
	v_cmp_ne_u16_e32 vcc_lo, v24, v54
	v_or_b32_e32 v36, v36, v50
	v_cndmask_b32_e64 v51, 0, 1, vcc_lo
	s_delay_alu instid0(VALU_DEP_2) | instskip(NEXT) | instid1(VALU_DEP_2)
	v_lshlrev_b32_e32 v49, 16, v36
	v_lshlrev_b16 v51, 8, v51
	v_or_b32_e32 v36, v23, v22
	v_or_b32_e32 v23, v48, v46
	s_delay_alu instid0(VALU_DEP_3) | instskip(NEXT) | instid1(VALU_DEP_1)
	v_or_b32_e32 v47, 1, v51
	v_and_b32_e32 v47, 0xffff, v47
	s_delay_alu instid0(VALU_DEP_1)
	v_or_b32_e32 v22, v47, v49
	v_cmpx_ne_u32_e32 0, v0
	s_xor_b32 s6, exec_lo, s6
	s_cbranch_execz .LBB329_94
; %bb.93:
	v_add_nc_u32_e32 v46, -2, v13
	s_or_b32 s2, s2, exec_lo
	ds_load_u16 v46, v46
	s_waitcnt lgkmcnt(0)
	v_mul_u32_u24_e32 v46, 0xcccd, v46
	s_delay_alu instid0(VALU_DEP_1) | instskip(NEXT) | instid1(VALU_DEP_1)
	v_lshrrev_b32_e32 v46, 19, v46
	v_cmp_ne_u16_e32 vcc_lo, v46, v24
	s_and_b32 s4, vcc_lo, exec_lo
.LBB329_94:
	s_or_b32 exec_lo, exec_lo, s6
	s_delay_alu instid0(SALU_CYCLE_1)
	s_and_b32 vcc_lo, exec_lo, s5
	s_cbranch_vccnz .LBB329_96
	s_branch .LBB329_123
.LBB329_95:
                                        ; implicit-def: $sgpr4
                                        ; implicit-def: $vgpr36
                                        ; implicit-def: $vgpr22_vgpr23_vgpr24
	s_cbranch_execz .LBB329_123
.LBB329_96:
	s_mov_b32 s4, 0
	s_mov_b32 s5, 0
	s_mov_b32 s6, exec_lo
	v_cmpx_gt_u32_e64 s19, v9
; %bb.97:
	v_and_b32_e32 v22, 0xffff, v31
	v_mul_u32_u24_e32 v23, 0xcccd, v45
	s_delay_alu instid0(VALU_DEP_2) | instskip(NEXT) | instid1(VALU_DEP_2)
	v_mul_u32_u24_e32 v22, 0xcccd, v22
	v_lshrrev_b32_e32 v23, 19, v23
	s_delay_alu instid0(VALU_DEP_2) | instskip(NEXT) | instid1(VALU_DEP_1)
	v_lshrrev_b32_e32 v22, 19, v22
	v_cmp_ne_u16_e32 vcc_lo, v23, v22
	s_and_b32 s5, vcc_lo, exec_lo
; %bb.98:
	s_or_b32 exec_lo, exec_lo, s6
	s_delay_alu instid0(SALU_CYCLE_1)
	s_mov_b32 s6, exec_lo
	v_cmpx_gt_u32_e64 s19, v8
; %bb.99:
	v_mul_u32_u24_e32 v22, 0xcccd, v44
	v_mul_u32_u24_e32 v23, 0xcccd, v45
	s_delay_alu instid0(VALU_DEP_2) | instskip(NEXT) | instid1(VALU_DEP_2)
	v_lshrrev_b32_e32 v22, 19, v22
	v_lshrrev_b32_e32 v23, 19, v23
	s_delay_alu instid0(VALU_DEP_1)
	v_cmp_ne_u16_e32 vcc_lo, v22, v23
	s_and_b32 s4, vcc_lo, exec_lo
; %bb.100:
	s_or_b32 exec_lo, exec_lo, s6
	s_mov_b32 s6, 0
	s_mov_b32 s7, 0
	s_mov_b32 s9, exec_lo
	v_cmpx_gt_u32_e64 s19, v10
; %bb.101:
	v_mul_u32_u24_e32 v22, 0xcccd, v43
	v_mul_u32_u24_e32 v23, 0xcccd, v44
	s_delay_alu instid0(VALU_DEP_2) | instskip(NEXT) | instid1(VALU_DEP_2)
	v_lshrrev_b32_e32 v22, 19, v22
	v_lshrrev_b32_e32 v23, 19, v23
	s_delay_alu instid0(VALU_DEP_1)
	v_cmp_ne_u16_e32 vcc_lo, v22, v23
	s_and_b32 s7, vcc_lo, exec_lo
; %bb.102:
	s_or_b32 exec_lo, exec_lo, s9
	s_delay_alu instid0(SALU_CYCLE_1)
	s_mov_b32 s9, exec_lo
	v_cmpx_gt_u32_e64 s19, v11
; %bb.103:
	v_mul_u32_u24_e32 v22, 0xcccd, v42
	v_mul_u32_u24_e32 v23, 0xcccd, v43
	s_delay_alu instid0(VALU_DEP_2) | instskip(NEXT) | instid1(VALU_DEP_2)
	v_lshrrev_b32_e32 v22, 19, v22
	v_lshrrev_b32_e32 v23, 19, v23
	s_delay_alu instid0(VALU_DEP_1)
	v_cmp_ne_u16_e32 vcc_lo, v22, v23
	s_and_b32 s6, vcc_lo, exec_lo
; %bb.104:
	s_or_b32 exec_lo, exec_lo, s9
	s_mov_b32 s12, 0
	s_mov_b32 s9, 0
	s_mov_b32 s13, exec_lo
	v_cmpx_gt_u32_e64 s19, v2
; %bb.105:
	v_mul_u32_u24_e32 v22, 0xcccd, v35
	v_mul_u32_u24_e32 v23, 0xcccd, v42
	s_delay_alu instid0(VALU_DEP_2) | instskip(NEXT) | instid1(VALU_DEP_2)
	v_lshrrev_b32_e32 v22, 19, v22
	v_lshrrev_b32_e32 v23, 19, v23
	s_delay_alu instid0(VALU_DEP_1)
	;; [unrolled: 29-line block ×4, first 2 shown]
	v_cmp_ne_u16_e32 vcc_lo, v22, v23
	s_and_b32 s21, vcc_lo, exec_lo
; %bb.114:
	s_or_b32 exec_lo, exec_lo, s23
	s_delay_alu instid0(SALU_CYCLE_1)
	s_mov_b32 s23, exec_lo
	v_cmpx_gt_u32_e64 s19, v6
; %bb.115:
	v_mul_u32_u24_e32 v22, 0xcccd, v29
	v_mul_u32_u24_e32 v23, 0xcccd, v30
	s_delay_alu instid0(VALU_DEP_2) | instskip(NEXT) | instid1(VALU_DEP_2)
	v_lshrrev_b32_e32 v22, 19, v22
	v_lshrrev_b32_e32 v23, 19, v23
	s_delay_alu instid0(VALU_DEP_1)
	v_cmp_ne_u16_e32 vcc_lo, v22, v23
	s_and_b32 s22, vcc_lo, exec_lo
; %bb.116:
	s_or_b32 exec_lo, exec_lo, s23
	s_mov_b32 s23, 0
	s_mov_b32 s24, exec_lo
	v_cmpx_gt_u32_e64 s19, v12
; %bb.117:
	v_and_b32_e32 v22, 0xffff, v18
	v_mul_u32_u24_e32 v23, 0xcccd, v29
	s_delay_alu instid0(VALU_DEP_2) | instskip(NEXT) | instid1(VALU_DEP_2)
	v_mul_u32_u24_e32 v22, 0xcccd, v22
	v_lshrrev_b32_e32 v23, 19, v23
	s_delay_alu instid0(VALU_DEP_2) | instskip(NEXT) | instid1(VALU_DEP_1)
	v_lshrrev_b32_e32 v22, 19, v22
	v_cmp_ne_u16_e32 vcc_lo, v22, v23
	s_and_b32 s23, vcc_lo, exec_lo
; %bb.118:
	s_or_b32 exec_lo, exec_lo, s24
	v_cndmask_b32_e64 v22, 0, 1, s7
	v_cndmask_b32_e64 v24, 0, 1, s21
	;; [unrolled: 1-line block ×5, first 2 shown]
	v_lshlrev_b16 v22, 8, v22
	v_cndmask_b32_e64 v35, 0, 1, s9
	v_cndmask_b32_e64 v36, 0, 1, s23
	;; [unrolled: 1-line block ×5, first 2 shown]
	v_or_b32_e32 v22, v30, v22
	v_cndmask_b32_e64 v30, 0, 1, s4
	v_lshlrev_b16 v34, 8, v34
	v_lshlrev_b16 v32, 8, v32
	;; [unrolled: 1-line block ×5, first 2 shown]
	v_or_b32_e32 v30, v30, v34
	v_or_b32_e32 v29, v29, v32
	;; [unrolled: 1-line block ×5, first 2 shown]
	v_and_b32_e32 v22, 0xffff, v22
	v_lshlrev_b32_e32 v24, 16, v30
	v_and_b32_e32 v29, 0xffff, v29
	v_lshlrev_b32_e32 v30, 16, v32
	;; [unrolled: 2-line block ×3, first 2 shown]
	v_or_b32_e32 v36, v22, v24
	s_mov_b32 s5, exec_lo
	v_or_b32_e32 v23, v29, v30
	s_waitcnt lgkmcnt(0)
	v_or_b32_e32 v22, v32, v33
	s_barrier
	buffer_gl0_inv
                                        ; implicit-def: $sgpr4
	v_cmpx_ne_u32_e32 0, v0
	s_cbranch_execz .LBB329_122
; %bb.119:
	s_mov_b32 s6, 0
	s_mov_b32 s4, exec_lo
	v_cmpx_gt_u32_e64 s19, v1
	s_cbranch_execz .LBB329_121
; %bb.120:
	v_add_nc_u32_e32 v13, -2, v13
	v_and_b32_e32 v24, 0xffff, v18
	ds_load_u16 v13, v13
	v_mul_u32_u24_e32 v24, 0xcccd, v24
	s_delay_alu instid0(VALU_DEP_1) | instskip(SKIP_2) | instid1(VALU_DEP_1)
	v_lshrrev_b32_e32 v24, 19, v24
	s_waitcnt lgkmcnt(0)
	v_mul_u32_u24_e32 v13, 0xcccd, v13
	v_lshrrev_b32_e32 v13, 19, v13
	s_delay_alu instid0(VALU_DEP_1)
	v_cmp_ne_u16_e32 vcc_lo, v13, v24
	s_and_b32 s6, vcc_lo, exec_lo
.LBB329_121:
	s_or_b32 exec_lo, exec_lo, s4
	s_delay_alu instid0(SALU_CYCLE_1)
	s_and_b32 s4, s6, exec_lo
	s_or_b32 s2, s2, exec_lo
.LBB329_122:
	s_or_b32 exec_lo, exec_lo, s5
.LBB329_123:
	s_and_saveexec_b32 s5, s2
	s_cbranch_execz .LBB329_125
; %bb.124:
	s_waitcnt vmcnt(0) lgkmcnt(0)
	v_and_b32_e32 v13, 0xffffff00, v22
	v_cndmask_b32_e64 v24, 0, 1, s4
	s_delay_alu instid0(VALU_DEP_1) | instskip(NEXT) | instid1(VALU_DEP_1)
	v_or_b32_e32 v13, v24, v13
	v_and_b32_e32 v13, 0xffff, v13
	s_delay_alu instid0(VALU_DEP_1)
	v_and_or_b32 v22, 0xffff0000, v22, v13
.LBB329_125:
	s_or_b32 exec_lo, exec_lo, s5
	s_load_b64 s[12:13], s[0:1], 0x60
	s_and_not1_b32 vcc_lo, exec_lo, s3
	s_cbranch_vccnz .LBB329_127
; %bb.126:
	v_cmp_gt_u32_e32 vcc_lo, s19, v1
	v_cmp_gt_u32_e64 s3, s19, v6
	v_cmp_gt_u32_e64 s5, s19, v4
	v_cmp_gt_u32_e64 s2, s19, v7
	v_cmp_gt_u32_e64 s4, s19, v5
	v_cndmask_b32_e32 v1, 0, v22, vcc_lo
	v_cmp_gt_u32_e32 vcc_lo, s19, v12
	v_and_b32_e32 v12, 0xffffff00, v23
	v_cmp_gt_u32_e64 s6, s19, v3
	s_delay_alu instid0(VALU_DEP_4) | instskip(NEXT) | instid1(VALU_DEP_3)
	v_and_b32_e32 v1, 0xff, v1
	v_cndmask_b32_e64 v7, v12, v23, s2
	s_delay_alu instid0(VALU_DEP_2) | instskip(SKIP_1) | instid1(VALU_DEP_3)
	v_cndmask_b32_e32 v1, v1, v22, vcc_lo
	v_cmp_gt_u32_e32 vcc_lo, s19, v11
	v_and_b32_e32 v7, 0xffff00ff, v7
	s_delay_alu instid0(VALU_DEP_3) | instskip(SKIP_1) | instid1(VALU_DEP_3)
	v_and_b32_e32 v1, 0xffff, v1
	v_cndmask_b32_e32 v11, 0, v36, vcc_lo
	v_cndmask_b32_e64 v5, v7, v23, s4
	s_delay_alu instid0(VALU_DEP_3) | instskip(SKIP_1) | instid1(VALU_DEP_3)
	v_cndmask_b32_e64 v1, v1, v22, s3
	v_cmp_gt_u32_e64 s3, s19, v10
	v_and_b32_e32 v5, 0xff00ffff, v5
	s_delay_alu instid0(VALU_DEP_3) | instskip(NEXT) | instid1(VALU_DEP_2)
	v_and_b32_e32 v1, 0xffffff, v1
	v_cndmask_b32_e64 v3, v5, v23, s6
	s_delay_alu instid0(VALU_DEP_2) | instskip(SKIP_1) | instid1(VALU_DEP_2)
	v_cndmask_b32_e64 v1, v1, v22, s5
	v_cmp_gt_u32_e64 s5, s19, v8
	v_cndmask_b32_e64 v1, v1, v22, s2
	v_cmp_gt_u32_e64 s2, s19, v9
	s_delay_alu instid0(VALU_DEP_2) | instskip(SKIP_2) | instid1(VALU_DEP_3)
	v_cndmask_b32_e64 v1, v1, v22, s4
	v_cmp_gt_u32_e64 s4, s19, v2
	v_and_b32_e32 v2, 0xffffff, v3
	v_cndmask_b32_e64 v1, v1, v22, s6
	v_and_b32_e32 v11, 0xff, v11
	s_delay_alu instid0(VALU_DEP_1) | instskip(NEXT) | instid1(VALU_DEP_1)
	v_cndmask_b32_e64 v6, v11, v36, s3
	v_and_b32_e32 v6, 0xffff, v6
	s_delay_alu instid0(VALU_DEP_1) | instskip(NEXT) | instid1(VALU_DEP_1)
	v_cndmask_b32_e64 v4, v6, v36, s5
	v_and_b32_e32 v4, 0xffffff, v4
	s_delay_alu instid0(VALU_DEP_1) | instskip(SKIP_1) | instid1(SALU_CYCLE_1)
	v_cndmask_b32_e64 v36, v4, v36, s2
	s_or_b32 s2, s2, s5
	s_or_b32 s2, s2, s3
	s_delay_alu instid0(SALU_CYCLE_1) | instskip(NEXT) | instid1(SALU_CYCLE_1)
	s_or_b32 s2, s2, vcc_lo
	s_or_b32 vcc_lo, s2, s4
	v_dual_cndmask_b32 v22, v1, v22 :: v_dual_cndmask_b32 v23, v2, v23
.LBB329_127:
	s_delay_alu instid0(VALU_DEP_1) | instskip(NEXT) | instid1(VALU_DEP_2)
	v_and_b32_e32 v42, 0xff, v22
	v_alignbit_b32 v1, v23, v22, 24
	v_bfe_u32 v43, v22, 8, 8
	v_bfe_u32 v44, v22, 16, 8
	v_and_b32_e32 v46, 0xff, v23
	v_bfe_u32 v47, v23, 8, 8
	v_and_b32_e32 v45, 0xff, v1
	v_dual_mov_b32 v1, v36 :: v_dual_add_nc_u32 v2, v43, v42
	v_bfe_u32 v48, v23, 16, 8
	v_lshrrev_b32_e32 v24, 24, v23
	v_and_b32_e32 v49, 0xff, v36
	v_mbcnt_lo_u32_b32 v52, -1, 0
	v_add3_u32 v2, v2, v44, v45
	v_bfe_u32 v50, v36, 8, 8
	v_alignbit_b32 v3, s0, v36, 24
	v_bfe_u32 v51, v36, 16, 8
	v_and_b32_e32 v4, 15, v52
	v_add3_u32 v2, v2, v46, v47
	v_or_b32_e32 v5, 31, v0
	v_and_b32_e32 v3, 0xff, v3
	v_and_b32_e32 v6, 16, v52
	v_cmp_eq_u32_e64 s7, 0, v4
	v_add3_u32 v2, v2, v48, v24
	v_cmp_lt_u32_e64 s6, 1, v4
	v_cmp_lt_u32_e64 s5, 3, v4
	v_cmp_lt_u32_e64 s4, 7, v4
	v_cmp_eq_u32_e64 s3, 0, v6
	v_add3_u32 v2, v2, v49, v50
	v_lshrrev_b32_e32 v53, 5, v0
	v_cmp_eq_u32_e64 s2, v5, v0
	s_and_b32 vcc_lo, exec_lo, s8
	s_mov_b32 s8, -1
	v_add3_u32 v54, v2, v51, v3
	s_waitcnt vmcnt(0) lgkmcnt(0)
	s_barrier
	buffer_gl0_inv
	s_cbranch_vccz .LBB329_158
; %bb.128:
	v_mov_b32_dpp v2, v54 row_shr:1 row_mask:0xf bank_mask:0xf
	s_delay_alu instid0(VALU_DEP_1) | instskip(NEXT) | instid1(VALU_DEP_1)
	v_cndmask_b32_e64 v2, v2, 0, s7
	v_add_nc_u32_e32 v2, v2, v54
	s_delay_alu instid0(VALU_DEP_1) | instskip(NEXT) | instid1(VALU_DEP_1)
	v_mov_b32_dpp v3, v2 row_shr:2 row_mask:0xf bank_mask:0xf
	v_cndmask_b32_e64 v3, 0, v3, s6
	s_delay_alu instid0(VALU_DEP_1) | instskip(NEXT) | instid1(VALU_DEP_1)
	v_add_nc_u32_e32 v2, v2, v3
	v_mov_b32_dpp v3, v2 row_shr:4 row_mask:0xf bank_mask:0xf
	s_delay_alu instid0(VALU_DEP_1) | instskip(NEXT) | instid1(VALU_DEP_1)
	v_cndmask_b32_e64 v3, 0, v3, s5
	v_add_nc_u32_e32 v2, v2, v3
	s_delay_alu instid0(VALU_DEP_1) | instskip(NEXT) | instid1(VALU_DEP_1)
	v_mov_b32_dpp v3, v2 row_shr:8 row_mask:0xf bank_mask:0xf
	v_cndmask_b32_e64 v3, 0, v3, s4
	s_delay_alu instid0(VALU_DEP_1) | instskip(SKIP_3) | instid1(VALU_DEP_1)
	v_add_nc_u32_e32 v2, v2, v3
	ds_swizzle_b32 v3, v2 offset:swizzle(BROADCAST,32,15)
	s_waitcnt lgkmcnt(0)
	v_cndmask_b32_e64 v3, v3, 0, s3
	v_add_nc_u32_e32 v2, v2, v3
	s_and_saveexec_b32 s8, s2
	s_cbranch_execz .LBB329_130
; %bb.129:
	v_lshlrev_b32_e32 v3, 2, v53
	ds_store_b32 v3, v2
.LBB329_130:
	s_or_b32 exec_lo, exec_lo, s8
	s_delay_alu instid0(SALU_CYCLE_1)
	s_mov_b32 s8, exec_lo
	s_waitcnt lgkmcnt(0)
	s_barrier
	buffer_gl0_inv
	v_cmpx_gt_u32_e32 4, v0
	s_cbranch_execz .LBB329_132
; %bb.131:
	v_and_b32_e32 v5, 3, v52
	s_delay_alu instid0(VALU_DEP_1) | instskip(SKIP_4) | instid1(VALU_DEP_1)
	v_cmp_ne_u32_e32 vcc_lo, 0, v5
	v_lshlrev_b32_e32 v3, 2, v0
	ds_load_b32 v4, v3
	s_waitcnt lgkmcnt(0)
	v_mov_b32_dpp v6, v4 row_shr:1 row_mask:0xf bank_mask:0xf
	v_cndmask_b32_e32 v6, 0, v6, vcc_lo
	v_cmp_lt_u32_e32 vcc_lo, 1, v5
	s_delay_alu instid0(VALU_DEP_2) | instskip(NEXT) | instid1(VALU_DEP_1)
	v_add_nc_u32_e32 v4, v6, v4
	v_mov_b32_dpp v6, v4 row_shr:2 row_mask:0xf bank_mask:0xf
	s_delay_alu instid0(VALU_DEP_1) | instskip(NEXT) | instid1(VALU_DEP_1)
	v_cndmask_b32_e32 v5, 0, v6, vcc_lo
	v_add_nc_u32_e32 v4, v4, v5
	ds_store_b32 v3, v4
.LBB329_132:
	s_or_b32 exec_lo, exec_lo, s8
	v_cmp_gt_u32_e32 vcc_lo, 32, v0
	s_mov_b32 s9, exec_lo
	s_waitcnt lgkmcnt(0)
	s_barrier
	buffer_gl0_inv
                                        ; implicit-def: $vgpr10
	v_cmpx_lt_u32_e32 31, v0
	s_cbranch_execz .LBB329_134
; %bb.133:
	v_lshl_add_u32 v3, v53, 2, -4
	ds_load_b32 v10, v3
	s_waitcnt lgkmcnt(0)
	v_add_nc_u32_e32 v2, v10, v2
.LBB329_134:
	s_or_b32 exec_lo, exec_lo, s9
	v_add_nc_u32_e32 v3, -1, v52
	s_delay_alu instid0(VALU_DEP_1) | instskip(NEXT) | instid1(VALU_DEP_1)
	v_cmp_gt_i32_e64 s8, 0, v3
	v_cndmask_b32_e64 v3, v3, v52, s8
	v_cmp_eq_u32_e64 s8, 0, v52
	s_delay_alu instid0(VALU_DEP_2)
	v_lshlrev_b32_e32 v3, 2, v3
	ds_bpermute_b32 v11, v3, v2
	s_and_saveexec_b32 s9, vcc_lo
	s_cbranch_execz .LBB329_157
; %bb.135:
	v_mov_b32_e32 v6, 0
	ds_load_b32 v2, v6 offset:12
	s_and_saveexec_b32 s19, s8
	s_cbranch_execz .LBB329_137
; %bb.136:
	s_add_i32 s20, s15, 32
	s_mov_b32 s21, 0
	v_mov_b32_e32 v3, 1
	s_lshl_b64 s[20:21], s[20:21], 3
	s_delay_alu instid0(SALU_CYCLE_1)
	s_add_u32 s20, s12, s20
	s_addc_u32 s21, s13, s21
	s_waitcnt lgkmcnt(0)
	global_store_b64 v6, v[2:3], s[20:21]
.LBB329_137:
	s_or_b32 exec_lo, exec_lo, s19
	v_xad_u32 v4, v52, -1, s15
	s_mov_b32 s20, 0
	s_mov_b32 s19, exec_lo
	s_delay_alu instid0(VALU_DEP_1) | instskip(NEXT) | instid1(VALU_DEP_1)
	v_add_nc_u32_e32 v5, 32, v4
	v_lshlrev_b64 v[5:6], 3, v[5:6]
	s_delay_alu instid0(VALU_DEP_1) | instskip(NEXT) | instid1(VALU_DEP_2)
	v_add_co_u32 v8, vcc_lo, s12, v5
	v_add_co_ci_u32_e32 v9, vcc_lo, s13, v6, vcc_lo
	global_load_b64 v[6:7], v[8:9], off glc
	s_waitcnt vmcnt(0)
	v_and_b32_e32 v3, 0xff, v7
	s_delay_alu instid0(VALU_DEP_1)
	v_cmpx_eq_u16_e32 0, v3
	s_cbranch_execz .LBB329_143
; %bb.138:
	s_mov_b32 s21, 1
	.p2align	6
.LBB329_139:                            ; =>This Loop Header: Depth=1
                                        ;     Child Loop BB329_140 Depth 2
	s_delay_alu instid0(SALU_CYCLE_1)
	s_max_u32 s22, s21, 1
.LBB329_140:                            ;   Parent Loop BB329_139 Depth=1
                                        ; =>  This Inner Loop Header: Depth=2
	s_delay_alu instid0(SALU_CYCLE_1)
	s_add_i32 s22, s22, -1
	s_sleep 1
	s_cmp_eq_u32 s22, 0
	s_cbranch_scc0 .LBB329_140
; %bb.141:                              ;   in Loop: Header=BB329_139 Depth=1
	global_load_b64 v[6:7], v[8:9], off glc
	s_cmp_lt_u32 s21, 32
	s_cselect_b32 s22, -1, 0
	s_delay_alu instid0(SALU_CYCLE_1) | instskip(SKIP_3) | instid1(VALU_DEP_1)
	s_cmp_lg_u32 s22, 0
	s_addc_u32 s21, s21, 0
	s_waitcnt vmcnt(0)
	v_and_b32_e32 v3, 0xff, v7
	v_cmp_ne_u16_e32 vcc_lo, 0, v3
	s_or_b32 s20, vcc_lo, s20
	s_delay_alu instid0(SALU_CYCLE_1)
	s_and_not1_b32 exec_lo, exec_lo, s20
	s_cbranch_execnz .LBB329_139
; %bb.142:
	s_or_b32 exec_lo, exec_lo, s20
.LBB329_143:
	s_delay_alu instid0(SALU_CYCLE_1)
	s_or_b32 exec_lo, exec_lo, s19
	v_cmp_ne_u32_e32 vcc_lo, 31, v52
	v_lshlrev_b32_e64 v13, v52, -1
	v_add_nc_u32_e32 v30, 2, v52
	v_add_nc_u32_e32 v56, 16, v52
	v_add_co_ci_u32_e32 v3, vcc_lo, 0, v52, vcc_lo
	s_delay_alu instid0(VALU_DEP_1)
	v_lshlrev_b32_e32 v12, 2, v3
	v_and_b32_e32 v3, 0xff, v7
	ds_bpermute_b32 v5, v12, v6
	v_cmp_eq_u16_e32 vcc_lo, 2, v3
	v_and_or_b32 v3, vcc_lo, v13, 0x80000000
	v_cmp_gt_u32_e32 vcc_lo, 30, v52
	s_delay_alu instid0(VALU_DEP_2) | instskip(SKIP_1) | instid1(VALU_DEP_2)
	v_ctz_i32_b32_e32 v3, v3
	v_cndmask_b32_e64 v8, 0, 1, vcc_lo
	v_cmp_lt_u32_e32 vcc_lo, v52, v3
	s_waitcnt lgkmcnt(0)
	s_delay_alu instid0(VALU_DEP_2) | instskip(NEXT) | instid1(VALU_DEP_1)
	v_dual_cndmask_b32 v5, 0, v5 :: v_dual_lshlrev_b32 v8, 1, v8
	v_add_lshl_u32 v29, v8, v52, 2
	v_cmp_gt_u32_e32 vcc_lo, 28, v52
	s_delay_alu instid0(VALU_DEP_3) | instskip(SKIP_4) | instid1(VALU_DEP_1)
	v_add_nc_u32_e32 v5, v5, v6
	v_cndmask_b32_e64 v8, 0, 1, vcc_lo
	v_cmp_le_u32_e32 vcc_lo, v30, v3
	ds_bpermute_b32 v6, v29, v5
	v_lshlrev_b32_e32 v8, 2, v8
	v_add_lshl_u32 v32, v8, v52, 2
	s_waitcnt lgkmcnt(0)
	v_cndmask_b32_e32 v6, 0, v6, vcc_lo
	v_cmp_gt_u32_e32 vcc_lo, 24, v52
	s_delay_alu instid0(VALU_DEP_2) | instskip(SKIP_4) | instid1(VALU_DEP_2)
	v_add_nc_u32_e32 v5, v5, v6
	v_cndmask_b32_e64 v8, 0, 1, vcc_lo
	ds_bpermute_b32 v6, v32, v5
	v_add_nc_u32_e32 v33, 4, v52
	v_lshlrev_b32_e32 v8, 3, v8
	v_cmp_le_u32_e32 vcc_lo, v33, v3
	s_delay_alu instid0(VALU_DEP_2) | instskip(SKIP_3) | instid1(VALU_DEP_2)
	v_add_lshl_u32 v34, v8, v52, 2
	s_waitcnt lgkmcnt(0)
	v_cndmask_b32_e32 v6, 0, v6, vcc_lo
	v_cmp_gt_u32_e32 vcc_lo, 16, v52
	v_add_nc_u32_e32 v5, v5, v6
	v_cndmask_b32_e64 v8, 0, 1, vcc_lo
	ds_bpermute_b32 v6, v34, v5
	v_add_nc_u32_e32 v35, 8, v52
	v_lshlrev_b32_e32 v8, 4, v8
	s_delay_alu instid0(VALU_DEP_2) | instskip(NEXT) | instid1(VALU_DEP_2)
	v_cmp_le_u32_e32 vcc_lo, v35, v3
	v_add_lshl_u32 v55, v8, v52, 2
	s_waitcnt lgkmcnt(0)
	v_cndmask_b32_e32 v6, 0, v6, vcc_lo
	v_cmp_le_u32_e32 vcc_lo, v56, v3
	s_delay_alu instid0(VALU_DEP_2) | instskip(SKIP_3) | instid1(VALU_DEP_1)
	v_add_nc_u32_e32 v5, v5, v6
	ds_bpermute_b32 v6, v55, v5
	s_waitcnt lgkmcnt(0)
	v_cndmask_b32_e32 v3, 0, v6, vcc_lo
	v_dual_mov_b32 v5, 0 :: v_dual_add_nc_u32 v6, v5, v3
	s_branch .LBB329_145
.LBB329_144:                            ;   in Loop: Header=BB329_145 Depth=1
	s_or_b32 exec_lo, exec_lo, s19
	ds_bpermute_b32 v9, v12, v6
	v_and_b32_e32 v8, 0xff, v7
	v_subrev_nc_u32_e32 v4, 32, v4
	s_delay_alu instid0(VALU_DEP_2) | instskip(SKIP_1) | instid1(VALU_DEP_1)
	v_cmp_eq_u16_e32 vcc_lo, 2, v8
	v_and_or_b32 v8, vcc_lo, v13, 0x80000000
	v_ctz_i32_b32_e32 v8, v8
	s_delay_alu instid0(VALU_DEP_1) | instskip(SKIP_3) | instid1(VALU_DEP_2)
	v_cmp_lt_u32_e32 vcc_lo, v52, v8
	s_waitcnt lgkmcnt(0)
	v_cndmask_b32_e32 v9, 0, v9, vcc_lo
	v_cmp_le_u32_e32 vcc_lo, v30, v8
	v_add_nc_u32_e32 v6, v9, v6
	ds_bpermute_b32 v9, v29, v6
	s_waitcnt lgkmcnt(0)
	v_cndmask_b32_e32 v9, 0, v9, vcc_lo
	v_cmp_le_u32_e32 vcc_lo, v33, v8
	s_delay_alu instid0(VALU_DEP_2) | instskip(SKIP_4) | instid1(VALU_DEP_2)
	v_add_nc_u32_e32 v6, v6, v9
	ds_bpermute_b32 v9, v32, v6
	s_waitcnt lgkmcnt(0)
	v_cndmask_b32_e32 v9, 0, v9, vcc_lo
	v_cmp_le_u32_e32 vcc_lo, v35, v8
	v_add_nc_u32_e32 v6, v6, v9
	ds_bpermute_b32 v9, v34, v6
	s_waitcnt lgkmcnt(0)
	v_cndmask_b32_e32 v9, 0, v9, vcc_lo
	v_cmp_le_u32_e32 vcc_lo, v56, v8
	s_delay_alu instid0(VALU_DEP_2) | instskip(SKIP_3) | instid1(VALU_DEP_1)
	v_add_nc_u32_e32 v6, v6, v9
	ds_bpermute_b32 v9, v55, v6
	s_waitcnt lgkmcnt(0)
	v_cndmask_b32_e32 v8, 0, v9, vcc_lo
	v_add3_u32 v6, v8, v3, v6
.LBB329_145:                            ; =>This Loop Header: Depth=1
                                        ;     Child Loop BB329_148 Depth 2
                                        ;       Child Loop BB329_149 Depth 3
	v_and_b32_e32 v3, 0xff, v7
	s_delay_alu instid0(VALU_DEP_1) | instskip(SKIP_2) | instid1(VALU_DEP_1)
	v_cmp_ne_u16_e32 vcc_lo, 2, v3
	v_cndmask_b32_e64 v3, 0, 1, vcc_lo
	;;#ASMSTART
	;;#ASMEND
	v_cmp_ne_u32_e32 vcc_lo, 0, v3
	v_mov_b32_e32 v3, v6
	s_cmp_lg_u32 vcc_lo, exec_lo
	s_cbranch_scc1 .LBB329_152
; %bb.146:                              ;   in Loop: Header=BB329_145 Depth=1
	v_lshlrev_b64 v[6:7], 3, v[4:5]
	s_mov_b32 s19, exec_lo
	s_delay_alu instid0(VALU_DEP_1) | instskip(NEXT) | instid1(VALU_DEP_2)
	v_add_co_u32 v8, vcc_lo, s12, v6
	v_add_co_ci_u32_e32 v9, vcc_lo, s13, v7, vcc_lo
	global_load_b64 v[6:7], v[8:9], off glc
	s_waitcnt vmcnt(0)
	v_and_b32_e32 v57, 0xff, v7
	s_delay_alu instid0(VALU_DEP_1)
	v_cmpx_eq_u16_e32 0, v57
	s_cbranch_execz .LBB329_144
; %bb.147:                              ;   in Loop: Header=BB329_145 Depth=1
	s_mov_b32 s21, 1
	s_mov_b32 s20, 0
	.p2align	6
.LBB329_148:                            ;   Parent Loop BB329_145 Depth=1
                                        ; =>  This Loop Header: Depth=2
                                        ;       Child Loop BB329_149 Depth 3
	s_max_u32 s22, s21, 1
.LBB329_149:                            ;   Parent Loop BB329_145 Depth=1
                                        ;     Parent Loop BB329_148 Depth=2
                                        ; =>    This Inner Loop Header: Depth=3
	s_delay_alu instid0(SALU_CYCLE_1)
	s_add_i32 s22, s22, -1
	s_sleep 1
	s_cmp_eq_u32 s22, 0
	s_cbranch_scc0 .LBB329_149
; %bb.150:                              ;   in Loop: Header=BB329_148 Depth=2
	global_load_b64 v[6:7], v[8:9], off glc
	s_cmp_lt_u32 s21, 32
	s_cselect_b32 s22, -1, 0
	s_delay_alu instid0(SALU_CYCLE_1) | instskip(SKIP_3) | instid1(VALU_DEP_1)
	s_cmp_lg_u32 s22, 0
	s_addc_u32 s21, s21, 0
	s_waitcnt vmcnt(0)
	v_and_b32_e32 v57, 0xff, v7
	v_cmp_ne_u16_e32 vcc_lo, 0, v57
	s_or_b32 s20, vcc_lo, s20
	s_delay_alu instid0(SALU_CYCLE_1)
	s_and_not1_b32 exec_lo, exec_lo, s20
	s_cbranch_execnz .LBB329_148
; %bb.151:                              ;   in Loop: Header=BB329_145 Depth=1
	s_or_b32 exec_lo, exec_lo, s20
	s_branch .LBB329_144
.LBB329_152:                            ;   in Loop: Header=BB329_145 Depth=1
                                        ; implicit-def: $vgpr6
                                        ; implicit-def: $vgpr7
	s_cbranch_execz .LBB329_145
; %bb.153:
	s_and_saveexec_b32 s19, s8
	s_cbranch_execz .LBB329_155
; %bb.154:
	s_add_i32 s20, s15, 32
	s_mov_b32 s21, 0
	v_dual_mov_b32 v5, 2 :: v_dual_add_nc_u32 v4, v3, v2
	s_lshl_b64 s[20:21], s[20:21], 3
	v_mov_b32_e32 v6, 0
	s_add_u32 s20, s12, s20
	s_addc_u32 s21, s13, s21
	global_store_b64 v6, v[4:5], s[20:21]
	ds_store_b64 v6, v[2:3] offset:3072
.LBB329_155:
	s_or_b32 exec_lo, exec_lo, s19
	v_cmp_eq_u32_e32 vcc_lo, 0, v0
	s_and_b32 exec_lo, exec_lo, vcc_lo
	s_cbranch_execz .LBB329_157
; %bb.156:
	v_mov_b32_e32 v2, 0
	ds_store_b32 v2, v3 offset:12
.LBB329_157:
	s_or_b32 exec_lo, exec_lo, s9
	s_waitcnt lgkmcnt(0)
	v_cndmask_b32_e64 v3, v11, v10, s8
	v_cmp_ne_u32_e32 vcc_lo, 0, v0
	v_mov_b32_e32 v12, 0
	s_waitcnt_vscnt null, 0x0
	s_barrier
	buffer_gl0_inv
	v_cndmask_b32_e32 v3, 0, v3, vcc_lo
	ds_load_b32 v2, v12 offset:12
	s_waitcnt lgkmcnt(0)
	s_barrier
	buffer_gl0_inv
	ds_load_b64 v[29:30], v12 offset:3072
	v_add_nc_u32_e32 v2, v2, v3
	s_delay_alu instid0(VALU_DEP_1) | instskip(NEXT) | instid1(VALU_DEP_1)
	v_add_nc_u32_e32 v3, v2, v42
	v_add_nc_u32_e32 v4, v3, v43
	s_delay_alu instid0(VALU_DEP_1) | instskip(NEXT) | instid1(VALU_DEP_1)
	v_add_nc_u32_e32 v5, v4, v44
	;; [unrolled: 3-line block ×5, first 2 shown]
	v_add_nc_u32_e32 v12, v11, v50
	s_delay_alu instid0(VALU_DEP_1)
	v_add_nc_u32_e32 v13, v12, v51
	v_lshrrev_b64 v[34:35], 24, v[22:23]
	v_lshrrev_b64 v[32:33], 24, v[1:2]
	s_branch .LBB329_168
.LBB329_158:
                                        ; implicit-def: $vgpr30
                                        ; implicit-def: $vgpr2_vgpr3_vgpr4_vgpr5_vgpr6_vgpr7_vgpr8_vgpr9_vgpr10_vgpr11_vgpr12_vgpr13
                                        ; implicit-def: $vgpr29
	v_lshrrev_b64 v[34:35], 24, v[22:23]
	v_lshrrev_b64 v[32:33], 24, v[1:2]
	s_and_b32 vcc_lo, exec_lo, s8
	s_cbranch_vccz .LBB329_168
; %bb.159:
	v_mov_b32_dpp v1, v54 row_shr:1 row_mask:0xf bank_mask:0xf
	s_delay_alu instid0(VALU_DEP_1) | instskip(NEXT) | instid1(VALU_DEP_1)
	v_cndmask_b32_e64 v1, v1, 0, s7
	v_add_nc_u32_e32 v1, v1, v54
	s_delay_alu instid0(VALU_DEP_1) | instskip(NEXT) | instid1(VALU_DEP_1)
	v_mov_b32_dpp v2, v1 row_shr:2 row_mask:0xf bank_mask:0xf
	v_cndmask_b32_e64 v2, 0, v2, s6
	s_delay_alu instid0(VALU_DEP_1) | instskip(NEXT) | instid1(VALU_DEP_1)
	v_add_nc_u32_e32 v1, v1, v2
	v_mov_b32_dpp v2, v1 row_shr:4 row_mask:0xf bank_mask:0xf
	s_delay_alu instid0(VALU_DEP_1) | instskip(NEXT) | instid1(VALU_DEP_1)
	v_cndmask_b32_e64 v2, 0, v2, s5
	v_add_nc_u32_e32 v1, v1, v2
	s_delay_alu instid0(VALU_DEP_1) | instskip(NEXT) | instid1(VALU_DEP_1)
	v_mov_b32_dpp v2, v1 row_shr:8 row_mask:0xf bank_mask:0xf
	v_cndmask_b32_e64 v2, 0, v2, s4
	s_delay_alu instid0(VALU_DEP_1) | instskip(SKIP_3) | instid1(VALU_DEP_1)
	v_add_nc_u32_e32 v1, v1, v2
	ds_swizzle_b32 v2, v1 offset:swizzle(BROADCAST,32,15)
	s_waitcnt lgkmcnt(0)
	v_cndmask_b32_e64 v2, v2, 0, s3
	v_add_nc_u32_e32 v1, v1, v2
	s_and_saveexec_b32 s3, s2
	s_cbranch_execz .LBB329_161
; %bb.160:
	v_lshlrev_b32_e32 v2, 2, v53
	ds_store_b32 v2, v1
.LBB329_161:
	s_or_b32 exec_lo, exec_lo, s3
	s_delay_alu instid0(SALU_CYCLE_1)
	s_mov_b32 s2, exec_lo
	s_waitcnt lgkmcnt(0)
	s_barrier
	buffer_gl0_inv
	v_cmpx_gt_u32_e32 4, v0
	s_cbranch_execz .LBB329_163
; %bb.162:
	v_and_b32_e32 v4, 3, v52
	s_delay_alu instid0(VALU_DEP_1) | instskip(SKIP_4) | instid1(VALU_DEP_1)
	v_cmp_ne_u32_e32 vcc_lo, 0, v4
	v_lshlrev_b32_e32 v2, 2, v0
	ds_load_b32 v3, v2
	s_waitcnt lgkmcnt(0)
	v_mov_b32_dpp v5, v3 row_shr:1 row_mask:0xf bank_mask:0xf
	v_cndmask_b32_e32 v5, 0, v5, vcc_lo
	v_cmp_lt_u32_e32 vcc_lo, 1, v4
	s_delay_alu instid0(VALU_DEP_2) | instskip(NEXT) | instid1(VALU_DEP_1)
	v_add_nc_u32_e32 v3, v5, v3
	v_mov_b32_dpp v5, v3 row_shr:2 row_mask:0xf bank_mask:0xf
	s_delay_alu instid0(VALU_DEP_1) | instskip(NEXT) | instid1(VALU_DEP_1)
	v_cndmask_b32_e32 v4, 0, v5, vcc_lo
	v_add_nc_u32_e32 v3, v3, v4
	ds_store_b32 v2, v3
.LBB329_163:
	s_or_b32 exec_lo, exec_lo, s2
	v_dual_mov_b32 v3, 0 :: v_dual_mov_b32 v2, 0
	s_mov_b32 s2, exec_lo
	s_waitcnt lgkmcnt(0)
	s_barrier
	buffer_gl0_inv
	v_cmpx_lt_u32_e32 31, v0
	s_cbranch_execz .LBB329_165
; %bb.164:
	v_lshl_add_u32 v2, v53, 2, -4
	ds_load_b32 v2, v2
.LBB329_165:
	s_or_b32 exec_lo, exec_lo, s2
	v_add_nc_u32_e32 v4, -1, v52
	ds_load_b32 v29, v3 offset:12
	s_waitcnt lgkmcnt(1)
	v_add_nc_u32_e32 v1, v2, v1
	v_cmp_gt_i32_e32 vcc_lo, 0, v4
	v_cndmask_b32_e32 v4, v4, v52, vcc_lo
	v_cmp_eq_u32_e32 vcc_lo, 0, v0
	s_delay_alu instid0(VALU_DEP_2)
	v_lshlrev_b32_e32 v4, 2, v4
	ds_bpermute_b32 v1, v4, v1
	s_and_saveexec_b32 s2, vcc_lo
	s_cbranch_execz .LBB329_167
; %bb.166:
	v_dual_mov_b32 v3, 0 :: v_dual_mov_b32 v30, 2
	s_waitcnt lgkmcnt(1)
	global_store_b64 v3, v[29:30], s[12:13] offset:256
.LBB329_167:
	s_or_b32 exec_lo, exec_lo, s2
	v_cmp_eq_u32_e64 s2, 0, v52
	s_waitcnt lgkmcnt(0)
	s_waitcnt_vscnt null, 0x0
	s_barrier
	buffer_gl0_inv
	v_mov_b32_e32 v30, 0
	v_cndmask_b32_e64 v1, v1, v2, s2
	s_delay_alu instid0(VALU_DEP_1) | instskip(NEXT) | instid1(VALU_DEP_1)
	v_cndmask_b32_e64 v2, v1, 0, vcc_lo
	v_add_nc_u32_e32 v3, v2, v42
	s_delay_alu instid0(VALU_DEP_1) | instskip(NEXT) | instid1(VALU_DEP_1)
	v_add_nc_u32_e32 v4, v3, v43
	v_add_nc_u32_e32 v5, v4, v44
	s_delay_alu instid0(VALU_DEP_1) | instskip(NEXT) | instid1(VALU_DEP_1)
	v_add_nc_u32_e32 v6, v5, v45
	;; [unrolled: 3-line block ×5, first 2 shown]
	v_add_nc_u32_e32 v13, v12, v51
.LBB329_168:
	s_load_b128 s[4:7], s[0:1], 0x28
	s_waitcnt lgkmcnt(0)
	v_add_nc_u32_e32 v46, v30, v29
	v_cmp_gt_u32_e64 s0, 0x81, v29
	v_lshrrev_b32_e32 v33, 16, v36
	v_lshrrev_b32_e32 v44, 16, v22
	v_lshrrev_b32_e32 v45, 8, v22
	v_lshrrev_b32_e32 v43, 8, v23
	v_lshrrev_b32_e32 v42, 16, v23
	v_lshrrev_b32_e32 v35, 8, v36
	v_cmp_lt_u32_e64 s1, v2, v46
	s_and_b32 vcc_lo, exec_lo, s0
	s_mov_b32 s2, -1
	s_cbranch_vccz .LBB329_206
; %bb.169:
	s_lshl_b64 s[2:3], s[10:11], 1
	s_delay_alu instid0(SALU_CYCLE_1) | instskip(SKIP_2) | instid1(SALU_CYCLE_1)
	s_add_u32 s2, s4, s2
	s_addc_u32 s3, s5, s3
	s_or_b32 s8, s18, s1
	s_and_saveexec_b32 s1, s8
	s_cbranch_execz .LBB329_172
; %bb.170:
	v_and_b32_e32 v1, 1, v22
	s_delay_alu instid0(VALU_DEP_1)
	v_cmp_eq_u32_e32 vcc_lo, 1, v1
	s_and_b32 exec_lo, exec_lo, vcc_lo
	s_cbranch_execz .LBB329_172
; %bb.171:
	v_dual_mov_b32 v48, 0 :: v_dual_mov_b32 v47, v2
	s_delay_alu instid0(VALU_DEP_1) | instskip(NEXT) | instid1(VALU_DEP_1)
	v_lshlrev_b64 v[47:48], 1, v[47:48]
	v_add_co_u32 v47, vcc_lo, s2, v47
	s_delay_alu instid0(VALU_DEP_2)
	v_add_co_ci_u32_e32 v48, vcc_lo, s3, v48, vcc_lo
	global_store_b16 v[47:48], v18, off
.LBB329_172:
	s_or_b32 exec_lo, exec_lo, s1
	v_cmp_lt_u32_e32 vcc_lo, v3, v46
	s_or_b32 s8, s18, vcc_lo
	s_delay_alu instid0(SALU_CYCLE_1)
	s_and_saveexec_b32 s1, s8
	s_cbranch_execz .LBB329_175
; %bb.173:
	v_and_b32_e32 v1, 1, v45
	s_delay_alu instid0(VALU_DEP_1)
	v_cmp_eq_u32_e32 vcc_lo, 1, v1
	s_and_b32 exec_lo, exec_lo, vcc_lo
	s_cbranch_execz .LBB329_175
; %bb.174:
	v_dual_mov_b32 v48, 0 :: v_dual_mov_b32 v47, v3
	s_delay_alu instid0(VALU_DEP_1) | instskip(NEXT) | instid1(VALU_DEP_1)
	v_lshlrev_b64 v[47:48], 1, v[47:48]
	v_add_co_u32 v47, vcc_lo, s2, v47
	s_delay_alu instid0(VALU_DEP_2)
	v_add_co_ci_u32_e32 v48, vcc_lo, s3, v48, vcc_lo
	global_store_b16 v[47:48], v41, off
.LBB329_175:
	s_or_b32 exec_lo, exec_lo, s1
	v_cmp_lt_u32_e32 vcc_lo, v4, v46
	s_or_b32 s8, s18, vcc_lo
	s_delay_alu instid0(SALU_CYCLE_1)
	;; [unrolled: 21-line block ×11, first 2 shown]
	s_and_saveexec_b32 s1, s8
	s_cbranch_execz .LBB329_205
; %bb.203:
	v_and_b32_e32 v1, 1, v32
	s_delay_alu instid0(VALU_DEP_1)
	v_cmp_eq_u32_e32 vcc_lo, 1, v1
	s_and_b32 exec_lo, exec_lo, vcc_lo
	s_cbranch_execz .LBB329_205
; %bb.204:
	v_dual_mov_b32 v48, 0 :: v_dual_mov_b32 v47, v13
	s_delay_alu instid0(VALU_DEP_1) | instskip(NEXT) | instid1(VALU_DEP_1)
	v_lshlrev_b64 v[47:48], 1, v[47:48]
	v_add_co_u32 v47, vcc_lo, s2, v47
	s_delay_alu instid0(VALU_DEP_2)
	v_add_co_ci_u32_e32 v48, vcc_lo, s3, v48, vcc_lo
	global_store_b16 v[47:48], v31, off
.LBB329_205:
	s_or_b32 exec_lo, exec_lo, s1
	s_mov_b32 s2, 0
.LBB329_206:
	v_and_b32_e32 v22, 1, v22
	s_and_b32 vcc_lo, exec_lo, s2
	s_delay_alu instid0(VALU_DEP_1)
	v_cmp_eq_u32_e64 s1, 1, v22
	s_cbranch_vccz .LBB329_247
; %bb.207:
	s_delay_alu instid0(VALU_DEP_1)
	s_and_saveexec_b32 s2, s1
	s_cbranch_execz .LBB329_209
; %bb.208:
	v_sub_nc_u32_e32 v1, v2, v30
	s_delay_alu instid0(VALU_DEP_1)
	v_lshlrev_b32_e32 v1, 1, v1
	ds_store_b16 v1, v18
.LBB329_209:
	s_or_b32 exec_lo, exec_lo, s2
	v_and_b32_e32 v1, 1, v45
	s_mov_b32 s1, exec_lo
	s_delay_alu instid0(VALU_DEP_1)
	v_cmpx_eq_u32_e32 1, v1
	s_cbranch_execz .LBB329_211
; %bb.210:
	v_sub_nc_u32_e32 v1, v3, v30
	s_delay_alu instid0(VALU_DEP_1)
	v_lshlrev_b32_e32 v1, 1, v1
	ds_store_b16 v1, v41
.LBB329_211:
	s_or_b32 exec_lo, exec_lo, s1
	v_and_b32_e32 v1, 1, v44
	s_mov_b32 s1, exec_lo
	s_delay_alu instid0(VALU_DEP_1)
	v_cmpx_eq_u32_e32 1, v1
	s_cbranch_execz .LBB329_213
; %bb.212:
	v_sub_nc_u32_e32 v1, v4, v30
	s_delay_alu instid0(VALU_DEP_1)
	v_lshlrev_b32_e32 v1, 1, v1
	ds_store_b16 v1, v19
.LBB329_213:
	s_or_b32 exec_lo, exec_lo, s1
	v_and_b32_e32 v1, 1, v34
	s_mov_b32 s1, exec_lo
	s_delay_alu instid0(VALU_DEP_1)
	v_cmpx_eq_u32_e32 1, v1
	s_cbranch_execz .LBB329_215
; %bb.214:
	v_sub_nc_u32_e32 v1, v5, v30
	s_delay_alu instid0(VALU_DEP_1)
	v_lshlrev_b32_e32 v1, 1, v1
	ds_store_b16 v1, v40
.LBB329_215:
	s_or_b32 exec_lo, exec_lo, s1
	v_and_b32_e32 v1, 1, v23
	s_mov_b32 s1, exec_lo
	s_delay_alu instid0(VALU_DEP_1)
	v_cmpx_eq_u32_e32 1, v1
	s_cbranch_execz .LBB329_217
; %bb.216:
	v_sub_nc_u32_e32 v1, v6, v30
	s_delay_alu instid0(VALU_DEP_1)
	v_lshlrev_b32_e32 v1, 1, v1
	ds_store_b16 v1, v20
.LBB329_217:
	s_or_b32 exec_lo, exec_lo, s1
	v_and_b32_e32 v1, 1, v43
	s_mov_b32 s1, exec_lo
	s_delay_alu instid0(VALU_DEP_1)
	v_cmpx_eq_u32_e32 1, v1
	s_cbranch_execz .LBB329_219
; %bb.218:
	v_sub_nc_u32_e32 v1, v7, v30
	s_delay_alu instid0(VALU_DEP_1)
	v_lshlrev_b32_e32 v1, 1, v1
	ds_store_b16 v1, v39
.LBB329_219:
	s_or_b32 exec_lo, exec_lo, s1
	v_and_b32_e32 v1, 1, v42
	s_mov_b32 s1, exec_lo
	s_delay_alu instid0(VALU_DEP_1)
	v_cmpx_eq_u32_e32 1, v1
	s_cbranch_execz .LBB329_221
; %bb.220:
	v_sub_nc_u32_e32 v1, v8, v30
	s_delay_alu instid0(VALU_DEP_1)
	v_lshlrev_b32_e32 v1, 1, v1
	ds_store_b16 v1, v21
.LBB329_221:
	s_or_b32 exec_lo, exec_lo, s1
	v_and_b32_e32 v1, 1, v24
	s_mov_b32 s1, exec_lo
	s_delay_alu instid0(VALU_DEP_1)
	v_cmpx_eq_u32_e32 1, v1
	s_cbranch_execz .LBB329_223
; %bb.222:
	v_sub_nc_u32_e32 v1, v9, v30
	s_delay_alu instid0(VALU_DEP_1)
	v_lshlrev_b32_e32 v1, 1, v1
	ds_store_b16 v1, v38
.LBB329_223:
	s_or_b32 exec_lo, exec_lo, s1
	v_and_b32_e32 v1, 1, v36
	s_mov_b32 s1, exec_lo
	s_delay_alu instid0(VALU_DEP_1)
	v_cmpx_eq_u32_e32 1, v1
	s_cbranch_execz .LBB329_225
; %bb.224:
	v_sub_nc_u32_e32 v1, v10, v30
	s_delay_alu instid0(VALU_DEP_1)
	v_lshlrev_b32_e32 v1, 1, v1
	ds_store_b16 v1, v27
.LBB329_225:
	s_or_b32 exec_lo, exec_lo, s1
	v_and_b32_e32 v1, 1, v35
	s_mov_b32 s1, exec_lo
	s_delay_alu instid0(VALU_DEP_1)
	v_cmpx_eq_u32_e32 1, v1
	s_cbranch_execz .LBB329_227
; %bb.226:
	v_sub_nc_u32_e32 v1, v11, v30
	s_delay_alu instid0(VALU_DEP_1)
	v_lshlrev_b32_e32 v1, 1, v1
	ds_store_b16 v1, v37
.LBB329_227:
	s_or_b32 exec_lo, exec_lo, s1
	v_and_b32_e32 v1, 1, v33
	s_mov_b32 s1, exec_lo
	s_delay_alu instid0(VALU_DEP_1)
	v_cmpx_eq_u32_e32 1, v1
	s_cbranch_execz .LBB329_229
; %bb.228:
	v_sub_nc_u32_e32 v1, v12, v30
	s_delay_alu instid0(VALU_DEP_1)
	v_lshlrev_b32_e32 v1, 1, v1
	ds_store_b16 v1, v28
.LBB329_229:
	s_or_b32 exec_lo, exec_lo, s1
	v_and_b32_e32 v1, 1, v32
	s_mov_b32 s1, exec_lo
	s_delay_alu instid0(VALU_DEP_1)
	v_cmpx_eq_u32_e32 1, v1
	s_cbranch_execz .LBB329_231
; %bb.230:
	v_sub_nc_u32_e32 v1, v13, v30
	s_delay_alu instid0(VALU_DEP_1)
	v_lshlrev_b32_e32 v1, 1, v1
	ds_store_b16 v1, v31
.LBB329_231:
	s_or_b32 exec_lo, exec_lo, s1
	s_delay_alu instid0(SALU_CYCLE_1)
	s_mov_b32 s3, exec_lo
	s_waitcnt lgkmcnt(0)
	s_waitcnt_vscnt null, 0x0
	s_barrier
	buffer_gl0_inv
	v_cmpx_lt_u32_e64 v0, v29
	s_cbranch_execz .LBB329_246
; %bb.232:
	v_mov_b32_e32 v31, 0
	s_lshl_b64 s[8:9], s[10:11], 1
	v_xad_u32 v1, v0, -1, v29
	s_add_u32 s2, s4, s8
	s_addc_u32 s4, s5, s9
	v_lshlrev_b64 v[18:19], 1, v[30:31]
	s_delay_alu instid0(VALU_DEP_2) | instskip(NEXT) | instid1(VALU_DEP_2)
	v_cmp_gt_u32_e32 vcc_lo, 0xc80, v1
	v_add_co_u32 v27, s2, s2, v18
	v_mov_b32_e32 v18, v0
	s_delay_alu instid0(VALU_DEP_4)
	v_add_co_ci_u32_e64 v28, s2, s4, v19, s2
	s_mov_b32 s2, -1
	s_mov_b32 s4, exec_lo
	v_cmpx_lt_u32_e32 0xc7f, v1
	s_cbranch_execz .LBB329_243
; %bb.233:
	v_sub_nc_u32_e32 v18, v0, v29
	s_delay_alu instid0(VALU_DEP_1) | instskip(NEXT) | instid1(VALU_DEP_1)
	v_or_b32_e32 v18, 0x7f, v18
	v_cmp_ge_u32_e64 s1, v18, v0
	v_mov_b32_e32 v18, v0
	s_delay_alu instid0(VALU_DEP_2)
	s_and_saveexec_b32 s5, s1
	s_cbranch_execz .LBB329_242
; %bb.234:
	v_lshrrev_b32_e32 v31, 7, v1
	v_or_b32_e32 v1, 0x80, v0
	s_delay_alu instid0(VALU_DEP_2) | instskip(NEXT) | instid1(VALU_DEP_1)
	v_add_nc_u32_e32 v18, -1, v31
	v_lshrrev_b32_e32 v19, 1, v18
	v_mov_b32_e32 v40, 0
	v_cmp_lt_u32_e64 s1, 13, v18
	s_delay_alu instid0(VALU_DEP_3) | instskip(SKIP_1) | instid1(VALU_DEP_3)
	v_add_nc_u32_e32 v37, 1, v19
	v_dual_mov_b32 v19, v1 :: v_dual_mov_b32 v18, v0
	s_and_saveexec_b32 s2, s1
	s_cbranch_execz .LBB329_238
; %bb.235:
	s_delay_alu instid0(VALU_DEP_2)
	v_dual_mov_b32 v19, v1 :: v_dual_and_b32 v38, -8, v37
	v_mov_b32_e32 v21, 0
	v_dual_mov_b32 v18, v0 :: v_dual_lshlrev_b32 v39, 1, v0
	s_mov_b32 s8, 0
	s_mov_b32 s9, 0
.LBB329_236:                            ; =>This Inner Loop Header: Depth=1
	s_delay_alu instid0(VALU_DEP_1) | instskip(SKIP_2) | instid1(VALU_DEP_3)
	v_dual_mov_b32 v20, v18 :: v_dual_add_nc_u32 v47, 0x100, v19
	v_add_nc_u32_e32 v38, -8, v38
	v_dual_mov_b32 v48, v21 :: v_dual_add_nc_u32 v49, 0x200, v19
	v_lshlrev_b64 v[61:62], 1, v[20:21]
	v_dual_mov_b32 v50, v21 :: v_dual_add_nc_u32 v51, 0x300, v19
	s_delay_alu instid0(VALU_DEP_4) | instskip(NEXT) | instid1(VALU_DEP_4)
	v_cmp_eq_u32_e64 s1, 0, v38
	v_lshlrev_b64 v[47:48], 1, v[47:48]
	v_dual_mov_b32 v52, v21 :: v_dual_add_nc_u32 v53, 0x400, v19
	s_add_i32 s9, s9, 16
	v_lshlrev_b64 v[49:50], 1, v[49:50]
	s_or_b32 s8, s1, s8
	v_add_co_u32 v61, s1, v27, v61
	v_dual_mov_b32 v54, v21 :: v_dual_add_nc_u32 v55, 0x500, v19
	v_add_co_ci_u32_e64 v62, s1, v28, v62, s1
	v_lshlrev_b64 v[51:52], 1, v[51:52]
	v_add_co_u32 v47, s1, v27, v47
	v_dual_mov_b32 v56, v21 :: v_dual_add_nc_u32 v57, 0x600, v19
	v_add_co_ci_u32_e64 v48, s1, v28, v48, s1
	v_lshlrev_b64 v[53:54], 1, v[53:54]
	;; [unrolled: 4-line block ×3, first 2 shown]
	v_add_co_u32 v51, s1, v27, v51
	v_mov_b32_e32 v60, v21
	v_mov_b32_e32 v20, v19
	v_add_co_ci_u32_e64 v52, s1, v28, v52, s1
	v_lshlrev_b64 v[57:58], 1, v[57:58]
	v_add_co_u32 v53, s1, v27, v53
	ds_load_u16 v1, v39
	ds_load_u16 v41, v39 offset:256
	ds_load_u16 v67, v39 offset:512
	;; [unrolled: 1-line block ×7, first 2 shown]
	v_add_co_ci_u32_e64 v54, s1, v28, v54, s1
	ds_load_u16 v73, v39 offset:2048
	ds_load_u16 v74, v39 offset:2304
	;; [unrolled: 1-line block ×8, first 2 shown]
	v_add_nc_u32_e32 v39, 0x1000, v39
	v_lshlrev_b64 v[59:60], 1, v[59:60]
	v_add_co_u32 v55, s1, v27, v55
	v_lshlrev_b64 v[63:64], 1, v[20:21]
	v_add_nc_u32_e32 v20, 0x100, v18
	v_add_co_ci_u32_e64 v56, s1, v28, v56, s1
	v_add_co_u32 v57, s1, v27, v57
	s_delay_alu instid0(VALU_DEP_1)
	v_add_co_ci_u32_e64 v58, s1, v28, v58, s1
	v_add_co_u32 v59, s1, v27, v59
	v_lshlrev_b64 v[65:66], 1, v[20:21]
	v_add_nc_u32_e32 v20, 0x200, v18
	v_add_co_ci_u32_e64 v60, s1, v28, v60, s1
	v_add_co_u32 v63, s1, v27, v63
	s_delay_alu instid0(VALU_DEP_1)
	v_add_co_ci_u32_e64 v64, s1, v28, v64, s1
	s_waitcnt lgkmcnt(15)
	global_store_b16 v[61:62], v1, off
	v_lshlrev_b64 v[61:62], 1, v[20:21]
	v_add_nc_u32_e32 v20, 0x300, v18
	v_add_co_u32 v65, s1, v27, v65
	s_delay_alu instid0(VALU_DEP_1)
	v_add_co_ci_u32_e64 v66, s1, v28, v66, s1
	s_waitcnt lgkmcnt(14)
	global_store_b16 v[63:64], v41, off
	v_lshlrev_b64 v[63:64], 1, v[20:21]
	v_add_nc_u32_e32 v20, 0x400, v18
	s_waitcnt lgkmcnt(13)
	global_store_b16 v[65:66], v67, off
	s_waitcnt lgkmcnt(12)
	global_store_b16 v[47:48], v68, off
	v_add_co_u32 v47, s1, v27, v61
	s_delay_alu instid0(VALU_DEP_1) | instskip(SKIP_3) | instid1(VALU_DEP_1)
	v_add_co_ci_u32_e64 v48, s1, v28, v62, s1
	v_lshlrev_b64 v[61:62], 1, v[20:21]
	v_add_nc_u32_e32 v20, 0x500, v18
	v_add_co_u32 v63, s1, v27, v63
	v_add_co_ci_u32_e64 v64, s1, v28, v64, s1
	s_waitcnt lgkmcnt(11)
	global_store_b16 v[47:48], v69, off
	s_waitcnt lgkmcnt(10)
	global_store_b16 v[49:50], v70, off
	v_lshlrev_b64 v[47:48], 1, v[20:21]
	v_add_nc_u32_e32 v20, 0x600, v18
	v_add_co_u32 v49, s1, v27, v61
	s_waitcnt lgkmcnt(9)
	global_store_b16 v[63:64], v71, off
	s_waitcnt lgkmcnt(8)
	global_store_b16 v[51:52], v72, off
	v_add_co_ci_u32_e64 v50, s1, v28, v62, s1
	v_lshlrev_b64 v[51:52], 1, v[20:21]
	v_add_nc_u32_e32 v20, 0x700, v18
	v_add_co_u32 v47, s1, v27, v47
	s_delay_alu instid0(VALU_DEP_1)
	v_add_co_ci_u32_e64 v48, s1, v28, v48, s1
	s_waitcnt lgkmcnt(7)
	global_store_b16 v[49:50], v73, off
	s_waitcnt lgkmcnt(6)
	global_store_b16 v[53:54], v74, off
	v_lshlrev_b64 v[49:50], 1, v[20:21]
	v_dual_mov_b32 v40, s9 :: v_dual_add_nc_u32 v19, 0x800, v19
	s_waitcnt lgkmcnt(5)
	global_store_b16 v[47:48], v75, off
	v_add_co_u32 v47, s1, v27, v51
	v_add_nc_u32_e32 v18, 0x800, v18
	v_add_co_ci_u32_e64 v48, s1, v28, v52, s1
	v_add_co_u32 v49, s1, v27, v49
	s_delay_alu instid0(VALU_DEP_1)
	v_add_co_ci_u32_e64 v50, s1, v28, v50, s1
	s_waitcnt lgkmcnt(4)
	global_store_b16 v[55:56], v76, off
	s_waitcnt lgkmcnt(3)
	global_store_b16 v[47:48], v77, off
	;; [unrolled: 2-line block ×5, first 2 shown]
	s_and_not1_b32 exec_lo, exec_lo, s8
	s_cbranch_execnz .LBB329_236
; %bb.237:
	s_or_b32 exec_lo, exec_lo, s8
.LBB329_238:
	s_delay_alu instid0(SALU_CYCLE_1) | instskip(SKIP_3) | instid1(VALU_DEP_1)
	s_or_b32 exec_lo, exec_lo, s2
	v_and_b32_e32 v1, 7, v37
	s_mov_b32 s9, 0
	s_mov_b32 s8, exec_lo
	v_cmpx_ne_u32_e32 0, v1
	s_cbranch_execz .LBB329_241
; %bb.239:
	v_dual_mov_b32 v21, 0 :: v_dual_lshlrev_b32 v20, 1, v0
	s_delay_alu instid0(VALU_DEP_1)
	v_lshl_or_b32 v37, v40, 8, v20
	s_set_inst_prefetch_distance 0x1
	.p2align	6
.LBB329_240:                            ; =>This Inner Loop Header: Depth=1
	v_dual_mov_b32 v20, v18 :: v_dual_add_nc_u32 v1, -1, v1
	ds_load_u16 v47, v37
	ds_load_u16 v48, v37 offset:256
	v_add_nc_u32_e32 v18, 0x100, v18
	v_add_nc_u32_e32 v37, 0x200, v37
	v_lshlrev_b64 v[38:39], 1, v[20:21]
	v_mov_b32_e32 v20, v19
	v_cmp_eq_u32_e64 s1, 0, v1
	v_add_nc_u32_e32 v19, 0x100, v19
	s_delay_alu instid0(VALU_DEP_3) | instskip(SKIP_1) | instid1(VALU_DEP_1)
	v_lshlrev_b64 v[40:41], 1, v[20:21]
	v_add_co_u32 v38, s2, v27, v38
	v_add_co_ci_u32_e64 v39, s2, v28, v39, s2
	s_or_b32 s9, s1, s9
	s_delay_alu instid0(VALU_DEP_3) | instskip(NEXT) | instid1(VALU_DEP_1)
	v_add_co_u32 v40, s2, v27, v40
	v_add_co_ci_u32_e64 v41, s2, v28, v41, s2
	s_waitcnt lgkmcnt(1)
	global_store_b16 v[38:39], v47, off
	s_waitcnt lgkmcnt(0)
	global_store_b16 v[40:41], v48, off
	s_and_not1_b32 exec_lo, exec_lo, s9
	s_cbranch_execnz .LBB329_240
.LBB329_241:
	s_set_inst_prefetch_distance 0x2
	s_or_b32 exec_lo, exec_lo, s8
	v_add_nc_u32_e32 v1, 1, v31
	s_delay_alu instid0(VALU_DEP_1) | instskip(NEXT) | instid1(VALU_DEP_1)
	v_and_b32_e32 v18, 0x3fffffe, v1
	v_cmp_ne_u32_e64 s1, v1, v18
	v_lshl_or_b32 v18, v18, 7, v0
	s_delay_alu instid0(VALU_DEP_2)
	s_or_not1_b32 s2, s1, exec_lo
.LBB329_242:
	s_or_b32 exec_lo, exec_lo, s5
	s_delay_alu instid0(SALU_CYCLE_1) | instskip(SKIP_1) | instid1(SALU_CYCLE_1)
	s_and_not1_b32 s1, vcc_lo, exec_lo
	s_and_b32 s2, s2, exec_lo
	s_or_b32 vcc_lo, s1, s2
.LBB329_243:
	s_or_b32 exec_lo, exec_lo, s4
	s_delay_alu instid0(SALU_CYCLE_1)
	s_and_b32 exec_lo, exec_lo, vcc_lo
	s_cbranch_execz .LBB329_246
; %bb.244:
	v_lshlrev_b32_e32 v1, 1, v18
	v_mov_b32_e32 v19, 0
	s_mov_b32 s2, 0
	.p2align	6
.LBB329_245:                            ; =>This Inner Loop Header: Depth=1
	ds_load_u16 v31, v1
	v_lshlrev_b64 v[20:21], 1, v[18:19]
	v_add_nc_u32_e32 v18, 0x80, v18
	v_add_nc_u32_e32 v1, 0x100, v1
	s_delay_alu instid0(VALU_DEP_2) | instskip(NEXT) | instid1(VALU_DEP_4)
	v_cmp_ge_u32_e32 vcc_lo, v18, v29
	v_add_co_u32 v20, s1, v27, v20
	s_delay_alu instid0(VALU_DEP_1)
	v_add_co_ci_u32_e64 v21, s1, v28, v21, s1
	s_or_b32 s2, vcc_lo, s2
	s_waitcnt lgkmcnt(0)
	global_store_b16 v[20:21], v31, off
	s_and_not1_b32 exec_lo, exec_lo, s2
	s_cbranch_execnz .LBB329_245
.LBB329_246:
	s_or_b32 exec_lo, exec_lo, s3
.LBB329_247:
	v_lshrrev_b32_e32 v27, 16, v14
	v_lshrrev_b32_e32 v21, 16, v15
	;; [unrolled: 1-line block ×6, first 2 shown]
	s_and_b32 vcc_lo, exec_lo, s0
	s_mov_b32 s0, -1
	s_waitcnt_vscnt null, 0x0
	s_barrier
	buffer_gl0_inv
	s_cbranch_vccnz .LBB329_251
; %bb.248:
	s_and_b32 vcc_lo, exec_lo, s0
	s_cbranch_vccnz .LBB329_288
.LBB329_249:
	v_cmp_eq_u32_e32 vcc_lo, 0, v0
	s_and_b32 s0, vcc_lo, s14
	s_delay_alu instid0(SALU_CYCLE_1)
	s_and_saveexec_b32 s1, s0
	s_cbranch_execnz .LBB329_328
.LBB329_250:
	s_nop 0
	s_sendmsg sendmsg(MSG_DEALLOC_VGPRS)
	s_endpgm
.LBB329_251:
	v_cmp_lt_u32_e32 vcc_lo, v2, v46
	s_lshl_b64 s[0:1], s[10:11], 1
	s_delay_alu instid0(SALU_CYCLE_1) | instskip(SKIP_2) | instid1(SALU_CYCLE_1)
	s_add_u32 s0, s6, s0
	s_addc_u32 s1, s7, s1
	s_or_b32 s3, s18, vcc_lo
	s_and_saveexec_b32 s2, s3
	s_cbranch_execz .LBB329_254
; %bb.252:
	v_cmp_eq_u32_e32 vcc_lo, 1, v22
	s_and_b32 exec_lo, exec_lo, vcc_lo
	s_cbranch_execz .LBB329_254
; %bb.253:
	v_dual_mov_b32 v38, 0 :: v_dual_mov_b32 v37, v2
	s_delay_alu instid0(VALU_DEP_1) | instskip(NEXT) | instid1(VALU_DEP_1)
	v_lshlrev_b64 v[37:38], 1, v[37:38]
	v_add_co_u32 v37, vcc_lo, s0, v37
	s_delay_alu instid0(VALU_DEP_2)
	v_add_co_ci_u32_e32 v38, vcc_lo, s1, v38, vcc_lo
	global_store_b16 v[37:38], v14, off
.LBB329_254:
	s_or_b32 exec_lo, exec_lo, s2
	v_cmp_lt_u32_e32 vcc_lo, v3, v46
	s_or_b32 s3, s18, vcc_lo
	s_delay_alu instid0(SALU_CYCLE_1)
	s_and_saveexec_b32 s2, s3
	s_cbranch_execz .LBB329_257
; %bb.255:
	v_and_b32_e32 v28, 1, v45
	s_delay_alu instid0(VALU_DEP_1)
	v_cmp_eq_u32_e32 vcc_lo, 1, v28
	s_and_b32 exec_lo, exec_lo, vcc_lo
	s_cbranch_execz .LBB329_257
; %bb.256:
	v_dual_mov_b32 v38, 0 :: v_dual_mov_b32 v37, v3
	s_delay_alu instid0(VALU_DEP_1) | instskip(NEXT) | instid1(VALU_DEP_1)
	v_lshlrev_b64 v[37:38], 1, v[37:38]
	v_add_co_u32 v37, vcc_lo, s0, v37
	s_delay_alu instid0(VALU_DEP_2)
	v_add_co_ci_u32_e32 v38, vcc_lo, s1, v38, vcc_lo
	global_store_b16 v[37:38], v27, off
.LBB329_257:
	s_or_b32 exec_lo, exec_lo, s2
	v_cmp_lt_u32_e32 vcc_lo, v4, v46
	s_or_b32 s3, s18, vcc_lo
	s_delay_alu instid0(SALU_CYCLE_1)
	s_and_saveexec_b32 s2, s3
	s_cbranch_execz .LBB329_260
; %bb.258:
	v_and_b32_e32 v28, 1, v44
	s_delay_alu instid0(VALU_DEP_1)
	v_cmp_eq_u32_e32 vcc_lo, 1, v28
	s_and_b32 exec_lo, exec_lo, vcc_lo
	s_cbranch_execz .LBB329_260
; %bb.259:
	v_dual_mov_b32 v38, 0 :: v_dual_mov_b32 v37, v4
	s_delay_alu instid0(VALU_DEP_1) | instskip(NEXT) | instid1(VALU_DEP_1)
	v_lshlrev_b64 v[37:38], 1, v[37:38]
	v_add_co_u32 v37, vcc_lo, s0, v37
	s_delay_alu instid0(VALU_DEP_2)
	v_add_co_ci_u32_e32 v38, vcc_lo, s1, v38, vcc_lo
	global_store_b16 v[37:38], v15, off
.LBB329_260:
	;; [unrolled: 21-line block ×11, first 2 shown]
	s_or_b32 exec_lo, exec_lo, s2
	s_branch .LBB329_249
.LBB329_288:
	s_mov_b32 s0, exec_lo
	v_cmpx_eq_u32_e32 1, v22
	s_cbranch_execz .LBB329_290
; %bb.289:
	v_sub_nc_u32_e32 v2, v2, v30
	s_delay_alu instid0(VALU_DEP_1)
	v_lshlrev_b32_e32 v2, 1, v2
	ds_store_b16 v2, v14
.LBB329_290:
	s_or_b32 exec_lo, exec_lo, s0
	v_and_b32_e32 v2, 1, v45
	s_mov_b32 s0, exec_lo
	s_delay_alu instid0(VALU_DEP_1)
	v_cmpx_eq_u32_e32 1, v2
	s_cbranch_execz .LBB329_292
; %bb.291:
	v_sub_nc_u32_e32 v2, v3, v30
	s_delay_alu instid0(VALU_DEP_1)
	v_lshlrev_b32_e32 v2, 1, v2
	ds_store_b16 v2, v27
.LBB329_292:
	s_or_b32 exec_lo, exec_lo, s0
	v_and_b32_e32 v2, 1, v44
	s_mov_b32 s0, exec_lo
	s_delay_alu instid0(VALU_DEP_1)
	;; [unrolled: 12-line block ×11, first 2 shown]
	v_cmpx_eq_u32_e32 1, v2
	s_cbranch_execz .LBB329_312
; %bb.311:
	v_sub_nc_u32_e32 v2, v13, v30
	s_delay_alu instid0(VALU_DEP_1)
	v_lshlrev_b32_e32 v2, 1, v2
	ds_store_b16 v2, v1
.LBB329_312:
	s_or_b32 exec_lo, exec_lo, s0
	s_delay_alu instid0(SALU_CYCLE_1)
	s_mov_b32 s2, exec_lo
	s_waitcnt lgkmcnt(0)
	s_waitcnt_vscnt null, 0x0
	s_barrier
	buffer_gl0_inv
	v_cmpx_lt_u32_e64 v0, v29
	s_cbranch_execz .LBB329_327
; %bb.313:
	v_mov_b32_e32 v31, 0
	s_lshl_b64 s[0:1], s[10:11], 1
	v_xad_u32 v2, v0, -1, v29
	s_add_u32 s3, s6, s0
	s_addc_u32 s4, s7, s1
	v_lshlrev_b64 v[3:4], 1, v[30:31]
	v_mov_b32_e32 v1, v0
	v_cmp_gt_u32_e32 vcc_lo, 0xc80, v2
	s_delay_alu instid0(VALU_DEP_3) | instskip(NEXT) | instid1(VALU_DEP_1)
	v_add_co_u32 v6, s1, s3, v3
	v_add_co_ci_u32_e64 v7, s1, s4, v4, s1
	s_mov_b32 s1, -1
	s_mov_b32 s3, exec_lo
	v_cmpx_lt_u32_e32 0xc7f, v2
	s_cbranch_execz .LBB329_324
; %bb.314:
	v_sub_nc_u32_e32 v1, v0, v29
	s_delay_alu instid0(VALU_DEP_1) | instskip(NEXT) | instid1(VALU_DEP_1)
	v_or_b32_e32 v1, 0x7f, v1
	v_cmp_ge_u32_e64 s0, v1, v0
	v_mov_b32_e32 v1, v0
	s_delay_alu instid0(VALU_DEP_2)
	s_and_saveexec_b32 s4, s0
	s_cbranch_execz .LBB329_323
; %bb.315:
	v_lshrrev_b32_e32 v8, 7, v2
	v_or_b32_e32 v1, 0x80, v0
	v_lshlrev_b32_e32 v9, 1, v0
	s_delay_alu instid0(VALU_DEP_3) | instskip(NEXT) | instid1(VALU_DEP_1)
	v_dual_mov_b32 v13, 0 :: v_dual_add_nc_u32 v2, -1, v8
	v_lshrrev_b32_e32 v3, 1, v2
	v_cmp_lt_u32_e64 s0, 13, v2
	s_delay_alu instid0(VALU_DEP_2) | instskip(SKIP_1) | instid1(VALU_DEP_3)
	v_dual_mov_b32 v3, v1 :: v_dual_add_nc_u32 v10, 1, v3
	v_mov_b32_e32 v2, v0
	s_and_saveexec_b32 s1, s0
	s_cbranch_execz .LBB329_319
; %bb.316:
	v_mov_b32_e32 v3, v1
	v_dual_mov_b32 v12, v9 :: v_dual_and_b32 v11, -8, v10
	v_dual_mov_b32 v5, 0 :: v_dual_mov_b32 v2, v0
	s_mov_b32 s5, 0
	s_mov_b32 s6, 0
.LBB329_317:                            ; =>This Inner Loop Header: Depth=1
	s_delay_alu instid0(VALU_DEP_1) | instskip(SKIP_2) | instid1(VALU_DEP_3)
	v_dual_mov_b32 v4, v2 :: v_dual_mov_b32 v15, v5
	v_add_nc_u32_e32 v11, -8, v11
	v_dual_mov_b32 v17, v5 :: v_dual_add_nc_u32 v14, 0x100, v3
	v_lshlrev_b64 v[31:32], 1, v[4:5]
	v_dual_mov_b32 v19, v5 :: v_dual_add_nc_u32 v16, 0x200, v3
	v_mov_b32_e32 v4, v3
	v_cmp_eq_u32_e64 s0, 0, v11
	v_lshlrev_b64 v[14:15], 1, v[14:15]
	v_dual_mov_b32 v21, v5 :: v_dual_add_nc_u32 v18, 0x300, v3
	s_add_i32 s6, s6, 16
	v_lshlrev_b64 v[16:17], 1, v[16:17]
	s_or_b32 s5, s0, s5
	v_add_co_u32 v31, s0, v6, v31
	v_dual_mov_b32 v23, v5 :: v_dual_add_nc_u32 v20, 0x400, v3
	v_add_co_ci_u32_e64 v32, s0, v7, v32, s0
	v_lshlrev_b64 v[18:19], 1, v[18:19]
	v_add_co_u32 v14, s0, v6, v14
	v_dual_mov_b32 v25, v5 :: v_dual_add_nc_u32 v22, 0x500, v3
	v_add_co_ci_u32_e64 v15, s0, v7, v15, s0
	v_lshlrev_b64 v[20:21], 1, v[20:21]
	v_add_co_u32 v16, s0, v6, v16
	v_dual_mov_b32 v27, v5 :: v_dual_add_nc_u32 v24, 0x600, v3
	v_add_co_ci_u32_e64 v17, s0, v7, v17, s0
	v_lshlrev_b64 v[22:23], 1, v[22:23]
	v_add_co_u32 v18, s0, v6, v18
	v_dual_mov_b32 v13, s6 :: v_dual_add_nc_u32 v26, 0x700, v3
	v_add_co_ci_u32_e64 v19, s0, v7, v19, s0
	v_lshlrev_b64 v[24:25], 1, v[24:25]
	v_add_co_u32 v20, s0, v6, v20
	ds_load_u16 v1, v12
	ds_load_u16 v28, v12 offset:256
	ds_load_u16 v37, v12 offset:512
	;; [unrolled: 1-line block ×7, first 2 shown]
	v_add_co_ci_u32_e64 v21, s0, v7, v21, s0
	v_lshlrev_b64 v[26:27], 1, v[26:27]
	v_add_co_u32 v22, s0, v6, v22
	v_lshlrev_b64 v[33:34], 1, v[4:5]
	v_add_nc_u32_e32 v4, 0x100, v2
	v_add_co_ci_u32_e64 v23, s0, v7, v23, s0
	v_add_co_u32 v24, s0, v6, v24
	s_delay_alu instid0(VALU_DEP_1)
	v_add_co_ci_u32_e64 v25, s0, v7, v25, s0
	v_add_co_u32 v26, s0, v6, v26
	v_lshlrev_b64 v[35:36], 1, v[4:5]
	v_add_nc_u32_e32 v4, 0x200, v2
	v_add_co_ci_u32_e64 v27, s0, v7, v27, s0
	v_add_co_u32 v33, s0, v6, v33
	ds_load_u16 v43, v12 offset:2048
	ds_load_u16 v44, v12 offset:2304
	;; [unrolled: 1-line block ×8, first 2 shown]
	v_add_co_ci_u32_e64 v34, s0, v7, v34, s0
	s_waitcnt lgkmcnt(15)
	global_store_b16 v[31:32], v1, off
	v_lshlrev_b64 v[31:32], 1, v[4:5]
	v_add_nc_u32_e32 v4, 0x300, v2
	v_add_co_u32 v35, s0, v6, v35
	s_delay_alu instid0(VALU_DEP_1)
	v_add_co_ci_u32_e64 v36, s0, v7, v36, s0
	s_waitcnt lgkmcnt(14)
	global_store_b16 v[33:34], v28, off
	v_lshlrev_b64 v[33:34], 1, v[4:5]
	v_add_nc_u32_e32 v4, 0x400, v2
	s_waitcnt lgkmcnt(13)
	global_store_b16 v[35:36], v37, off
	s_waitcnt lgkmcnt(12)
	global_store_b16 v[14:15], v38, off
	v_add_co_u32 v14, s0, v6, v31
	s_delay_alu instid0(VALU_DEP_1) | instskip(SKIP_3) | instid1(VALU_DEP_1)
	v_add_co_ci_u32_e64 v15, s0, v7, v32, s0
	v_lshlrev_b64 v[31:32], 1, v[4:5]
	v_add_nc_u32_e32 v4, 0x500, v2
	v_add_co_u32 v33, s0, v6, v33
	v_add_co_ci_u32_e64 v34, s0, v7, v34, s0
	s_waitcnt lgkmcnt(11)
	global_store_b16 v[14:15], v39, off
	s_waitcnt lgkmcnt(10)
	global_store_b16 v[16:17], v40, off
	v_lshlrev_b64 v[14:15], 1, v[4:5]
	v_add_nc_u32_e32 v4, 0x600, v2
	v_add_co_u32 v16, s0, v6, v31
	s_waitcnt lgkmcnt(9)
	global_store_b16 v[33:34], v41, off
	s_waitcnt lgkmcnt(8)
	global_store_b16 v[18:19], v42, off
	v_add_co_ci_u32_e64 v17, s0, v7, v32, s0
	v_lshlrev_b64 v[18:19], 1, v[4:5]
	v_add_nc_u32_e32 v4, 0x700, v2
	v_add_co_u32 v14, s0, v6, v14
	s_delay_alu instid0(VALU_DEP_1)
	v_add_co_ci_u32_e64 v15, s0, v7, v15, s0
	s_waitcnt lgkmcnt(7)
	global_store_b16 v[16:17], v43, off
	s_waitcnt lgkmcnt(6)
	global_store_b16 v[20:21], v44, off
	v_lshlrev_b64 v[16:17], 1, v[4:5]
	v_add_nc_u32_e32 v12, 0x1000, v12
	s_waitcnt lgkmcnt(5)
	global_store_b16 v[14:15], v45, off
	v_add_co_u32 v14, s0, v6, v18
	v_add_nc_u32_e32 v3, 0x800, v3
	v_add_nc_u32_e32 v2, 0x800, v2
	v_add_co_ci_u32_e64 v15, s0, v7, v19, s0
	v_add_co_u32 v16, s0, v6, v16
	s_delay_alu instid0(VALU_DEP_1)
	v_add_co_ci_u32_e64 v17, s0, v7, v17, s0
	s_waitcnt lgkmcnt(4)
	global_store_b16 v[22:23], v46, off
	s_waitcnt lgkmcnt(3)
	global_store_b16 v[14:15], v47, off
	;; [unrolled: 2-line block ×5, first 2 shown]
	s_and_not1_b32 exec_lo, exec_lo, s5
	s_cbranch_execnz .LBB329_317
; %bb.318:
	s_or_b32 exec_lo, exec_lo, s5
.LBB329_319:
	s_delay_alu instid0(SALU_CYCLE_1) | instskip(SKIP_3) | instid1(VALU_DEP_1)
	s_or_b32 exec_lo, exec_lo, s1
	v_and_b32_e32 v1, 7, v10
	s_mov_b32 s6, 0
	s_mov_b32 s5, exec_lo
	v_cmpx_ne_u32_e32 0, v1
	s_cbranch_execz .LBB329_322
; %bb.320:
	v_lshl_or_b32 v9, v13, 8, v9
	v_mov_b32_e32 v5, 0
	s_set_inst_prefetch_distance 0x1
	.p2align	6
.LBB329_321:                            ; =>This Inner Loop Header: Depth=1
	v_dual_mov_b32 v4, v2 :: v_dual_add_nc_u32 v1, -1, v1
	ds_load_u16 v14, v9
	ds_load_u16 v15, v9 offset:256
	v_add_nc_u32_e32 v2, 0x100, v2
	v_add_nc_u32_e32 v9, 0x200, v9
	v_lshlrev_b64 v[10:11], 1, v[4:5]
	v_mov_b32_e32 v4, v3
	v_cmp_eq_u32_e64 s0, 0, v1
	v_add_nc_u32_e32 v3, 0x100, v3
	s_delay_alu instid0(VALU_DEP_3) | instskip(SKIP_1) | instid1(VALU_DEP_1)
	v_lshlrev_b64 v[12:13], 1, v[4:5]
	v_add_co_u32 v10, s1, v6, v10
	v_add_co_ci_u32_e64 v11, s1, v7, v11, s1
	s_or_b32 s6, s0, s6
	s_delay_alu instid0(VALU_DEP_3) | instskip(NEXT) | instid1(VALU_DEP_1)
	v_add_co_u32 v12, s1, v6, v12
	v_add_co_ci_u32_e64 v13, s1, v7, v13, s1
	s_waitcnt lgkmcnt(1)
	global_store_b16 v[10:11], v14, off
	s_waitcnt lgkmcnt(0)
	global_store_b16 v[12:13], v15, off
	s_and_not1_b32 exec_lo, exec_lo, s6
	s_cbranch_execnz .LBB329_321
.LBB329_322:
	s_set_inst_prefetch_distance 0x2
	s_or_b32 exec_lo, exec_lo, s5
	v_add_nc_u32_e32 v1, 1, v8
	s_delay_alu instid0(VALU_DEP_1) | instskip(NEXT) | instid1(VALU_DEP_1)
	v_and_b32_e32 v2, 0x3fffffe, v1
	v_cmp_ne_u32_e64 s0, v1, v2
	v_lshl_or_b32 v1, v2, 7, v0
	s_delay_alu instid0(VALU_DEP_2)
	s_or_not1_b32 s1, s0, exec_lo
.LBB329_323:
	s_or_b32 exec_lo, exec_lo, s4
	s_delay_alu instid0(SALU_CYCLE_1) | instskip(SKIP_1) | instid1(SALU_CYCLE_1)
	s_and_not1_b32 s0, vcc_lo, exec_lo
	s_and_b32 s1, s1, exec_lo
	s_or_b32 vcc_lo, s0, s1
.LBB329_324:
	s_or_b32 exec_lo, exec_lo, s3
	s_delay_alu instid0(SALU_CYCLE_1)
	s_and_b32 exec_lo, exec_lo, vcc_lo
	s_cbranch_execz .LBB329_327
; %bb.325:
	v_dual_mov_b32 v2, 0 :: v_dual_lshlrev_b32 v3, 1, v1
	s_mov_b32 s1, 0
	.p2align	6
.LBB329_326:                            ; =>This Inner Loop Header: Depth=1
	ds_load_u16 v8, v3
	v_lshlrev_b64 v[4:5], 1, v[1:2]
	v_add_nc_u32_e32 v1, 0x80, v1
	v_add_nc_u32_e32 v3, 0x100, v3
	s_delay_alu instid0(VALU_DEP_2) | instskip(NEXT) | instid1(VALU_DEP_4)
	v_cmp_ge_u32_e32 vcc_lo, v1, v29
	v_add_co_u32 v4, s0, v6, v4
	s_delay_alu instid0(VALU_DEP_1)
	v_add_co_ci_u32_e64 v5, s0, v7, v5, s0
	s_or_b32 s1, vcc_lo, s1
	s_waitcnt lgkmcnt(0)
	global_store_b16 v[4:5], v8, off
	s_and_not1_b32 exec_lo, exec_lo, s1
	s_cbranch_execnz .LBB329_326
.LBB329_327:
	s_or_b32 exec_lo, exec_lo, s2
	v_cmp_eq_u32_e32 vcc_lo, 0, v0
	s_and_b32 s0, vcc_lo, s14
	s_delay_alu instid0(SALU_CYCLE_1)
	s_and_saveexec_b32 s1, s0
	s_cbranch_execz .LBB329_250
.LBB329_328:
	v_add_co_u32 v0, s0, s10, v29
	s_delay_alu instid0(VALU_DEP_1) | instskip(SKIP_1) | instid1(VALU_DEP_3)
	v_add_co_ci_u32_e64 v1, null, s11, 0, s0
	v_mov_b32_e32 v2, 0
	v_add_co_u32 v0, vcc_lo, v0, v30
	s_delay_alu instid0(VALU_DEP_3)
	v_add_co_ci_u32_e32 v1, vcc_lo, 0, v1, vcc_lo
	global_store_b64 v2, v[0:1], s[16:17]
	s_nop 0
	s_sendmsg sendmsg(MSG_DEALLOC_VGPRS)
	s_endpgm
	.section	.rodata,"a",@progbits
	.p2align	6, 0x0
	.amdhsa_kernel _ZN7rocprim17ROCPRIM_400000_NS6detail17trampoline_kernelINS0_14default_configENS1_25partition_config_selectorILNS1_17partition_subalgoE9EttbEEZZNS1_14partition_implILS5_9ELb0ES3_jN6thrust23THRUST_200600_302600_NS6detail15normal_iteratorINS9_10device_ptrItEEEESE_PNS0_10empty_typeENS0_5tupleIJSE_SF_EEENSH_IJSE_SG_EEENS0_18inequality_wrapperI22is_equal_div_10_uniqueItEEEPmJSF_EEE10hipError_tPvRmT3_T4_T5_T6_T7_T9_mT8_P12ihipStream_tbDpT10_ENKUlT_T0_E_clISt17integral_constantIbLb1EES17_IbLb0EEEEDaS13_S14_EUlS13_E_NS1_11comp_targetILNS1_3genE9ELNS1_11target_archE1100ELNS1_3gpuE3ELNS1_3repE0EEENS1_30default_config_static_selectorELNS0_4arch9wavefront6targetE0EEEvT1_
		.amdhsa_group_segment_fixed_size 3080
		.amdhsa_private_segment_fixed_size 0
		.amdhsa_kernarg_size 112
		.amdhsa_user_sgpr_count 15
		.amdhsa_user_sgpr_dispatch_ptr 0
		.amdhsa_user_sgpr_queue_ptr 0
		.amdhsa_user_sgpr_kernarg_segment_ptr 1
		.amdhsa_user_sgpr_dispatch_id 0
		.amdhsa_user_sgpr_private_segment_size 0
		.amdhsa_wavefront_size32 1
		.amdhsa_uses_dynamic_stack 0
		.amdhsa_enable_private_segment 0
		.amdhsa_system_sgpr_workgroup_id_x 1
		.amdhsa_system_sgpr_workgroup_id_y 0
		.amdhsa_system_sgpr_workgroup_id_z 0
		.amdhsa_system_sgpr_workgroup_info 0
		.amdhsa_system_vgpr_workitem_id 0
		.amdhsa_next_free_vgpr 81
		.amdhsa_next_free_sgpr 25
		.amdhsa_reserve_vcc 1
		.amdhsa_float_round_mode_32 0
		.amdhsa_float_round_mode_16_64 0
		.amdhsa_float_denorm_mode_32 3
		.amdhsa_float_denorm_mode_16_64 3
		.amdhsa_dx10_clamp 1
		.amdhsa_ieee_mode 1
		.amdhsa_fp16_overflow 0
		.amdhsa_workgroup_processor_mode 1
		.amdhsa_memory_ordered 1
		.amdhsa_forward_progress 0
		.amdhsa_shared_vgpr_count 0
		.amdhsa_exception_fp_ieee_invalid_op 0
		.amdhsa_exception_fp_denorm_src 0
		.amdhsa_exception_fp_ieee_div_zero 0
		.amdhsa_exception_fp_ieee_overflow 0
		.amdhsa_exception_fp_ieee_underflow 0
		.amdhsa_exception_fp_ieee_inexact 0
		.amdhsa_exception_int_div_zero 0
	.end_amdhsa_kernel
	.section	.text._ZN7rocprim17ROCPRIM_400000_NS6detail17trampoline_kernelINS0_14default_configENS1_25partition_config_selectorILNS1_17partition_subalgoE9EttbEEZZNS1_14partition_implILS5_9ELb0ES3_jN6thrust23THRUST_200600_302600_NS6detail15normal_iteratorINS9_10device_ptrItEEEESE_PNS0_10empty_typeENS0_5tupleIJSE_SF_EEENSH_IJSE_SG_EEENS0_18inequality_wrapperI22is_equal_div_10_uniqueItEEEPmJSF_EEE10hipError_tPvRmT3_T4_T5_T6_T7_T9_mT8_P12ihipStream_tbDpT10_ENKUlT_T0_E_clISt17integral_constantIbLb1EES17_IbLb0EEEEDaS13_S14_EUlS13_E_NS1_11comp_targetILNS1_3genE9ELNS1_11target_archE1100ELNS1_3gpuE3ELNS1_3repE0EEENS1_30default_config_static_selectorELNS0_4arch9wavefront6targetE0EEEvT1_,"axG",@progbits,_ZN7rocprim17ROCPRIM_400000_NS6detail17trampoline_kernelINS0_14default_configENS1_25partition_config_selectorILNS1_17partition_subalgoE9EttbEEZZNS1_14partition_implILS5_9ELb0ES3_jN6thrust23THRUST_200600_302600_NS6detail15normal_iteratorINS9_10device_ptrItEEEESE_PNS0_10empty_typeENS0_5tupleIJSE_SF_EEENSH_IJSE_SG_EEENS0_18inequality_wrapperI22is_equal_div_10_uniqueItEEEPmJSF_EEE10hipError_tPvRmT3_T4_T5_T6_T7_T9_mT8_P12ihipStream_tbDpT10_ENKUlT_T0_E_clISt17integral_constantIbLb1EES17_IbLb0EEEEDaS13_S14_EUlS13_E_NS1_11comp_targetILNS1_3genE9ELNS1_11target_archE1100ELNS1_3gpuE3ELNS1_3repE0EEENS1_30default_config_static_selectorELNS0_4arch9wavefront6targetE0EEEvT1_,comdat
.Lfunc_end329:
	.size	_ZN7rocprim17ROCPRIM_400000_NS6detail17trampoline_kernelINS0_14default_configENS1_25partition_config_selectorILNS1_17partition_subalgoE9EttbEEZZNS1_14partition_implILS5_9ELb0ES3_jN6thrust23THRUST_200600_302600_NS6detail15normal_iteratorINS9_10device_ptrItEEEESE_PNS0_10empty_typeENS0_5tupleIJSE_SF_EEENSH_IJSE_SG_EEENS0_18inequality_wrapperI22is_equal_div_10_uniqueItEEEPmJSF_EEE10hipError_tPvRmT3_T4_T5_T6_T7_T9_mT8_P12ihipStream_tbDpT10_ENKUlT_T0_E_clISt17integral_constantIbLb1EES17_IbLb0EEEEDaS13_S14_EUlS13_E_NS1_11comp_targetILNS1_3genE9ELNS1_11target_archE1100ELNS1_3gpuE3ELNS1_3repE0EEENS1_30default_config_static_selectorELNS0_4arch9wavefront6targetE0EEEvT1_, .Lfunc_end329-_ZN7rocprim17ROCPRIM_400000_NS6detail17trampoline_kernelINS0_14default_configENS1_25partition_config_selectorILNS1_17partition_subalgoE9EttbEEZZNS1_14partition_implILS5_9ELb0ES3_jN6thrust23THRUST_200600_302600_NS6detail15normal_iteratorINS9_10device_ptrItEEEESE_PNS0_10empty_typeENS0_5tupleIJSE_SF_EEENSH_IJSE_SG_EEENS0_18inequality_wrapperI22is_equal_div_10_uniqueItEEEPmJSF_EEE10hipError_tPvRmT3_T4_T5_T6_T7_T9_mT8_P12ihipStream_tbDpT10_ENKUlT_T0_E_clISt17integral_constantIbLb1EES17_IbLb0EEEEDaS13_S14_EUlS13_E_NS1_11comp_targetILNS1_3genE9ELNS1_11target_archE1100ELNS1_3gpuE3ELNS1_3repE0EEENS1_30default_config_static_selectorELNS0_4arch9wavefront6targetE0EEEvT1_
                                        ; -- End function
	.section	.AMDGPU.csdata,"",@progbits
; Kernel info:
; codeLenInByte = 15696
; NumSgprs: 27
; NumVgprs: 81
; ScratchSize: 0
; MemoryBound: 0
; FloatMode: 240
; IeeeMode: 1
; LDSByteSize: 3080 bytes/workgroup (compile time only)
; SGPRBlocks: 3
; VGPRBlocks: 10
; NumSGPRsForWavesPerEU: 27
; NumVGPRsForWavesPerEU: 81
; Occupancy: 16
; WaveLimiterHint : 1
; COMPUTE_PGM_RSRC2:SCRATCH_EN: 0
; COMPUTE_PGM_RSRC2:USER_SGPR: 15
; COMPUTE_PGM_RSRC2:TRAP_HANDLER: 0
; COMPUTE_PGM_RSRC2:TGID_X_EN: 1
; COMPUTE_PGM_RSRC2:TGID_Y_EN: 0
; COMPUTE_PGM_RSRC2:TGID_Z_EN: 0
; COMPUTE_PGM_RSRC2:TIDIG_COMP_CNT: 0
	.section	.text._ZN7rocprim17ROCPRIM_400000_NS6detail17trampoline_kernelINS0_14default_configENS1_25partition_config_selectorILNS1_17partition_subalgoE9EttbEEZZNS1_14partition_implILS5_9ELb0ES3_jN6thrust23THRUST_200600_302600_NS6detail15normal_iteratorINS9_10device_ptrItEEEESE_PNS0_10empty_typeENS0_5tupleIJSE_SF_EEENSH_IJSE_SG_EEENS0_18inequality_wrapperI22is_equal_div_10_uniqueItEEEPmJSF_EEE10hipError_tPvRmT3_T4_T5_T6_T7_T9_mT8_P12ihipStream_tbDpT10_ENKUlT_T0_E_clISt17integral_constantIbLb1EES17_IbLb0EEEEDaS13_S14_EUlS13_E_NS1_11comp_targetILNS1_3genE8ELNS1_11target_archE1030ELNS1_3gpuE2ELNS1_3repE0EEENS1_30default_config_static_selectorELNS0_4arch9wavefront6targetE0EEEvT1_,"axG",@progbits,_ZN7rocprim17ROCPRIM_400000_NS6detail17trampoline_kernelINS0_14default_configENS1_25partition_config_selectorILNS1_17partition_subalgoE9EttbEEZZNS1_14partition_implILS5_9ELb0ES3_jN6thrust23THRUST_200600_302600_NS6detail15normal_iteratorINS9_10device_ptrItEEEESE_PNS0_10empty_typeENS0_5tupleIJSE_SF_EEENSH_IJSE_SG_EEENS0_18inequality_wrapperI22is_equal_div_10_uniqueItEEEPmJSF_EEE10hipError_tPvRmT3_T4_T5_T6_T7_T9_mT8_P12ihipStream_tbDpT10_ENKUlT_T0_E_clISt17integral_constantIbLb1EES17_IbLb0EEEEDaS13_S14_EUlS13_E_NS1_11comp_targetILNS1_3genE8ELNS1_11target_archE1030ELNS1_3gpuE2ELNS1_3repE0EEENS1_30default_config_static_selectorELNS0_4arch9wavefront6targetE0EEEvT1_,comdat
	.protected	_ZN7rocprim17ROCPRIM_400000_NS6detail17trampoline_kernelINS0_14default_configENS1_25partition_config_selectorILNS1_17partition_subalgoE9EttbEEZZNS1_14partition_implILS5_9ELb0ES3_jN6thrust23THRUST_200600_302600_NS6detail15normal_iteratorINS9_10device_ptrItEEEESE_PNS0_10empty_typeENS0_5tupleIJSE_SF_EEENSH_IJSE_SG_EEENS0_18inequality_wrapperI22is_equal_div_10_uniqueItEEEPmJSF_EEE10hipError_tPvRmT3_T4_T5_T6_T7_T9_mT8_P12ihipStream_tbDpT10_ENKUlT_T0_E_clISt17integral_constantIbLb1EES17_IbLb0EEEEDaS13_S14_EUlS13_E_NS1_11comp_targetILNS1_3genE8ELNS1_11target_archE1030ELNS1_3gpuE2ELNS1_3repE0EEENS1_30default_config_static_selectorELNS0_4arch9wavefront6targetE0EEEvT1_ ; -- Begin function _ZN7rocprim17ROCPRIM_400000_NS6detail17trampoline_kernelINS0_14default_configENS1_25partition_config_selectorILNS1_17partition_subalgoE9EttbEEZZNS1_14partition_implILS5_9ELb0ES3_jN6thrust23THRUST_200600_302600_NS6detail15normal_iteratorINS9_10device_ptrItEEEESE_PNS0_10empty_typeENS0_5tupleIJSE_SF_EEENSH_IJSE_SG_EEENS0_18inequality_wrapperI22is_equal_div_10_uniqueItEEEPmJSF_EEE10hipError_tPvRmT3_T4_T5_T6_T7_T9_mT8_P12ihipStream_tbDpT10_ENKUlT_T0_E_clISt17integral_constantIbLb1EES17_IbLb0EEEEDaS13_S14_EUlS13_E_NS1_11comp_targetILNS1_3genE8ELNS1_11target_archE1030ELNS1_3gpuE2ELNS1_3repE0EEENS1_30default_config_static_selectorELNS0_4arch9wavefront6targetE0EEEvT1_
	.globl	_ZN7rocprim17ROCPRIM_400000_NS6detail17trampoline_kernelINS0_14default_configENS1_25partition_config_selectorILNS1_17partition_subalgoE9EttbEEZZNS1_14partition_implILS5_9ELb0ES3_jN6thrust23THRUST_200600_302600_NS6detail15normal_iteratorINS9_10device_ptrItEEEESE_PNS0_10empty_typeENS0_5tupleIJSE_SF_EEENSH_IJSE_SG_EEENS0_18inequality_wrapperI22is_equal_div_10_uniqueItEEEPmJSF_EEE10hipError_tPvRmT3_T4_T5_T6_T7_T9_mT8_P12ihipStream_tbDpT10_ENKUlT_T0_E_clISt17integral_constantIbLb1EES17_IbLb0EEEEDaS13_S14_EUlS13_E_NS1_11comp_targetILNS1_3genE8ELNS1_11target_archE1030ELNS1_3gpuE2ELNS1_3repE0EEENS1_30default_config_static_selectorELNS0_4arch9wavefront6targetE0EEEvT1_
	.p2align	8
	.type	_ZN7rocprim17ROCPRIM_400000_NS6detail17trampoline_kernelINS0_14default_configENS1_25partition_config_selectorILNS1_17partition_subalgoE9EttbEEZZNS1_14partition_implILS5_9ELb0ES3_jN6thrust23THRUST_200600_302600_NS6detail15normal_iteratorINS9_10device_ptrItEEEESE_PNS0_10empty_typeENS0_5tupleIJSE_SF_EEENSH_IJSE_SG_EEENS0_18inequality_wrapperI22is_equal_div_10_uniqueItEEEPmJSF_EEE10hipError_tPvRmT3_T4_T5_T6_T7_T9_mT8_P12ihipStream_tbDpT10_ENKUlT_T0_E_clISt17integral_constantIbLb1EES17_IbLb0EEEEDaS13_S14_EUlS13_E_NS1_11comp_targetILNS1_3genE8ELNS1_11target_archE1030ELNS1_3gpuE2ELNS1_3repE0EEENS1_30default_config_static_selectorELNS0_4arch9wavefront6targetE0EEEvT1_,@function
_ZN7rocprim17ROCPRIM_400000_NS6detail17trampoline_kernelINS0_14default_configENS1_25partition_config_selectorILNS1_17partition_subalgoE9EttbEEZZNS1_14partition_implILS5_9ELb0ES3_jN6thrust23THRUST_200600_302600_NS6detail15normal_iteratorINS9_10device_ptrItEEEESE_PNS0_10empty_typeENS0_5tupleIJSE_SF_EEENSH_IJSE_SG_EEENS0_18inequality_wrapperI22is_equal_div_10_uniqueItEEEPmJSF_EEE10hipError_tPvRmT3_T4_T5_T6_T7_T9_mT8_P12ihipStream_tbDpT10_ENKUlT_T0_E_clISt17integral_constantIbLb1EES17_IbLb0EEEEDaS13_S14_EUlS13_E_NS1_11comp_targetILNS1_3genE8ELNS1_11target_archE1030ELNS1_3gpuE2ELNS1_3repE0EEENS1_30default_config_static_selectorELNS0_4arch9wavefront6targetE0EEEvT1_: ; @_ZN7rocprim17ROCPRIM_400000_NS6detail17trampoline_kernelINS0_14default_configENS1_25partition_config_selectorILNS1_17partition_subalgoE9EttbEEZZNS1_14partition_implILS5_9ELb0ES3_jN6thrust23THRUST_200600_302600_NS6detail15normal_iteratorINS9_10device_ptrItEEEESE_PNS0_10empty_typeENS0_5tupleIJSE_SF_EEENSH_IJSE_SG_EEENS0_18inequality_wrapperI22is_equal_div_10_uniqueItEEEPmJSF_EEE10hipError_tPvRmT3_T4_T5_T6_T7_T9_mT8_P12ihipStream_tbDpT10_ENKUlT_T0_E_clISt17integral_constantIbLb1EES17_IbLb0EEEEDaS13_S14_EUlS13_E_NS1_11comp_targetILNS1_3genE8ELNS1_11target_archE1030ELNS1_3gpuE2ELNS1_3repE0EEENS1_30default_config_static_selectorELNS0_4arch9wavefront6targetE0EEEvT1_
; %bb.0:
	.section	.rodata,"a",@progbits
	.p2align	6, 0x0
	.amdhsa_kernel _ZN7rocprim17ROCPRIM_400000_NS6detail17trampoline_kernelINS0_14default_configENS1_25partition_config_selectorILNS1_17partition_subalgoE9EttbEEZZNS1_14partition_implILS5_9ELb0ES3_jN6thrust23THRUST_200600_302600_NS6detail15normal_iteratorINS9_10device_ptrItEEEESE_PNS0_10empty_typeENS0_5tupleIJSE_SF_EEENSH_IJSE_SG_EEENS0_18inequality_wrapperI22is_equal_div_10_uniqueItEEEPmJSF_EEE10hipError_tPvRmT3_T4_T5_T6_T7_T9_mT8_P12ihipStream_tbDpT10_ENKUlT_T0_E_clISt17integral_constantIbLb1EES17_IbLb0EEEEDaS13_S14_EUlS13_E_NS1_11comp_targetILNS1_3genE8ELNS1_11target_archE1030ELNS1_3gpuE2ELNS1_3repE0EEENS1_30default_config_static_selectorELNS0_4arch9wavefront6targetE0EEEvT1_
		.amdhsa_group_segment_fixed_size 0
		.amdhsa_private_segment_fixed_size 0
		.amdhsa_kernarg_size 112
		.amdhsa_user_sgpr_count 15
		.amdhsa_user_sgpr_dispatch_ptr 0
		.amdhsa_user_sgpr_queue_ptr 0
		.amdhsa_user_sgpr_kernarg_segment_ptr 1
		.amdhsa_user_sgpr_dispatch_id 0
		.amdhsa_user_sgpr_private_segment_size 0
		.amdhsa_wavefront_size32 1
		.amdhsa_uses_dynamic_stack 0
		.amdhsa_enable_private_segment 0
		.amdhsa_system_sgpr_workgroup_id_x 1
		.amdhsa_system_sgpr_workgroup_id_y 0
		.amdhsa_system_sgpr_workgroup_id_z 0
		.amdhsa_system_sgpr_workgroup_info 0
		.amdhsa_system_vgpr_workitem_id 0
		.amdhsa_next_free_vgpr 1
		.amdhsa_next_free_sgpr 1
		.amdhsa_reserve_vcc 0
		.amdhsa_float_round_mode_32 0
		.amdhsa_float_round_mode_16_64 0
		.amdhsa_float_denorm_mode_32 3
		.amdhsa_float_denorm_mode_16_64 3
		.amdhsa_dx10_clamp 1
		.amdhsa_ieee_mode 1
		.amdhsa_fp16_overflow 0
		.amdhsa_workgroup_processor_mode 1
		.amdhsa_memory_ordered 1
		.amdhsa_forward_progress 0
		.amdhsa_shared_vgpr_count 0
		.amdhsa_exception_fp_ieee_invalid_op 0
		.amdhsa_exception_fp_denorm_src 0
		.amdhsa_exception_fp_ieee_div_zero 0
		.amdhsa_exception_fp_ieee_overflow 0
		.amdhsa_exception_fp_ieee_underflow 0
		.amdhsa_exception_fp_ieee_inexact 0
		.amdhsa_exception_int_div_zero 0
	.end_amdhsa_kernel
	.section	.text._ZN7rocprim17ROCPRIM_400000_NS6detail17trampoline_kernelINS0_14default_configENS1_25partition_config_selectorILNS1_17partition_subalgoE9EttbEEZZNS1_14partition_implILS5_9ELb0ES3_jN6thrust23THRUST_200600_302600_NS6detail15normal_iteratorINS9_10device_ptrItEEEESE_PNS0_10empty_typeENS0_5tupleIJSE_SF_EEENSH_IJSE_SG_EEENS0_18inequality_wrapperI22is_equal_div_10_uniqueItEEEPmJSF_EEE10hipError_tPvRmT3_T4_T5_T6_T7_T9_mT8_P12ihipStream_tbDpT10_ENKUlT_T0_E_clISt17integral_constantIbLb1EES17_IbLb0EEEEDaS13_S14_EUlS13_E_NS1_11comp_targetILNS1_3genE8ELNS1_11target_archE1030ELNS1_3gpuE2ELNS1_3repE0EEENS1_30default_config_static_selectorELNS0_4arch9wavefront6targetE0EEEvT1_,"axG",@progbits,_ZN7rocprim17ROCPRIM_400000_NS6detail17trampoline_kernelINS0_14default_configENS1_25partition_config_selectorILNS1_17partition_subalgoE9EttbEEZZNS1_14partition_implILS5_9ELb0ES3_jN6thrust23THRUST_200600_302600_NS6detail15normal_iteratorINS9_10device_ptrItEEEESE_PNS0_10empty_typeENS0_5tupleIJSE_SF_EEENSH_IJSE_SG_EEENS0_18inequality_wrapperI22is_equal_div_10_uniqueItEEEPmJSF_EEE10hipError_tPvRmT3_T4_T5_T6_T7_T9_mT8_P12ihipStream_tbDpT10_ENKUlT_T0_E_clISt17integral_constantIbLb1EES17_IbLb0EEEEDaS13_S14_EUlS13_E_NS1_11comp_targetILNS1_3genE8ELNS1_11target_archE1030ELNS1_3gpuE2ELNS1_3repE0EEENS1_30default_config_static_selectorELNS0_4arch9wavefront6targetE0EEEvT1_,comdat
.Lfunc_end330:
	.size	_ZN7rocprim17ROCPRIM_400000_NS6detail17trampoline_kernelINS0_14default_configENS1_25partition_config_selectorILNS1_17partition_subalgoE9EttbEEZZNS1_14partition_implILS5_9ELb0ES3_jN6thrust23THRUST_200600_302600_NS6detail15normal_iteratorINS9_10device_ptrItEEEESE_PNS0_10empty_typeENS0_5tupleIJSE_SF_EEENSH_IJSE_SG_EEENS0_18inequality_wrapperI22is_equal_div_10_uniqueItEEEPmJSF_EEE10hipError_tPvRmT3_T4_T5_T6_T7_T9_mT8_P12ihipStream_tbDpT10_ENKUlT_T0_E_clISt17integral_constantIbLb1EES17_IbLb0EEEEDaS13_S14_EUlS13_E_NS1_11comp_targetILNS1_3genE8ELNS1_11target_archE1030ELNS1_3gpuE2ELNS1_3repE0EEENS1_30default_config_static_selectorELNS0_4arch9wavefront6targetE0EEEvT1_, .Lfunc_end330-_ZN7rocprim17ROCPRIM_400000_NS6detail17trampoline_kernelINS0_14default_configENS1_25partition_config_selectorILNS1_17partition_subalgoE9EttbEEZZNS1_14partition_implILS5_9ELb0ES3_jN6thrust23THRUST_200600_302600_NS6detail15normal_iteratorINS9_10device_ptrItEEEESE_PNS0_10empty_typeENS0_5tupleIJSE_SF_EEENSH_IJSE_SG_EEENS0_18inequality_wrapperI22is_equal_div_10_uniqueItEEEPmJSF_EEE10hipError_tPvRmT3_T4_T5_T6_T7_T9_mT8_P12ihipStream_tbDpT10_ENKUlT_T0_E_clISt17integral_constantIbLb1EES17_IbLb0EEEEDaS13_S14_EUlS13_E_NS1_11comp_targetILNS1_3genE8ELNS1_11target_archE1030ELNS1_3gpuE2ELNS1_3repE0EEENS1_30default_config_static_selectorELNS0_4arch9wavefront6targetE0EEEvT1_
                                        ; -- End function
	.section	.AMDGPU.csdata,"",@progbits
; Kernel info:
; codeLenInByte = 0
; NumSgprs: 0
; NumVgprs: 0
; ScratchSize: 0
; MemoryBound: 0
; FloatMode: 240
; IeeeMode: 1
; LDSByteSize: 0 bytes/workgroup (compile time only)
; SGPRBlocks: 0
; VGPRBlocks: 0
; NumSGPRsForWavesPerEU: 1
; NumVGPRsForWavesPerEU: 1
; Occupancy: 15
; WaveLimiterHint : 0
; COMPUTE_PGM_RSRC2:SCRATCH_EN: 0
; COMPUTE_PGM_RSRC2:USER_SGPR: 15
; COMPUTE_PGM_RSRC2:TRAP_HANDLER: 0
; COMPUTE_PGM_RSRC2:TGID_X_EN: 1
; COMPUTE_PGM_RSRC2:TGID_Y_EN: 0
; COMPUTE_PGM_RSRC2:TGID_Z_EN: 0
; COMPUTE_PGM_RSRC2:TIDIG_COMP_CNT: 0
	.section	.text._ZN7rocprim17ROCPRIM_400000_NS6detail17trampoline_kernelINS0_14default_configENS1_25partition_config_selectorILNS1_17partition_subalgoE9EttbEEZZNS1_14partition_implILS5_9ELb0ES3_jN6thrust23THRUST_200600_302600_NS6detail15normal_iteratorINS9_10device_ptrItEEEESE_PNS0_10empty_typeENS0_5tupleIJSE_SF_EEENSH_IJSE_SG_EEENS0_18inequality_wrapperI22is_equal_div_10_uniqueItEEEPmJSF_EEE10hipError_tPvRmT3_T4_T5_T6_T7_T9_mT8_P12ihipStream_tbDpT10_ENKUlT_T0_E_clISt17integral_constantIbLb0EES17_IbLb1EEEEDaS13_S14_EUlS13_E_NS1_11comp_targetILNS1_3genE0ELNS1_11target_archE4294967295ELNS1_3gpuE0ELNS1_3repE0EEENS1_30default_config_static_selectorELNS0_4arch9wavefront6targetE0EEEvT1_,"axG",@progbits,_ZN7rocprim17ROCPRIM_400000_NS6detail17trampoline_kernelINS0_14default_configENS1_25partition_config_selectorILNS1_17partition_subalgoE9EttbEEZZNS1_14partition_implILS5_9ELb0ES3_jN6thrust23THRUST_200600_302600_NS6detail15normal_iteratorINS9_10device_ptrItEEEESE_PNS0_10empty_typeENS0_5tupleIJSE_SF_EEENSH_IJSE_SG_EEENS0_18inequality_wrapperI22is_equal_div_10_uniqueItEEEPmJSF_EEE10hipError_tPvRmT3_T4_T5_T6_T7_T9_mT8_P12ihipStream_tbDpT10_ENKUlT_T0_E_clISt17integral_constantIbLb0EES17_IbLb1EEEEDaS13_S14_EUlS13_E_NS1_11comp_targetILNS1_3genE0ELNS1_11target_archE4294967295ELNS1_3gpuE0ELNS1_3repE0EEENS1_30default_config_static_selectorELNS0_4arch9wavefront6targetE0EEEvT1_,comdat
	.protected	_ZN7rocprim17ROCPRIM_400000_NS6detail17trampoline_kernelINS0_14default_configENS1_25partition_config_selectorILNS1_17partition_subalgoE9EttbEEZZNS1_14partition_implILS5_9ELb0ES3_jN6thrust23THRUST_200600_302600_NS6detail15normal_iteratorINS9_10device_ptrItEEEESE_PNS0_10empty_typeENS0_5tupleIJSE_SF_EEENSH_IJSE_SG_EEENS0_18inequality_wrapperI22is_equal_div_10_uniqueItEEEPmJSF_EEE10hipError_tPvRmT3_T4_T5_T6_T7_T9_mT8_P12ihipStream_tbDpT10_ENKUlT_T0_E_clISt17integral_constantIbLb0EES17_IbLb1EEEEDaS13_S14_EUlS13_E_NS1_11comp_targetILNS1_3genE0ELNS1_11target_archE4294967295ELNS1_3gpuE0ELNS1_3repE0EEENS1_30default_config_static_selectorELNS0_4arch9wavefront6targetE0EEEvT1_ ; -- Begin function _ZN7rocprim17ROCPRIM_400000_NS6detail17trampoline_kernelINS0_14default_configENS1_25partition_config_selectorILNS1_17partition_subalgoE9EttbEEZZNS1_14partition_implILS5_9ELb0ES3_jN6thrust23THRUST_200600_302600_NS6detail15normal_iteratorINS9_10device_ptrItEEEESE_PNS0_10empty_typeENS0_5tupleIJSE_SF_EEENSH_IJSE_SG_EEENS0_18inequality_wrapperI22is_equal_div_10_uniqueItEEEPmJSF_EEE10hipError_tPvRmT3_T4_T5_T6_T7_T9_mT8_P12ihipStream_tbDpT10_ENKUlT_T0_E_clISt17integral_constantIbLb0EES17_IbLb1EEEEDaS13_S14_EUlS13_E_NS1_11comp_targetILNS1_3genE0ELNS1_11target_archE4294967295ELNS1_3gpuE0ELNS1_3repE0EEENS1_30default_config_static_selectorELNS0_4arch9wavefront6targetE0EEEvT1_
	.globl	_ZN7rocprim17ROCPRIM_400000_NS6detail17trampoline_kernelINS0_14default_configENS1_25partition_config_selectorILNS1_17partition_subalgoE9EttbEEZZNS1_14partition_implILS5_9ELb0ES3_jN6thrust23THRUST_200600_302600_NS6detail15normal_iteratorINS9_10device_ptrItEEEESE_PNS0_10empty_typeENS0_5tupleIJSE_SF_EEENSH_IJSE_SG_EEENS0_18inequality_wrapperI22is_equal_div_10_uniqueItEEEPmJSF_EEE10hipError_tPvRmT3_T4_T5_T6_T7_T9_mT8_P12ihipStream_tbDpT10_ENKUlT_T0_E_clISt17integral_constantIbLb0EES17_IbLb1EEEEDaS13_S14_EUlS13_E_NS1_11comp_targetILNS1_3genE0ELNS1_11target_archE4294967295ELNS1_3gpuE0ELNS1_3repE0EEENS1_30default_config_static_selectorELNS0_4arch9wavefront6targetE0EEEvT1_
	.p2align	8
	.type	_ZN7rocprim17ROCPRIM_400000_NS6detail17trampoline_kernelINS0_14default_configENS1_25partition_config_selectorILNS1_17partition_subalgoE9EttbEEZZNS1_14partition_implILS5_9ELb0ES3_jN6thrust23THRUST_200600_302600_NS6detail15normal_iteratorINS9_10device_ptrItEEEESE_PNS0_10empty_typeENS0_5tupleIJSE_SF_EEENSH_IJSE_SG_EEENS0_18inequality_wrapperI22is_equal_div_10_uniqueItEEEPmJSF_EEE10hipError_tPvRmT3_T4_T5_T6_T7_T9_mT8_P12ihipStream_tbDpT10_ENKUlT_T0_E_clISt17integral_constantIbLb0EES17_IbLb1EEEEDaS13_S14_EUlS13_E_NS1_11comp_targetILNS1_3genE0ELNS1_11target_archE4294967295ELNS1_3gpuE0ELNS1_3repE0EEENS1_30default_config_static_selectorELNS0_4arch9wavefront6targetE0EEEvT1_,@function
_ZN7rocprim17ROCPRIM_400000_NS6detail17trampoline_kernelINS0_14default_configENS1_25partition_config_selectorILNS1_17partition_subalgoE9EttbEEZZNS1_14partition_implILS5_9ELb0ES3_jN6thrust23THRUST_200600_302600_NS6detail15normal_iteratorINS9_10device_ptrItEEEESE_PNS0_10empty_typeENS0_5tupleIJSE_SF_EEENSH_IJSE_SG_EEENS0_18inequality_wrapperI22is_equal_div_10_uniqueItEEEPmJSF_EEE10hipError_tPvRmT3_T4_T5_T6_T7_T9_mT8_P12ihipStream_tbDpT10_ENKUlT_T0_E_clISt17integral_constantIbLb0EES17_IbLb1EEEEDaS13_S14_EUlS13_E_NS1_11comp_targetILNS1_3genE0ELNS1_11target_archE4294967295ELNS1_3gpuE0ELNS1_3repE0EEENS1_30default_config_static_selectorELNS0_4arch9wavefront6targetE0EEEvT1_: ; @_ZN7rocprim17ROCPRIM_400000_NS6detail17trampoline_kernelINS0_14default_configENS1_25partition_config_selectorILNS1_17partition_subalgoE9EttbEEZZNS1_14partition_implILS5_9ELb0ES3_jN6thrust23THRUST_200600_302600_NS6detail15normal_iteratorINS9_10device_ptrItEEEESE_PNS0_10empty_typeENS0_5tupleIJSE_SF_EEENSH_IJSE_SG_EEENS0_18inequality_wrapperI22is_equal_div_10_uniqueItEEEPmJSF_EEE10hipError_tPvRmT3_T4_T5_T6_T7_T9_mT8_P12ihipStream_tbDpT10_ENKUlT_T0_E_clISt17integral_constantIbLb0EES17_IbLb1EEEEDaS13_S14_EUlS13_E_NS1_11comp_targetILNS1_3genE0ELNS1_11target_archE4294967295ELNS1_3gpuE0ELNS1_3repE0EEENS1_30default_config_static_selectorELNS0_4arch9wavefront6targetE0EEEvT1_
; %bb.0:
	.section	.rodata,"a",@progbits
	.p2align	6, 0x0
	.amdhsa_kernel _ZN7rocprim17ROCPRIM_400000_NS6detail17trampoline_kernelINS0_14default_configENS1_25partition_config_selectorILNS1_17partition_subalgoE9EttbEEZZNS1_14partition_implILS5_9ELb0ES3_jN6thrust23THRUST_200600_302600_NS6detail15normal_iteratorINS9_10device_ptrItEEEESE_PNS0_10empty_typeENS0_5tupleIJSE_SF_EEENSH_IJSE_SG_EEENS0_18inequality_wrapperI22is_equal_div_10_uniqueItEEEPmJSF_EEE10hipError_tPvRmT3_T4_T5_T6_T7_T9_mT8_P12ihipStream_tbDpT10_ENKUlT_T0_E_clISt17integral_constantIbLb0EES17_IbLb1EEEEDaS13_S14_EUlS13_E_NS1_11comp_targetILNS1_3genE0ELNS1_11target_archE4294967295ELNS1_3gpuE0ELNS1_3repE0EEENS1_30default_config_static_selectorELNS0_4arch9wavefront6targetE0EEEvT1_
		.amdhsa_group_segment_fixed_size 0
		.amdhsa_private_segment_fixed_size 0
		.amdhsa_kernarg_size 128
		.amdhsa_user_sgpr_count 15
		.amdhsa_user_sgpr_dispatch_ptr 0
		.amdhsa_user_sgpr_queue_ptr 0
		.amdhsa_user_sgpr_kernarg_segment_ptr 1
		.amdhsa_user_sgpr_dispatch_id 0
		.amdhsa_user_sgpr_private_segment_size 0
		.amdhsa_wavefront_size32 1
		.amdhsa_uses_dynamic_stack 0
		.amdhsa_enable_private_segment 0
		.amdhsa_system_sgpr_workgroup_id_x 1
		.amdhsa_system_sgpr_workgroup_id_y 0
		.amdhsa_system_sgpr_workgroup_id_z 0
		.amdhsa_system_sgpr_workgroup_info 0
		.amdhsa_system_vgpr_workitem_id 0
		.amdhsa_next_free_vgpr 1
		.amdhsa_next_free_sgpr 1
		.amdhsa_reserve_vcc 0
		.amdhsa_float_round_mode_32 0
		.amdhsa_float_round_mode_16_64 0
		.amdhsa_float_denorm_mode_32 3
		.amdhsa_float_denorm_mode_16_64 3
		.amdhsa_dx10_clamp 1
		.amdhsa_ieee_mode 1
		.amdhsa_fp16_overflow 0
		.amdhsa_workgroup_processor_mode 1
		.amdhsa_memory_ordered 1
		.amdhsa_forward_progress 0
		.amdhsa_shared_vgpr_count 0
		.amdhsa_exception_fp_ieee_invalid_op 0
		.amdhsa_exception_fp_denorm_src 0
		.amdhsa_exception_fp_ieee_div_zero 0
		.amdhsa_exception_fp_ieee_overflow 0
		.amdhsa_exception_fp_ieee_underflow 0
		.amdhsa_exception_fp_ieee_inexact 0
		.amdhsa_exception_int_div_zero 0
	.end_amdhsa_kernel
	.section	.text._ZN7rocprim17ROCPRIM_400000_NS6detail17trampoline_kernelINS0_14default_configENS1_25partition_config_selectorILNS1_17partition_subalgoE9EttbEEZZNS1_14partition_implILS5_9ELb0ES3_jN6thrust23THRUST_200600_302600_NS6detail15normal_iteratorINS9_10device_ptrItEEEESE_PNS0_10empty_typeENS0_5tupleIJSE_SF_EEENSH_IJSE_SG_EEENS0_18inequality_wrapperI22is_equal_div_10_uniqueItEEEPmJSF_EEE10hipError_tPvRmT3_T4_T5_T6_T7_T9_mT8_P12ihipStream_tbDpT10_ENKUlT_T0_E_clISt17integral_constantIbLb0EES17_IbLb1EEEEDaS13_S14_EUlS13_E_NS1_11comp_targetILNS1_3genE0ELNS1_11target_archE4294967295ELNS1_3gpuE0ELNS1_3repE0EEENS1_30default_config_static_selectorELNS0_4arch9wavefront6targetE0EEEvT1_,"axG",@progbits,_ZN7rocprim17ROCPRIM_400000_NS6detail17trampoline_kernelINS0_14default_configENS1_25partition_config_selectorILNS1_17partition_subalgoE9EttbEEZZNS1_14partition_implILS5_9ELb0ES3_jN6thrust23THRUST_200600_302600_NS6detail15normal_iteratorINS9_10device_ptrItEEEESE_PNS0_10empty_typeENS0_5tupleIJSE_SF_EEENSH_IJSE_SG_EEENS0_18inequality_wrapperI22is_equal_div_10_uniqueItEEEPmJSF_EEE10hipError_tPvRmT3_T4_T5_T6_T7_T9_mT8_P12ihipStream_tbDpT10_ENKUlT_T0_E_clISt17integral_constantIbLb0EES17_IbLb1EEEEDaS13_S14_EUlS13_E_NS1_11comp_targetILNS1_3genE0ELNS1_11target_archE4294967295ELNS1_3gpuE0ELNS1_3repE0EEENS1_30default_config_static_selectorELNS0_4arch9wavefront6targetE0EEEvT1_,comdat
.Lfunc_end331:
	.size	_ZN7rocprim17ROCPRIM_400000_NS6detail17trampoline_kernelINS0_14default_configENS1_25partition_config_selectorILNS1_17partition_subalgoE9EttbEEZZNS1_14partition_implILS5_9ELb0ES3_jN6thrust23THRUST_200600_302600_NS6detail15normal_iteratorINS9_10device_ptrItEEEESE_PNS0_10empty_typeENS0_5tupleIJSE_SF_EEENSH_IJSE_SG_EEENS0_18inequality_wrapperI22is_equal_div_10_uniqueItEEEPmJSF_EEE10hipError_tPvRmT3_T4_T5_T6_T7_T9_mT8_P12ihipStream_tbDpT10_ENKUlT_T0_E_clISt17integral_constantIbLb0EES17_IbLb1EEEEDaS13_S14_EUlS13_E_NS1_11comp_targetILNS1_3genE0ELNS1_11target_archE4294967295ELNS1_3gpuE0ELNS1_3repE0EEENS1_30default_config_static_selectorELNS0_4arch9wavefront6targetE0EEEvT1_, .Lfunc_end331-_ZN7rocprim17ROCPRIM_400000_NS6detail17trampoline_kernelINS0_14default_configENS1_25partition_config_selectorILNS1_17partition_subalgoE9EttbEEZZNS1_14partition_implILS5_9ELb0ES3_jN6thrust23THRUST_200600_302600_NS6detail15normal_iteratorINS9_10device_ptrItEEEESE_PNS0_10empty_typeENS0_5tupleIJSE_SF_EEENSH_IJSE_SG_EEENS0_18inequality_wrapperI22is_equal_div_10_uniqueItEEEPmJSF_EEE10hipError_tPvRmT3_T4_T5_T6_T7_T9_mT8_P12ihipStream_tbDpT10_ENKUlT_T0_E_clISt17integral_constantIbLb0EES17_IbLb1EEEEDaS13_S14_EUlS13_E_NS1_11comp_targetILNS1_3genE0ELNS1_11target_archE4294967295ELNS1_3gpuE0ELNS1_3repE0EEENS1_30default_config_static_selectorELNS0_4arch9wavefront6targetE0EEEvT1_
                                        ; -- End function
	.section	.AMDGPU.csdata,"",@progbits
; Kernel info:
; codeLenInByte = 0
; NumSgprs: 0
; NumVgprs: 0
; ScratchSize: 0
; MemoryBound: 0
; FloatMode: 240
; IeeeMode: 1
; LDSByteSize: 0 bytes/workgroup (compile time only)
; SGPRBlocks: 0
; VGPRBlocks: 0
; NumSGPRsForWavesPerEU: 1
; NumVGPRsForWavesPerEU: 1
; Occupancy: 16
; WaveLimiterHint : 0
; COMPUTE_PGM_RSRC2:SCRATCH_EN: 0
; COMPUTE_PGM_RSRC2:USER_SGPR: 15
; COMPUTE_PGM_RSRC2:TRAP_HANDLER: 0
; COMPUTE_PGM_RSRC2:TGID_X_EN: 1
; COMPUTE_PGM_RSRC2:TGID_Y_EN: 0
; COMPUTE_PGM_RSRC2:TGID_Z_EN: 0
; COMPUTE_PGM_RSRC2:TIDIG_COMP_CNT: 0
	.section	.text._ZN7rocprim17ROCPRIM_400000_NS6detail17trampoline_kernelINS0_14default_configENS1_25partition_config_selectorILNS1_17partition_subalgoE9EttbEEZZNS1_14partition_implILS5_9ELb0ES3_jN6thrust23THRUST_200600_302600_NS6detail15normal_iteratorINS9_10device_ptrItEEEESE_PNS0_10empty_typeENS0_5tupleIJSE_SF_EEENSH_IJSE_SG_EEENS0_18inequality_wrapperI22is_equal_div_10_uniqueItEEEPmJSF_EEE10hipError_tPvRmT3_T4_T5_T6_T7_T9_mT8_P12ihipStream_tbDpT10_ENKUlT_T0_E_clISt17integral_constantIbLb0EES17_IbLb1EEEEDaS13_S14_EUlS13_E_NS1_11comp_targetILNS1_3genE5ELNS1_11target_archE942ELNS1_3gpuE9ELNS1_3repE0EEENS1_30default_config_static_selectorELNS0_4arch9wavefront6targetE0EEEvT1_,"axG",@progbits,_ZN7rocprim17ROCPRIM_400000_NS6detail17trampoline_kernelINS0_14default_configENS1_25partition_config_selectorILNS1_17partition_subalgoE9EttbEEZZNS1_14partition_implILS5_9ELb0ES3_jN6thrust23THRUST_200600_302600_NS6detail15normal_iteratorINS9_10device_ptrItEEEESE_PNS0_10empty_typeENS0_5tupleIJSE_SF_EEENSH_IJSE_SG_EEENS0_18inequality_wrapperI22is_equal_div_10_uniqueItEEEPmJSF_EEE10hipError_tPvRmT3_T4_T5_T6_T7_T9_mT8_P12ihipStream_tbDpT10_ENKUlT_T0_E_clISt17integral_constantIbLb0EES17_IbLb1EEEEDaS13_S14_EUlS13_E_NS1_11comp_targetILNS1_3genE5ELNS1_11target_archE942ELNS1_3gpuE9ELNS1_3repE0EEENS1_30default_config_static_selectorELNS0_4arch9wavefront6targetE0EEEvT1_,comdat
	.protected	_ZN7rocprim17ROCPRIM_400000_NS6detail17trampoline_kernelINS0_14default_configENS1_25partition_config_selectorILNS1_17partition_subalgoE9EttbEEZZNS1_14partition_implILS5_9ELb0ES3_jN6thrust23THRUST_200600_302600_NS6detail15normal_iteratorINS9_10device_ptrItEEEESE_PNS0_10empty_typeENS0_5tupleIJSE_SF_EEENSH_IJSE_SG_EEENS0_18inequality_wrapperI22is_equal_div_10_uniqueItEEEPmJSF_EEE10hipError_tPvRmT3_T4_T5_T6_T7_T9_mT8_P12ihipStream_tbDpT10_ENKUlT_T0_E_clISt17integral_constantIbLb0EES17_IbLb1EEEEDaS13_S14_EUlS13_E_NS1_11comp_targetILNS1_3genE5ELNS1_11target_archE942ELNS1_3gpuE9ELNS1_3repE0EEENS1_30default_config_static_selectorELNS0_4arch9wavefront6targetE0EEEvT1_ ; -- Begin function _ZN7rocprim17ROCPRIM_400000_NS6detail17trampoline_kernelINS0_14default_configENS1_25partition_config_selectorILNS1_17partition_subalgoE9EttbEEZZNS1_14partition_implILS5_9ELb0ES3_jN6thrust23THRUST_200600_302600_NS6detail15normal_iteratorINS9_10device_ptrItEEEESE_PNS0_10empty_typeENS0_5tupleIJSE_SF_EEENSH_IJSE_SG_EEENS0_18inequality_wrapperI22is_equal_div_10_uniqueItEEEPmJSF_EEE10hipError_tPvRmT3_T4_T5_T6_T7_T9_mT8_P12ihipStream_tbDpT10_ENKUlT_T0_E_clISt17integral_constantIbLb0EES17_IbLb1EEEEDaS13_S14_EUlS13_E_NS1_11comp_targetILNS1_3genE5ELNS1_11target_archE942ELNS1_3gpuE9ELNS1_3repE0EEENS1_30default_config_static_selectorELNS0_4arch9wavefront6targetE0EEEvT1_
	.globl	_ZN7rocprim17ROCPRIM_400000_NS6detail17trampoline_kernelINS0_14default_configENS1_25partition_config_selectorILNS1_17partition_subalgoE9EttbEEZZNS1_14partition_implILS5_9ELb0ES3_jN6thrust23THRUST_200600_302600_NS6detail15normal_iteratorINS9_10device_ptrItEEEESE_PNS0_10empty_typeENS0_5tupleIJSE_SF_EEENSH_IJSE_SG_EEENS0_18inequality_wrapperI22is_equal_div_10_uniqueItEEEPmJSF_EEE10hipError_tPvRmT3_T4_T5_T6_T7_T9_mT8_P12ihipStream_tbDpT10_ENKUlT_T0_E_clISt17integral_constantIbLb0EES17_IbLb1EEEEDaS13_S14_EUlS13_E_NS1_11comp_targetILNS1_3genE5ELNS1_11target_archE942ELNS1_3gpuE9ELNS1_3repE0EEENS1_30default_config_static_selectorELNS0_4arch9wavefront6targetE0EEEvT1_
	.p2align	8
	.type	_ZN7rocprim17ROCPRIM_400000_NS6detail17trampoline_kernelINS0_14default_configENS1_25partition_config_selectorILNS1_17partition_subalgoE9EttbEEZZNS1_14partition_implILS5_9ELb0ES3_jN6thrust23THRUST_200600_302600_NS6detail15normal_iteratorINS9_10device_ptrItEEEESE_PNS0_10empty_typeENS0_5tupleIJSE_SF_EEENSH_IJSE_SG_EEENS0_18inequality_wrapperI22is_equal_div_10_uniqueItEEEPmJSF_EEE10hipError_tPvRmT3_T4_T5_T6_T7_T9_mT8_P12ihipStream_tbDpT10_ENKUlT_T0_E_clISt17integral_constantIbLb0EES17_IbLb1EEEEDaS13_S14_EUlS13_E_NS1_11comp_targetILNS1_3genE5ELNS1_11target_archE942ELNS1_3gpuE9ELNS1_3repE0EEENS1_30default_config_static_selectorELNS0_4arch9wavefront6targetE0EEEvT1_,@function
_ZN7rocprim17ROCPRIM_400000_NS6detail17trampoline_kernelINS0_14default_configENS1_25partition_config_selectorILNS1_17partition_subalgoE9EttbEEZZNS1_14partition_implILS5_9ELb0ES3_jN6thrust23THRUST_200600_302600_NS6detail15normal_iteratorINS9_10device_ptrItEEEESE_PNS0_10empty_typeENS0_5tupleIJSE_SF_EEENSH_IJSE_SG_EEENS0_18inequality_wrapperI22is_equal_div_10_uniqueItEEEPmJSF_EEE10hipError_tPvRmT3_T4_T5_T6_T7_T9_mT8_P12ihipStream_tbDpT10_ENKUlT_T0_E_clISt17integral_constantIbLb0EES17_IbLb1EEEEDaS13_S14_EUlS13_E_NS1_11comp_targetILNS1_3genE5ELNS1_11target_archE942ELNS1_3gpuE9ELNS1_3repE0EEENS1_30default_config_static_selectorELNS0_4arch9wavefront6targetE0EEEvT1_: ; @_ZN7rocprim17ROCPRIM_400000_NS6detail17trampoline_kernelINS0_14default_configENS1_25partition_config_selectorILNS1_17partition_subalgoE9EttbEEZZNS1_14partition_implILS5_9ELb0ES3_jN6thrust23THRUST_200600_302600_NS6detail15normal_iteratorINS9_10device_ptrItEEEESE_PNS0_10empty_typeENS0_5tupleIJSE_SF_EEENSH_IJSE_SG_EEENS0_18inequality_wrapperI22is_equal_div_10_uniqueItEEEPmJSF_EEE10hipError_tPvRmT3_T4_T5_T6_T7_T9_mT8_P12ihipStream_tbDpT10_ENKUlT_T0_E_clISt17integral_constantIbLb0EES17_IbLb1EEEEDaS13_S14_EUlS13_E_NS1_11comp_targetILNS1_3genE5ELNS1_11target_archE942ELNS1_3gpuE9ELNS1_3repE0EEENS1_30default_config_static_selectorELNS0_4arch9wavefront6targetE0EEEvT1_
; %bb.0:
	.section	.rodata,"a",@progbits
	.p2align	6, 0x0
	.amdhsa_kernel _ZN7rocprim17ROCPRIM_400000_NS6detail17trampoline_kernelINS0_14default_configENS1_25partition_config_selectorILNS1_17partition_subalgoE9EttbEEZZNS1_14partition_implILS5_9ELb0ES3_jN6thrust23THRUST_200600_302600_NS6detail15normal_iteratorINS9_10device_ptrItEEEESE_PNS0_10empty_typeENS0_5tupleIJSE_SF_EEENSH_IJSE_SG_EEENS0_18inequality_wrapperI22is_equal_div_10_uniqueItEEEPmJSF_EEE10hipError_tPvRmT3_T4_T5_T6_T7_T9_mT8_P12ihipStream_tbDpT10_ENKUlT_T0_E_clISt17integral_constantIbLb0EES17_IbLb1EEEEDaS13_S14_EUlS13_E_NS1_11comp_targetILNS1_3genE5ELNS1_11target_archE942ELNS1_3gpuE9ELNS1_3repE0EEENS1_30default_config_static_selectorELNS0_4arch9wavefront6targetE0EEEvT1_
		.amdhsa_group_segment_fixed_size 0
		.amdhsa_private_segment_fixed_size 0
		.amdhsa_kernarg_size 128
		.amdhsa_user_sgpr_count 15
		.amdhsa_user_sgpr_dispatch_ptr 0
		.amdhsa_user_sgpr_queue_ptr 0
		.amdhsa_user_sgpr_kernarg_segment_ptr 1
		.amdhsa_user_sgpr_dispatch_id 0
		.amdhsa_user_sgpr_private_segment_size 0
		.amdhsa_wavefront_size32 1
		.amdhsa_uses_dynamic_stack 0
		.amdhsa_enable_private_segment 0
		.amdhsa_system_sgpr_workgroup_id_x 1
		.amdhsa_system_sgpr_workgroup_id_y 0
		.amdhsa_system_sgpr_workgroup_id_z 0
		.amdhsa_system_sgpr_workgroup_info 0
		.amdhsa_system_vgpr_workitem_id 0
		.amdhsa_next_free_vgpr 1
		.amdhsa_next_free_sgpr 1
		.amdhsa_reserve_vcc 0
		.amdhsa_float_round_mode_32 0
		.amdhsa_float_round_mode_16_64 0
		.amdhsa_float_denorm_mode_32 3
		.amdhsa_float_denorm_mode_16_64 3
		.amdhsa_dx10_clamp 1
		.amdhsa_ieee_mode 1
		.amdhsa_fp16_overflow 0
		.amdhsa_workgroup_processor_mode 1
		.amdhsa_memory_ordered 1
		.amdhsa_forward_progress 0
		.amdhsa_shared_vgpr_count 0
		.amdhsa_exception_fp_ieee_invalid_op 0
		.amdhsa_exception_fp_denorm_src 0
		.amdhsa_exception_fp_ieee_div_zero 0
		.amdhsa_exception_fp_ieee_overflow 0
		.amdhsa_exception_fp_ieee_underflow 0
		.amdhsa_exception_fp_ieee_inexact 0
		.amdhsa_exception_int_div_zero 0
	.end_amdhsa_kernel
	.section	.text._ZN7rocprim17ROCPRIM_400000_NS6detail17trampoline_kernelINS0_14default_configENS1_25partition_config_selectorILNS1_17partition_subalgoE9EttbEEZZNS1_14partition_implILS5_9ELb0ES3_jN6thrust23THRUST_200600_302600_NS6detail15normal_iteratorINS9_10device_ptrItEEEESE_PNS0_10empty_typeENS0_5tupleIJSE_SF_EEENSH_IJSE_SG_EEENS0_18inequality_wrapperI22is_equal_div_10_uniqueItEEEPmJSF_EEE10hipError_tPvRmT3_T4_T5_T6_T7_T9_mT8_P12ihipStream_tbDpT10_ENKUlT_T0_E_clISt17integral_constantIbLb0EES17_IbLb1EEEEDaS13_S14_EUlS13_E_NS1_11comp_targetILNS1_3genE5ELNS1_11target_archE942ELNS1_3gpuE9ELNS1_3repE0EEENS1_30default_config_static_selectorELNS0_4arch9wavefront6targetE0EEEvT1_,"axG",@progbits,_ZN7rocprim17ROCPRIM_400000_NS6detail17trampoline_kernelINS0_14default_configENS1_25partition_config_selectorILNS1_17partition_subalgoE9EttbEEZZNS1_14partition_implILS5_9ELb0ES3_jN6thrust23THRUST_200600_302600_NS6detail15normal_iteratorINS9_10device_ptrItEEEESE_PNS0_10empty_typeENS0_5tupleIJSE_SF_EEENSH_IJSE_SG_EEENS0_18inequality_wrapperI22is_equal_div_10_uniqueItEEEPmJSF_EEE10hipError_tPvRmT3_T4_T5_T6_T7_T9_mT8_P12ihipStream_tbDpT10_ENKUlT_T0_E_clISt17integral_constantIbLb0EES17_IbLb1EEEEDaS13_S14_EUlS13_E_NS1_11comp_targetILNS1_3genE5ELNS1_11target_archE942ELNS1_3gpuE9ELNS1_3repE0EEENS1_30default_config_static_selectorELNS0_4arch9wavefront6targetE0EEEvT1_,comdat
.Lfunc_end332:
	.size	_ZN7rocprim17ROCPRIM_400000_NS6detail17trampoline_kernelINS0_14default_configENS1_25partition_config_selectorILNS1_17partition_subalgoE9EttbEEZZNS1_14partition_implILS5_9ELb0ES3_jN6thrust23THRUST_200600_302600_NS6detail15normal_iteratorINS9_10device_ptrItEEEESE_PNS0_10empty_typeENS0_5tupleIJSE_SF_EEENSH_IJSE_SG_EEENS0_18inequality_wrapperI22is_equal_div_10_uniqueItEEEPmJSF_EEE10hipError_tPvRmT3_T4_T5_T6_T7_T9_mT8_P12ihipStream_tbDpT10_ENKUlT_T0_E_clISt17integral_constantIbLb0EES17_IbLb1EEEEDaS13_S14_EUlS13_E_NS1_11comp_targetILNS1_3genE5ELNS1_11target_archE942ELNS1_3gpuE9ELNS1_3repE0EEENS1_30default_config_static_selectorELNS0_4arch9wavefront6targetE0EEEvT1_, .Lfunc_end332-_ZN7rocprim17ROCPRIM_400000_NS6detail17trampoline_kernelINS0_14default_configENS1_25partition_config_selectorILNS1_17partition_subalgoE9EttbEEZZNS1_14partition_implILS5_9ELb0ES3_jN6thrust23THRUST_200600_302600_NS6detail15normal_iteratorINS9_10device_ptrItEEEESE_PNS0_10empty_typeENS0_5tupleIJSE_SF_EEENSH_IJSE_SG_EEENS0_18inequality_wrapperI22is_equal_div_10_uniqueItEEEPmJSF_EEE10hipError_tPvRmT3_T4_T5_T6_T7_T9_mT8_P12ihipStream_tbDpT10_ENKUlT_T0_E_clISt17integral_constantIbLb0EES17_IbLb1EEEEDaS13_S14_EUlS13_E_NS1_11comp_targetILNS1_3genE5ELNS1_11target_archE942ELNS1_3gpuE9ELNS1_3repE0EEENS1_30default_config_static_selectorELNS0_4arch9wavefront6targetE0EEEvT1_
                                        ; -- End function
	.section	.AMDGPU.csdata,"",@progbits
; Kernel info:
; codeLenInByte = 0
; NumSgprs: 0
; NumVgprs: 0
; ScratchSize: 0
; MemoryBound: 0
; FloatMode: 240
; IeeeMode: 1
; LDSByteSize: 0 bytes/workgroup (compile time only)
; SGPRBlocks: 0
; VGPRBlocks: 0
; NumSGPRsForWavesPerEU: 1
; NumVGPRsForWavesPerEU: 1
; Occupancy: 16
; WaveLimiterHint : 0
; COMPUTE_PGM_RSRC2:SCRATCH_EN: 0
; COMPUTE_PGM_RSRC2:USER_SGPR: 15
; COMPUTE_PGM_RSRC2:TRAP_HANDLER: 0
; COMPUTE_PGM_RSRC2:TGID_X_EN: 1
; COMPUTE_PGM_RSRC2:TGID_Y_EN: 0
; COMPUTE_PGM_RSRC2:TGID_Z_EN: 0
; COMPUTE_PGM_RSRC2:TIDIG_COMP_CNT: 0
	.section	.text._ZN7rocprim17ROCPRIM_400000_NS6detail17trampoline_kernelINS0_14default_configENS1_25partition_config_selectorILNS1_17partition_subalgoE9EttbEEZZNS1_14partition_implILS5_9ELb0ES3_jN6thrust23THRUST_200600_302600_NS6detail15normal_iteratorINS9_10device_ptrItEEEESE_PNS0_10empty_typeENS0_5tupleIJSE_SF_EEENSH_IJSE_SG_EEENS0_18inequality_wrapperI22is_equal_div_10_uniqueItEEEPmJSF_EEE10hipError_tPvRmT3_T4_T5_T6_T7_T9_mT8_P12ihipStream_tbDpT10_ENKUlT_T0_E_clISt17integral_constantIbLb0EES17_IbLb1EEEEDaS13_S14_EUlS13_E_NS1_11comp_targetILNS1_3genE4ELNS1_11target_archE910ELNS1_3gpuE8ELNS1_3repE0EEENS1_30default_config_static_selectorELNS0_4arch9wavefront6targetE0EEEvT1_,"axG",@progbits,_ZN7rocprim17ROCPRIM_400000_NS6detail17trampoline_kernelINS0_14default_configENS1_25partition_config_selectorILNS1_17partition_subalgoE9EttbEEZZNS1_14partition_implILS5_9ELb0ES3_jN6thrust23THRUST_200600_302600_NS6detail15normal_iteratorINS9_10device_ptrItEEEESE_PNS0_10empty_typeENS0_5tupleIJSE_SF_EEENSH_IJSE_SG_EEENS0_18inequality_wrapperI22is_equal_div_10_uniqueItEEEPmJSF_EEE10hipError_tPvRmT3_T4_T5_T6_T7_T9_mT8_P12ihipStream_tbDpT10_ENKUlT_T0_E_clISt17integral_constantIbLb0EES17_IbLb1EEEEDaS13_S14_EUlS13_E_NS1_11comp_targetILNS1_3genE4ELNS1_11target_archE910ELNS1_3gpuE8ELNS1_3repE0EEENS1_30default_config_static_selectorELNS0_4arch9wavefront6targetE0EEEvT1_,comdat
	.protected	_ZN7rocprim17ROCPRIM_400000_NS6detail17trampoline_kernelINS0_14default_configENS1_25partition_config_selectorILNS1_17partition_subalgoE9EttbEEZZNS1_14partition_implILS5_9ELb0ES3_jN6thrust23THRUST_200600_302600_NS6detail15normal_iteratorINS9_10device_ptrItEEEESE_PNS0_10empty_typeENS0_5tupleIJSE_SF_EEENSH_IJSE_SG_EEENS0_18inequality_wrapperI22is_equal_div_10_uniqueItEEEPmJSF_EEE10hipError_tPvRmT3_T4_T5_T6_T7_T9_mT8_P12ihipStream_tbDpT10_ENKUlT_T0_E_clISt17integral_constantIbLb0EES17_IbLb1EEEEDaS13_S14_EUlS13_E_NS1_11comp_targetILNS1_3genE4ELNS1_11target_archE910ELNS1_3gpuE8ELNS1_3repE0EEENS1_30default_config_static_selectorELNS0_4arch9wavefront6targetE0EEEvT1_ ; -- Begin function _ZN7rocprim17ROCPRIM_400000_NS6detail17trampoline_kernelINS0_14default_configENS1_25partition_config_selectorILNS1_17partition_subalgoE9EttbEEZZNS1_14partition_implILS5_9ELb0ES3_jN6thrust23THRUST_200600_302600_NS6detail15normal_iteratorINS9_10device_ptrItEEEESE_PNS0_10empty_typeENS0_5tupleIJSE_SF_EEENSH_IJSE_SG_EEENS0_18inequality_wrapperI22is_equal_div_10_uniqueItEEEPmJSF_EEE10hipError_tPvRmT3_T4_T5_T6_T7_T9_mT8_P12ihipStream_tbDpT10_ENKUlT_T0_E_clISt17integral_constantIbLb0EES17_IbLb1EEEEDaS13_S14_EUlS13_E_NS1_11comp_targetILNS1_3genE4ELNS1_11target_archE910ELNS1_3gpuE8ELNS1_3repE0EEENS1_30default_config_static_selectorELNS0_4arch9wavefront6targetE0EEEvT1_
	.globl	_ZN7rocprim17ROCPRIM_400000_NS6detail17trampoline_kernelINS0_14default_configENS1_25partition_config_selectorILNS1_17partition_subalgoE9EttbEEZZNS1_14partition_implILS5_9ELb0ES3_jN6thrust23THRUST_200600_302600_NS6detail15normal_iteratorINS9_10device_ptrItEEEESE_PNS0_10empty_typeENS0_5tupleIJSE_SF_EEENSH_IJSE_SG_EEENS0_18inequality_wrapperI22is_equal_div_10_uniqueItEEEPmJSF_EEE10hipError_tPvRmT3_T4_T5_T6_T7_T9_mT8_P12ihipStream_tbDpT10_ENKUlT_T0_E_clISt17integral_constantIbLb0EES17_IbLb1EEEEDaS13_S14_EUlS13_E_NS1_11comp_targetILNS1_3genE4ELNS1_11target_archE910ELNS1_3gpuE8ELNS1_3repE0EEENS1_30default_config_static_selectorELNS0_4arch9wavefront6targetE0EEEvT1_
	.p2align	8
	.type	_ZN7rocprim17ROCPRIM_400000_NS6detail17trampoline_kernelINS0_14default_configENS1_25partition_config_selectorILNS1_17partition_subalgoE9EttbEEZZNS1_14partition_implILS5_9ELb0ES3_jN6thrust23THRUST_200600_302600_NS6detail15normal_iteratorINS9_10device_ptrItEEEESE_PNS0_10empty_typeENS0_5tupleIJSE_SF_EEENSH_IJSE_SG_EEENS0_18inequality_wrapperI22is_equal_div_10_uniqueItEEEPmJSF_EEE10hipError_tPvRmT3_T4_T5_T6_T7_T9_mT8_P12ihipStream_tbDpT10_ENKUlT_T0_E_clISt17integral_constantIbLb0EES17_IbLb1EEEEDaS13_S14_EUlS13_E_NS1_11comp_targetILNS1_3genE4ELNS1_11target_archE910ELNS1_3gpuE8ELNS1_3repE0EEENS1_30default_config_static_selectorELNS0_4arch9wavefront6targetE0EEEvT1_,@function
_ZN7rocprim17ROCPRIM_400000_NS6detail17trampoline_kernelINS0_14default_configENS1_25partition_config_selectorILNS1_17partition_subalgoE9EttbEEZZNS1_14partition_implILS5_9ELb0ES3_jN6thrust23THRUST_200600_302600_NS6detail15normal_iteratorINS9_10device_ptrItEEEESE_PNS0_10empty_typeENS0_5tupleIJSE_SF_EEENSH_IJSE_SG_EEENS0_18inequality_wrapperI22is_equal_div_10_uniqueItEEEPmJSF_EEE10hipError_tPvRmT3_T4_T5_T6_T7_T9_mT8_P12ihipStream_tbDpT10_ENKUlT_T0_E_clISt17integral_constantIbLb0EES17_IbLb1EEEEDaS13_S14_EUlS13_E_NS1_11comp_targetILNS1_3genE4ELNS1_11target_archE910ELNS1_3gpuE8ELNS1_3repE0EEENS1_30default_config_static_selectorELNS0_4arch9wavefront6targetE0EEEvT1_: ; @_ZN7rocprim17ROCPRIM_400000_NS6detail17trampoline_kernelINS0_14default_configENS1_25partition_config_selectorILNS1_17partition_subalgoE9EttbEEZZNS1_14partition_implILS5_9ELb0ES3_jN6thrust23THRUST_200600_302600_NS6detail15normal_iteratorINS9_10device_ptrItEEEESE_PNS0_10empty_typeENS0_5tupleIJSE_SF_EEENSH_IJSE_SG_EEENS0_18inequality_wrapperI22is_equal_div_10_uniqueItEEEPmJSF_EEE10hipError_tPvRmT3_T4_T5_T6_T7_T9_mT8_P12ihipStream_tbDpT10_ENKUlT_T0_E_clISt17integral_constantIbLb0EES17_IbLb1EEEEDaS13_S14_EUlS13_E_NS1_11comp_targetILNS1_3genE4ELNS1_11target_archE910ELNS1_3gpuE8ELNS1_3repE0EEENS1_30default_config_static_selectorELNS0_4arch9wavefront6targetE0EEEvT1_
; %bb.0:
	.section	.rodata,"a",@progbits
	.p2align	6, 0x0
	.amdhsa_kernel _ZN7rocprim17ROCPRIM_400000_NS6detail17trampoline_kernelINS0_14default_configENS1_25partition_config_selectorILNS1_17partition_subalgoE9EttbEEZZNS1_14partition_implILS5_9ELb0ES3_jN6thrust23THRUST_200600_302600_NS6detail15normal_iteratorINS9_10device_ptrItEEEESE_PNS0_10empty_typeENS0_5tupleIJSE_SF_EEENSH_IJSE_SG_EEENS0_18inequality_wrapperI22is_equal_div_10_uniqueItEEEPmJSF_EEE10hipError_tPvRmT3_T4_T5_T6_T7_T9_mT8_P12ihipStream_tbDpT10_ENKUlT_T0_E_clISt17integral_constantIbLb0EES17_IbLb1EEEEDaS13_S14_EUlS13_E_NS1_11comp_targetILNS1_3genE4ELNS1_11target_archE910ELNS1_3gpuE8ELNS1_3repE0EEENS1_30default_config_static_selectorELNS0_4arch9wavefront6targetE0EEEvT1_
		.amdhsa_group_segment_fixed_size 0
		.amdhsa_private_segment_fixed_size 0
		.amdhsa_kernarg_size 128
		.amdhsa_user_sgpr_count 15
		.amdhsa_user_sgpr_dispatch_ptr 0
		.amdhsa_user_sgpr_queue_ptr 0
		.amdhsa_user_sgpr_kernarg_segment_ptr 1
		.amdhsa_user_sgpr_dispatch_id 0
		.amdhsa_user_sgpr_private_segment_size 0
		.amdhsa_wavefront_size32 1
		.amdhsa_uses_dynamic_stack 0
		.amdhsa_enable_private_segment 0
		.amdhsa_system_sgpr_workgroup_id_x 1
		.amdhsa_system_sgpr_workgroup_id_y 0
		.amdhsa_system_sgpr_workgroup_id_z 0
		.amdhsa_system_sgpr_workgroup_info 0
		.amdhsa_system_vgpr_workitem_id 0
		.amdhsa_next_free_vgpr 1
		.amdhsa_next_free_sgpr 1
		.amdhsa_reserve_vcc 0
		.amdhsa_float_round_mode_32 0
		.amdhsa_float_round_mode_16_64 0
		.amdhsa_float_denorm_mode_32 3
		.amdhsa_float_denorm_mode_16_64 3
		.amdhsa_dx10_clamp 1
		.amdhsa_ieee_mode 1
		.amdhsa_fp16_overflow 0
		.amdhsa_workgroup_processor_mode 1
		.amdhsa_memory_ordered 1
		.amdhsa_forward_progress 0
		.amdhsa_shared_vgpr_count 0
		.amdhsa_exception_fp_ieee_invalid_op 0
		.amdhsa_exception_fp_denorm_src 0
		.amdhsa_exception_fp_ieee_div_zero 0
		.amdhsa_exception_fp_ieee_overflow 0
		.amdhsa_exception_fp_ieee_underflow 0
		.amdhsa_exception_fp_ieee_inexact 0
		.amdhsa_exception_int_div_zero 0
	.end_amdhsa_kernel
	.section	.text._ZN7rocprim17ROCPRIM_400000_NS6detail17trampoline_kernelINS0_14default_configENS1_25partition_config_selectorILNS1_17partition_subalgoE9EttbEEZZNS1_14partition_implILS5_9ELb0ES3_jN6thrust23THRUST_200600_302600_NS6detail15normal_iteratorINS9_10device_ptrItEEEESE_PNS0_10empty_typeENS0_5tupleIJSE_SF_EEENSH_IJSE_SG_EEENS0_18inequality_wrapperI22is_equal_div_10_uniqueItEEEPmJSF_EEE10hipError_tPvRmT3_T4_T5_T6_T7_T9_mT8_P12ihipStream_tbDpT10_ENKUlT_T0_E_clISt17integral_constantIbLb0EES17_IbLb1EEEEDaS13_S14_EUlS13_E_NS1_11comp_targetILNS1_3genE4ELNS1_11target_archE910ELNS1_3gpuE8ELNS1_3repE0EEENS1_30default_config_static_selectorELNS0_4arch9wavefront6targetE0EEEvT1_,"axG",@progbits,_ZN7rocprim17ROCPRIM_400000_NS6detail17trampoline_kernelINS0_14default_configENS1_25partition_config_selectorILNS1_17partition_subalgoE9EttbEEZZNS1_14partition_implILS5_9ELb0ES3_jN6thrust23THRUST_200600_302600_NS6detail15normal_iteratorINS9_10device_ptrItEEEESE_PNS0_10empty_typeENS0_5tupleIJSE_SF_EEENSH_IJSE_SG_EEENS0_18inequality_wrapperI22is_equal_div_10_uniqueItEEEPmJSF_EEE10hipError_tPvRmT3_T4_T5_T6_T7_T9_mT8_P12ihipStream_tbDpT10_ENKUlT_T0_E_clISt17integral_constantIbLb0EES17_IbLb1EEEEDaS13_S14_EUlS13_E_NS1_11comp_targetILNS1_3genE4ELNS1_11target_archE910ELNS1_3gpuE8ELNS1_3repE0EEENS1_30default_config_static_selectorELNS0_4arch9wavefront6targetE0EEEvT1_,comdat
.Lfunc_end333:
	.size	_ZN7rocprim17ROCPRIM_400000_NS6detail17trampoline_kernelINS0_14default_configENS1_25partition_config_selectorILNS1_17partition_subalgoE9EttbEEZZNS1_14partition_implILS5_9ELb0ES3_jN6thrust23THRUST_200600_302600_NS6detail15normal_iteratorINS9_10device_ptrItEEEESE_PNS0_10empty_typeENS0_5tupleIJSE_SF_EEENSH_IJSE_SG_EEENS0_18inequality_wrapperI22is_equal_div_10_uniqueItEEEPmJSF_EEE10hipError_tPvRmT3_T4_T5_T6_T7_T9_mT8_P12ihipStream_tbDpT10_ENKUlT_T0_E_clISt17integral_constantIbLb0EES17_IbLb1EEEEDaS13_S14_EUlS13_E_NS1_11comp_targetILNS1_3genE4ELNS1_11target_archE910ELNS1_3gpuE8ELNS1_3repE0EEENS1_30default_config_static_selectorELNS0_4arch9wavefront6targetE0EEEvT1_, .Lfunc_end333-_ZN7rocprim17ROCPRIM_400000_NS6detail17trampoline_kernelINS0_14default_configENS1_25partition_config_selectorILNS1_17partition_subalgoE9EttbEEZZNS1_14partition_implILS5_9ELb0ES3_jN6thrust23THRUST_200600_302600_NS6detail15normal_iteratorINS9_10device_ptrItEEEESE_PNS0_10empty_typeENS0_5tupleIJSE_SF_EEENSH_IJSE_SG_EEENS0_18inequality_wrapperI22is_equal_div_10_uniqueItEEEPmJSF_EEE10hipError_tPvRmT3_T4_T5_T6_T7_T9_mT8_P12ihipStream_tbDpT10_ENKUlT_T0_E_clISt17integral_constantIbLb0EES17_IbLb1EEEEDaS13_S14_EUlS13_E_NS1_11comp_targetILNS1_3genE4ELNS1_11target_archE910ELNS1_3gpuE8ELNS1_3repE0EEENS1_30default_config_static_selectorELNS0_4arch9wavefront6targetE0EEEvT1_
                                        ; -- End function
	.section	.AMDGPU.csdata,"",@progbits
; Kernel info:
; codeLenInByte = 0
; NumSgprs: 0
; NumVgprs: 0
; ScratchSize: 0
; MemoryBound: 0
; FloatMode: 240
; IeeeMode: 1
; LDSByteSize: 0 bytes/workgroup (compile time only)
; SGPRBlocks: 0
; VGPRBlocks: 0
; NumSGPRsForWavesPerEU: 1
; NumVGPRsForWavesPerEU: 1
; Occupancy: 16
; WaveLimiterHint : 0
; COMPUTE_PGM_RSRC2:SCRATCH_EN: 0
; COMPUTE_PGM_RSRC2:USER_SGPR: 15
; COMPUTE_PGM_RSRC2:TRAP_HANDLER: 0
; COMPUTE_PGM_RSRC2:TGID_X_EN: 1
; COMPUTE_PGM_RSRC2:TGID_Y_EN: 0
; COMPUTE_PGM_RSRC2:TGID_Z_EN: 0
; COMPUTE_PGM_RSRC2:TIDIG_COMP_CNT: 0
	.section	.text._ZN7rocprim17ROCPRIM_400000_NS6detail17trampoline_kernelINS0_14default_configENS1_25partition_config_selectorILNS1_17partition_subalgoE9EttbEEZZNS1_14partition_implILS5_9ELb0ES3_jN6thrust23THRUST_200600_302600_NS6detail15normal_iteratorINS9_10device_ptrItEEEESE_PNS0_10empty_typeENS0_5tupleIJSE_SF_EEENSH_IJSE_SG_EEENS0_18inequality_wrapperI22is_equal_div_10_uniqueItEEEPmJSF_EEE10hipError_tPvRmT3_T4_T5_T6_T7_T9_mT8_P12ihipStream_tbDpT10_ENKUlT_T0_E_clISt17integral_constantIbLb0EES17_IbLb1EEEEDaS13_S14_EUlS13_E_NS1_11comp_targetILNS1_3genE3ELNS1_11target_archE908ELNS1_3gpuE7ELNS1_3repE0EEENS1_30default_config_static_selectorELNS0_4arch9wavefront6targetE0EEEvT1_,"axG",@progbits,_ZN7rocprim17ROCPRIM_400000_NS6detail17trampoline_kernelINS0_14default_configENS1_25partition_config_selectorILNS1_17partition_subalgoE9EttbEEZZNS1_14partition_implILS5_9ELb0ES3_jN6thrust23THRUST_200600_302600_NS6detail15normal_iteratorINS9_10device_ptrItEEEESE_PNS0_10empty_typeENS0_5tupleIJSE_SF_EEENSH_IJSE_SG_EEENS0_18inequality_wrapperI22is_equal_div_10_uniqueItEEEPmJSF_EEE10hipError_tPvRmT3_T4_T5_T6_T7_T9_mT8_P12ihipStream_tbDpT10_ENKUlT_T0_E_clISt17integral_constantIbLb0EES17_IbLb1EEEEDaS13_S14_EUlS13_E_NS1_11comp_targetILNS1_3genE3ELNS1_11target_archE908ELNS1_3gpuE7ELNS1_3repE0EEENS1_30default_config_static_selectorELNS0_4arch9wavefront6targetE0EEEvT1_,comdat
	.protected	_ZN7rocprim17ROCPRIM_400000_NS6detail17trampoline_kernelINS0_14default_configENS1_25partition_config_selectorILNS1_17partition_subalgoE9EttbEEZZNS1_14partition_implILS5_9ELb0ES3_jN6thrust23THRUST_200600_302600_NS6detail15normal_iteratorINS9_10device_ptrItEEEESE_PNS0_10empty_typeENS0_5tupleIJSE_SF_EEENSH_IJSE_SG_EEENS0_18inequality_wrapperI22is_equal_div_10_uniqueItEEEPmJSF_EEE10hipError_tPvRmT3_T4_T5_T6_T7_T9_mT8_P12ihipStream_tbDpT10_ENKUlT_T0_E_clISt17integral_constantIbLb0EES17_IbLb1EEEEDaS13_S14_EUlS13_E_NS1_11comp_targetILNS1_3genE3ELNS1_11target_archE908ELNS1_3gpuE7ELNS1_3repE0EEENS1_30default_config_static_selectorELNS0_4arch9wavefront6targetE0EEEvT1_ ; -- Begin function _ZN7rocprim17ROCPRIM_400000_NS6detail17trampoline_kernelINS0_14default_configENS1_25partition_config_selectorILNS1_17partition_subalgoE9EttbEEZZNS1_14partition_implILS5_9ELb0ES3_jN6thrust23THRUST_200600_302600_NS6detail15normal_iteratorINS9_10device_ptrItEEEESE_PNS0_10empty_typeENS0_5tupleIJSE_SF_EEENSH_IJSE_SG_EEENS0_18inequality_wrapperI22is_equal_div_10_uniqueItEEEPmJSF_EEE10hipError_tPvRmT3_T4_T5_T6_T7_T9_mT8_P12ihipStream_tbDpT10_ENKUlT_T0_E_clISt17integral_constantIbLb0EES17_IbLb1EEEEDaS13_S14_EUlS13_E_NS1_11comp_targetILNS1_3genE3ELNS1_11target_archE908ELNS1_3gpuE7ELNS1_3repE0EEENS1_30default_config_static_selectorELNS0_4arch9wavefront6targetE0EEEvT1_
	.globl	_ZN7rocprim17ROCPRIM_400000_NS6detail17trampoline_kernelINS0_14default_configENS1_25partition_config_selectorILNS1_17partition_subalgoE9EttbEEZZNS1_14partition_implILS5_9ELb0ES3_jN6thrust23THRUST_200600_302600_NS6detail15normal_iteratorINS9_10device_ptrItEEEESE_PNS0_10empty_typeENS0_5tupleIJSE_SF_EEENSH_IJSE_SG_EEENS0_18inequality_wrapperI22is_equal_div_10_uniqueItEEEPmJSF_EEE10hipError_tPvRmT3_T4_T5_T6_T7_T9_mT8_P12ihipStream_tbDpT10_ENKUlT_T0_E_clISt17integral_constantIbLb0EES17_IbLb1EEEEDaS13_S14_EUlS13_E_NS1_11comp_targetILNS1_3genE3ELNS1_11target_archE908ELNS1_3gpuE7ELNS1_3repE0EEENS1_30default_config_static_selectorELNS0_4arch9wavefront6targetE0EEEvT1_
	.p2align	8
	.type	_ZN7rocprim17ROCPRIM_400000_NS6detail17trampoline_kernelINS0_14default_configENS1_25partition_config_selectorILNS1_17partition_subalgoE9EttbEEZZNS1_14partition_implILS5_9ELb0ES3_jN6thrust23THRUST_200600_302600_NS6detail15normal_iteratorINS9_10device_ptrItEEEESE_PNS0_10empty_typeENS0_5tupleIJSE_SF_EEENSH_IJSE_SG_EEENS0_18inequality_wrapperI22is_equal_div_10_uniqueItEEEPmJSF_EEE10hipError_tPvRmT3_T4_T5_T6_T7_T9_mT8_P12ihipStream_tbDpT10_ENKUlT_T0_E_clISt17integral_constantIbLb0EES17_IbLb1EEEEDaS13_S14_EUlS13_E_NS1_11comp_targetILNS1_3genE3ELNS1_11target_archE908ELNS1_3gpuE7ELNS1_3repE0EEENS1_30default_config_static_selectorELNS0_4arch9wavefront6targetE0EEEvT1_,@function
_ZN7rocprim17ROCPRIM_400000_NS6detail17trampoline_kernelINS0_14default_configENS1_25partition_config_selectorILNS1_17partition_subalgoE9EttbEEZZNS1_14partition_implILS5_9ELb0ES3_jN6thrust23THRUST_200600_302600_NS6detail15normal_iteratorINS9_10device_ptrItEEEESE_PNS0_10empty_typeENS0_5tupleIJSE_SF_EEENSH_IJSE_SG_EEENS0_18inequality_wrapperI22is_equal_div_10_uniqueItEEEPmJSF_EEE10hipError_tPvRmT3_T4_T5_T6_T7_T9_mT8_P12ihipStream_tbDpT10_ENKUlT_T0_E_clISt17integral_constantIbLb0EES17_IbLb1EEEEDaS13_S14_EUlS13_E_NS1_11comp_targetILNS1_3genE3ELNS1_11target_archE908ELNS1_3gpuE7ELNS1_3repE0EEENS1_30default_config_static_selectorELNS0_4arch9wavefront6targetE0EEEvT1_: ; @_ZN7rocprim17ROCPRIM_400000_NS6detail17trampoline_kernelINS0_14default_configENS1_25partition_config_selectorILNS1_17partition_subalgoE9EttbEEZZNS1_14partition_implILS5_9ELb0ES3_jN6thrust23THRUST_200600_302600_NS6detail15normal_iteratorINS9_10device_ptrItEEEESE_PNS0_10empty_typeENS0_5tupleIJSE_SF_EEENSH_IJSE_SG_EEENS0_18inequality_wrapperI22is_equal_div_10_uniqueItEEEPmJSF_EEE10hipError_tPvRmT3_T4_T5_T6_T7_T9_mT8_P12ihipStream_tbDpT10_ENKUlT_T0_E_clISt17integral_constantIbLb0EES17_IbLb1EEEEDaS13_S14_EUlS13_E_NS1_11comp_targetILNS1_3genE3ELNS1_11target_archE908ELNS1_3gpuE7ELNS1_3repE0EEENS1_30default_config_static_selectorELNS0_4arch9wavefront6targetE0EEEvT1_
; %bb.0:
	.section	.rodata,"a",@progbits
	.p2align	6, 0x0
	.amdhsa_kernel _ZN7rocprim17ROCPRIM_400000_NS6detail17trampoline_kernelINS0_14default_configENS1_25partition_config_selectorILNS1_17partition_subalgoE9EttbEEZZNS1_14partition_implILS5_9ELb0ES3_jN6thrust23THRUST_200600_302600_NS6detail15normal_iteratorINS9_10device_ptrItEEEESE_PNS0_10empty_typeENS0_5tupleIJSE_SF_EEENSH_IJSE_SG_EEENS0_18inequality_wrapperI22is_equal_div_10_uniqueItEEEPmJSF_EEE10hipError_tPvRmT3_T4_T5_T6_T7_T9_mT8_P12ihipStream_tbDpT10_ENKUlT_T0_E_clISt17integral_constantIbLb0EES17_IbLb1EEEEDaS13_S14_EUlS13_E_NS1_11comp_targetILNS1_3genE3ELNS1_11target_archE908ELNS1_3gpuE7ELNS1_3repE0EEENS1_30default_config_static_selectorELNS0_4arch9wavefront6targetE0EEEvT1_
		.amdhsa_group_segment_fixed_size 0
		.amdhsa_private_segment_fixed_size 0
		.amdhsa_kernarg_size 128
		.amdhsa_user_sgpr_count 15
		.amdhsa_user_sgpr_dispatch_ptr 0
		.amdhsa_user_sgpr_queue_ptr 0
		.amdhsa_user_sgpr_kernarg_segment_ptr 1
		.amdhsa_user_sgpr_dispatch_id 0
		.amdhsa_user_sgpr_private_segment_size 0
		.amdhsa_wavefront_size32 1
		.amdhsa_uses_dynamic_stack 0
		.amdhsa_enable_private_segment 0
		.amdhsa_system_sgpr_workgroup_id_x 1
		.amdhsa_system_sgpr_workgroup_id_y 0
		.amdhsa_system_sgpr_workgroup_id_z 0
		.amdhsa_system_sgpr_workgroup_info 0
		.amdhsa_system_vgpr_workitem_id 0
		.amdhsa_next_free_vgpr 1
		.amdhsa_next_free_sgpr 1
		.amdhsa_reserve_vcc 0
		.amdhsa_float_round_mode_32 0
		.amdhsa_float_round_mode_16_64 0
		.amdhsa_float_denorm_mode_32 3
		.amdhsa_float_denorm_mode_16_64 3
		.amdhsa_dx10_clamp 1
		.amdhsa_ieee_mode 1
		.amdhsa_fp16_overflow 0
		.amdhsa_workgroup_processor_mode 1
		.amdhsa_memory_ordered 1
		.amdhsa_forward_progress 0
		.amdhsa_shared_vgpr_count 0
		.amdhsa_exception_fp_ieee_invalid_op 0
		.amdhsa_exception_fp_denorm_src 0
		.amdhsa_exception_fp_ieee_div_zero 0
		.amdhsa_exception_fp_ieee_overflow 0
		.amdhsa_exception_fp_ieee_underflow 0
		.amdhsa_exception_fp_ieee_inexact 0
		.amdhsa_exception_int_div_zero 0
	.end_amdhsa_kernel
	.section	.text._ZN7rocprim17ROCPRIM_400000_NS6detail17trampoline_kernelINS0_14default_configENS1_25partition_config_selectorILNS1_17partition_subalgoE9EttbEEZZNS1_14partition_implILS5_9ELb0ES3_jN6thrust23THRUST_200600_302600_NS6detail15normal_iteratorINS9_10device_ptrItEEEESE_PNS0_10empty_typeENS0_5tupleIJSE_SF_EEENSH_IJSE_SG_EEENS0_18inequality_wrapperI22is_equal_div_10_uniqueItEEEPmJSF_EEE10hipError_tPvRmT3_T4_T5_T6_T7_T9_mT8_P12ihipStream_tbDpT10_ENKUlT_T0_E_clISt17integral_constantIbLb0EES17_IbLb1EEEEDaS13_S14_EUlS13_E_NS1_11comp_targetILNS1_3genE3ELNS1_11target_archE908ELNS1_3gpuE7ELNS1_3repE0EEENS1_30default_config_static_selectorELNS0_4arch9wavefront6targetE0EEEvT1_,"axG",@progbits,_ZN7rocprim17ROCPRIM_400000_NS6detail17trampoline_kernelINS0_14default_configENS1_25partition_config_selectorILNS1_17partition_subalgoE9EttbEEZZNS1_14partition_implILS5_9ELb0ES3_jN6thrust23THRUST_200600_302600_NS6detail15normal_iteratorINS9_10device_ptrItEEEESE_PNS0_10empty_typeENS0_5tupleIJSE_SF_EEENSH_IJSE_SG_EEENS0_18inequality_wrapperI22is_equal_div_10_uniqueItEEEPmJSF_EEE10hipError_tPvRmT3_T4_T5_T6_T7_T9_mT8_P12ihipStream_tbDpT10_ENKUlT_T0_E_clISt17integral_constantIbLb0EES17_IbLb1EEEEDaS13_S14_EUlS13_E_NS1_11comp_targetILNS1_3genE3ELNS1_11target_archE908ELNS1_3gpuE7ELNS1_3repE0EEENS1_30default_config_static_selectorELNS0_4arch9wavefront6targetE0EEEvT1_,comdat
.Lfunc_end334:
	.size	_ZN7rocprim17ROCPRIM_400000_NS6detail17trampoline_kernelINS0_14default_configENS1_25partition_config_selectorILNS1_17partition_subalgoE9EttbEEZZNS1_14partition_implILS5_9ELb0ES3_jN6thrust23THRUST_200600_302600_NS6detail15normal_iteratorINS9_10device_ptrItEEEESE_PNS0_10empty_typeENS0_5tupleIJSE_SF_EEENSH_IJSE_SG_EEENS0_18inequality_wrapperI22is_equal_div_10_uniqueItEEEPmJSF_EEE10hipError_tPvRmT3_T4_T5_T6_T7_T9_mT8_P12ihipStream_tbDpT10_ENKUlT_T0_E_clISt17integral_constantIbLb0EES17_IbLb1EEEEDaS13_S14_EUlS13_E_NS1_11comp_targetILNS1_3genE3ELNS1_11target_archE908ELNS1_3gpuE7ELNS1_3repE0EEENS1_30default_config_static_selectorELNS0_4arch9wavefront6targetE0EEEvT1_, .Lfunc_end334-_ZN7rocprim17ROCPRIM_400000_NS6detail17trampoline_kernelINS0_14default_configENS1_25partition_config_selectorILNS1_17partition_subalgoE9EttbEEZZNS1_14partition_implILS5_9ELb0ES3_jN6thrust23THRUST_200600_302600_NS6detail15normal_iteratorINS9_10device_ptrItEEEESE_PNS0_10empty_typeENS0_5tupleIJSE_SF_EEENSH_IJSE_SG_EEENS0_18inequality_wrapperI22is_equal_div_10_uniqueItEEEPmJSF_EEE10hipError_tPvRmT3_T4_T5_T6_T7_T9_mT8_P12ihipStream_tbDpT10_ENKUlT_T0_E_clISt17integral_constantIbLb0EES17_IbLb1EEEEDaS13_S14_EUlS13_E_NS1_11comp_targetILNS1_3genE3ELNS1_11target_archE908ELNS1_3gpuE7ELNS1_3repE0EEENS1_30default_config_static_selectorELNS0_4arch9wavefront6targetE0EEEvT1_
                                        ; -- End function
	.section	.AMDGPU.csdata,"",@progbits
; Kernel info:
; codeLenInByte = 0
; NumSgprs: 0
; NumVgprs: 0
; ScratchSize: 0
; MemoryBound: 0
; FloatMode: 240
; IeeeMode: 1
; LDSByteSize: 0 bytes/workgroup (compile time only)
; SGPRBlocks: 0
; VGPRBlocks: 0
; NumSGPRsForWavesPerEU: 1
; NumVGPRsForWavesPerEU: 1
; Occupancy: 16
; WaveLimiterHint : 0
; COMPUTE_PGM_RSRC2:SCRATCH_EN: 0
; COMPUTE_PGM_RSRC2:USER_SGPR: 15
; COMPUTE_PGM_RSRC2:TRAP_HANDLER: 0
; COMPUTE_PGM_RSRC2:TGID_X_EN: 1
; COMPUTE_PGM_RSRC2:TGID_Y_EN: 0
; COMPUTE_PGM_RSRC2:TGID_Z_EN: 0
; COMPUTE_PGM_RSRC2:TIDIG_COMP_CNT: 0
	.section	.text._ZN7rocprim17ROCPRIM_400000_NS6detail17trampoline_kernelINS0_14default_configENS1_25partition_config_selectorILNS1_17partition_subalgoE9EttbEEZZNS1_14partition_implILS5_9ELb0ES3_jN6thrust23THRUST_200600_302600_NS6detail15normal_iteratorINS9_10device_ptrItEEEESE_PNS0_10empty_typeENS0_5tupleIJSE_SF_EEENSH_IJSE_SG_EEENS0_18inequality_wrapperI22is_equal_div_10_uniqueItEEEPmJSF_EEE10hipError_tPvRmT3_T4_T5_T6_T7_T9_mT8_P12ihipStream_tbDpT10_ENKUlT_T0_E_clISt17integral_constantIbLb0EES17_IbLb1EEEEDaS13_S14_EUlS13_E_NS1_11comp_targetILNS1_3genE2ELNS1_11target_archE906ELNS1_3gpuE6ELNS1_3repE0EEENS1_30default_config_static_selectorELNS0_4arch9wavefront6targetE0EEEvT1_,"axG",@progbits,_ZN7rocprim17ROCPRIM_400000_NS6detail17trampoline_kernelINS0_14default_configENS1_25partition_config_selectorILNS1_17partition_subalgoE9EttbEEZZNS1_14partition_implILS5_9ELb0ES3_jN6thrust23THRUST_200600_302600_NS6detail15normal_iteratorINS9_10device_ptrItEEEESE_PNS0_10empty_typeENS0_5tupleIJSE_SF_EEENSH_IJSE_SG_EEENS0_18inequality_wrapperI22is_equal_div_10_uniqueItEEEPmJSF_EEE10hipError_tPvRmT3_T4_T5_T6_T7_T9_mT8_P12ihipStream_tbDpT10_ENKUlT_T0_E_clISt17integral_constantIbLb0EES17_IbLb1EEEEDaS13_S14_EUlS13_E_NS1_11comp_targetILNS1_3genE2ELNS1_11target_archE906ELNS1_3gpuE6ELNS1_3repE0EEENS1_30default_config_static_selectorELNS0_4arch9wavefront6targetE0EEEvT1_,comdat
	.protected	_ZN7rocprim17ROCPRIM_400000_NS6detail17trampoline_kernelINS0_14default_configENS1_25partition_config_selectorILNS1_17partition_subalgoE9EttbEEZZNS1_14partition_implILS5_9ELb0ES3_jN6thrust23THRUST_200600_302600_NS6detail15normal_iteratorINS9_10device_ptrItEEEESE_PNS0_10empty_typeENS0_5tupleIJSE_SF_EEENSH_IJSE_SG_EEENS0_18inequality_wrapperI22is_equal_div_10_uniqueItEEEPmJSF_EEE10hipError_tPvRmT3_T4_T5_T6_T7_T9_mT8_P12ihipStream_tbDpT10_ENKUlT_T0_E_clISt17integral_constantIbLb0EES17_IbLb1EEEEDaS13_S14_EUlS13_E_NS1_11comp_targetILNS1_3genE2ELNS1_11target_archE906ELNS1_3gpuE6ELNS1_3repE0EEENS1_30default_config_static_selectorELNS0_4arch9wavefront6targetE0EEEvT1_ ; -- Begin function _ZN7rocprim17ROCPRIM_400000_NS6detail17trampoline_kernelINS0_14default_configENS1_25partition_config_selectorILNS1_17partition_subalgoE9EttbEEZZNS1_14partition_implILS5_9ELb0ES3_jN6thrust23THRUST_200600_302600_NS6detail15normal_iteratorINS9_10device_ptrItEEEESE_PNS0_10empty_typeENS0_5tupleIJSE_SF_EEENSH_IJSE_SG_EEENS0_18inequality_wrapperI22is_equal_div_10_uniqueItEEEPmJSF_EEE10hipError_tPvRmT3_T4_T5_T6_T7_T9_mT8_P12ihipStream_tbDpT10_ENKUlT_T0_E_clISt17integral_constantIbLb0EES17_IbLb1EEEEDaS13_S14_EUlS13_E_NS1_11comp_targetILNS1_3genE2ELNS1_11target_archE906ELNS1_3gpuE6ELNS1_3repE0EEENS1_30default_config_static_selectorELNS0_4arch9wavefront6targetE0EEEvT1_
	.globl	_ZN7rocprim17ROCPRIM_400000_NS6detail17trampoline_kernelINS0_14default_configENS1_25partition_config_selectorILNS1_17partition_subalgoE9EttbEEZZNS1_14partition_implILS5_9ELb0ES3_jN6thrust23THRUST_200600_302600_NS6detail15normal_iteratorINS9_10device_ptrItEEEESE_PNS0_10empty_typeENS0_5tupleIJSE_SF_EEENSH_IJSE_SG_EEENS0_18inequality_wrapperI22is_equal_div_10_uniqueItEEEPmJSF_EEE10hipError_tPvRmT3_T4_T5_T6_T7_T9_mT8_P12ihipStream_tbDpT10_ENKUlT_T0_E_clISt17integral_constantIbLb0EES17_IbLb1EEEEDaS13_S14_EUlS13_E_NS1_11comp_targetILNS1_3genE2ELNS1_11target_archE906ELNS1_3gpuE6ELNS1_3repE0EEENS1_30default_config_static_selectorELNS0_4arch9wavefront6targetE0EEEvT1_
	.p2align	8
	.type	_ZN7rocprim17ROCPRIM_400000_NS6detail17trampoline_kernelINS0_14default_configENS1_25partition_config_selectorILNS1_17partition_subalgoE9EttbEEZZNS1_14partition_implILS5_9ELb0ES3_jN6thrust23THRUST_200600_302600_NS6detail15normal_iteratorINS9_10device_ptrItEEEESE_PNS0_10empty_typeENS0_5tupleIJSE_SF_EEENSH_IJSE_SG_EEENS0_18inequality_wrapperI22is_equal_div_10_uniqueItEEEPmJSF_EEE10hipError_tPvRmT3_T4_T5_T6_T7_T9_mT8_P12ihipStream_tbDpT10_ENKUlT_T0_E_clISt17integral_constantIbLb0EES17_IbLb1EEEEDaS13_S14_EUlS13_E_NS1_11comp_targetILNS1_3genE2ELNS1_11target_archE906ELNS1_3gpuE6ELNS1_3repE0EEENS1_30default_config_static_selectorELNS0_4arch9wavefront6targetE0EEEvT1_,@function
_ZN7rocprim17ROCPRIM_400000_NS6detail17trampoline_kernelINS0_14default_configENS1_25partition_config_selectorILNS1_17partition_subalgoE9EttbEEZZNS1_14partition_implILS5_9ELb0ES3_jN6thrust23THRUST_200600_302600_NS6detail15normal_iteratorINS9_10device_ptrItEEEESE_PNS0_10empty_typeENS0_5tupleIJSE_SF_EEENSH_IJSE_SG_EEENS0_18inequality_wrapperI22is_equal_div_10_uniqueItEEEPmJSF_EEE10hipError_tPvRmT3_T4_T5_T6_T7_T9_mT8_P12ihipStream_tbDpT10_ENKUlT_T0_E_clISt17integral_constantIbLb0EES17_IbLb1EEEEDaS13_S14_EUlS13_E_NS1_11comp_targetILNS1_3genE2ELNS1_11target_archE906ELNS1_3gpuE6ELNS1_3repE0EEENS1_30default_config_static_selectorELNS0_4arch9wavefront6targetE0EEEvT1_: ; @_ZN7rocprim17ROCPRIM_400000_NS6detail17trampoline_kernelINS0_14default_configENS1_25partition_config_selectorILNS1_17partition_subalgoE9EttbEEZZNS1_14partition_implILS5_9ELb0ES3_jN6thrust23THRUST_200600_302600_NS6detail15normal_iteratorINS9_10device_ptrItEEEESE_PNS0_10empty_typeENS0_5tupleIJSE_SF_EEENSH_IJSE_SG_EEENS0_18inequality_wrapperI22is_equal_div_10_uniqueItEEEPmJSF_EEE10hipError_tPvRmT3_T4_T5_T6_T7_T9_mT8_P12ihipStream_tbDpT10_ENKUlT_T0_E_clISt17integral_constantIbLb0EES17_IbLb1EEEEDaS13_S14_EUlS13_E_NS1_11comp_targetILNS1_3genE2ELNS1_11target_archE906ELNS1_3gpuE6ELNS1_3repE0EEENS1_30default_config_static_selectorELNS0_4arch9wavefront6targetE0EEEvT1_
; %bb.0:
	.section	.rodata,"a",@progbits
	.p2align	6, 0x0
	.amdhsa_kernel _ZN7rocprim17ROCPRIM_400000_NS6detail17trampoline_kernelINS0_14default_configENS1_25partition_config_selectorILNS1_17partition_subalgoE9EttbEEZZNS1_14partition_implILS5_9ELb0ES3_jN6thrust23THRUST_200600_302600_NS6detail15normal_iteratorINS9_10device_ptrItEEEESE_PNS0_10empty_typeENS0_5tupleIJSE_SF_EEENSH_IJSE_SG_EEENS0_18inequality_wrapperI22is_equal_div_10_uniqueItEEEPmJSF_EEE10hipError_tPvRmT3_T4_T5_T6_T7_T9_mT8_P12ihipStream_tbDpT10_ENKUlT_T0_E_clISt17integral_constantIbLb0EES17_IbLb1EEEEDaS13_S14_EUlS13_E_NS1_11comp_targetILNS1_3genE2ELNS1_11target_archE906ELNS1_3gpuE6ELNS1_3repE0EEENS1_30default_config_static_selectorELNS0_4arch9wavefront6targetE0EEEvT1_
		.amdhsa_group_segment_fixed_size 0
		.amdhsa_private_segment_fixed_size 0
		.amdhsa_kernarg_size 128
		.amdhsa_user_sgpr_count 15
		.amdhsa_user_sgpr_dispatch_ptr 0
		.amdhsa_user_sgpr_queue_ptr 0
		.amdhsa_user_sgpr_kernarg_segment_ptr 1
		.amdhsa_user_sgpr_dispatch_id 0
		.amdhsa_user_sgpr_private_segment_size 0
		.amdhsa_wavefront_size32 1
		.amdhsa_uses_dynamic_stack 0
		.amdhsa_enable_private_segment 0
		.amdhsa_system_sgpr_workgroup_id_x 1
		.amdhsa_system_sgpr_workgroup_id_y 0
		.amdhsa_system_sgpr_workgroup_id_z 0
		.amdhsa_system_sgpr_workgroup_info 0
		.amdhsa_system_vgpr_workitem_id 0
		.amdhsa_next_free_vgpr 1
		.amdhsa_next_free_sgpr 1
		.amdhsa_reserve_vcc 0
		.amdhsa_float_round_mode_32 0
		.amdhsa_float_round_mode_16_64 0
		.amdhsa_float_denorm_mode_32 3
		.amdhsa_float_denorm_mode_16_64 3
		.amdhsa_dx10_clamp 1
		.amdhsa_ieee_mode 1
		.amdhsa_fp16_overflow 0
		.amdhsa_workgroup_processor_mode 1
		.amdhsa_memory_ordered 1
		.amdhsa_forward_progress 0
		.amdhsa_shared_vgpr_count 0
		.amdhsa_exception_fp_ieee_invalid_op 0
		.amdhsa_exception_fp_denorm_src 0
		.amdhsa_exception_fp_ieee_div_zero 0
		.amdhsa_exception_fp_ieee_overflow 0
		.amdhsa_exception_fp_ieee_underflow 0
		.amdhsa_exception_fp_ieee_inexact 0
		.amdhsa_exception_int_div_zero 0
	.end_amdhsa_kernel
	.section	.text._ZN7rocprim17ROCPRIM_400000_NS6detail17trampoline_kernelINS0_14default_configENS1_25partition_config_selectorILNS1_17partition_subalgoE9EttbEEZZNS1_14partition_implILS5_9ELb0ES3_jN6thrust23THRUST_200600_302600_NS6detail15normal_iteratorINS9_10device_ptrItEEEESE_PNS0_10empty_typeENS0_5tupleIJSE_SF_EEENSH_IJSE_SG_EEENS0_18inequality_wrapperI22is_equal_div_10_uniqueItEEEPmJSF_EEE10hipError_tPvRmT3_T4_T5_T6_T7_T9_mT8_P12ihipStream_tbDpT10_ENKUlT_T0_E_clISt17integral_constantIbLb0EES17_IbLb1EEEEDaS13_S14_EUlS13_E_NS1_11comp_targetILNS1_3genE2ELNS1_11target_archE906ELNS1_3gpuE6ELNS1_3repE0EEENS1_30default_config_static_selectorELNS0_4arch9wavefront6targetE0EEEvT1_,"axG",@progbits,_ZN7rocprim17ROCPRIM_400000_NS6detail17trampoline_kernelINS0_14default_configENS1_25partition_config_selectorILNS1_17partition_subalgoE9EttbEEZZNS1_14partition_implILS5_9ELb0ES3_jN6thrust23THRUST_200600_302600_NS6detail15normal_iteratorINS9_10device_ptrItEEEESE_PNS0_10empty_typeENS0_5tupleIJSE_SF_EEENSH_IJSE_SG_EEENS0_18inequality_wrapperI22is_equal_div_10_uniqueItEEEPmJSF_EEE10hipError_tPvRmT3_T4_T5_T6_T7_T9_mT8_P12ihipStream_tbDpT10_ENKUlT_T0_E_clISt17integral_constantIbLb0EES17_IbLb1EEEEDaS13_S14_EUlS13_E_NS1_11comp_targetILNS1_3genE2ELNS1_11target_archE906ELNS1_3gpuE6ELNS1_3repE0EEENS1_30default_config_static_selectorELNS0_4arch9wavefront6targetE0EEEvT1_,comdat
.Lfunc_end335:
	.size	_ZN7rocprim17ROCPRIM_400000_NS6detail17trampoline_kernelINS0_14default_configENS1_25partition_config_selectorILNS1_17partition_subalgoE9EttbEEZZNS1_14partition_implILS5_9ELb0ES3_jN6thrust23THRUST_200600_302600_NS6detail15normal_iteratorINS9_10device_ptrItEEEESE_PNS0_10empty_typeENS0_5tupleIJSE_SF_EEENSH_IJSE_SG_EEENS0_18inequality_wrapperI22is_equal_div_10_uniqueItEEEPmJSF_EEE10hipError_tPvRmT3_T4_T5_T6_T7_T9_mT8_P12ihipStream_tbDpT10_ENKUlT_T0_E_clISt17integral_constantIbLb0EES17_IbLb1EEEEDaS13_S14_EUlS13_E_NS1_11comp_targetILNS1_3genE2ELNS1_11target_archE906ELNS1_3gpuE6ELNS1_3repE0EEENS1_30default_config_static_selectorELNS0_4arch9wavefront6targetE0EEEvT1_, .Lfunc_end335-_ZN7rocprim17ROCPRIM_400000_NS6detail17trampoline_kernelINS0_14default_configENS1_25partition_config_selectorILNS1_17partition_subalgoE9EttbEEZZNS1_14partition_implILS5_9ELb0ES3_jN6thrust23THRUST_200600_302600_NS6detail15normal_iteratorINS9_10device_ptrItEEEESE_PNS0_10empty_typeENS0_5tupleIJSE_SF_EEENSH_IJSE_SG_EEENS0_18inequality_wrapperI22is_equal_div_10_uniqueItEEEPmJSF_EEE10hipError_tPvRmT3_T4_T5_T6_T7_T9_mT8_P12ihipStream_tbDpT10_ENKUlT_T0_E_clISt17integral_constantIbLb0EES17_IbLb1EEEEDaS13_S14_EUlS13_E_NS1_11comp_targetILNS1_3genE2ELNS1_11target_archE906ELNS1_3gpuE6ELNS1_3repE0EEENS1_30default_config_static_selectorELNS0_4arch9wavefront6targetE0EEEvT1_
                                        ; -- End function
	.section	.AMDGPU.csdata,"",@progbits
; Kernel info:
; codeLenInByte = 0
; NumSgprs: 0
; NumVgprs: 0
; ScratchSize: 0
; MemoryBound: 0
; FloatMode: 240
; IeeeMode: 1
; LDSByteSize: 0 bytes/workgroup (compile time only)
; SGPRBlocks: 0
; VGPRBlocks: 0
; NumSGPRsForWavesPerEU: 1
; NumVGPRsForWavesPerEU: 1
; Occupancy: 16
; WaveLimiterHint : 0
; COMPUTE_PGM_RSRC2:SCRATCH_EN: 0
; COMPUTE_PGM_RSRC2:USER_SGPR: 15
; COMPUTE_PGM_RSRC2:TRAP_HANDLER: 0
; COMPUTE_PGM_RSRC2:TGID_X_EN: 1
; COMPUTE_PGM_RSRC2:TGID_Y_EN: 0
; COMPUTE_PGM_RSRC2:TGID_Z_EN: 0
; COMPUTE_PGM_RSRC2:TIDIG_COMP_CNT: 0
	.section	.text._ZN7rocprim17ROCPRIM_400000_NS6detail17trampoline_kernelINS0_14default_configENS1_25partition_config_selectorILNS1_17partition_subalgoE9EttbEEZZNS1_14partition_implILS5_9ELb0ES3_jN6thrust23THRUST_200600_302600_NS6detail15normal_iteratorINS9_10device_ptrItEEEESE_PNS0_10empty_typeENS0_5tupleIJSE_SF_EEENSH_IJSE_SG_EEENS0_18inequality_wrapperI22is_equal_div_10_uniqueItEEEPmJSF_EEE10hipError_tPvRmT3_T4_T5_T6_T7_T9_mT8_P12ihipStream_tbDpT10_ENKUlT_T0_E_clISt17integral_constantIbLb0EES17_IbLb1EEEEDaS13_S14_EUlS13_E_NS1_11comp_targetILNS1_3genE10ELNS1_11target_archE1200ELNS1_3gpuE4ELNS1_3repE0EEENS1_30default_config_static_selectorELNS0_4arch9wavefront6targetE0EEEvT1_,"axG",@progbits,_ZN7rocprim17ROCPRIM_400000_NS6detail17trampoline_kernelINS0_14default_configENS1_25partition_config_selectorILNS1_17partition_subalgoE9EttbEEZZNS1_14partition_implILS5_9ELb0ES3_jN6thrust23THRUST_200600_302600_NS6detail15normal_iteratorINS9_10device_ptrItEEEESE_PNS0_10empty_typeENS0_5tupleIJSE_SF_EEENSH_IJSE_SG_EEENS0_18inequality_wrapperI22is_equal_div_10_uniqueItEEEPmJSF_EEE10hipError_tPvRmT3_T4_T5_T6_T7_T9_mT8_P12ihipStream_tbDpT10_ENKUlT_T0_E_clISt17integral_constantIbLb0EES17_IbLb1EEEEDaS13_S14_EUlS13_E_NS1_11comp_targetILNS1_3genE10ELNS1_11target_archE1200ELNS1_3gpuE4ELNS1_3repE0EEENS1_30default_config_static_selectorELNS0_4arch9wavefront6targetE0EEEvT1_,comdat
	.protected	_ZN7rocprim17ROCPRIM_400000_NS6detail17trampoline_kernelINS0_14default_configENS1_25partition_config_selectorILNS1_17partition_subalgoE9EttbEEZZNS1_14partition_implILS5_9ELb0ES3_jN6thrust23THRUST_200600_302600_NS6detail15normal_iteratorINS9_10device_ptrItEEEESE_PNS0_10empty_typeENS0_5tupleIJSE_SF_EEENSH_IJSE_SG_EEENS0_18inequality_wrapperI22is_equal_div_10_uniqueItEEEPmJSF_EEE10hipError_tPvRmT3_T4_T5_T6_T7_T9_mT8_P12ihipStream_tbDpT10_ENKUlT_T0_E_clISt17integral_constantIbLb0EES17_IbLb1EEEEDaS13_S14_EUlS13_E_NS1_11comp_targetILNS1_3genE10ELNS1_11target_archE1200ELNS1_3gpuE4ELNS1_3repE0EEENS1_30default_config_static_selectorELNS0_4arch9wavefront6targetE0EEEvT1_ ; -- Begin function _ZN7rocprim17ROCPRIM_400000_NS6detail17trampoline_kernelINS0_14default_configENS1_25partition_config_selectorILNS1_17partition_subalgoE9EttbEEZZNS1_14partition_implILS5_9ELb0ES3_jN6thrust23THRUST_200600_302600_NS6detail15normal_iteratorINS9_10device_ptrItEEEESE_PNS0_10empty_typeENS0_5tupleIJSE_SF_EEENSH_IJSE_SG_EEENS0_18inequality_wrapperI22is_equal_div_10_uniqueItEEEPmJSF_EEE10hipError_tPvRmT3_T4_T5_T6_T7_T9_mT8_P12ihipStream_tbDpT10_ENKUlT_T0_E_clISt17integral_constantIbLb0EES17_IbLb1EEEEDaS13_S14_EUlS13_E_NS1_11comp_targetILNS1_3genE10ELNS1_11target_archE1200ELNS1_3gpuE4ELNS1_3repE0EEENS1_30default_config_static_selectorELNS0_4arch9wavefront6targetE0EEEvT1_
	.globl	_ZN7rocprim17ROCPRIM_400000_NS6detail17trampoline_kernelINS0_14default_configENS1_25partition_config_selectorILNS1_17partition_subalgoE9EttbEEZZNS1_14partition_implILS5_9ELb0ES3_jN6thrust23THRUST_200600_302600_NS6detail15normal_iteratorINS9_10device_ptrItEEEESE_PNS0_10empty_typeENS0_5tupleIJSE_SF_EEENSH_IJSE_SG_EEENS0_18inequality_wrapperI22is_equal_div_10_uniqueItEEEPmJSF_EEE10hipError_tPvRmT3_T4_T5_T6_T7_T9_mT8_P12ihipStream_tbDpT10_ENKUlT_T0_E_clISt17integral_constantIbLb0EES17_IbLb1EEEEDaS13_S14_EUlS13_E_NS1_11comp_targetILNS1_3genE10ELNS1_11target_archE1200ELNS1_3gpuE4ELNS1_3repE0EEENS1_30default_config_static_selectorELNS0_4arch9wavefront6targetE0EEEvT1_
	.p2align	8
	.type	_ZN7rocprim17ROCPRIM_400000_NS6detail17trampoline_kernelINS0_14default_configENS1_25partition_config_selectorILNS1_17partition_subalgoE9EttbEEZZNS1_14partition_implILS5_9ELb0ES3_jN6thrust23THRUST_200600_302600_NS6detail15normal_iteratorINS9_10device_ptrItEEEESE_PNS0_10empty_typeENS0_5tupleIJSE_SF_EEENSH_IJSE_SG_EEENS0_18inequality_wrapperI22is_equal_div_10_uniqueItEEEPmJSF_EEE10hipError_tPvRmT3_T4_T5_T6_T7_T9_mT8_P12ihipStream_tbDpT10_ENKUlT_T0_E_clISt17integral_constantIbLb0EES17_IbLb1EEEEDaS13_S14_EUlS13_E_NS1_11comp_targetILNS1_3genE10ELNS1_11target_archE1200ELNS1_3gpuE4ELNS1_3repE0EEENS1_30default_config_static_selectorELNS0_4arch9wavefront6targetE0EEEvT1_,@function
_ZN7rocprim17ROCPRIM_400000_NS6detail17trampoline_kernelINS0_14default_configENS1_25partition_config_selectorILNS1_17partition_subalgoE9EttbEEZZNS1_14partition_implILS5_9ELb0ES3_jN6thrust23THRUST_200600_302600_NS6detail15normal_iteratorINS9_10device_ptrItEEEESE_PNS0_10empty_typeENS0_5tupleIJSE_SF_EEENSH_IJSE_SG_EEENS0_18inequality_wrapperI22is_equal_div_10_uniqueItEEEPmJSF_EEE10hipError_tPvRmT3_T4_T5_T6_T7_T9_mT8_P12ihipStream_tbDpT10_ENKUlT_T0_E_clISt17integral_constantIbLb0EES17_IbLb1EEEEDaS13_S14_EUlS13_E_NS1_11comp_targetILNS1_3genE10ELNS1_11target_archE1200ELNS1_3gpuE4ELNS1_3repE0EEENS1_30default_config_static_selectorELNS0_4arch9wavefront6targetE0EEEvT1_: ; @_ZN7rocprim17ROCPRIM_400000_NS6detail17trampoline_kernelINS0_14default_configENS1_25partition_config_selectorILNS1_17partition_subalgoE9EttbEEZZNS1_14partition_implILS5_9ELb0ES3_jN6thrust23THRUST_200600_302600_NS6detail15normal_iteratorINS9_10device_ptrItEEEESE_PNS0_10empty_typeENS0_5tupleIJSE_SF_EEENSH_IJSE_SG_EEENS0_18inequality_wrapperI22is_equal_div_10_uniqueItEEEPmJSF_EEE10hipError_tPvRmT3_T4_T5_T6_T7_T9_mT8_P12ihipStream_tbDpT10_ENKUlT_T0_E_clISt17integral_constantIbLb0EES17_IbLb1EEEEDaS13_S14_EUlS13_E_NS1_11comp_targetILNS1_3genE10ELNS1_11target_archE1200ELNS1_3gpuE4ELNS1_3repE0EEENS1_30default_config_static_selectorELNS0_4arch9wavefront6targetE0EEEvT1_
; %bb.0:
	.section	.rodata,"a",@progbits
	.p2align	6, 0x0
	.amdhsa_kernel _ZN7rocprim17ROCPRIM_400000_NS6detail17trampoline_kernelINS0_14default_configENS1_25partition_config_selectorILNS1_17partition_subalgoE9EttbEEZZNS1_14partition_implILS5_9ELb0ES3_jN6thrust23THRUST_200600_302600_NS6detail15normal_iteratorINS9_10device_ptrItEEEESE_PNS0_10empty_typeENS0_5tupleIJSE_SF_EEENSH_IJSE_SG_EEENS0_18inequality_wrapperI22is_equal_div_10_uniqueItEEEPmJSF_EEE10hipError_tPvRmT3_T4_T5_T6_T7_T9_mT8_P12ihipStream_tbDpT10_ENKUlT_T0_E_clISt17integral_constantIbLb0EES17_IbLb1EEEEDaS13_S14_EUlS13_E_NS1_11comp_targetILNS1_3genE10ELNS1_11target_archE1200ELNS1_3gpuE4ELNS1_3repE0EEENS1_30default_config_static_selectorELNS0_4arch9wavefront6targetE0EEEvT1_
		.amdhsa_group_segment_fixed_size 0
		.amdhsa_private_segment_fixed_size 0
		.amdhsa_kernarg_size 128
		.amdhsa_user_sgpr_count 15
		.amdhsa_user_sgpr_dispatch_ptr 0
		.amdhsa_user_sgpr_queue_ptr 0
		.amdhsa_user_sgpr_kernarg_segment_ptr 1
		.amdhsa_user_sgpr_dispatch_id 0
		.amdhsa_user_sgpr_private_segment_size 0
		.amdhsa_wavefront_size32 1
		.amdhsa_uses_dynamic_stack 0
		.amdhsa_enable_private_segment 0
		.amdhsa_system_sgpr_workgroup_id_x 1
		.amdhsa_system_sgpr_workgroup_id_y 0
		.amdhsa_system_sgpr_workgroup_id_z 0
		.amdhsa_system_sgpr_workgroup_info 0
		.amdhsa_system_vgpr_workitem_id 0
		.amdhsa_next_free_vgpr 1
		.amdhsa_next_free_sgpr 1
		.amdhsa_reserve_vcc 0
		.amdhsa_float_round_mode_32 0
		.amdhsa_float_round_mode_16_64 0
		.amdhsa_float_denorm_mode_32 3
		.amdhsa_float_denorm_mode_16_64 3
		.amdhsa_dx10_clamp 1
		.amdhsa_ieee_mode 1
		.amdhsa_fp16_overflow 0
		.amdhsa_workgroup_processor_mode 1
		.amdhsa_memory_ordered 1
		.amdhsa_forward_progress 0
		.amdhsa_shared_vgpr_count 0
		.amdhsa_exception_fp_ieee_invalid_op 0
		.amdhsa_exception_fp_denorm_src 0
		.amdhsa_exception_fp_ieee_div_zero 0
		.amdhsa_exception_fp_ieee_overflow 0
		.amdhsa_exception_fp_ieee_underflow 0
		.amdhsa_exception_fp_ieee_inexact 0
		.amdhsa_exception_int_div_zero 0
	.end_amdhsa_kernel
	.section	.text._ZN7rocprim17ROCPRIM_400000_NS6detail17trampoline_kernelINS0_14default_configENS1_25partition_config_selectorILNS1_17partition_subalgoE9EttbEEZZNS1_14partition_implILS5_9ELb0ES3_jN6thrust23THRUST_200600_302600_NS6detail15normal_iteratorINS9_10device_ptrItEEEESE_PNS0_10empty_typeENS0_5tupleIJSE_SF_EEENSH_IJSE_SG_EEENS0_18inequality_wrapperI22is_equal_div_10_uniqueItEEEPmJSF_EEE10hipError_tPvRmT3_T4_T5_T6_T7_T9_mT8_P12ihipStream_tbDpT10_ENKUlT_T0_E_clISt17integral_constantIbLb0EES17_IbLb1EEEEDaS13_S14_EUlS13_E_NS1_11comp_targetILNS1_3genE10ELNS1_11target_archE1200ELNS1_3gpuE4ELNS1_3repE0EEENS1_30default_config_static_selectorELNS0_4arch9wavefront6targetE0EEEvT1_,"axG",@progbits,_ZN7rocprim17ROCPRIM_400000_NS6detail17trampoline_kernelINS0_14default_configENS1_25partition_config_selectorILNS1_17partition_subalgoE9EttbEEZZNS1_14partition_implILS5_9ELb0ES3_jN6thrust23THRUST_200600_302600_NS6detail15normal_iteratorINS9_10device_ptrItEEEESE_PNS0_10empty_typeENS0_5tupleIJSE_SF_EEENSH_IJSE_SG_EEENS0_18inequality_wrapperI22is_equal_div_10_uniqueItEEEPmJSF_EEE10hipError_tPvRmT3_T4_T5_T6_T7_T9_mT8_P12ihipStream_tbDpT10_ENKUlT_T0_E_clISt17integral_constantIbLb0EES17_IbLb1EEEEDaS13_S14_EUlS13_E_NS1_11comp_targetILNS1_3genE10ELNS1_11target_archE1200ELNS1_3gpuE4ELNS1_3repE0EEENS1_30default_config_static_selectorELNS0_4arch9wavefront6targetE0EEEvT1_,comdat
.Lfunc_end336:
	.size	_ZN7rocprim17ROCPRIM_400000_NS6detail17trampoline_kernelINS0_14default_configENS1_25partition_config_selectorILNS1_17partition_subalgoE9EttbEEZZNS1_14partition_implILS5_9ELb0ES3_jN6thrust23THRUST_200600_302600_NS6detail15normal_iteratorINS9_10device_ptrItEEEESE_PNS0_10empty_typeENS0_5tupleIJSE_SF_EEENSH_IJSE_SG_EEENS0_18inequality_wrapperI22is_equal_div_10_uniqueItEEEPmJSF_EEE10hipError_tPvRmT3_T4_T5_T6_T7_T9_mT8_P12ihipStream_tbDpT10_ENKUlT_T0_E_clISt17integral_constantIbLb0EES17_IbLb1EEEEDaS13_S14_EUlS13_E_NS1_11comp_targetILNS1_3genE10ELNS1_11target_archE1200ELNS1_3gpuE4ELNS1_3repE0EEENS1_30default_config_static_selectorELNS0_4arch9wavefront6targetE0EEEvT1_, .Lfunc_end336-_ZN7rocprim17ROCPRIM_400000_NS6detail17trampoline_kernelINS0_14default_configENS1_25partition_config_selectorILNS1_17partition_subalgoE9EttbEEZZNS1_14partition_implILS5_9ELb0ES3_jN6thrust23THRUST_200600_302600_NS6detail15normal_iteratorINS9_10device_ptrItEEEESE_PNS0_10empty_typeENS0_5tupleIJSE_SF_EEENSH_IJSE_SG_EEENS0_18inequality_wrapperI22is_equal_div_10_uniqueItEEEPmJSF_EEE10hipError_tPvRmT3_T4_T5_T6_T7_T9_mT8_P12ihipStream_tbDpT10_ENKUlT_T0_E_clISt17integral_constantIbLb0EES17_IbLb1EEEEDaS13_S14_EUlS13_E_NS1_11comp_targetILNS1_3genE10ELNS1_11target_archE1200ELNS1_3gpuE4ELNS1_3repE0EEENS1_30default_config_static_selectorELNS0_4arch9wavefront6targetE0EEEvT1_
                                        ; -- End function
	.section	.AMDGPU.csdata,"",@progbits
; Kernel info:
; codeLenInByte = 0
; NumSgprs: 0
; NumVgprs: 0
; ScratchSize: 0
; MemoryBound: 0
; FloatMode: 240
; IeeeMode: 1
; LDSByteSize: 0 bytes/workgroup (compile time only)
; SGPRBlocks: 0
; VGPRBlocks: 0
; NumSGPRsForWavesPerEU: 1
; NumVGPRsForWavesPerEU: 1
; Occupancy: 16
; WaveLimiterHint : 0
; COMPUTE_PGM_RSRC2:SCRATCH_EN: 0
; COMPUTE_PGM_RSRC2:USER_SGPR: 15
; COMPUTE_PGM_RSRC2:TRAP_HANDLER: 0
; COMPUTE_PGM_RSRC2:TGID_X_EN: 1
; COMPUTE_PGM_RSRC2:TGID_Y_EN: 0
; COMPUTE_PGM_RSRC2:TGID_Z_EN: 0
; COMPUTE_PGM_RSRC2:TIDIG_COMP_CNT: 0
	.section	.text._ZN7rocprim17ROCPRIM_400000_NS6detail17trampoline_kernelINS0_14default_configENS1_25partition_config_selectorILNS1_17partition_subalgoE9EttbEEZZNS1_14partition_implILS5_9ELb0ES3_jN6thrust23THRUST_200600_302600_NS6detail15normal_iteratorINS9_10device_ptrItEEEESE_PNS0_10empty_typeENS0_5tupleIJSE_SF_EEENSH_IJSE_SG_EEENS0_18inequality_wrapperI22is_equal_div_10_uniqueItEEEPmJSF_EEE10hipError_tPvRmT3_T4_T5_T6_T7_T9_mT8_P12ihipStream_tbDpT10_ENKUlT_T0_E_clISt17integral_constantIbLb0EES17_IbLb1EEEEDaS13_S14_EUlS13_E_NS1_11comp_targetILNS1_3genE9ELNS1_11target_archE1100ELNS1_3gpuE3ELNS1_3repE0EEENS1_30default_config_static_selectorELNS0_4arch9wavefront6targetE0EEEvT1_,"axG",@progbits,_ZN7rocprim17ROCPRIM_400000_NS6detail17trampoline_kernelINS0_14default_configENS1_25partition_config_selectorILNS1_17partition_subalgoE9EttbEEZZNS1_14partition_implILS5_9ELb0ES3_jN6thrust23THRUST_200600_302600_NS6detail15normal_iteratorINS9_10device_ptrItEEEESE_PNS0_10empty_typeENS0_5tupleIJSE_SF_EEENSH_IJSE_SG_EEENS0_18inequality_wrapperI22is_equal_div_10_uniqueItEEEPmJSF_EEE10hipError_tPvRmT3_T4_T5_T6_T7_T9_mT8_P12ihipStream_tbDpT10_ENKUlT_T0_E_clISt17integral_constantIbLb0EES17_IbLb1EEEEDaS13_S14_EUlS13_E_NS1_11comp_targetILNS1_3genE9ELNS1_11target_archE1100ELNS1_3gpuE3ELNS1_3repE0EEENS1_30default_config_static_selectorELNS0_4arch9wavefront6targetE0EEEvT1_,comdat
	.protected	_ZN7rocprim17ROCPRIM_400000_NS6detail17trampoline_kernelINS0_14default_configENS1_25partition_config_selectorILNS1_17partition_subalgoE9EttbEEZZNS1_14partition_implILS5_9ELb0ES3_jN6thrust23THRUST_200600_302600_NS6detail15normal_iteratorINS9_10device_ptrItEEEESE_PNS0_10empty_typeENS0_5tupleIJSE_SF_EEENSH_IJSE_SG_EEENS0_18inequality_wrapperI22is_equal_div_10_uniqueItEEEPmJSF_EEE10hipError_tPvRmT3_T4_T5_T6_T7_T9_mT8_P12ihipStream_tbDpT10_ENKUlT_T0_E_clISt17integral_constantIbLb0EES17_IbLb1EEEEDaS13_S14_EUlS13_E_NS1_11comp_targetILNS1_3genE9ELNS1_11target_archE1100ELNS1_3gpuE3ELNS1_3repE0EEENS1_30default_config_static_selectorELNS0_4arch9wavefront6targetE0EEEvT1_ ; -- Begin function _ZN7rocprim17ROCPRIM_400000_NS6detail17trampoline_kernelINS0_14default_configENS1_25partition_config_selectorILNS1_17partition_subalgoE9EttbEEZZNS1_14partition_implILS5_9ELb0ES3_jN6thrust23THRUST_200600_302600_NS6detail15normal_iteratorINS9_10device_ptrItEEEESE_PNS0_10empty_typeENS0_5tupleIJSE_SF_EEENSH_IJSE_SG_EEENS0_18inequality_wrapperI22is_equal_div_10_uniqueItEEEPmJSF_EEE10hipError_tPvRmT3_T4_T5_T6_T7_T9_mT8_P12ihipStream_tbDpT10_ENKUlT_T0_E_clISt17integral_constantIbLb0EES17_IbLb1EEEEDaS13_S14_EUlS13_E_NS1_11comp_targetILNS1_3genE9ELNS1_11target_archE1100ELNS1_3gpuE3ELNS1_3repE0EEENS1_30default_config_static_selectorELNS0_4arch9wavefront6targetE0EEEvT1_
	.globl	_ZN7rocprim17ROCPRIM_400000_NS6detail17trampoline_kernelINS0_14default_configENS1_25partition_config_selectorILNS1_17partition_subalgoE9EttbEEZZNS1_14partition_implILS5_9ELb0ES3_jN6thrust23THRUST_200600_302600_NS6detail15normal_iteratorINS9_10device_ptrItEEEESE_PNS0_10empty_typeENS0_5tupleIJSE_SF_EEENSH_IJSE_SG_EEENS0_18inequality_wrapperI22is_equal_div_10_uniqueItEEEPmJSF_EEE10hipError_tPvRmT3_T4_T5_T6_T7_T9_mT8_P12ihipStream_tbDpT10_ENKUlT_T0_E_clISt17integral_constantIbLb0EES17_IbLb1EEEEDaS13_S14_EUlS13_E_NS1_11comp_targetILNS1_3genE9ELNS1_11target_archE1100ELNS1_3gpuE3ELNS1_3repE0EEENS1_30default_config_static_selectorELNS0_4arch9wavefront6targetE0EEEvT1_
	.p2align	8
	.type	_ZN7rocprim17ROCPRIM_400000_NS6detail17trampoline_kernelINS0_14default_configENS1_25partition_config_selectorILNS1_17partition_subalgoE9EttbEEZZNS1_14partition_implILS5_9ELb0ES3_jN6thrust23THRUST_200600_302600_NS6detail15normal_iteratorINS9_10device_ptrItEEEESE_PNS0_10empty_typeENS0_5tupleIJSE_SF_EEENSH_IJSE_SG_EEENS0_18inequality_wrapperI22is_equal_div_10_uniqueItEEEPmJSF_EEE10hipError_tPvRmT3_T4_T5_T6_T7_T9_mT8_P12ihipStream_tbDpT10_ENKUlT_T0_E_clISt17integral_constantIbLb0EES17_IbLb1EEEEDaS13_S14_EUlS13_E_NS1_11comp_targetILNS1_3genE9ELNS1_11target_archE1100ELNS1_3gpuE3ELNS1_3repE0EEENS1_30default_config_static_selectorELNS0_4arch9wavefront6targetE0EEEvT1_,@function
_ZN7rocprim17ROCPRIM_400000_NS6detail17trampoline_kernelINS0_14default_configENS1_25partition_config_selectorILNS1_17partition_subalgoE9EttbEEZZNS1_14partition_implILS5_9ELb0ES3_jN6thrust23THRUST_200600_302600_NS6detail15normal_iteratorINS9_10device_ptrItEEEESE_PNS0_10empty_typeENS0_5tupleIJSE_SF_EEENSH_IJSE_SG_EEENS0_18inequality_wrapperI22is_equal_div_10_uniqueItEEEPmJSF_EEE10hipError_tPvRmT3_T4_T5_T6_T7_T9_mT8_P12ihipStream_tbDpT10_ENKUlT_T0_E_clISt17integral_constantIbLb0EES17_IbLb1EEEEDaS13_S14_EUlS13_E_NS1_11comp_targetILNS1_3genE9ELNS1_11target_archE1100ELNS1_3gpuE3ELNS1_3repE0EEENS1_30default_config_static_selectorELNS0_4arch9wavefront6targetE0EEEvT1_: ; @_ZN7rocprim17ROCPRIM_400000_NS6detail17trampoline_kernelINS0_14default_configENS1_25partition_config_selectorILNS1_17partition_subalgoE9EttbEEZZNS1_14partition_implILS5_9ELb0ES3_jN6thrust23THRUST_200600_302600_NS6detail15normal_iteratorINS9_10device_ptrItEEEESE_PNS0_10empty_typeENS0_5tupleIJSE_SF_EEENSH_IJSE_SG_EEENS0_18inequality_wrapperI22is_equal_div_10_uniqueItEEEPmJSF_EEE10hipError_tPvRmT3_T4_T5_T6_T7_T9_mT8_P12ihipStream_tbDpT10_ENKUlT_T0_E_clISt17integral_constantIbLb0EES17_IbLb1EEEEDaS13_S14_EUlS13_E_NS1_11comp_targetILNS1_3genE9ELNS1_11target_archE1100ELNS1_3gpuE3ELNS1_3repE0EEENS1_30default_config_static_selectorELNS0_4arch9wavefront6targetE0EEEvT1_
; %bb.0:
	s_clause 0x4
	s_load_b128 s[4:7], s[0:1], 0x8
	s_load_b64 s[18:19], s[0:1], 0x18
	s_load_b128 s[8:11], s[0:1], 0x40
	s_load_b64 s[22:23], s[0:1], 0x50
	s_load_b64 s[16:17], s[0:1], 0x60
	v_cmp_ne_u32_e64 s3, 0, v0
	v_cmp_eq_u32_e64 s2, 0, v0
	s_delay_alu instid0(VALU_DEP_1)
	s_and_saveexec_b32 s12, s2
	s_cbranch_execz .LBB337_4
; %bb.1:
	s_mov_b32 s14, exec_lo
	s_mov_b32 s13, exec_lo
	v_mbcnt_lo_u32_b32 v1, s14, 0
                                        ; implicit-def: $vgpr2
	s_delay_alu instid0(VALU_DEP_1)
	v_cmpx_eq_u32_e32 0, v1
	s_cbranch_execz .LBB337_3
; %bb.2:
	s_load_b64 s[20:21], s[0:1], 0x70
	s_bcnt1_i32_b32 s14, s14
	s_delay_alu instid0(SALU_CYCLE_1)
	v_dual_mov_b32 v2, 0 :: v_dual_mov_b32 v3, s14
	s_waitcnt lgkmcnt(0)
	global_atomic_add_u32 v2, v2, v3, s[20:21] glc
.LBB337_3:
	s_or_b32 exec_lo, exec_lo, s13
	s_waitcnt vmcnt(0)
	v_readfirstlane_b32 s13, v2
	s_delay_alu instid0(VALU_DEP_1)
	v_dual_mov_b32 v2, 0 :: v_dual_add_nc_u32 v1, s13, v1
	ds_store_b32 v2, v1
.LBB337_4:
	s_or_b32 exec_lo, exec_lo, s12
	v_mov_b32_e32 v1, 0
	s_clause 0x1
	s_load_b128 s[12:15], s[0:1], 0x28
	s_load_b32 s0, s[0:1], 0x68
	s_waitcnt lgkmcnt(0)
	s_barrier
	buffer_gl0_inv
	ds_load_b32 v3, v1
	s_waitcnt lgkmcnt(0)
	s_barrier
	buffer_gl0_inv
	global_load_b64 v[1:2], v1, s[10:11]
	s_lshl_b64 s[20:21], s[6:7], 1
	s_mov_b32 s28, -1
	s_add_u32 s10, s4, s20
	s_addc_u32 s11, s5, s21
	s_mov_b32 s5, 0
	s_mul_i32 s1, s0, 0x600
	s_delay_alu instid0(SALU_CYCLE_1) | instskip(NEXT) | instid1(SALU_CYCLE_1)
	s_add_i32 s4, s1, s6
	s_sub_i32 s25, s22, s4
	s_add_i32 s4, s0, -1
	s_addk_i32 s25, 0x600
	s_add_u32 s0, s6, s1
	v_readfirstlane_b32 s24, v3
	s_addc_u32 s1, s7, 0
	s_delay_alu instid0(SALU_CYCLE_1) | instskip(NEXT) | instid1(VALU_DEP_2)
	v_cmp_ge_u64_e64 s0, s[0:1], s[22:23]
	s_cmp_eq_u32 s24, s4
	s_mul_i32 s4, s24, 0x600
	s_cselect_b32 s22, -1, 0
	s_lshl_b64 s[4:5], s[4:5], 1
	s_delay_alu instid0(VALU_DEP_1) | instskip(NEXT) | instid1(SALU_CYCLE_1)
	s_and_b32 s1, s0, s22
	s_xor_b32 s23, s1, -1
	s_add_u32 s27, s10, s4
	s_addc_u32 s26, s11, s5
	s_and_b32 vcc_lo, exec_lo, s23
	s_waitcnt vmcnt(0)
	v_readfirstlane_b32 s10, v1
	v_readfirstlane_b32 s11, v2
	s_cbranch_vccz .LBB337_6
; %bb.5:
	v_lshlrev_b32_e32 v3, 1, v0
	s_mov_b32 s28, 0
	s_delay_alu instid0(VALU_DEP_1) | instskip(NEXT) | instid1(VALU_DEP_1)
	v_add_co_u32 v1, s0, s27, v3
	v_add_co_ci_u32_e64 v2, null, s26, 0, s0
	s_clause 0xb
	flat_load_u16 v4, v[1:2]
	flat_load_u16 v5, v[1:2] offset:256
	flat_load_u16 v6, v[1:2] offset:512
	;; [unrolled: 1-line block ×11, first 2 shown]
	s_waitcnt vmcnt(11) lgkmcnt(11)
	ds_store_b16 v3, v4
	s_waitcnt vmcnt(10) lgkmcnt(11)
	ds_store_b16 v3, v5 offset:256
	s_waitcnt vmcnt(9) lgkmcnt(11)
	ds_store_b16 v3, v6 offset:512
	;; [unrolled: 2-line block ×11, first 2 shown]
	s_waitcnt lgkmcnt(0)
	s_barrier
.LBB337_6:
	v_cmp_gt_u32_e64 s0, s25, v0
	s_and_not1_b32 vcc_lo, exec_lo, s28
	s_cbranch_vccnz .LBB337_32
; %bb.7:
                                        ; implicit-def: $vgpr1_vgpr2_vgpr3_vgpr4_vgpr5_vgpr6_vgpr7_vgpr8
	s_delay_alu instid0(VALU_DEP_1)
	s_and_saveexec_b32 s28, s0
	s_cbranch_execz .LBB337_9
; %bb.8:
	v_lshlrev_b32_e32 v1, 1, v0
	s_delay_alu instid0(VALU_DEP_1) | instskip(NEXT) | instid1(VALU_DEP_1)
	v_add_co_u32 v1, s0, s27, v1
	v_add_co_ci_u32_e64 v2, null, s26, 0, s0
	flat_load_d16_b16 v1, v[1:2]
.LBB337_9:
	s_or_b32 exec_lo, exec_lo, s28
	v_or_b32_e32 v7, 0x80, v0
	s_mov_b32 s0, exec_lo
	s_delay_alu instid0(VALU_DEP_1)
	v_cmpx_gt_u32_e64 s25, v7
	s_cbranch_execz .LBB337_11
; %bb.10:
	v_lshlrev_b32_e32 v7, 1, v0
	s_delay_alu instid0(VALU_DEP_1) | instskip(NEXT) | instid1(VALU_DEP_1)
	v_add_co_u32 v7, s28, s27, v7
	v_add_co_ci_u32_e64 v8, null, s26, 0, s28
	s_waitcnt vmcnt(0) lgkmcnt(0)
	flat_load_d16_hi_b16 v1, v[7:8] offset:256
.LBB337_11:
	s_or_b32 exec_lo, exec_lo, s0
	v_or_b32_e32 v7, 0x100, v0
	s_mov_b32 s0, exec_lo
	s_delay_alu instid0(VALU_DEP_1)
	v_cmpx_gt_u32_e64 s25, v7
	s_cbranch_execz .LBB337_13
; %bb.12:
	v_lshlrev_b32_e32 v7, 1, v0
	s_delay_alu instid0(VALU_DEP_1) | instskip(NEXT) | instid1(VALU_DEP_1)
	v_add_co_u32 v7, s28, s27, v7
	v_add_co_ci_u32_e64 v8, null, s26, 0, s28
	flat_load_d16_b16 v2, v[7:8] offset:512
.LBB337_13:
	s_or_b32 exec_lo, exec_lo, s0
	v_or_b32_e32 v7, 0x180, v0
	s_mov_b32 s0, exec_lo
	s_delay_alu instid0(VALU_DEP_1)
	v_cmpx_gt_u32_e64 s25, v7
	s_cbranch_execz .LBB337_15
; %bb.14:
	v_lshlrev_b32_e32 v7, 1, v0
	s_delay_alu instid0(VALU_DEP_1) | instskip(NEXT) | instid1(VALU_DEP_1)
	v_add_co_u32 v7, s28, s27, v7
	v_add_co_ci_u32_e64 v8, null, s26, 0, s28
	s_waitcnt vmcnt(0) lgkmcnt(0)
	flat_load_d16_hi_b16 v2, v[7:8] offset:768
.LBB337_15:
	s_or_b32 exec_lo, exec_lo, s0
	v_or_b32_e32 v7, 0x200, v0
	s_mov_b32 s0, exec_lo
	s_delay_alu instid0(VALU_DEP_1)
	v_cmpx_gt_u32_e64 s25, v7
	s_cbranch_execz .LBB337_17
; %bb.16:
	v_lshlrev_b32_e32 v7, 1, v0
	s_delay_alu instid0(VALU_DEP_1) | instskip(NEXT) | instid1(VALU_DEP_1)
	v_add_co_u32 v7, s28, s27, v7
	v_add_co_ci_u32_e64 v8, null, s26, 0, s28
	flat_load_d16_b16 v3, v[7:8] offset:1024
.LBB337_17:
	;; [unrolled: 27-line block ×5, first 2 shown]
	s_or_b32 exec_lo, exec_lo, s0
	v_or_b32_e32 v7, 0x580, v0
	s_mov_b32 s0, exec_lo
	s_delay_alu instid0(VALU_DEP_1)
	v_cmpx_gt_u32_e64 s25, v7
	s_cbranch_execz .LBB337_31
; %bb.30:
	v_lshlrev_b32_e32 v7, 1, v0
	s_delay_alu instid0(VALU_DEP_1) | instskip(NEXT) | instid1(VALU_DEP_1)
	v_add_co_u32 v7, s28, s27, v7
	v_add_co_ci_u32_e64 v8, null, s26, 0, s28
	s_waitcnt vmcnt(0) lgkmcnt(0)
	flat_load_d16_hi_b16 v6, v[7:8] offset:2816
.LBB337_31:
	s_or_b32 exec_lo, exec_lo, s0
	v_lshlrev_b32_e32 v7, 1, v0
	s_waitcnt vmcnt(0) lgkmcnt(0)
	ds_store_b16 v7, v1
	ds_store_b16_d16_hi v7, v1 offset:256
	ds_store_b16 v7, v2 offset:512
	ds_store_b16_d16_hi v7, v2 offset:768
	ds_store_b16 v7, v3 offset:1024
	;; [unrolled: 2-line block ×5, first 2 shown]
	ds_store_b16_d16_hi v7, v6 offset:2816
	s_waitcnt lgkmcnt(0)
	s_barrier
.LBB337_32:
	v_mul_u32_u24_e32 v1, 12, v0
	buffer_gl0_inv
	s_add_u32 s0, s18, s20
	s_addc_u32 s18, s19, s21
	s_add_u32 s0, s0, s4
	v_lshlrev_b32_e32 v8, 1, v1
	s_addc_u32 s4, s18, s5
	s_and_b32 vcc_lo, exec_lo, s23
	s_mov_b32 s5, -1
	ds_load_2addr_b64 v[18:21], v8 offset1:1
	ds_load_b64 v[27:28], v8 offset:16
	s_waitcnt lgkmcnt(0)
	s_barrier
	buffer_gl0_inv
	s_cbranch_vccz .LBB337_34
; %bb.33:
	v_lshlrev_b32_e32 v4, 1, v0
	s_delay_alu instid0(VALU_DEP_1) | instskip(NEXT) | instid1(VALU_DEP_1)
	v_add_co_u32 v2, s5, s0, v4
	v_add_co_ci_u32_e64 v3, null, s4, 0, s5
	s_mov_b32 s5, 0
	s_clause 0xb
	flat_load_u16 v5, v[2:3]
	flat_load_u16 v6, v[2:3] offset:256
	flat_load_u16 v7, v[2:3] offset:512
	;; [unrolled: 1-line block ×11, first 2 shown]
	s_waitcnt vmcnt(11) lgkmcnt(11)
	ds_store_b16 v4, v5
	s_waitcnt vmcnt(10) lgkmcnt(11)
	ds_store_b16 v4, v6 offset:256
	s_waitcnt vmcnt(9) lgkmcnt(11)
	ds_store_b16 v4, v7 offset:512
	;; [unrolled: 2-line block ×11, first 2 shown]
	s_waitcnt lgkmcnt(0)
	s_barrier
.LBB337_34:
	s_and_not1_b32 vcc_lo, exec_lo, s5
	s_cbranch_vccnz .LBB337_60
; %bb.35:
	s_mov_b32 s5, exec_lo
                                        ; implicit-def: $vgpr2
	v_cmpx_gt_u32_e64 s25, v0
	s_cbranch_execz .LBB337_37
; %bb.36:
	v_lshlrev_b32_e32 v2, 1, v0
	s_delay_alu instid0(VALU_DEP_1) | instskip(NEXT) | instid1(VALU_DEP_1)
	v_add_co_u32 v2, s18, s0, v2
	v_add_co_ci_u32_e64 v3, null, s4, 0, s18
	flat_load_u16 v2, v[2:3]
.LBB337_37:
	s_or_b32 exec_lo, exec_lo, s5
	v_or_b32_e32 v3, 0x80, v0
	s_delay_alu instid0(VALU_DEP_1)
	v_cmp_gt_u32_e32 vcc_lo, s25, v3
                                        ; implicit-def: $vgpr3
	s_and_saveexec_b32 s5, vcc_lo
	s_cbranch_execz .LBB337_39
; %bb.38:
	v_lshlrev_b32_e32 v3, 1, v0
	s_delay_alu instid0(VALU_DEP_1) | instskip(NEXT) | instid1(VALU_DEP_1)
	v_add_co_u32 v3, s18, s0, v3
	v_add_co_ci_u32_e64 v4, null, s4, 0, s18
	flat_load_u16 v3, v[3:4] offset:256
.LBB337_39:
	s_or_b32 exec_lo, exec_lo, s5
	v_or_b32_e32 v4, 0x100, v0
	s_delay_alu instid0(VALU_DEP_1)
	v_cmp_gt_u32_e32 vcc_lo, s25, v4
                                        ; implicit-def: $vgpr4
	s_and_saveexec_b32 s5, vcc_lo
	s_cbranch_execz .LBB337_41
; %bb.40:
	v_lshlrev_b32_e32 v4, 1, v0
	s_delay_alu instid0(VALU_DEP_1) | instskip(NEXT) | instid1(VALU_DEP_1)
	v_add_co_u32 v4, s18, s0, v4
	v_add_co_ci_u32_e64 v5, null, s4, 0, s18
	flat_load_u16 v4, v[4:5] offset:512
.LBB337_41:
	s_or_b32 exec_lo, exec_lo, s5
	v_or_b32_e32 v5, 0x180, v0
	s_delay_alu instid0(VALU_DEP_1)
	v_cmp_gt_u32_e32 vcc_lo, s25, v5
                                        ; implicit-def: $vgpr5
	s_and_saveexec_b32 s5, vcc_lo
	s_cbranch_execz .LBB337_43
; %bb.42:
	v_lshlrev_b32_e32 v5, 1, v0
	s_delay_alu instid0(VALU_DEP_1) | instskip(NEXT) | instid1(VALU_DEP_1)
	v_add_co_u32 v5, s18, s0, v5
	v_add_co_ci_u32_e64 v6, null, s4, 0, s18
	flat_load_u16 v5, v[5:6] offset:768
.LBB337_43:
	s_or_b32 exec_lo, exec_lo, s5
	v_or_b32_e32 v6, 0x200, v0
	s_delay_alu instid0(VALU_DEP_1)
	v_cmp_gt_u32_e32 vcc_lo, s25, v6
                                        ; implicit-def: $vgpr6
	s_and_saveexec_b32 s5, vcc_lo
	s_cbranch_execz .LBB337_45
; %bb.44:
	v_lshlrev_b32_e32 v6, 1, v0
	s_delay_alu instid0(VALU_DEP_1) | instskip(NEXT) | instid1(VALU_DEP_1)
	v_add_co_u32 v6, s18, s0, v6
	v_add_co_ci_u32_e64 v7, null, s4, 0, s18
	flat_load_u16 v6, v[6:7] offset:1024
.LBB337_45:
	s_or_b32 exec_lo, exec_lo, s5
	v_or_b32_e32 v7, 0x280, v0
	s_delay_alu instid0(VALU_DEP_1)
	v_cmp_gt_u32_e32 vcc_lo, s25, v7
                                        ; implicit-def: $vgpr7
	s_and_saveexec_b32 s5, vcc_lo
	s_cbranch_execz .LBB337_47
; %bb.46:
	v_lshlrev_b32_e32 v7, 1, v0
	s_delay_alu instid0(VALU_DEP_1) | instskip(NEXT) | instid1(VALU_DEP_1)
	v_add_co_u32 v9, s18, s0, v7
	v_add_co_ci_u32_e64 v10, null, s4, 0, s18
	flat_load_u16 v7, v[9:10] offset:1280
.LBB337_47:
	s_or_b32 exec_lo, exec_lo, s5
	v_or_b32_e32 v9, 0x300, v0
	s_delay_alu instid0(VALU_DEP_1)
	v_cmp_gt_u32_e32 vcc_lo, s25, v9
                                        ; implicit-def: $vgpr9
	s_and_saveexec_b32 s5, vcc_lo
	s_cbranch_execz .LBB337_49
; %bb.48:
	v_lshlrev_b32_e32 v9, 1, v0
	s_delay_alu instid0(VALU_DEP_1) | instskip(NEXT) | instid1(VALU_DEP_1)
	v_add_co_u32 v9, s18, s0, v9
	v_add_co_ci_u32_e64 v10, null, s4, 0, s18
	flat_load_u16 v9, v[9:10] offset:1536
.LBB337_49:
	s_or_b32 exec_lo, exec_lo, s5
	v_or_b32_e32 v10, 0x380, v0
	s_delay_alu instid0(VALU_DEP_1)
	v_cmp_gt_u32_e32 vcc_lo, s25, v10
                                        ; implicit-def: $vgpr10
	s_and_saveexec_b32 s5, vcc_lo
	s_cbranch_execz .LBB337_51
; %bb.50:
	v_lshlrev_b32_e32 v10, 1, v0
	s_delay_alu instid0(VALU_DEP_1) | instskip(NEXT) | instid1(VALU_DEP_1)
	v_add_co_u32 v10, s18, s0, v10
	v_add_co_ci_u32_e64 v11, null, s4, 0, s18
	flat_load_u16 v10, v[10:11] offset:1792
.LBB337_51:
	s_or_b32 exec_lo, exec_lo, s5
	v_or_b32_e32 v11, 0x400, v0
	s_delay_alu instid0(VALU_DEP_1)
	v_cmp_gt_u32_e32 vcc_lo, s25, v11
                                        ; implicit-def: $vgpr11
	s_and_saveexec_b32 s5, vcc_lo
	s_cbranch_execz .LBB337_53
; %bb.52:
	v_lshlrev_b32_e32 v11, 1, v0
	s_delay_alu instid0(VALU_DEP_1) | instskip(NEXT) | instid1(VALU_DEP_1)
	v_add_co_u32 v11, s18, s0, v11
	v_add_co_ci_u32_e64 v12, null, s4, 0, s18
	flat_load_u16 v11, v[11:12] offset:2048
.LBB337_53:
	s_or_b32 exec_lo, exec_lo, s5
	v_or_b32_e32 v12, 0x480, v0
	s_delay_alu instid0(VALU_DEP_1)
	v_cmp_gt_u32_e32 vcc_lo, s25, v12
                                        ; implicit-def: $vgpr12
	s_and_saveexec_b32 s5, vcc_lo
	s_cbranch_execz .LBB337_55
; %bb.54:
	v_lshlrev_b32_e32 v12, 1, v0
	s_delay_alu instid0(VALU_DEP_1) | instskip(NEXT) | instid1(VALU_DEP_1)
	v_add_co_u32 v12, s18, s0, v12
	v_add_co_ci_u32_e64 v13, null, s4, 0, s18
	flat_load_u16 v12, v[12:13] offset:2304
.LBB337_55:
	s_or_b32 exec_lo, exec_lo, s5
	v_or_b32_e32 v13, 0x500, v0
	s_delay_alu instid0(VALU_DEP_1)
	v_cmp_gt_u32_e32 vcc_lo, s25, v13
                                        ; implicit-def: $vgpr13
	s_and_saveexec_b32 s5, vcc_lo
	s_cbranch_execz .LBB337_57
; %bb.56:
	v_lshlrev_b32_e32 v13, 1, v0
	s_delay_alu instid0(VALU_DEP_1) | instskip(NEXT) | instid1(VALU_DEP_1)
	v_add_co_u32 v13, s18, s0, v13
	v_add_co_ci_u32_e64 v14, null, s4, 0, s18
	flat_load_u16 v13, v[13:14] offset:2560
.LBB337_57:
	s_or_b32 exec_lo, exec_lo, s5
	v_or_b32_e32 v14, 0x580, v0
	s_delay_alu instid0(VALU_DEP_1)
	v_cmp_gt_u32_e32 vcc_lo, s25, v14
                                        ; implicit-def: $vgpr14
	s_and_saveexec_b32 s5, vcc_lo
	s_cbranch_execz .LBB337_59
; %bb.58:
	v_lshlrev_b32_e32 v14, 1, v0
	s_delay_alu instid0(VALU_DEP_1) | instskip(NEXT) | instid1(VALU_DEP_1)
	v_add_co_u32 v14, s0, s0, v14
	v_add_co_ci_u32_e64 v15, null, s4, 0, s0
	flat_load_u16 v14, v[14:15] offset:2816
.LBB337_59:
	s_or_b32 exec_lo, exec_lo, s5
	v_mad_i32_i24 v15, 0xffffffea, v0, v8
	s_waitcnt vmcnt(0) lgkmcnt(0)
	ds_store_b16 v15, v2
	ds_store_b16 v15, v3 offset:256
	ds_store_b16 v15, v4 offset:512
	ds_store_b16 v15, v5 offset:768
	ds_store_b16 v15, v6 offset:1024
	ds_store_b16 v15, v7 offset:1280
	ds_store_b16 v15, v9 offset:1536
	ds_store_b16 v15, v10 offset:1792
	ds_store_b16 v15, v11 offset:2048
	ds_store_b16 v15, v12 offset:2304
	ds_store_b16 v15, v13 offset:2560
	ds_store_b16 v15, v14 offset:2816
	s_waitcnt lgkmcnt(0)
	s_barrier
.LBB337_60:
	buffer_gl0_inv
	ds_load_2addr_b64 v[14:17], v8 offset1:1
	ds_load_b64 v[25:26], v8 offset:16
	s_cmp_lg_u32 s24, 0
	v_lshrrev_b32_e32 v41, 16, v18
	s_cselect_b32 s18, -1, 0
	s_cmp_lg_u64 s[6:7], 0
	v_lshrrev_b32_e32 v40, 16, v19
	s_cselect_b32 s0, -1, 0
	v_lshrrev_b32_e32 v39, 16, v20
	v_lshrrev_b32_e32 v38, 16, v21
	v_or_b32_e32 v12, 1, v1
	v_or_b32_e32 v6, 2, v1
	;; [unrolled: 1-line block ×3, first 2 shown]
	v_add_nc_u32_e32 v7, 4, v1
	v_add_nc_u32_e32 v5, 5, v1
	;; [unrolled: 1-line block ×5, first 2 shown]
	v_lshrrev_b32_e32 v37, 16, v27
	v_lshrrev_b32_e32 v31, 16, v28
	v_add_nc_u32_e32 v10, 9, v1
	v_add_nc_u32_e32 v8, 10, v1
	;; [unrolled: 1-line block ×3, first 2 shown]
	s_or_b32 s0, s0, s18
	s_waitcnt lgkmcnt(0)
	s_and_b32 vcc_lo, exec_lo, s0
	s_mov_b32 s0, 0
	s_barrier
	buffer_gl0_inv
	s_cbranch_vccz .LBB337_65
; %bb.61:
	v_add_co_u32 v22, s0, -2, s27
	s_delay_alu instid0(VALU_DEP_1)
	v_add_co_ci_u32_e64 v23, null, -1, s26, s0
	v_lshlrev_b32_e32 v29, 1, v0
	s_mov_b32 s0, -1
	s_and_b32 vcc_lo, exec_lo, s23
	flat_load_u16 v13, v[22:23]
	ds_store_b16 v29, v31
	s_cbranch_vccz .LBB337_66
; %bb.62:
	s_waitcnt vmcnt(0) lgkmcnt(1)
	v_mov_b32_e32 v22, v13
	s_waitcnt lgkmcnt(0)
	s_barrier
	buffer_gl0_inv
	s_and_saveexec_b32 s0, s3
	s_cbranch_execz .LBB337_64
; %bb.63:
	v_add_nc_u32_e32 v22, -2, v29
	ds_load_u16 v22, v22
.LBB337_64:
	s_or_b32 exec_lo, exec_lo, s0
	v_and_b32_e32 v23, 0xffff, v28
	v_and_b32_e32 v24, 0xffff, v31
	v_and_b32_e32 v30, 0xffff, v37
	v_and_b32_e32 v32, 0xffff, v27
	v_and_b32_e32 v33, 0xffff, v38
	v_mul_u32_u24_e32 v23, 0xcccd, v23
	v_mul_u32_u24_e32 v24, 0xcccd, v24
	;; [unrolled: 1-line block ×4, first 2 shown]
	v_and_b32_e32 v34, 0xffff, v21
	v_lshrrev_b32_e32 v23, 19, v23
	v_lshrrev_b32_e32 v24, 19, v24
	;; [unrolled: 1-line block ×3, first 2 shown]
	v_mul_u32_u24_e32 v33, 0xcccd, v33
	v_lshrrev_b32_e32 v32, 19, v32
	v_mul_u32_u24_e32 v34, 0xcccd, v34
	v_cmp_ne_u16_e32 vcc_lo, v23, v24
	v_and_b32_e32 v35, 0xffff, v39
	v_lshrrev_b32_e32 v33, 19, v33
	v_and_b32_e32 v36, 0xffff, v40
	v_lshrrev_b32_e32 v34, 19, v34
	v_cndmask_b32_e64 v24, 0, 1, vcc_lo
	v_cmp_ne_u16_e32 vcc_lo, v30, v23
	v_and_b32_e32 v42, 0xffff, v19
	v_mul_u32_u24_e32 v35, 0xcccd, v35
	v_and_b32_e32 v44, 0xffff, v41
	v_mul_u32_u24_e32 v36, 0xcccd, v36
	v_cndmask_b32_e64 v23, 0, 1, vcc_lo
	v_cmp_ne_u16_e32 vcc_lo, v32, v30
	v_mul_u32_u24_e32 v42, 0xcccd, v42
	v_lshrrev_b32_e32 v35, 19, v35
	v_and_b32_e32 v43, 0xffff, v20
	v_mul_u32_u24_e32 v44, 0xcccd, v44
	v_cndmask_b32_e64 v30, 0, 1, vcc_lo
	v_cmp_ne_u16_e32 vcc_lo, v33, v32
	v_lshrrev_b32_e32 v36, 19, v36
	v_lshrrev_b32_e32 v42, 19, v42
	v_mul_u32_u24_e32 v43, 0xcccd, v43
	v_lshrrev_b32_e32 v44, 19, v44
	v_cndmask_b32_e64 v32, 0, 1, vcc_lo
	v_cmp_ne_u16_e32 vcc_lo, v34, v33
	v_and_b32_e32 v45, 0xffff, v18
	v_lshrrev_b32_e32 v43, 19, v43
	s_waitcnt lgkmcnt(0)
	v_and_b32_e32 v22, 0xffff, v22
	v_lshlrev_b16 v30, 8, v30
	v_cndmask_b32_e64 v33, 0, 1, vcc_lo
	v_cmp_ne_u16_e32 vcc_lo, v35, v34
	v_mul_u32_u24_e32 v45, 0xcccd, v45
	v_lshlrev_b16 v24, 8, v24
	v_mul_u32_u24_e32 v22, 0xcccd, v22
	v_lshlrev_b16 v33, 8, v33
	v_cndmask_b32_e64 v34, 0, 1, vcc_lo
	v_cmp_ne_u16_e32 vcc_lo, v42, v36
	v_lshrrev_b32_e32 v45, 19, v45
	v_or_b32_e32 v30, v32, v30
	v_or_b32_e32 v23, v23, v24
	;; [unrolled: 1-line block ×3, first 2 shown]
	v_cndmask_b32_e64 v46, 0, 1, vcc_lo
	v_cmp_ne_u16_e32 vcc_lo, v44, v42
	v_lshrrev_b32_e32 v22, 19, v22
	v_and_b32_e32 v30, 0xffff, v30
	v_lshlrev_b32_e32 v33, 16, v33
	v_lshlrev_b16 v46, 8, v46
	v_cndmask_b32_e64 v42, 0, 1, vcc_lo
	v_cmp_ne_u16_e32 vcc_lo, v43, v35
	v_lshlrev_b32_e32 v34, 16, v23
	v_cmp_ne_u16_e64 s4, v22, v45
	s_delay_alu instid0(VALU_DEP_4) | instskip(SKIP_2) | instid1(VALU_DEP_3)
	v_or_b32_e32 v42, v42, v46
	v_cndmask_b32_e64 v35, 0, 1, vcc_lo
	v_cmp_ne_u16_e32 vcc_lo, v36, v43
	v_lshlrev_b32_e32 v42, 16, v42
	s_delay_alu instid0(VALU_DEP_3) | instskip(SKIP_2) | instid1(VALU_DEP_2)
	v_lshlrev_b16 v35, 8, v35
	v_cndmask_b32_e64 v36, 0, 1, vcc_lo
	v_cmp_ne_u16_e32 vcc_lo, v45, v44
	v_or_b32_e32 v35, v36, v35
	v_cndmask_b32_e64 v43, 0, 1, vcc_lo
	v_or_b32_e32 v36, v30, v34
	s_delay_alu instid0(VALU_DEP_3) | instskip(NEXT) | instid1(VALU_DEP_3)
	v_and_b32_e32 v32, 0xffff, v35
	v_lshlrev_b16 v43, 8, v43
	s_delay_alu instid0(VALU_DEP_2) | instskip(NEXT) | instid1(VALU_DEP_2)
	v_or_b32_e32 v23, v32, v33
	v_and_b32_e32 v24, 0xffff, v43
	s_delay_alu instid0(VALU_DEP_1)
	v_or_b32_e32 v22, v24, v42
	s_branch .LBB337_94
.LBB337_65:
                                        ; implicit-def: $sgpr4
                                        ; implicit-def: $vgpr36
                                        ; implicit-def: $vgpr22_vgpr23_vgpr24
	s_branch .LBB337_95
.LBB337_66:
                                        ; implicit-def: $sgpr4
                                        ; implicit-def: $vgpr36
                                        ; implicit-def: $vgpr22_vgpr23_vgpr24
	s_and_b32 vcc_lo, exec_lo, s0
	s_cbranch_vccz .LBB337_94
; %bb.67:
	s_mov_b32 s4, 0
	s_mov_b32 s0, 0
	s_mov_b32 s5, exec_lo
	v_cmpx_gt_u32_e64 s25, v9
; %bb.68:
	v_and_b32_e32 v22, 0xffff, v28
	v_and_b32_e32 v23, 0xffff, v31
	s_delay_alu instid0(VALU_DEP_2) | instskip(NEXT) | instid1(VALU_DEP_2)
	v_mul_u32_u24_e32 v22, 0xcccd, v22
	v_mul_u32_u24_e32 v23, 0xcccd, v23
	s_delay_alu instid0(VALU_DEP_2) | instskip(NEXT) | instid1(VALU_DEP_2)
	v_lshrrev_b32_e32 v22, 19, v22
	v_lshrrev_b32_e32 v23, 19, v23
	s_delay_alu instid0(VALU_DEP_1)
	v_cmp_ne_u16_e32 vcc_lo, v22, v23
	s_and_b32 s0, vcc_lo, exec_lo
; %bb.69:
	s_or_b32 exec_lo, exec_lo, s5
	s_delay_alu instid0(SALU_CYCLE_1)
	s_mov_b32 s5, exec_lo
	v_cmpx_gt_u32_e64 s25, v8
; %bb.70:
	v_and_b32_e32 v22, 0xffff, v37
	v_and_b32_e32 v23, 0xffff, v28
	s_delay_alu instid0(VALU_DEP_2) | instskip(NEXT) | instid1(VALU_DEP_2)
	v_mul_u32_u24_e32 v22, 0xcccd, v22
	v_mul_u32_u24_e32 v23, 0xcccd, v23
	s_delay_alu instid0(VALU_DEP_2) | instskip(NEXT) | instid1(VALU_DEP_2)
	v_lshrrev_b32_e32 v22, 19, v22
	v_lshrrev_b32_e32 v23, 19, v23
	s_delay_alu instid0(VALU_DEP_1)
	v_cmp_ne_u16_e32 vcc_lo, v22, v23
	s_and_b32 s4, vcc_lo, exec_lo
; %bb.71:
	s_or_b32 exec_lo, exec_lo, s5
	s_mov_b32 s6, 0
	s_mov_b32 s5, 0
	s_mov_b32 s7, exec_lo
	v_cmpx_gt_u32_e64 s25, v10
; %bb.72:
	v_and_b32_e32 v22, 0xffff, v27
	v_and_b32_e32 v23, 0xffff, v37
	s_delay_alu instid0(VALU_DEP_2) | instskip(NEXT) | instid1(VALU_DEP_2)
	v_mul_u32_u24_e32 v22, 0xcccd, v22
	v_mul_u32_u24_e32 v23, 0xcccd, v23
	s_delay_alu instid0(VALU_DEP_2) | instskip(NEXT) | instid1(VALU_DEP_2)
	v_lshrrev_b32_e32 v22, 19, v22
	v_lshrrev_b32_e32 v23, 19, v23
	s_delay_alu instid0(VALU_DEP_1)
	v_cmp_ne_u16_e32 vcc_lo, v22, v23
	s_and_b32 s5, vcc_lo, exec_lo
; %bb.73:
	s_or_b32 exec_lo, exec_lo, s7
	s_delay_alu instid0(SALU_CYCLE_1)
	s_mov_b32 s7, exec_lo
	v_cmpx_gt_u32_e64 s25, v11
; %bb.74:
	v_and_b32_e32 v22, 0xffff, v38
	v_and_b32_e32 v23, 0xffff, v27
	s_delay_alu instid0(VALU_DEP_2) | instskip(NEXT) | instid1(VALU_DEP_2)
	v_mul_u32_u24_e32 v22, 0xcccd, v22
	v_mul_u32_u24_e32 v23, 0xcccd, v23
	s_delay_alu instid0(VALU_DEP_2) | instskip(NEXT) | instid1(VALU_DEP_2)
	v_lshrrev_b32_e32 v22, 19, v22
	v_lshrrev_b32_e32 v23, 19, v23
	s_delay_alu instid0(VALU_DEP_1)
	v_cmp_ne_u16_e32 vcc_lo, v22, v23
	s_and_b32 s6, vcc_lo, exec_lo
; %bb.75:
	s_or_b32 exec_lo, exec_lo, s7
	;; [unrolled: 35-line block ×5, first 2 shown]
	s_mov_b32 s28, 0
	s_mov_b32 s29, exec_lo
	v_cmpx_gt_u32_e64 s25, v12
; %bb.88:
	v_and_b32_e32 v22, 0xffff, v18
	v_and_b32_e32 v23, 0xffff, v41
	s_delay_alu instid0(VALU_DEP_2) | instskip(NEXT) | instid1(VALU_DEP_2)
	v_mul_u32_u24_e32 v22, 0xcccd, v22
	v_mul_u32_u24_e32 v23, 0xcccd, v23
	s_delay_alu instid0(VALU_DEP_2) | instskip(NEXT) | instid1(VALU_DEP_2)
	v_lshrrev_b32_e32 v22, 19, v22
	v_lshrrev_b32_e32 v23, 19, v23
	s_delay_alu instid0(VALU_DEP_1)
	v_cmp_ne_u16_e32 vcc_lo, v22, v23
	s_and_b32 s28, vcc_lo, exec_lo
; %bb.89:
	s_or_b32 exec_lo, exec_lo, s29
	s_waitcnt vmcnt(0) lgkmcnt(0)
	s_barrier
	buffer_gl0_inv
	s_and_saveexec_b32 s29, s3
	s_cbranch_execz .LBB337_91
; %bb.90:
	v_add_nc_u32_e32 v13, -2, v29
	ds_load_u16 v13, v13
.LBB337_91:
	s_or_b32 exec_lo, exec_lo, s29
	v_cndmask_b32_e64 v24, 0, 1, s26
	v_cndmask_b32_e64 v30, 0, 1, s20
	;; [unrolled: 1-line block ×11, first 2 shown]
	v_lshlrev_b16 v24, 8, v24
	v_lshlrev_b16 v30, 8, v30
	;; [unrolled: 1-line block ×6, first 2 shown]
	v_or_b32_e32 v23, v23, v24
	v_or_b32_e32 v24, v29, v30
	;; [unrolled: 1-line block ×5, first 2 shown]
	v_and_b32_e32 v22, 0xffff, v22
	v_lshlrev_b32_e32 v23, 16, v23
	v_and_b32_e32 v24, 0xffff, v24
	v_lshlrev_b32_e32 v29, 16, v29
	;; [unrolled: 2-line block ×3, first 2 shown]
	s_mov_b32 s4, 0
	s_mov_b32 s0, exec_lo
	v_cmpx_gt_u32_e64 s25, v1
	s_cbranch_execz .LBB337_93
; %bb.92:
	s_waitcnt lgkmcnt(0)
	v_and_b32_e32 v13, 0xffff, v13
	v_and_b32_e32 v33, 0xffff, v18
	s_delay_alu instid0(VALU_DEP_2) | instskip(NEXT) | instid1(VALU_DEP_2)
	v_mul_u32_u24_e32 v13, 0xcccd, v13
	v_mul_u32_u24_e32 v33, 0xcccd, v33
	s_delay_alu instid0(VALU_DEP_2) | instskip(NEXT) | instid1(VALU_DEP_2)
	v_lshrrev_b32_e32 v13, 19, v13
	v_lshrrev_b32_e32 v33, 19, v33
	s_delay_alu instid0(VALU_DEP_1)
	v_cmp_ne_u16_e32 vcc_lo, v13, v33
	s_and_b32 s4, vcc_lo, exec_lo
.LBB337_93:
	s_or_b32 exec_lo, exec_lo, s0
	v_or_b32_e32 v22, v22, v23
	v_or_b32_e32 v23, v24, v29
	;; [unrolled: 1-line block ×3, first 2 shown]
.LBB337_94:
	s_mov_b32 s0, -1
	s_cbranch_execnz .LBB337_127
.LBB337_95:
	s_waitcnt vmcnt(0) lgkmcnt(0)
	v_lshlrev_b32_e32 v13, 1, v0
	v_and_b32_e32 v45, 0xffff, v28
	v_and_b32_e32 v44, 0xffff, v37
	;; [unrolled: 1-line block ×10, first 2 shown]
	s_and_b32 vcc_lo, exec_lo, s23
	ds_store_b16 v13, v31
	s_cbranch_vccz .LBB337_99
; %bb.96:
	v_and_b32_e32 v22, 0xffff, v31
	v_mul_u32_u24_e32 v23, 0xcccd, v45
	v_mul_u32_u24_e32 v24, 0xcccd, v44
	;; [unrolled: 1-line block ×5, first 2 shown]
	v_lshrrev_b32_e32 v23, 19, v23
	v_lshrrev_b32_e32 v24, 19, v24
	;; [unrolled: 1-line block ×3, first 2 shown]
	v_mul_u32_u24_e32 v47, 0xcccd, v35
	v_lshrrev_b32_e32 v22, 19, v22
	v_lshrrev_b32_e32 v46, 19, v46
	v_cmp_ne_u16_e32 vcc_lo, v24, v23
	v_mul_u32_u24_e32 v49, 0xcccd, v33
	v_lshrrev_b32_e32 v47, 19, v47
	v_mul_u32_u24_e32 v50, 0xcccd, v32
	v_mul_u32_u24_e32 v51, 0xcccd, v30
	v_cndmask_b32_e64 v48, 0, 1, vcc_lo
	v_cmp_ne_u16_e32 vcc_lo, v23, v22
	v_lshrrev_b32_e32 v49, 19, v49
	v_lshrrev_b32_e32 v50, 19, v50
	v_and_b32_e32 v52, 0xffff, v18
	v_lshrrev_b32_e32 v51, 19, v51
	v_cndmask_b32_e64 v22, 0, 1, vcc_lo
	v_cmp_ne_u16_e32 vcc_lo, v36, v24
	v_mul_u32_u24_e32 v24, 0xcccd, v34
	v_mul_u32_u24_e32 v52, 0xcccd, v52
	s_waitcnt lgkmcnt(0)
	v_lshlrev_b16 v22, 8, v22
	v_cndmask_b32_e64 v23, 0, 1, vcc_lo
	v_cmp_ne_u16_e32 vcc_lo, v46, v36
	v_lshrrev_b32_e32 v24, 19, v24
	s_barrier
	v_or_b32_e32 v22, v48, v22
	v_lshlrev_b16 v23, 8, v23
	v_cndmask_b32_e64 v36, 0, 1, vcc_lo
	v_cmp_ne_u16_e32 vcc_lo, v47, v46
	buffer_gl0_inv
	v_lshlrev_b32_e32 v22, 16, v22
                                        ; implicit-def: $sgpr4
	v_or_b32_e32 v23, v36, v23
	v_cndmask_b32_e64 v46, 0, 1, vcc_lo
	v_cmp_ne_u16_e32 vcc_lo, v24, v47
	s_delay_alu instid0(VALU_DEP_3) | instskip(NEXT) | instid1(VALU_DEP_3)
	v_and_b32_e32 v23, 0xffff, v23
	v_lshlrev_b16 v46, 8, v46
	v_cndmask_b32_e64 v47, 0, 1, vcc_lo
	v_cmp_ne_u16_e32 vcc_lo, v49, v24
	v_mul_u32_u24_e32 v24, 0xcccd, v29
	s_delay_alu instid0(VALU_DEP_3) | instskip(SKIP_2) | instid1(VALU_DEP_4)
	v_or_b32_e32 v46, v47, v46
	v_cndmask_b32_e64 v53, 0, 1, vcc_lo
	v_cmp_ne_u16_e32 vcc_lo, v50, v49
	v_lshrrev_b32_e32 v54, 19, v24
	v_lshrrev_b32_e32 v24, 19, v52
	v_lshlrev_b32_e32 v46, 16, v46
	v_lshlrev_b16 v52, 8, v53
	v_cndmask_b32_e64 v49, 0, 1, vcc_lo
	v_cmp_ne_u16_e32 vcc_lo, v51, v50
	s_delay_alu instid0(VALU_DEP_2) | instskip(SKIP_2) | instid1(VALU_DEP_3)
	v_or_b32_e32 v48, v49, v52
	v_cndmask_b32_e64 v50, 0, 1, vcc_lo
	v_cmp_ne_u16_e32 vcc_lo, v54, v51
	v_and_b32_e32 v48, 0xffff, v48
	s_delay_alu instid0(VALU_DEP_3) | instskip(SKIP_2) | instid1(VALU_DEP_2)
	v_lshlrev_b16 v50, 8, v50
	v_cndmask_b32_e64 v36, 0, 1, vcc_lo
	v_cmp_ne_u16_e32 vcc_lo, v24, v54
	v_or_b32_e32 v36, v36, v50
	v_cndmask_b32_e64 v51, 0, 1, vcc_lo
	s_delay_alu instid0(VALU_DEP_2) | instskip(NEXT) | instid1(VALU_DEP_2)
	v_lshlrev_b32_e32 v49, 16, v36
	v_lshlrev_b16 v51, 8, v51
	v_or_b32_e32 v36, v23, v22
	v_or_b32_e32 v23, v48, v46
	s_delay_alu instid0(VALU_DEP_3) | instskip(NEXT) | instid1(VALU_DEP_1)
	v_or_b32_e32 v47, 1, v51
	v_and_b32_e32 v47, 0xffff, v47
	s_delay_alu instid0(VALU_DEP_1) | instskip(SKIP_1) | instid1(SALU_CYCLE_1)
	v_or_b32_e32 v22, v47, v49
	s_and_saveexec_b32 s5, s3
	s_xor_b32 s5, exec_lo, s5
	s_cbranch_execz .LBB337_98
; %bb.97:
	v_add_nc_u32_e32 v46, -2, v13
	s_or_b32 s0, s0, exec_lo
	ds_load_u16 v46, v46
	s_waitcnt lgkmcnt(0)
	v_mul_u32_u24_e32 v46, 0xcccd, v46
	s_delay_alu instid0(VALU_DEP_1) | instskip(NEXT) | instid1(VALU_DEP_1)
	v_lshrrev_b32_e32 v46, 19, v46
	v_cmp_ne_u16_e32 vcc_lo, v46, v24
	s_and_b32 s4, vcc_lo, exec_lo
.LBB337_98:
	s_or_b32 exec_lo, exec_lo, s5
	s_branch .LBB337_127
.LBB337_99:
                                        ; implicit-def: $sgpr4
                                        ; implicit-def: $vgpr36
                                        ; implicit-def: $vgpr22_vgpr23_vgpr24
	s_cbranch_execz .LBB337_127
; %bb.100:
	s_mov_b32 s4, 0
	s_mov_b32 s5, 0
	s_mov_b32 s6, exec_lo
	v_cmpx_gt_u32_e64 s25, v9
; %bb.101:
	v_and_b32_e32 v22, 0xffff, v31
	v_mul_u32_u24_e32 v23, 0xcccd, v45
	s_delay_alu instid0(VALU_DEP_2) | instskip(NEXT) | instid1(VALU_DEP_2)
	v_mul_u32_u24_e32 v22, 0xcccd, v22
	v_lshrrev_b32_e32 v23, 19, v23
	s_delay_alu instid0(VALU_DEP_2) | instskip(NEXT) | instid1(VALU_DEP_1)
	v_lshrrev_b32_e32 v22, 19, v22
	v_cmp_ne_u16_e32 vcc_lo, v23, v22
	s_and_b32 s5, vcc_lo, exec_lo
; %bb.102:
	s_or_b32 exec_lo, exec_lo, s6
	s_delay_alu instid0(SALU_CYCLE_1)
	s_mov_b32 s6, exec_lo
	v_cmpx_gt_u32_e64 s25, v8
; %bb.103:
	v_mul_u32_u24_e32 v22, 0xcccd, v44
	v_mul_u32_u24_e32 v23, 0xcccd, v45
	s_delay_alu instid0(VALU_DEP_2) | instskip(NEXT) | instid1(VALU_DEP_2)
	v_lshrrev_b32_e32 v22, 19, v22
	v_lshrrev_b32_e32 v23, 19, v23
	s_delay_alu instid0(VALU_DEP_1)
	v_cmp_ne_u16_e32 vcc_lo, v22, v23
	s_and_b32 s4, vcc_lo, exec_lo
; %bb.104:
	s_or_b32 exec_lo, exec_lo, s6
	s_mov_b32 s6, 0
	s_mov_b32 s7, 0
	s_mov_b32 s19, exec_lo
	v_cmpx_gt_u32_e64 s25, v10
; %bb.105:
	v_mul_u32_u24_e32 v22, 0xcccd, v43
	v_mul_u32_u24_e32 v23, 0xcccd, v44
	s_delay_alu instid0(VALU_DEP_2) | instskip(NEXT) | instid1(VALU_DEP_2)
	v_lshrrev_b32_e32 v22, 19, v22
	v_lshrrev_b32_e32 v23, 19, v23
	s_delay_alu instid0(VALU_DEP_1)
	v_cmp_ne_u16_e32 vcc_lo, v22, v23
	s_and_b32 s7, vcc_lo, exec_lo
; %bb.106:
	s_or_b32 exec_lo, exec_lo, s19
	s_delay_alu instid0(SALU_CYCLE_1)
	s_mov_b32 s19, exec_lo
	v_cmpx_gt_u32_e64 s25, v11
; %bb.107:
	v_mul_u32_u24_e32 v22, 0xcccd, v42
	v_mul_u32_u24_e32 v23, 0xcccd, v43
	s_delay_alu instid0(VALU_DEP_2) | instskip(NEXT) | instid1(VALU_DEP_2)
	v_lshrrev_b32_e32 v22, 19, v22
	v_lshrrev_b32_e32 v23, 19, v23
	s_delay_alu instid0(VALU_DEP_1)
	v_cmp_ne_u16_e32 vcc_lo, v22, v23
	s_and_b32 s6, vcc_lo, exec_lo
; %bb.108:
	s_or_b32 exec_lo, exec_lo, s19
	s_mov_b32 s20, 0
	s_mov_b32 s19, 0
	s_mov_b32 s21, exec_lo
	v_cmpx_gt_u32_e64 s25, v2
; %bb.109:
	v_mul_u32_u24_e32 v22, 0xcccd, v35
	v_mul_u32_u24_e32 v23, 0xcccd, v42
	s_delay_alu instid0(VALU_DEP_2) | instskip(NEXT) | instid1(VALU_DEP_2)
	v_lshrrev_b32_e32 v22, 19, v22
	v_lshrrev_b32_e32 v23, 19, v23
	s_delay_alu instid0(VALU_DEP_1)
	;; [unrolled: 29-line block ×4, first 2 shown]
	v_cmp_ne_u16_e32 vcc_lo, v22, v23
	s_and_b32 s27, vcc_lo, exec_lo
; %bb.118:
	s_or_b32 exec_lo, exec_lo, s29
	s_delay_alu instid0(SALU_CYCLE_1)
	s_mov_b32 s29, exec_lo
	v_cmpx_gt_u32_e64 s25, v6
; %bb.119:
	v_mul_u32_u24_e32 v22, 0xcccd, v29
	v_mul_u32_u24_e32 v23, 0xcccd, v30
	s_delay_alu instid0(VALU_DEP_2) | instskip(NEXT) | instid1(VALU_DEP_2)
	v_lshrrev_b32_e32 v22, 19, v22
	v_lshrrev_b32_e32 v23, 19, v23
	s_delay_alu instid0(VALU_DEP_1)
	v_cmp_ne_u16_e32 vcc_lo, v22, v23
	s_and_b32 s28, vcc_lo, exec_lo
; %bb.120:
	s_or_b32 exec_lo, exec_lo, s29
	s_mov_b32 s29, 0
	s_mov_b32 s30, exec_lo
	v_cmpx_gt_u32_e64 s25, v12
; %bb.121:
	v_and_b32_e32 v22, 0xffff, v18
	v_mul_u32_u24_e32 v23, 0xcccd, v29
	s_delay_alu instid0(VALU_DEP_2) | instskip(NEXT) | instid1(VALU_DEP_2)
	v_mul_u32_u24_e32 v22, 0xcccd, v22
	v_lshrrev_b32_e32 v23, 19, v23
	s_delay_alu instid0(VALU_DEP_2) | instskip(NEXT) | instid1(VALU_DEP_1)
	v_lshrrev_b32_e32 v22, 19, v22
	v_cmp_ne_u16_e32 vcc_lo, v22, v23
	s_and_b32 s29, vcc_lo, exec_lo
; %bb.122:
	s_or_b32 exec_lo, exec_lo, s30
	v_cndmask_b32_e64 v22, 0, 1, s7
	v_cndmask_b32_e64 v24, 0, 1, s27
	;; [unrolled: 1-line block ×5, first 2 shown]
	v_lshlrev_b16 v22, 8, v22
	v_cndmask_b32_e64 v35, 0, 1, s19
	v_cndmask_b32_e64 v36, 0, 1, s29
	v_cndmask_b32_e64 v23, 0, 1, s28
	v_cndmask_b32_e64 v29, 0, 1, s26
	v_cndmask_b32_e64 v33, 0, 1, s20
	v_or_b32_e32 v22, v30, v22
	v_cndmask_b32_e64 v30, 0, 1, s4
	v_lshlrev_b16 v34, 8, v34
	v_lshlrev_b16 v32, 8, v32
	v_lshlrev_b16 v35, 8, v35
	v_lshlrev_b16 v36, 8, v36
	v_lshlrev_b16 v24, 8, v24
	v_or_b32_e32 v30, v30, v34
	v_or_b32_e32 v29, v29, v32
	;; [unrolled: 1-line block ×5, first 2 shown]
	v_and_b32_e32 v22, 0xffff, v22
	v_lshlrev_b32_e32 v24, 16, v30
	v_and_b32_e32 v29, 0xffff, v29
	v_lshlrev_b32_e32 v30, 16, v32
	;; [unrolled: 2-line block ×3, first 2 shown]
	v_or_b32_e32 v36, v22, v24
	s_waitcnt lgkmcnt(0)
	v_or_b32_e32 v23, v29, v30
	s_barrier
	v_or_b32_e32 v22, v32, v33
	buffer_gl0_inv
                                        ; implicit-def: $sgpr4
	s_and_saveexec_b32 s5, s3
	s_cbranch_execz .LBB337_126
; %bb.123:
	s_mov_b32 s4, 0
	s_mov_b32 s3, exec_lo
	v_cmpx_gt_u32_e64 s25, v1
	s_cbranch_execz .LBB337_125
; %bb.124:
	v_add_nc_u32_e32 v13, -2, v13
	v_and_b32_e32 v24, 0xffff, v18
	ds_load_u16 v13, v13
	v_mul_u32_u24_e32 v24, 0xcccd, v24
	s_delay_alu instid0(VALU_DEP_1) | instskip(SKIP_2) | instid1(VALU_DEP_1)
	v_lshrrev_b32_e32 v24, 19, v24
	s_waitcnt lgkmcnt(0)
	v_mul_u32_u24_e32 v13, 0xcccd, v13
	v_lshrrev_b32_e32 v13, 19, v13
	s_delay_alu instid0(VALU_DEP_1)
	v_cmp_ne_u16_e32 vcc_lo, v13, v24
	s_and_b32 s4, vcc_lo, exec_lo
.LBB337_125:
	s_or_b32 exec_lo, exec_lo, s3
	s_delay_alu instid0(SALU_CYCLE_1)
	s_and_b32 s4, s4, exec_lo
	s_or_b32 s0, s0, exec_lo
.LBB337_126:
	s_or_b32 exec_lo, exec_lo, s5
.LBB337_127:
	s_and_saveexec_b32 s3, s0
	s_cbranch_execz .LBB337_129
; %bb.128:
	s_waitcnt vmcnt(0) lgkmcnt(0)
	v_and_b32_e32 v13, 0xffffff00, v22
	v_cndmask_b32_e64 v24, 0, 1, s4
	s_delay_alu instid0(VALU_DEP_1) | instskip(NEXT) | instid1(VALU_DEP_1)
	v_or_b32_e32 v13, v24, v13
	v_and_b32_e32 v13, 0xffff, v13
	s_delay_alu instid0(VALU_DEP_1)
	v_and_or_b32 v22, 0xffff0000, v22, v13
.LBB337_129:
	s_or_b32 exec_lo, exec_lo, s3
	s_delay_alu instid0(SALU_CYCLE_1)
	s_and_not1_b32 vcc_lo, exec_lo, s1
	s_cbranch_vccnz .LBB337_131
; %bb.130:
	v_cmp_gt_u32_e32 vcc_lo, s25, v1
	v_cmp_gt_u32_e64 s1, s25, v6
	v_cmp_gt_u32_e64 s4, s25, v4
	v_cmp_gt_u32_e64 s0, s25, v7
	v_cmp_gt_u32_e64 s3, s25, v5
	v_cndmask_b32_e32 v1, 0, v22, vcc_lo
	v_cmp_gt_u32_e32 vcc_lo, s25, v12
	v_and_b32_e32 v12, 0xffffff00, v23
	v_cmp_gt_u32_e64 s5, s25, v3
	s_delay_alu instid0(VALU_DEP_4) | instskip(NEXT) | instid1(VALU_DEP_3)
	v_and_b32_e32 v1, 0xff, v1
	v_cndmask_b32_e64 v7, v12, v23, s0
	s_delay_alu instid0(VALU_DEP_2) | instskip(SKIP_1) | instid1(VALU_DEP_3)
	v_cndmask_b32_e32 v1, v1, v22, vcc_lo
	v_cmp_gt_u32_e32 vcc_lo, s25, v11
	v_and_b32_e32 v7, 0xffff00ff, v7
	s_delay_alu instid0(VALU_DEP_3) | instskip(SKIP_1) | instid1(VALU_DEP_3)
	v_and_b32_e32 v1, 0xffff, v1
	v_cndmask_b32_e32 v11, 0, v36, vcc_lo
	v_cndmask_b32_e64 v5, v7, v23, s3
	s_delay_alu instid0(VALU_DEP_3) | instskip(SKIP_1) | instid1(VALU_DEP_3)
	v_cndmask_b32_e64 v1, v1, v22, s1
	v_cmp_gt_u32_e64 s1, s25, v10
	v_and_b32_e32 v5, 0xff00ffff, v5
	s_delay_alu instid0(VALU_DEP_3) | instskip(NEXT) | instid1(VALU_DEP_2)
	v_and_b32_e32 v1, 0xffffff, v1
	v_cndmask_b32_e64 v3, v5, v23, s5
	s_delay_alu instid0(VALU_DEP_2) | instskip(SKIP_1) | instid1(VALU_DEP_2)
	v_cndmask_b32_e64 v1, v1, v22, s4
	v_cmp_gt_u32_e64 s4, s25, v8
	v_cndmask_b32_e64 v1, v1, v22, s0
	v_cmp_gt_u32_e64 s0, s25, v9
	s_delay_alu instid0(VALU_DEP_2) | instskip(SKIP_2) | instid1(VALU_DEP_3)
	v_cndmask_b32_e64 v1, v1, v22, s3
	v_cmp_gt_u32_e64 s3, s25, v2
	v_and_b32_e32 v2, 0xffffff, v3
	v_cndmask_b32_e64 v1, v1, v22, s5
	v_and_b32_e32 v11, 0xff, v11
	s_delay_alu instid0(VALU_DEP_1) | instskip(NEXT) | instid1(VALU_DEP_1)
	v_cndmask_b32_e64 v6, v11, v36, s1
	v_and_b32_e32 v6, 0xffff, v6
	s_delay_alu instid0(VALU_DEP_1) | instskip(NEXT) | instid1(VALU_DEP_1)
	v_cndmask_b32_e64 v4, v6, v36, s4
	v_and_b32_e32 v4, 0xffffff, v4
	s_delay_alu instid0(VALU_DEP_1) | instskip(SKIP_1) | instid1(SALU_CYCLE_1)
	v_cndmask_b32_e64 v36, v4, v36, s0
	s_or_b32 s0, s0, s4
	s_or_b32 s0, s0, s1
	s_delay_alu instid0(SALU_CYCLE_1) | instskip(NEXT) | instid1(SALU_CYCLE_1)
	s_or_b32 s0, s0, vcc_lo
	s_or_b32 vcc_lo, s0, s3
	v_dual_cndmask_b32 v22, v1, v22 :: v_dual_cndmask_b32 v23, v2, v23
.LBB337_131:
	s_delay_alu instid0(VALU_DEP_1) | instskip(NEXT) | instid1(VALU_DEP_2)
	v_and_b32_e32 v42, 0xff, v22
	v_alignbit_b32 v1, v23, v22, 24
	v_bfe_u32 v43, v22, 8, 8
	v_bfe_u32 v44, v22, 16, 8
	v_and_b32_e32 v46, 0xff, v23
	v_bfe_u32 v47, v23, 8, 8
	v_and_b32_e32 v45, 0xff, v1
	v_dual_mov_b32 v1, v36 :: v_dual_add_nc_u32 v2, v43, v42
	v_bfe_u32 v48, v23, 16, 8
	v_lshrrev_b32_e32 v24, 24, v23
	v_and_b32_e32 v49, 0xff, v36
	v_mbcnt_lo_u32_b32 v52, -1, 0
	v_add3_u32 v2, v2, v44, v45
	v_bfe_u32 v50, v36, 8, 8
	v_alignbit_b32 v3, s0, v36, 24
	v_bfe_u32 v51, v36, 16, 8
	v_and_b32_e32 v4, 15, v52
	v_add3_u32 v2, v2, v46, v47
	v_or_b32_e32 v5, 31, v0
	v_and_b32_e32 v3, 0xff, v3
	v_and_b32_e32 v6, 16, v52
	v_cmp_eq_u32_e64 s6, 0, v4
	v_add3_u32 v2, v2, v48, v24
	v_cmp_lt_u32_e64 s5, 1, v4
	v_cmp_lt_u32_e64 s4, 3, v4
	;; [unrolled: 1-line block ×3, first 2 shown]
	v_cmp_eq_u32_e64 s1, 0, v6
	v_add3_u32 v2, v2, v49, v50
	v_lshrrev_b32_e32 v53, 5, v0
	v_cmp_eq_u32_e64 s0, v5, v0
	s_and_b32 vcc_lo, exec_lo, s18
	s_mov_b32 s7, -1
	v_add3_u32 v54, v2, v51, v3
	s_waitcnt vmcnt(0) lgkmcnt(0)
	s_barrier
	buffer_gl0_inv
	s_cbranch_vccz .LBB337_157
; %bb.132:
	v_mov_b32_dpp v2, v54 row_shr:1 row_mask:0xf bank_mask:0xf
	s_delay_alu instid0(VALU_DEP_1) | instskip(NEXT) | instid1(VALU_DEP_1)
	v_cndmask_b32_e64 v2, v2, 0, s6
	v_add_nc_u32_e32 v2, v2, v54
	s_delay_alu instid0(VALU_DEP_1) | instskip(NEXT) | instid1(VALU_DEP_1)
	v_mov_b32_dpp v3, v2 row_shr:2 row_mask:0xf bank_mask:0xf
	v_cndmask_b32_e64 v3, 0, v3, s5
	s_delay_alu instid0(VALU_DEP_1) | instskip(NEXT) | instid1(VALU_DEP_1)
	v_add_nc_u32_e32 v2, v2, v3
	v_mov_b32_dpp v3, v2 row_shr:4 row_mask:0xf bank_mask:0xf
	s_delay_alu instid0(VALU_DEP_1) | instskip(NEXT) | instid1(VALU_DEP_1)
	v_cndmask_b32_e64 v3, 0, v3, s4
	v_add_nc_u32_e32 v2, v2, v3
	s_delay_alu instid0(VALU_DEP_1) | instskip(NEXT) | instid1(VALU_DEP_1)
	v_mov_b32_dpp v3, v2 row_shr:8 row_mask:0xf bank_mask:0xf
	v_cndmask_b32_e64 v3, 0, v3, s3
	s_delay_alu instid0(VALU_DEP_1) | instskip(SKIP_3) | instid1(VALU_DEP_1)
	v_add_nc_u32_e32 v2, v2, v3
	ds_swizzle_b32 v3, v2 offset:swizzle(BROADCAST,32,15)
	s_waitcnt lgkmcnt(0)
	v_cndmask_b32_e64 v3, v3, 0, s1
	v_add_nc_u32_e32 v2, v2, v3
	s_and_saveexec_b32 s7, s0
	s_cbranch_execz .LBB337_134
; %bb.133:
	v_lshlrev_b32_e32 v3, 2, v53
	ds_store_b32 v3, v2
.LBB337_134:
	s_or_b32 exec_lo, exec_lo, s7
	s_delay_alu instid0(SALU_CYCLE_1)
	s_mov_b32 s7, exec_lo
	s_waitcnt lgkmcnt(0)
	s_barrier
	buffer_gl0_inv
	v_cmpx_gt_u32_e32 4, v0
	s_cbranch_execz .LBB337_136
; %bb.135:
	v_and_b32_e32 v5, 3, v52
	s_delay_alu instid0(VALU_DEP_1) | instskip(SKIP_4) | instid1(VALU_DEP_1)
	v_cmp_ne_u32_e32 vcc_lo, 0, v5
	v_lshlrev_b32_e32 v3, 2, v0
	ds_load_b32 v4, v3
	s_waitcnt lgkmcnt(0)
	v_mov_b32_dpp v6, v4 row_shr:1 row_mask:0xf bank_mask:0xf
	v_cndmask_b32_e32 v6, 0, v6, vcc_lo
	v_cmp_lt_u32_e32 vcc_lo, 1, v5
	s_delay_alu instid0(VALU_DEP_2) | instskip(NEXT) | instid1(VALU_DEP_1)
	v_add_nc_u32_e32 v4, v6, v4
	v_mov_b32_dpp v6, v4 row_shr:2 row_mask:0xf bank_mask:0xf
	s_delay_alu instid0(VALU_DEP_1) | instskip(NEXT) | instid1(VALU_DEP_1)
	v_cndmask_b32_e32 v5, 0, v6, vcc_lo
	v_add_nc_u32_e32 v4, v4, v5
	ds_store_b32 v3, v4
.LBB337_136:
	s_or_b32 exec_lo, exec_lo, s7
	v_cmp_gt_u32_e32 vcc_lo, 32, v0
	s_mov_b32 s18, exec_lo
	s_waitcnt lgkmcnt(0)
	s_barrier
	buffer_gl0_inv
                                        ; implicit-def: $vgpr10
	v_cmpx_lt_u32_e32 31, v0
	s_cbranch_execz .LBB337_138
; %bb.137:
	v_lshl_add_u32 v3, v53, 2, -4
	ds_load_b32 v10, v3
	s_waitcnt lgkmcnt(0)
	v_add_nc_u32_e32 v2, v10, v2
.LBB337_138:
	s_or_b32 exec_lo, exec_lo, s18
	v_add_nc_u32_e32 v3, -1, v52
	s_delay_alu instid0(VALU_DEP_1) | instskip(NEXT) | instid1(VALU_DEP_1)
	v_cmp_gt_i32_e64 s7, 0, v3
	v_cndmask_b32_e64 v3, v3, v52, s7
	v_cmp_eq_u32_e64 s7, 0, v52
	s_delay_alu instid0(VALU_DEP_2)
	v_lshlrev_b32_e32 v3, 2, v3
	ds_bpermute_b32 v11, v3, v2
	s_and_saveexec_b32 s18, vcc_lo
	s_cbranch_execz .LBB337_156
; %bb.139:
	v_mov_b32_e32 v6, 0
	ds_load_b32 v2, v6 offset:12
	s_and_saveexec_b32 s19, s7
	s_cbranch_execz .LBB337_141
; %bb.140:
	s_add_i32 s20, s24, 32
	s_mov_b32 s21, 0
	v_mov_b32_e32 v3, 1
	s_lshl_b64 s[20:21], s[20:21], 3
	s_delay_alu instid0(SALU_CYCLE_1)
	s_add_u32 s20, s16, s20
	s_addc_u32 s21, s17, s21
	s_waitcnt lgkmcnt(0)
	global_store_b64 v6, v[2:3], s[20:21]
.LBB337_141:
	s_or_b32 exec_lo, exec_lo, s19
	v_xad_u32 v4, v52, -1, s24
	s_mov_b32 s20, 0
	s_mov_b32 s19, exec_lo
	s_delay_alu instid0(VALU_DEP_1) | instskip(NEXT) | instid1(VALU_DEP_1)
	v_add_nc_u32_e32 v5, 32, v4
	v_lshlrev_b64 v[5:6], 3, v[5:6]
	s_delay_alu instid0(VALU_DEP_1) | instskip(NEXT) | instid1(VALU_DEP_2)
	v_add_co_u32 v8, vcc_lo, s16, v5
	v_add_co_ci_u32_e32 v9, vcc_lo, s17, v6, vcc_lo
	global_load_b64 v[6:7], v[8:9], off glc
	s_waitcnt vmcnt(0)
	v_and_b32_e32 v3, 0xff, v7
	s_delay_alu instid0(VALU_DEP_1)
	v_cmpx_eq_u16_e32 0, v3
	s_cbranch_execz .LBB337_144
.LBB337_142:                            ; =>This Inner Loop Header: Depth=1
	global_load_b64 v[6:7], v[8:9], off glc
	s_waitcnt vmcnt(0)
	v_and_b32_e32 v3, 0xff, v7
	s_delay_alu instid0(VALU_DEP_1) | instskip(SKIP_1) | instid1(SALU_CYCLE_1)
	v_cmp_ne_u16_e32 vcc_lo, 0, v3
	s_or_b32 s20, vcc_lo, s20
	s_and_not1_b32 exec_lo, exec_lo, s20
	s_cbranch_execnz .LBB337_142
; %bb.143:
	s_or_b32 exec_lo, exec_lo, s20
.LBB337_144:
	s_delay_alu instid0(SALU_CYCLE_1)
	s_or_b32 exec_lo, exec_lo, s19
	v_cmp_ne_u32_e32 vcc_lo, 31, v52
	v_lshlrev_b32_e64 v13, v52, -1
	v_add_nc_u32_e32 v30, 2, v52
	v_add_nc_u32_e32 v56, 16, v52
	v_add_co_ci_u32_e32 v3, vcc_lo, 0, v52, vcc_lo
	s_delay_alu instid0(VALU_DEP_1)
	v_lshlrev_b32_e32 v12, 2, v3
	v_and_b32_e32 v3, 0xff, v7
	ds_bpermute_b32 v5, v12, v6
	v_cmp_eq_u16_e32 vcc_lo, 2, v3
	v_and_or_b32 v3, vcc_lo, v13, 0x80000000
	v_cmp_gt_u32_e32 vcc_lo, 30, v52
	s_delay_alu instid0(VALU_DEP_2) | instskip(SKIP_1) | instid1(VALU_DEP_2)
	v_ctz_i32_b32_e32 v3, v3
	v_cndmask_b32_e64 v8, 0, 1, vcc_lo
	v_cmp_lt_u32_e32 vcc_lo, v52, v3
	s_waitcnt lgkmcnt(0)
	s_delay_alu instid0(VALU_DEP_2) | instskip(NEXT) | instid1(VALU_DEP_1)
	v_dual_cndmask_b32 v5, 0, v5 :: v_dual_lshlrev_b32 v8, 1, v8
	v_add_lshl_u32 v29, v8, v52, 2
	v_cmp_gt_u32_e32 vcc_lo, 28, v52
	s_delay_alu instid0(VALU_DEP_3) | instskip(SKIP_4) | instid1(VALU_DEP_1)
	v_add_nc_u32_e32 v5, v5, v6
	v_cndmask_b32_e64 v8, 0, 1, vcc_lo
	v_cmp_le_u32_e32 vcc_lo, v30, v3
	ds_bpermute_b32 v6, v29, v5
	v_lshlrev_b32_e32 v8, 2, v8
	v_add_lshl_u32 v32, v8, v52, 2
	s_waitcnt lgkmcnt(0)
	v_cndmask_b32_e32 v6, 0, v6, vcc_lo
	v_cmp_gt_u32_e32 vcc_lo, 24, v52
	s_delay_alu instid0(VALU_DEP_2) | instskip(SKIP_4) | instid1(VALU_DEP_2)
	v_add_nc_u32_e32 v5, v5, v6
	v_cndmask_b32_e64 v8, 0, 1, vcc_lo
	ds_bpermute_b32 v6, v32, v5
	v_add_nc_u32_e32 v33, 4, v52
	v_lshlrev_b32_e32 v8, 3, v8
	v_cmp_le_u32_e32 vcc_lo, v33, v3
	s_delay_alu instid0(VALU_DEP_2) | instskip(SKIP_3) | instid1(VALU_DEP_2)
	v_add_lshl_u32 v34, v8, v52, 2
	s_waitcnt lgkmcnt(0)
	v_cndmask_b32_e32 v6, 0, v6, vcc_lo
	v_cmp_gt_u32_e32 vcc_lo, 16, v52
	v_add_nc_u32_e32 v5, v5, v6
	v_cndmask_b32_e64 v8, 0, 1, vcc_lo
	ds_bpermute_b32 v6, v34, v5
	v_add_nc_u32_e32 v35, 8, v52
	v_lshlrev_b32_e32 v8, 4, v8
	s_delay_alu instid0(VALU_DEP_2) | instskip(NEXT) | instid1(VALU_DEP_2)
	v_cmp_le_u32_e32 vcc_lo, v35, v3
	v_add_lshl_u32 v55, v8, v52, 2
	s_waitcnt lgkmcnt(0)
	v_cndmask_b32_e32 v6, 0, v6, vcc_lo
	v_cmp_le_u32_e32 vcc_lo, v56, v3
	s_delay_alu instid0(VALU_DEP_2) | instskip(SKIP_3) | instid1(VALU_DEP_1)
	v_add_nc_u32_e32 v5, v5, v6
	ds_bpermute_b32 v6, v55, v5
	s_waitcnt lgkmcnt(0)
	v_cndmask_b32_e32 v3, 0, v6, vcc_lo
	v_dual_mov_b32 v5, 0 :: v_dual_add_nc_u32 v6, v5, v3
	s_branch .LBB337_146
.LBB337_145:                            ;   in Loop: Header=BB337_146 Depth=1
	s_or_b32 exec_lo, exec_lo, s19
	ds_bpermute_b32 v9, v12, v6
	v_and_b32_e32 v8, 0xff, v7
	v_subrev_nc_u32_e32 v4, 32, v4
	s_delay_alu instid0(VALU_DEP_2) | instskip(SKIP_1) | instid1(VALU_DEP_1)
	v_cmp_eq_u16_e32 vcc_lo, 2, v8
	v_and_or_b32 v8, vcc_lo, v13, 0x80000000
	v_ctz_i32_b32_e32 v8, v8
	s_delay_alu instid0(VALU_DEP_1) | instskip(SKIP_3) | instid1(VALU_DEP_2)
	v_cmp_lt_u32_e32 vcc_lo, v52, v8
	s_waitcnt lgkmcnt(0)
	v_cndmask_b32_e32 v9, 0, v9, vcc_lo
	v_cmp_le_u32_e32 vcc_lo, v30, v8
	v_add_nc_u32_e32 v6, v9, v6
	ds_bpermute_b32 v9, v29, v6
	s_waitcnt lgkmcnt(0)
	v_cndmask_b32_e32 v9, 0, v9, vcc_lo
	v_cmp_le_u32_e32 vcc_lo, v33, v8
	s_delay_alu instid0(VALU_DEP_2) | instskip(SKIP_4) | instid1(VALU_DEP_2)
	v_add_nc_u32_e32 v6, v6, v9
	ds_bpermute_b32 v9, v32, v6
	s_waitcnt lgkmcnt(0)
	v_cndmask_b32_e32 v9, 0, v9, vcc_lo
	v_cmp_le_u32_e32 vcc_lo, v35, v8
	v_add_nc_u32_e32 v6, v6, v9
	ds_bpermute_b32 v9, v34, v6
	s_waitcnt lgkmcnt(0)
	v_cndmask_b32_e32 v9, 0, v9, vcc_lo
	v_cmp_le_u32_e32 vcc_lo, v56, v8
	s_delay_alu instid0(VALU_DEP_2) | instskip(SKIP_3) | instid1(VALU_DEP_1)
	v_add_nc_u32_e32 v6, v6, v9
	ds_bpermute_b32 v9, v55, v6
	s_waitcnt lgkmcnt(0)
	v_cndmask_b32_e32 v8, 0, v9, vcc_lo
	v_add3_u32 v6, v8, v3, v6
.LBB337_146:                            ; =>This Loop Header: Depth=1
                                        ;     Child Loop BB337_149 Depth 2
	v_and_b32_e32 v3, 0xff, v7
	s_delay_alu instid0(VALU_DEP_1) | instskip(SKIP_2) | instid1(VALU_DEP_1)
	v_cmp_ne_u16_e32 vcc_lo, 2, v3
	v_cndmask_b32_e64 v3, 0, 1, vcc_lo
	;;#ASMSTART
	;;#ASMEND
	v_cmp_ne_u32_e32 vcc_lo, 0, v3
	v_mov_b32_e32 v3, v6
	s_cmp_lg_u32 vcc_lo, exec_lo
	s_cbranch_scc1 .LBB337_151
; %bb.147:                              ;   in Loop: Header=BB337_146 Depth=1
	v_lshlrev_b64 v[6:7], 3, v[4:5]
	s_mov_b32 s19, exec_lo
	s_delay_alu instid0(VALU_DEP_1) | instskip(NEXT) | instid1(VALU_DEP_2)
	v_add_co_u32 v8, vcc_lo, s16, v6
	v_add_co_ci_u32_e32 v9, vcc_lo, s17, v7, vcc_lo
	global_load_b64 v[6:7], v[8:9], off glc
	s_waitcnt vmcnt(0)
	v_and_b32_e32 v57, 0xff, v7
	s_delay_alu instid0(VALU_DEP_1)
	v_cmpx_eq_u16_e32 0, v57
	s_cbranch_execz .LBB337_145
; %bb.148:                              ;   in Loop: Header=BB337_146 Depth=1
	s_mov_b32 s20, 0
.LBB337_149:                            ;   Parent Loop BB337_146 Depth=1
                                        ; =>  This Inner Loop Header: Depth=2
	global_load_b64 v[6:7], v[8:9], off glc
	s_waitcnt vmcnt(0)
	v_and_b32_e32 v57, 0xff, v7
	s_delay_alu instid0(VALU_DEP_1) | instskip(SKIP_1) | instid1(SALU_CYCLE_1)
	v_cmp_ne_u16_e32 vcc_lo, 0, v57
	s_or_b32 s20, vcc_lo, s20
	s_and_not1_b32 exec_lo, exec_lo, s20
	s_cbranch_execnz .LBB337_149
; %bb.150:                              ;   in Loop: Header=BB337_146 Depth=1
	s_or_b32 exec_lo, exec_lo, s20
	s_branch .LBB337_145
.LBB337_151:                            ;   in Loop: Header=BB337_146 Depth=1
                                        ; implicit-def: $vgpr6
                                        ; implicit-def: $vgpr7
	s_cbranch_execz .LBB337_146
; %bb.152:
	s_and_saveexec_b32 s19, s7
	s_cbranch_execz .LBB337_154
; %bb.153:
	s_add_i32 s20, s24, 32
	s_mov_b32 s21, 0
	v_dual_mov_b32 v5, 2 :: v_dual_add_nc_u32 v4, v3, v2
	s_lshl_b64 s[20:21], s[20:21], 3
	v_mov_b32_e32 v6, 0
	s_add_u32 s20, s16, s20
	s_addc_u32 s21, s17, s21
	global_store_b64 v6, v[4:5], s[20:21]
	ds_store_b64 v6, v[2:3] offset:3072
.LBB337_154:
	s_or_b32 exec_lo, exec_lo, s19
	s_delay_alu instid0(SALU_CYCLE_1)
	s_and_b32 exec_lo, exec_lo, s2
	s_cbranch_execz .LBB337_156
; %bb.155:
	v_mov_b32_e32 v2, 0
	ds_store_b32 v2, v3 offset:12
.LBB337_156:
	s_or_b32 exec_lo, exec_lo, s18
	v_mov_b32_e32 v12, 0
	s_waitcnt lgkmcnt(0)
	s_waitcnt_vscnt null, 0x0
	s_barrier
	buffer_gl0_inv
	v_cndmask_b32_e64 v3, v11, v10, s7
	ds_load_b32 v2, v12 offset:12
	s_waitcnt lgkmcnt(0)
	s_barrier
	buffer_gl0_inv
	v_cndmask_b32_e64 v3, v3, 0, s2
	s_delay_alu instid0(VALU_DEP_1) | instskip(NEXT) | instid1(VALU_DEP_1)
	v_add_nc_u32_e32 v2, v2, v3
	v_add_nc_u32_e32 v3, v2, v42
	ds_load_b64 v[29:30], v12 offset:3072
	v_add_nc_u32_e32 v4, v3, v43
	s_delay_alu instid0(VALU_DEP_1) | instskip(NEXT) | instid1(VALU_DEP_1)
	v_add_nc_u32_e32 v5, v4, v44
	v_add_nc_u32_e32 v6, v5, v45
	s_delay_alu instid0(VALU_DEP_1) | instskip(NEXT) | instid1(VALU_DEP_1)
	v_add_nc_u32_e32 v7, v6, v46
	;; [unrolled: 3-line block ×4, first 2 shown]
	v_add_nc_u32_e32 v12, v11, v50
	s_delay_alu instid0(VALU_DEP_1)
	v_add_nc_u32_e32 v13, v12, v51
	v_lshrrev_b64 v[34:35], 24, v[22:23]
	v_lshrrev_b64 v[32:33], 24, v[1:2]
	s_branch .LBB337_167
.LBB337_157:
                                        ; implicit-def: $vgpr30
                                        ; implicit-def: $vgpr2_vgpr3_vgpr4_vgpr5_vgpr6_vgpr7_vgpr8_vgpr9_vgpr10_vgpr11_vgpr12_vgpr13
                                        ; implicit-def: $vgpr29
	v_lshrrev_b64 v[34:35], 24, v[22:23]
	v_lshrrev_b64 v[32:33], 24, v[1:2]
	s_and_b32 vcc_lo, exec_lo, s7
	s_cbranch_vccz .LBB337_167
; %bb.158:
	v_mov_b32_dpp v1, v54 row_shr:1 row_mask:0xf bank_mask:0xf
	s_delay_alu instid0(VALU_DEP_1) | instskip(NEXT) | instid1(VALU_DEP_1)
	v_cndmask_b32_e64 v1, v1, 0, s6
	v_add_nc_u32_e32 v1, v1, v54
	s_delay_alu instid0(VALU_DEP_1) | instskip(NEXT) | instid1(VALU_DEP_1)
	v_mov_b32_dpp v2, v1 row_shr:2 row_mask:0xf bank_mask:0xf
	v_cndmask_b32_e64 v2, 0, v2, s5
	s_delay_alu instid0(VALU_DEP_1) | instskip(NEXT) | instid1(VALU_DEP_1)
	v_add_nc_u32_e32 v1, v1, v2
	v_mov_b32_dpp v2, v1 row_shr:4 row_mask:0xf bank_mask:0xf
	s_delay_alu instid0(VALU_DEP_1) | instskip(NEXT) | instid1(VALU_DEP_1)
	v_cndmask_b32_e64 v2, 0, v2, s4
	v_add_nc_u32_e32 v1, v1, v2
	s_delay_alu instid0(VALU_DEP_1) | instskip(NEXT) | instid1(VALU_DEP_1)
	v_mov_b32_dpp v2, v1 row_shr:8 row_mask:0xf bank_mask:0xf
	v_cndmask_b32_e64 v2, 0, v2, s3
	s_delay_alu instid0(VALU_DEP_1) | instskip(SKIP_3) | instid1(VALU_DEP_1)
	v_add_nc_u32_e32 v1, v1, v2
	ds_swizzle_b32 v2, v1 offset:swizzle(BROADCAST,32,15)
	s_waitcnt lgkmcnt(0)
	v_cndmask_b32_e64 v2, v2, 0, s1
	v_add_nc_u32_e32 v1, v1, v2
	s_and_saveexec_b32 s1, s0
	s_cbranch_execz .LBB337_160
; %bb.159:
	v_lshlrev_b32_e32 v2, 2, v53
	ds_store_b32 v2, v1
.LBB337_160:
	s_or_b32 exec_lo, exec_lo, s1
	s_delay_alu instid0(SALU_CYCLE_1)
	s_mov_b32 s0, exec_lo
	s_waitcnt lgkmcnt(0)
	s_barrier
	buffer_gl0_inv
	v_cmpx_gt_u32_e32 4, v0
	s_cbranch_execz .LBB337_162
; %bb.161:
	v_and_b32_e32 v4, 3, v52
	s_delay_alu instid0(VALU_DEP_1) | instskip(SKIP_4) | instid1(VALU_DEP_1)
	v_cmp_ne_u32_e32 vcc_lo, 0, v4
	v_lshlrev_b32_e32 v2, 2, v0
	ds_load_b32 v3, v2
	s_waitcnt lgkmcnt(0)
	v_mov_b32_dpp v5, v3 row_shr:1 row_mask:0xf bank_mask:0xf
	v_cndmask_b32_e32 v5, 0, v5, vcc_lo
	v_cmp_lt_u32_e32 vcc_lo, 1, v4
	s_delay_alu instid0(VALU_DEP_2) | instskip(NEXT) | instid1(VALU_DEP_1)
	v_add_nc_u32_e32 v3, v5, v3
	v_mov_b32_dpp v5, v3 row_shr:2 row_mask:0xf bank_mask:0xf
	s_delay_alu instid0(VALU_DEP_1) | instskip(NEXT) | instid1(VALU_DEP_1)
	v_cndmask_b32_e32 v4, 0, v5, vcc_lo
	v_add_nc_u32_e32 v3, v3, v4
	ds_store_b32 v2, v3
.LBB337_162:
	s_or_b32 exec_lo, exec_lo, s0
	v_dual_mov_b32 v3, 0 :: v_dual_mov_b32 v2, 0
	s_mov_b32 s0, exec_lo
	s_waitcnt lgkmcnt(0)
	s_barrier
	buffer_gl0_inv
	v_cmpx_lt_u32_e32 31, v0
	s_cbranch_execz .LBB337_164
; %bb.163:
	v_lshl_add_u32 v2, v53, 2, -4
	ds_load_b32 v2, v2
.LBB337_164:
	s_or_b32 exec_lo, exec_lo, s0
	v_add_nc_u32_e32 v4, -1, v52
	ds_load_b32 v29, v3 offset:12
	s_waitcnt lgkmcnt(1)
	v_add_nc_u32_e32 v1, v2, v1
	v_cmp_gt_i32_e32 vcc_lo, 0, v4
	v_cndmask_b32_e32 v4, v4, v52, vcc_lo
	s_delay_alu instid0(VALU_DEP_1)
	v_lshlrev_b32_e32 v4, 2, v4
	ds_bpermute_b32 v1, v4, v1
	s_and_saveexec_b32 s0, s2
	s_cbranch_execz .LBB337_166
; %bb.165:
	v_dual_mov_b32 v3, 0 :: v_dual_mov_b32 v30, 2
	s_waitcnt lgkmcnt(1)
	global_store_b64 v3, v[29:30], s[16:17] offset:256
.LBB337_166:
	s_or_b32 exec_lo, exec_lo, s0
	v_cmp_eq_u32_e32 vcc_lo, 0, v52
	s_waitcnt lgkmcnt(0)
	s_waitcnt_vscnt null, 0x0
	s_barrier
	buffer_gl0_inv
	v_dual_mov_b32 v30, 0 :: v_dual_cndmask_b32 v1, v1, v2
	s_delay_alu instid0(VALU_DEP_1) | instskip(NEXT) | instid1(VALU_DEP_1)
	v_cndmask_b32_e64 v2, v1, 0, s2
	v_add_nc_u32_e32 v3, v2, v42
	s_delay_alu instid0(VALU_DEP_1) | instskip(NEXT) | instid1(VALU_DEP_1)
	v_add_nc_u32_e32 v4, v3, v43
	v_add_nc_u32_e32 v5, v4, v44
	s_delay_alu instid0(VALU_DEP_1) | instskip(NEXT) | instid1(VALU_DEP_1)
	v_add_nc_u32_e32 v6, v5, v45
	;; [unrolled: 3-line block ×5, first 2 shown]
	v_add_nc_u32_e32 v13, v12, v51
.LBB337_167:
	s_waitcnt lgkmcnt(0)
	v_add_nc_u32_e32 v46, v30, v29
	v_cmp_gt_u32_e64 s0, 0x81, v29
	v_lshrrev_b32_e32 v33, 16, v36
	v_lshrrev_b32_e32 v44, 16, v22
	;; [unrolled: 1-line block ×6, first 2 shown]
	v_cmp_lt_u32_e64 s1, v2, v46
	s_and_b32 vcc_lo, exec_lo, s0
	s_mov_b32 s3, -1
	s_cbranch_vccz .LBB337_205
; %bb.168:
	s_lshl_b64 s[4:5], s[10:11], 1
	s_delay_alu instid0(SALU_CYCLE_1) | instskip(SKIP_2) | instid1(SALU_CYCLE_1)
	s_add_u32 s3, s12, s4
	s_addc_u32 s4, s13, s5
	s_or_b32 s5, s23, s1
	s_and_saveexec_b32 s1, s5
	s_cbranch_execz .LBB337_171
; %bb.169:
	v_and_b32_e32 v1, 1, v22
	s_delay_alu instid0(VALU_DEP_1)
	v_cmp_eq_u32_e32 vcc_lo, 1, v1
	s_and_b32 exec_lo, exec_lo, vcc_lo
	s_cbranch_execz .LBB337_171
; %bb.170:
	v_dual_mov_b32 v48, 0 :: v_dual_mov_b32 v47, v2
	s_delay_alu instid0(VALU_DEP_1) | instskip(NEXT) | instid1(VALU_DEP_1)
	v_lshlrev_b64 v[47:48], 1, v[47:48]
	v_add_co_u32 v47, vcc_lo, s3, v47
	s_delay_alu instid0(VALU_DEP_2)
	v_add_co_ci_u32_e32 v48, vcc_lo, s4, v48, vcc_lo
	global_store_b16 v[47:48], v18, off
.LBB337_171:
	s_or_b32 exec_lo, exec_lo, s1
	v_cmp_lt_u32_e32 vcc_lo, v3, v46
	s_or_b32 s5, s23, vcc_lo
	s_delay_alu instid0(SALU_CYCLE_1)
	s_and_saveexec_b32 s1, s5
	s_cbranch_execz .LBB337_174
; %bb.172:
	v_and_b32_e32 v1, 1, v45
	s_delay_alu instid0(VALU_DEP_1)
	v_cmp_eq_u32_e32 vcc_lo, 1, v1
	s_and_b32 exec_lo, exec_lo, vcc_lo
	s_cbranch_execz .LBB337_174
; %bb.173:
	v_dual_mov_b32 v48, 0 :: v_dual_mov_b32 v47, v3
	s_delay_alu instid0(VALU_DEP_1) | instskip(NEXT) | instid1(VALU_DEP_1)
	v_lshlrev_b64 v[47:48], 1, v[47:48]
	v_add_co_u32 v47, vcc_lo, s3, v47
	s_delay_alu instid0(VALU_DEP_2)
	v_add_co_ci_u32_e32 v48, vcc_lo, s4, v48, vcc_lo
	global_store_b16 v[47:48], v41, off
.LBB337_174:
	s_or_b32 exec_lo, exec_lo, s1
	v_cmp_lt_u32_e32 vcc_lo, v4, v46
	s_or_b32 s5, s23, vcc_lo
	s_delay_alu instid0(SALU_CYCLE_1)
	;; [unrolled: 21-line block ×11, first 2 shown]
	s_and_saveexec_b32 s1, s5
	s_cbranch_execz .LBB337_204
; %bb.202:
	v_and_b32_e32 v1, 1, v32
	s_delay_alu instid0(VALU_DEP_1)
	v_cmp_eq_u32_e32 vcc_lo, 1, v1
	s_and_b32 exec_lo, exec_lo, vcc_lo
	s_cbranch_execz .LBB337_204
; %bb.203:
	v_dual_mov_b32 v48, 0 :: v_dual_mov_b32 v47, v13
	s_delay_alu instid0(VALU_DEP_1) | instskip(NEXT) | instid1(VALU_DEP_1)
	v_lshlrev_b64 v[47:48], 1, v[47:48]
	v_add_co_u32 v47, vcc_lo, s3, v47
	s_delay_alu instid0(VALU_DEP_2)
	v_add_co_ci_u32_e32 v48, vcc_lo, s4, v48, vcc_lo
	global_store_b16 v[47:48], v31, off
.LBB337_204:
	s_or_b32 exec_lo, exec_lo, s1
	s_mov_b32 s3, 0
.LBB337_205:
	v_and_b32_e32 v22, 1, v22
	s_and_b32 vcc_lo, exec_lo, s3
	s_delay_alu instid0(VALU_DEP_1)
	v_cmp_eq_u32_e64 s1, 1, v22
	s_cbranch_vccz .LBB337_246
; %bb.206:
	s_delay_alu instid0(VALU_DEP_1)
	s_and_saveexec_b32 s3, s1
	s_cbranch_execz .LBB337_208
; %bb.207:
	v_sub_nc_u32_e32 v1, v2, v30
	s_delay_alu instid0(VALU_DEP_1)
	v_lshlrev_b32_e32 v1, 1, v1
	ds_store_b16 v1, v18
.LBB337_208:
	s_or_b32 exec_lo, exec_lo, s3
	v_and_b32_e32 v1, 1, v45
	s_mov_b32 s1, exec_lo
	s_delay_alu instid0(VALU_DEP_1)
	v_cmpx_eq_u32_e32 1, v1
	s_cbranch_execz .LBB337_210
; %bb.209:
	v_sub_nc_u32_e32 v1, v3, v30
	s_delay_alu instid0(VALU_DEP_1)
	v_lshlrev_b32_e32 v1, 1, v1
	ds_store_b16 v1, v41
.LBB337_210:
	s_or_b32 exec_lo, exec_lo, s1
	v_and_b32_e32 v1, 1, v44
	s_mov_b32 s1, exec_lo
	s_delay_alu instid0(VALU_DEP_1)
	v_cmpx_eq_u32_e32 1, v1
	;; [unrolled: 12-line block ×11, first 2 shown]
	s_cbranch_execz .LBB337_230
; %bb.229:
	v_sub_nc_u32_e32 v1, v13, v30
	s_delay_alu instid0(VALU_DEP_1)
	v_lshlrev_b32_e32 v1, 1, v1
	ds_store_b16 v1, v31
.LBB337_230:
	s_or_b32 exec_lo, exec_lo, s1
	s_delay_alu instid0(SALU_CYCLE_1)
	s_mov_b32 s4, exec_lo
	s_waitcnt lgkmcnt(0)
	s_waitcnt_vscnt null, 0x0
	s_barrier
	buffer_gl0_inv
	v_cmpx_lt_u32_e64 v0, v29
	s_cbranch_execz .LBB337_245
; %bb.231:
	v_mov_b32_e32 v31, 0
	s_lshl_b64 s[6:7], s[10:11], 1
	v_xad_u32 v1, v0, -1, v29
	s_add_u32 s3, s12, s6
	s_addc_u32 s5, s13, s7
	v_lshlrev_b64 v[18:19], 1, v[30:31]
	s_delay_alu instid0(VALU_DEP_2) | instskip(NEXT) | instid1(VALU_DEP_2)
	v_cmp_gt_u32_e32 vcc_lo, 0xc80, v1
	v_add_co_u32 v27, s3, s3, v18
	v_mov_b32_e32 v18, v0
	s_delay_alu instid0(VALU_DEP_4)
	v_add_co_ci_u32_e64 v28, s3, s5, v19, s3
	s_mov_b32 s3, -1
	s_mov_b32 s5, exec_lo
	v_cmpx_lt_u32_e32 0xc7f, v1
	s_cbranch_execz .LBB337_242
; %bb.232:
	v_sub_nc_u32_e32 v18, v0, v29
	s_delay_alu instid0(VALU_DEP_1) | instskip(NEXT) | instid1(VALU_DEP_1)
	v_or_b32_e32 v18, 0x7f, v18
	v_cmp_ge_u32_e64 s1, v18, v0
	v_mov_b32_e32 v18, v0
	s_delay_alu instid0(VALU_DEP_2)
	s_and_saveexec_b32 s6, s1
	s_cbranch_execz .LBB337_241
; %bb.233:
	v_lshrrev_b32_e32 v31, 7, v1
	v_or_b32_e32 v1, 0x80, v0
	s_delay_alu instid0(VALU_DEP_2) | instskip(NEXT) | instid1(VALU_DEP_1)
	v_add_nc_u32_e32 v18, -1, v31
	v_lshrrev_b32_e32 v19, 1, v18
	v_mov_b32_e32 v40, 0
	v_cmp_lt_u32_e64 s1, 13, v18
	s_delay_alu instid0(VALU_DEP_3) | instskip(SKIP_1) | instid1(VALU_DEP_3)
	v_add_nc_u32_e32 v37, 1, v19
	v_dual_mov_b32 v19, v1 :: v_dual_mov_b32 v18, v0
	s_and_saveexec_b32 s3, s1
	s_cbranch_execz .LBB337_237
; %bb.234:
	s_delay_alu instid0(VALU_DEP_2)
	v_dual_mov_b32 v19, v1 :: v_dual_and_b32 v38, -8, v37
	v_mov_b32_e32 v21, 0
	v_dual_mov_b32 v18, v0 :: v_dual_lshlrev_b32 v39, 1, v0
	s_mov_b32 s7, 0
	s_mov_b32 s12, 0
.LBB337_235:                            ; =>This Inner Loop Header: Depth=1
	s_delay_alu instid0(VALU_DEP_1) | instskip(SKIP_2) | instid1(VALU_DEP_3)
	v_dual_mov_b32 v20, v18 :: v_dual_add_nc_u32 v47, 0x100, v19
	v_add_nc_u32_e32 v38, -8, v38
	v_dual_mov_b32 v48, v21 :: v_dual_add_nc_u32 v49, 0x200, v19
	v_lshlrev_b64 v[61:62], 1, v[20:21]
	v_dual_mov_b32 v50, v21 :: v_dual_add_nc_u32 v51, 0x300, v19
	s_delay_alu instid0(VALU_DEP_4) | instskip(NEXT) | instid1(VALU_DEP_4)
	v_cmp_eq_u32_e64 s1, 0, v38
	v_lshlrev_b64 v[47:48], 1, v[47:48]
	v_dual_mov_b32 v52, v21 :: v_dual_add_nc_u32 v53, 0x400, v19
	s_add_i32 s12, s12, 16
	v_lshlrev_b64 v[49:50], 1, v[49:50]
	s_or_b32 s7, s1, s7
	v_add_co_u32 v61, s1, v27, v61
	v_dual_mov_b32 v54, v21 :: v_dual_add_nc_u32 v55, 0x500, v19
	v_add_co_ci_u32_e64 v62, s1, v28, v62, s1
	v_lshlrev_b64 v[51:52], 1, v[51:52]
	v_add_co_u32 v47, s1, v27, v47
	v_dual_mov_b32 v56, v21 :: v_dual_add_nc_u32 v57, 0x600, v19
	v_add_co_ci_u32_e64 v48, s1, v28, v48, s1
	v_lshlrev_b64 v[53:54], 1, v[53:54]
	;; [unrolled: 4-line block ×3, first 2 shown]
	v_add_co_u32 v51, s1, v27, v51
	v_mov_b32_e32 v60, v21
	v_mov_b32_e32 v20, v19
	v_add_co_ci_u32_e64 v52, s1, v28, v52, s1
	v_lshlrev_b64 v[57:58], 1, v[57:58]
	v_add_co_u32 v53, s1, v27, v53
	ds_load_u16 v1, v39
	ds_load_u16 v41, v39 offset:256
	ds_load_u16 v67, v39 offset:512
	;; [unrolled: 1-line block ×7, first 2 shown]
	v_add_co_ci_u32_e64 v54, s1, v28, v54, s1
	ds_load_u16 v73, v39 offset:2048
	ds_load_u16 v74, v39 offset:2304
	;; [unrolled: 1-line block ×8, first 2 shown]
	v_add_nc_u32_e32 v39, 0x1000, v39
	v_lshlrev_b64 v[59:60], 1, v[59:60]
	v_add_co_u32 v55, s1, v27, v55
	v_lshlrev_b64 v[63:64], 1, v[20:21]
	v_add_nc_u32_e32 v20, 0x100, v18
	v_add_co_ci_u32_e64 v56, s1, v28, v56, s1
	v_add_co_u32 v57, s1, v27, v57
	s_delay_alu instid0(VALU_DEP_1)
	v_add_co_ci_u32_e64 v58, s1, v28, v58, s1
	v_add_co_u32 v59, s1, v27, v59
	v_lshlrev_b64 v[65:66], 1, v[20:21]
	v_add_nc_u32_e32 v20, 0x200, v18
	v_add_co_ci_u32_e64 v60, s1, v28, v60, s1
	v_add_co_u32 v63, s1, v27, v63
	s_delay_alu instid0(VALU_DEP_1)
	v_add_co_ci_u32_e64 v64, s1, v28, v64, s1
	s_waitcnt lgkmcnt(15)
	global_store_b16 v[61:62], v1, off
	v_lshlrev_b64 v[61:62], 1, v[20:21]
	v_add_nc_u32_e32 v20, 0x300, v18
	v_add_co_u32 v65, s1, v27, v65
	s_delay_alu instid0(VALU_DEP_1)
	v_add_co_ci_u32_e64 v66, s1, v28, v66, s1
	s_waitcnt lgkmcnt(14)
	global_store_b16 v[63:64], v41, off
	v_lshlrev_b64 v[63:64], 1, v[20:21]
	v_add_nc_u32_e32 v20, 0x400, v18
	s_waitcnt lgkmcnt(13)
	global_store_b16 v[65:66], v67, off
	s_waitcnt lgkmcnt(12)
	global_store_b16 v[47:48], v68, off
	v_add_co_u32 v47, s1, v27, v61
	s_delay_alu instid0(VALU_DEP_1) | instskip(SKIP_3) | instid1(VALU_DEP_1)
	v_add_co_ci_u32_e64 v48, s1, v28, v62, s1
	v_lshlrev_b64 v[61:62], 1, v[20:21]
	v_add_nc_u32_e32 v20, 0x500, v18
	v_add_co_u32 v63, s1, v27, v63
	v_add_co_ci_u32_e64 v64, s1, v28, v64, s1
	s_waitcnt lgkmcnt(11)
	global_store_b16 v[47:48], v69, off
	s_waitcnt lgkmcnt(10)
	global_store_b16 v[49:50], v70, off
	v_lshlrev_b64 v[47:48], 1, v[20:21]
	v_add_nc_u32_e32 v20, 0x600, v18
	v_add_co_u32 v49, s1, v27, v61
	s_waitcnt lgkmcnt(9)
	global_store_b16 v[63:64], v71, off
	s_waitcnt lgkmcnt(8)
	global_store_b16 v[51:52], v72, off
	v_add_co_ci_u32_e64 v50, s1, v28, v62, s1
	v_lshlrev_b64 v[51:52], 1, v[20:21]
	v_add_nc_u32_e32 v20, 0x700, v18
	v_add_co_u32 v47, s1, v27, v47
	s_delay_alu instid0(VALU_DEP_1)
	v_add_co_ci_u32_e64 v48, s1, v28, v48, s1
	s_waitcnt lgkmcnt(7)
	global_store_b16 v[49:50], v73, off
	s_waitcnt lgkmcnt(6)
	global_store_b16 v[53:54], v74, off
	v_lshlrev_b64 v[49:50], 1, v[20:21]
	v_dual_mov_b32 v40, s12 :: v_dual_add_nc_u32 v19, 0x800, v19
	s_waitcnt lgkmcnt(5)
	global_store_b16 v[47:48], v75, off
	v_add_co_u32 v47, s1, v27, v51
	v_add_nc_u32_e32 v18, 0x800, v18
	v_add_co_ci_u32_e64 v48, s1, v28, v52, s1
	v_add_co_u32 v49, s1, v27, v49
	s_delay_alu instid0(VALU_DEP_1)
	v_add_co_ci_u32_e64 v50, s1, v28, v50, s1
	s_waitcnt lgkmcnt(4)
	global_store_b16 v[55:56], v76, off
	s_waitcnt lgkmcnt(3)
	global_store_b16 v[47:48], v77, off
	;; [unrolled: 2-line block ×5, first 2 shown]
	s_and_not1_b32 exec_lo, exec_lo, s7
	s_cbranch_execnz .LBB337_235
; %bb.236:
	s_or_b32 exec_lo, exec_lo, s7
.LBB337_237:
	s_delay_alu instid0(SALU_CYCLE_1) | instskip(SKIP_3) | instid1(VALU_DEP_1)
	s_or_b32 exec_lo, exec_lo, s3
	v_and_b32_e32 v1, 7, v37
	s_mov_b32 s12, 0
	s_mov_b32 s7, exec_lo
	v_cmpx_ne_u32_e32 0, v1
	s_cbranch_execz .LBB337_240
; %bb.238:
	v_dual_mov_b32 v21, 0 :: v_dual_lshlrev_b32 v20, 1, v0
	s_delay_alu instid0(VALU_DEP_1)
	v_lshl_or_b32 v37, v40, 8, v20
	s_set_inst_prefetch_distance 0x1
	.p2align	6
.LBB337_239:                            ; =>This Inner Loop Header: Depth=1
	v_dual_mov_b32 v20, v18 :: v_dual_add_nc_u32 v1, -1, v1
	ds_load_u16 v47, v37
	ds_load_u16 v48, v37 offset:256
	v_add_nc_u32_e32 v18, 0x100, v18
	v_add_nc_u32_e32 v37, 0x200, v37
	v_lshlrev_b64 v[38:39], 1, v[20:21]
	v_mov_b32_e32 v20, v19
	v_cmp_eq_u32_e64 s1, 0, v1
	v_add_nc_u32_e32 v19, 0x100, v19
	s_delay_alu instid0(VALU_DEP_3) | instskip(SKIP_1) | instid1(VALU_DEP_1)
	v_lshlrev_b64 v[40:41], 1, v[20:21]
	v_add_co_u32 v38, s3, v27, v38
	v_add_co_ci_u32_e64 v39, s3, v28, v39, s3
	s_or_b32 s12, s1, s12
	s_delay_alu instid0(VALU_DEP_3) | instskip(NEXT) | instid1(VALU_DEP_1)
	v_add_co_u32 v40, s3, v27, v40
	v_add_co_ci_u32_e64 v41, s3, v28, v41, s3
	s_waitcnt lgkmcnt(1)
	global_store_b16 v[38:39], v47, off
	s_waitcnt lgkmcnt(0)
	global_store_b16 v[40:41], v48, off
	s_and_not1_b32 exec_lo, exec_lo, s12
	s_cbranch_execnz .LBB337_239
.LBB337_240:
	s_set_inst_prefetch_distance 0x2
	s_or_b32 exec_lo, exec_lo, s7
	v_add_nc_u32_e32 v1, 1, v31
	s_delay_alu instid0(VALU_DEP_1) | instskip(NEXT) | instid1(VALU_DEP_1)
	v_and_b32_e32 v18, 0x3fffffe, v1
	v_cmp_ne_u32_e64 s1, v1, v18
	v_lshl_or_b32 v18, v18, 7, v0
	s_delay_alu instid0(VALU_DEP_2)
	s_or_not1_b32 s3, s1, exec_lo
.LBB337_241:
	s_or_b32 exec_lo, exec_lo, s6
	s_delay_alu instid0(SALU_CYCLE_1) | instskip(SKIP_1) | instid1(SALU_CYCLE_1)
	s_and_not1_b32 s1, vcc_lo, exec_lo
	s_and_b32 s3, s3, exec_lo
	s_or_b32 vcc_lo, s1, s3
.LBB337_242:
	s_or_b32 exec_lo, exec_lo, s5
	s_delay_alu instid0(SALU_CYCLE_1)
	s_and_b32 exec_lo, exec_lo, vcc_lo
	s_cbranch_execz .LBB337_245
; %bb.243:
	v_lshlrev_b32_e32 v1, 1, v18
	v_mov_b32_e32 v19, 0
	s_mov_b32 s3, 0
	.p2align	6
.LBB337_244:                            ; =>This Inner Loop Header: Depth=1
	ds_load_u16 v31, v1
	v_lshlrev_b64 v[20:21], 1, v[18:19]
	v_add_nc_u32_e32 v18, 0x80, v18
	v_add_nc_u32_e32 v1, 0x100, v1
	s_delay_alu instid0(VALU_DEP_2) | instskip(NEXT) | instid1(VALU_DEP_4)
	v_cmp_ge_u32_e32 vcc_lo, v18, v29
	v_add_co_u32 v20, s1, v27, v20
	s_delay_alu instid0(VALU_DEP_1)
	v_add_co_ci_u32_e64 v21, s1, v28, v21, s1
	s_or_b32 s3, vcc_lo, s3
	s_waitcnt lgkmcnt(0)
	global_store_b16 v[20:21], v31, off
	s_and_not1_b32 exec_lo, exec_lo, s3
	s_cbranch_execnz .LBB337_244
.LBB337_245:
	s_or_b32 exec_lo, exec_lo, s4
.LBB337_246:
	v_lshrrev_b32_e32 v27, 16, v14
	v_lshrrev_b32_e32 v21, 16, v15
	;; [unrolled: 1-line block ×6, first 2 shown]
	s_and_b32 vcc_lo, exec_lo, s0
	s_mov_b32 s0, -1
	s_waitcnt_vscnt null, 0x0
	s_barrier
	buffer_gl0_inv
	s_cbranch_vccnz .LBB337_250
; %bb.247:
	s_and_b32 vcc_lo, exec_lo, s0
	s_cbranch_vccnz .LBB337_287
.LBB337_248:
	s_and_b32 s0, s2, s22
	s_delay_alu instid0(SALU_CYCLE_1)
	s_and_saveexec_b32 s1, s0
	s_cbranch_execnz .LBB337_327
.LBB337_249:
	s_nop 0
	s_sendmsg sendmsg(MSG_DEALLOC_VGPRS)
	s_endpgm
.LBB337_250:
	v_cmp_lt_u32_e32 vcc_lo, v2, v46
	s_lshl_b64 s[0:1], s[10:11], 1
	s_delay_alu instid0(SALU_CYCLE_1) | instskip(SKIP_2) | instid1(SALU_CYCLE_1)
	s_add_u32 s0, s14, s0
	s_addc_u32 s1, s15, s1
	s_or_b32 s4, s23, vcc_lo
	s_and_saveexec_b32 s3, s4
	s_cbranch_execz .LBB337_253
; %bb.251:
	v_cmp_eq_u32_e32 vcc_lo, 1, v22
	s_and_b32 exec_lo, exec_lo, vcc_lo
	s_cbranch_execz .LBB337_253
; %bb.252:
	v_dual_mov_b32 v38, 0 :: v_dual_mov_b32 v37, v2
	s_delay_alu instid0(VALU_DEP_1) | instskip(NEXT) | instid1(VALU_DEP_1)
	v_lshlrev_b64 v[37:38], 1, v[37:38]
	v_add_co_u32 v37, vcc_lo, s0, v37
	s_delay_alu instid0(VALU_DEP_2)
	v_add_co_ci_u32_e32 v38, vcc_lo, s1, v38, vcc_lo
	global_store_b16 v[37:38], v14, off
.LBB337_253:
	s_or_b32 exec_lo, exec_lo, s3
	v_cmp_lt_u32_e32 vcc_lo, v3, v46
	s_or_b32 s4, s23, vcc_lo
	s_delay_alu instid0(SALU_CYCLE_1)
	s_and_saveexec_b32 s3, s4
	s_cbranch_execz .LBB337_256
; %bb.254:
	v_and_b32_e32 v28, 1, v45
	s_delay_alu instid0(VALU_DEP_1)
	v_cmp_eq_u32_e32 vcc_lo, 1, v28
	s_and_b32 exec_lo, exec_lo, vcc_lo
	s_cbranch_execz .LBB337_256
; %bb.255:
	v_dual_mov_b32 v38, 0 :: v_dual_mov_b32 v37, v3
	s_delay_alu instid0(VALU_DEP_1) | instskip(NEXT) | instid1(VALU_DEP_1)
	v_lshlrev_b64 v[37:38], 1, v[37:38]
	v_add_co_u32 v37, vcc_lo, s0, v37
	s_delay_alu instid0(VALU_DEP_2)
	v_add_co_ci_u32_e32 v38, vcc_lo, s1, v38, vcc_lo
	global_store_b16 v[37:38], v27, off
.LBB337_256:
	s_or_b32 exec_lo, exec_lo, s3
	v_cmp_lt_u32_e32 vcc_lo, v4, v46
	s_or_b32 s4, s23, vcc_lo
	s_delay_alu instid0(SALU_CYCLE_1)
	s_and_saveexec_b32 s3, s4
	s_cbranch_execz .LBB337_259
; %bb.257:
	v_and_b32_e32 v28, 1, v44
	s_delay_alu instid0(VALU_DEP_1)
	v_cmp_eq_u32_e32 vcc_lo, 1, v28
	s_and_b32 exec_lo, exec_lo, vcc_lo
	s_cbranch_execz .LBB337_259
; %bb.258:
	v_dual_mov_b32 v38, 0 :: v_dual_mov_b32 v37, v4
	s_delay_alu instid0(VALU_DEP_1) | instskip(NEXT) | instid1(VALU_DEP_1)
	v_lshlrev_b64 v[37:38], 1, v[37:38]
	v_add_co_u32 v37, vcc_lo, s0, v37
	s_delay_alu instid0(VALU_DEP_2)
	v_add_co_ci_u32_e32 v38, vcc_lo, s1, v38, vcc_lo
	global_store_b16 v[37:38], v15, off
.LBB337_259:
	;; [unrolled: 21-line block ×11, first 2 shown]
	s_or_b32 exec_lo, exec_lo, s3
	s_branch .LBB337_248
.LBB337_287:
	s_mov_b32 s0, exec_lo
	v_cmpx_eq_u32_e32 1, v22
	s_cbranch_execz .LBB337_289
; %bb.288:
	v_sub_nc_u32_e32 v2, v2, v30
	s_delay_alu instid0(VALU_DEP_1)
	v_lshlrev_b32_e32 v2, 1, v2
	ds_store_b16 v2, v14
.LBB337_289:
	s_or_b32 exec_lo, exec_lo, s0
	v_and_b32_e32 v2, 1, v45
	s_mov_b32 s0, exec_lo
	s_delay_alu instid0(VALU_DEP_1)
	v_cmpx_eq_u32_e32 1, v2
	s_cbranch_execz .LBB337_291
; %bb.290:
	v_sub_nc_u32_e32 v2, v3, v30
	s_delay_alu instid0(VALU_DEP_1)
	v_lshlrev_b32_e32 v2, 1, v2
	ds_store_b16 v2, v27
.LBB337_291:
	s_or_b32 exec_lo, exec_lo, s0
	v_and_b32_e32 v2, 1, v44
	s_mov_b32 s0, exec_lo
	s_delay_alu instid0(VALU_DEP_1)
	v_cmpx_eq_u32_e32 1, v2
	s_cbranch_execz .LBB337_293
; %bb.292:
	v_sub_nc_u32_e32 v2, v4, v30
	s_delay_alu instid0(VALU_DEP_1)
	v_lshlrev_b32_e32 v2, 1, v2
	ds_store_b16 v2, v15
.LBB337_293:
	s_or_b32 exec_lo, exec_lo, s0
	v_and_b32_e32 v2, 1, v34
	s_mov_b32 s0, exec_lo
	s_delay_alu instid0(VALU_DEP_1)
	v_cmpx_eq_u32_e32 1, v2
	s_cbranch_execz .LBB337_295
; %bb.294:
	v_sub_nc_u32_e32 v2, v5, v30
	s_delay_alu instid0(VALU_DEP_1)
	v_lshlrev_b32_e32 v2, 1, v2
	ds_store_b16 v2, v21
.LBB337_295:
	s_or_b32 exec_lo, exec_lo, s0
	v_and_b32_e32 v2, 1, v23
	s_mov_b32 s0, exec_lo
	s_delay_alu instid0(VALU_DEP_1)
	v_cmpx_eq_u32_e32 1, v2
	s_cbranch_execz .LBB337_297
; %bb.296:
	v_sub_nc_u32_e32 v2, v6, v30
	s_delay_alu instid0(VALU_DEP_1)
	v_lshlrev_b32_e32 v2, 1, v2
	ds_store_b16 v2, v16
.LBB337_297:
	s_or_b32 exec_lo, exec_lo, s0
	v_and_b32_e32 v2, 1, v43
	s_mov_b32 s0, exec_lo
	s_delay_alu instid0(VALU_DEP_1)
	v_cmpx_eq_u32_e32 1, v2
	s_cbranch_execz .LBB337_299
; %bb.298:
	v_sub_nc_u32_e32 v2, v7, v30
	s_delay_alu instid0(VALU_DEP_1)
	v_lshlrev_b32_e32 v2, 1, v2
	ds_store_b16 v2, v20
.LBB337_299:
	s_or_b32 exec_lo, exec_lo, s0
	v_and_b32_e32 v2, 1, v42
	s_mov_b32 s0, exec_lo
	s_delay_alu instid0(VALU_DEP_1)
	v_cmpx_eq_u32_e32 1, v2
	s_cbranch_execz .LBB337_301
; %bb.300:
	v_sub_nc_u32_e32 v2, v8, v30
	s_delay_alu instid0(VALU_DEP_1)
	v_lshlrev_b32_e32 v2, 1, v2
	ds_store_b16 v2, v17
.LBB337_301:
	s_or_b32 exec_lo, exec_lo, s0
	v_and_b32_e32 v2, 1, v24
	s_mov_b32 s0, exec_lo
	s_delay_alu instid0(VALU_DEP_1)
	v_cmpx_eq_u32_e32 1, v2
	s_cbranch_execz .LBB337_303
; %bb.302:
	v_sub_nc_u32_e32 v2, v9, v30
	s_delay_alu instid0(VALU_DEP_1)
	v_lshlrev_b32_e32 v2, 1, v2
	ds_store_b16 v2, v19
.LBB337_303:
	s_or_b32 exec_lo, exec_lo, s0
	v_and_b32_e32 v2, 1, v36
	s_mov_b32 s0, exec_lo
	s_delay_alu instid0(VALU_DEP_1)
	v_cmpx_eq_u32_e32 1, v2
	s_cbranch_execz .LBB337_305
; %bb.304:
	v_sub_nc_u32_e32 v2, v10, v30
	s_delay_alu instid0(VALU_DEP_1)
	v_lshlrev_b32_e32 v2, 1, v2
	ds_store_b16 v2, v25
.LBB337_305:
	s_or_b32 exec_lo, exec_lo, s0
	v_and_b32_e32 v2, 1, v35
	s_mov_b32 s0, exec_lo
	s_delay_alu instid0(VALU_DEP_1)
	v_cmpx_eq_u32_e32 1, v2
	s_cbranch_execz .LBB337_307
; %bb.306:
	v_sub_nc_u32_e32 v2, v11, v30
	s_delay_alu instid0(VALU_DEP_1)
	v_lshlrev_b32_e32 v2, 1, v2
	ds_store_b16 v2, v18
.LBB337_307:
	s_or_b32 exec_lo, exec_lo, s0
	v_and_b32_e32 v2, 1, v33
	s_mov_b32 s0, exec_lo
	s_delay_alu instid0(VALU_DEP_1)
	v_cmpx_eq_u32_e32 1, v2
	s_cbranch_execz .LBB337_309
; %bb.308:
	v_sub_nc_u32_e32 v2, v12, v30
	s_delay_alu instid0(VALU_DEP_1)
	v_lshlrev_b32_e32 v2, 1, v2
	ds_store_b16 v2, v26
.LBB337_309:
	s_or_b32 exec_lo, exec_lo, s0
	v_and_b32_e32 v2, 1, v32
	s_mov_b32 s0, exec_lo
	s_delay_alu instid0(VALU_DEP_1)
	v_cmpx_eq_u32_e32 1, v2
	s_cbranch_execz .LBB337_311
; %bb.310:
	v_sub_nc_u32_e32 v2, v13, v30
	s_delay_alu instid0(VALU_DEP_1)
	v_lshlrev_b32_e32 v2, 1, v2
	ds_store_b16 v2, v1
.LBB337_311:
	s_or_b32 exec_lo, exec_lo, s0
	s_delay_alu instid0(SALU_CYCLE_1)
	s_mov_b32 s3, exec_lo
	s_waitcnt lgkmcnt(0)
	s_waitcnt_vscnt null, 0x0
	s_barrier
	buffer_gl0_inv
	v_cmpx_lt_u32_e64 v0, v29
	s_cbranch_execz .LBB337_326
; %bb.312:
	v_mov_b32_e32 v31, 0
	s_lshl_b64 s[0:1], s[10:11], 1
	v_xad_u32 v1, v0, -1, v29
	s_add_u32 s0, s14, s0
	s_addc_u32 s1, s15, s1
	v_lshlrev_b64 v[2:3], 1, v[30:31]
	s_mov_b32 s4, exec_lo
	v_cmp_gt_u32_e32 vcc_lo, 0xc80, v1
	s_delay_alu instid0(VALU_DEP_2) | instskip(NEXT) | instid1(VALU_DEP_1)
	v_add_co_u32 v6, s0, s0, v2
	v_add_co_ci_u32_e64 v7, s0, s1, v3, s0
	s_mov_b32 s1, -1
	v_cmpx_lt_u32_e32 0xc7f, v1
	s_cbranch_execz .LBB337_323
; %bb.313:
	v_sub_nc_u32_e32 v2, v0, v29
	s_mov_b32 s5, exec_lo
	s_delay_alu instid0(VALU_DEP_1) | instskip(NEXT) | instid1(VALU_DEP_1)
	v_or_b32_e32 v2, 0x7f, v2
	v_cmpx_ge_u32_e64 v2, v0
	s_cbranch_execz .LBB337_322
; %bb.314:
	v_lshrrev_b32_e32 v8, 7, v1
	v_or_b32_e32 v1, 0x80, v0
	v_lshlrev_b32_e32 v9, 1, v0
	s_delay_alu instid0(VALU_DEP_3) | instskip(NEXT) | instid1(VALU_DEP_1)
	v_dual_mov_b32 v13, 0 :: v_dual_add_nc_u32 v2, -1, v8
	v_lshrrev_b32_e32 v3, 1, v2
	v_cmp_lt_u32_e64 s0, 13, v2
	s_delay_alu instid0(VALU_DEP_2) | instskip(SKIP_1) | instid1(VALU_DEP_3)
	v_dual_mov_b32 v3, v1 :: v_dual_add_nc_u32 v10, 1, v3
	v_mov_b32_e32 v2, v0
	s_and_saveexec_b32 s1, s0
	s_cbranch_execz .LBB337_318
; %bb.315:
	v_mov_b32_e32 v3, v1
	v_dual_mov_b32 v12, v9 :: v_dual_and_b32 v11, -8, v10
	v_dual_mov_b32 v5, 0 :: v_dual_mov_b32 v2, v0
	s_mov_b32 s6, 0
	s_mov_b32 s7, 0
.LBB337_316:                            ; =>This Inner Loop Header: Depth=1
	s_delay_alu instid0(VALU_DEP_1) | instskip(SKIP_2) | instid1(VALU_DEP_3)
	v_dual_mov_b32 v4, v2 :: v_dual_mov_b32 v15, v5
	v_add_nc_u32_e32 v11, -8, v11
	v_dual_mov_b32 v17, v5 :: v_dual_add_nc_u32 v14, 0x100, v3
	v_lshlrev_b64 v[31:32], 1, v[4:5]
	v_dual_mov_b32 v19, v5 :: v_dual_add_nc_u32 v16, 0x200, v3
	v_mov_b32_e32 v4, v3
	v_cmp_eq_u32_e64 s0, 0, v11
	v_lshlrev_b64 v[14:15], 1, v[14:15]
	v_dual_mov_b32 v21, v5 :: v_dual_add_nc_u32 v18, 0x300, v3
	s_add_i32 s7, s7, 16
	v_lshlrev_b64 v[16:17], 1, v[16:17]
	s_or_b32 s6, s0, s6
	v_add_co_u32 v31, s0, v6, v31
	v_dual_mov_b32 v23, v5 :: v_dual_add_nc_u32 v20, 0x400, v3
	v_add_co_ci_u32_e64 v32, s0, v7, v32, s0
	v_lshlrev_b64 v[18:19], 1, v[18:19]
	v_add_co_u32 v14, s0, v6, v14
	v_dual_mov_b32 v25, v5 :: v_dual_add_nc_u32 v22, 0x500, v3
	v_add_co_ci_u32_e64 v15, s0, v7, v15, s0
	v_lshlrev_b64 v[20:21], 1, v[20:21]
	;; [unrolled: 4-line block ×4, first 2 shown]
	v_add_co_u32 v20, s0, v6, v20
	ds_load_u16 v1, v12
	ds_load_u16 v28, v12 offset:256
	ds_load_u16 v37, v12 offset:512
	;; [unrolled: 1-line block ×7, first 2 shown]
	v_add_co_ci_u32_e64 v21, s0, v7, v21, s0
	v_lshlrev_b64 v[26:27], 1, v[26:27]
	v_add_co_u32 v22, s0, v6, v22
	v_lshlrev_b64 v[33:34], 1, v[4:5]
	v_add_nc_u32_e32 v4, 0x100, v2
	v_add_co_ci_u32_e64 v23, s0, v7, v23, s0
	v_add_co_u32 v24, s0, v6, v24
	s_delay_alu instid0(VALU_DEP_1)
	v_add_co_ci_u32_e64 v25, s0, v7, v25, s0
	v_add_co_u32 v26, s0, v6, v26
	v_lshlrev_b64 v[35:36], 1, v[4:5]
	v_add_nc_u32_e32 v4, 0x200, v2
	v_add_co_ci_u32_e64 v27, s0, v7, v27, s0
	v_add_co_u32 v33, s0, v6, v33
	ds_load_u16 v43, v12 offset:2048
	ds_load_u16 v44, v12 offset:2304
	;; [unrolled: 1-line block ×8, first 2 shown]
	v_add_co_ci_u32_e64 v34, s0, v7, v34, s0
	s_waitcnt lgkmcnt(15)
	global_store_b16 v[31:32], v1, off
	v_lshlrev_b64 v[31:32], 1, v[4:5]
	v_add_nc_u32_e32 v4, 0x300, v2
	v_add_co_u32 v35, s0, v6, v35
	s_delay_alu instid0(VALU_DEP_1)
	v_add_co_ci_u32_e64 v36, s0, v7, v36, s0
	s_waitcnt lgkmcnt(14)
	global_store_b16 v[33:34], v28, off
	v_lshlrev_b64 v[33:34], 1, v[4:5]
	v_add_nc_u32_e32 v4, 0x400, v2
	s_waitcnt lgkmcnt(13)
	global_store_b16 v[35:36], v37, off
	s_waitcnt lgkmcnt(12)
	global_store_b16 v[14:15], v38, off
	v_add_co_u32 v14, s0, v6, v31
	s_delay_alu instid0(VALU_DEP_1) | instskip(SKIP_3) | instid1(VALU_DEP_1)
	v_add_co_ci_u32_e64 v15, s0, v7, v32, s0
	v_lshlrev_b64 v[31:32], 1, v[4:5]
	v_add_nc_u32_e32 v4, 0x500, v2
	v_add_co_u32 v33, s0, v6, v33
	v_add_co_ci_u32_e64 v34, s0, v7, v34, s0
	s_waitcnt lgkmcnt(11)
	global_store_b16 v[14:15], v39, off
	s_waitcnt lgkmcnt(10)
	global_store_b16 v[16:17], v40, off
	v_lshlrev_b64 v[14:15], 1, v[4:5]
	v_add_nc_u32_e32 v4, 0x600, v2
	v_add_co_u32 v16, s0, v6, v31
	s_waitcnt lgkmcnt(9)
	global_store_b16 v[33:34], v41, off
	s_waitcnt lgkmcnt(8)
	global_store_b16 v[18:19], v42, off
	v_add_co_ci_u32_e64 v17, s0, v7, v32, s0
	v_lshlrev_b64 v[18:19], 1, v[4:5]
	v_add_nc_u32_e32 v4, 0x700, v2
	v_add_co_u32 v14, s0, v6, v14
	s_delay_alu instid0(VALU_DEP_1)
	v_add_co_ci_u32_e64 v15, s0, v7, v15, s0
	s_waitcnt lgkmcnt(7)
	global_store_b16 v[16:17], v43, off
	s_waitcnt lgkmcnt(6)
	global_store_b16 v[20:21], v44, off
	v_lshlrev_b64 v[16:17], 1, v[4:5]
	v_add_nc_u32_e32 v12, 0x1000, v12
	s_waitcnt lgkmcnt(5)
	global_store_b16 v[14:15], v45, off
	v_add_co_u32 v14, s0, v6, v18
	v_add_nc_u32_e32 v3, 0x800, v3
	v_add_nc_u32_e32 v2, 0x800, v2
	v_add_co_ci_u32_e64 v15, s0, v7, v19, s0
	v_add_co_u32 v16, s0, v6, v16
	s_delay_alu instid0(VALU_DEP_1)
	v_add_co_ci_u32_e64 v17, s0, v7, v17, s0
	s_waitcnt lgkmcnt(4)
	global_store_b16 v[22:23], v46, off
	s_waitcnt lgkmcnt(3)
	global_store_b16 v[14:15], v47, off
	;; [unrolled: 2-line block ×5, first 2 shown]
	s_and_not1_b32 exec_lo, exec_lo, s6
	s_cbranch_execnz .LBB337_316
; %bb.317:
	s_or_b32 exec_lo, exec_lo, s6
.LBB337_318:
	s_delay_alu instid0(SALU_CYCLE_1) | instskip(SKIP_3) | instid1(VALU_DEP_1)
	s_or_b32 exec_lo, exec_lo, s1
	v_and_b32_e32 v1, 7, v10
	s_mov_b32 s7, 0
	s_mov_b32 s6, exec_lo
	v_cmpx_ne_u32_e32 0, v1
	s_cbranch_execz .LBB337_321
; %bb.319:
	v_lshl_or_b32 v9, v13, 8, v9
	v_mov_b32_e32 v5, 0
	s_set_inst_prefetch_distance 0x1
	.p2align	6
.LBB337_320:                            ; =>This Inner Loop Header: Depth=1
	v_dual_mov_b32 v4, v2 :: v_dual_add_nc_u32 v1, -1, v1
	ds_load_u16 v14, v9
	ds_load_u16 v15, v9 offset:256
	v_add_nc_u32_e32 v2, 0x100, v2
	v_add_nc_u32_e32 v9, 0x200, v9
	v_lshlrev_b64 v[10:11], 1, v[4:5]
	v_mov_b32_e32 v4, v3
	v_cmp_eq_u32_e64 s0, 0, v1
	v_add_nc_u32_e32 v3, 0x100, v3
	s_delay_alu instid0(VALU_DEP_3) | instskip(SKIP_1) | instid1(VALU_DEP_1)
	v_lshlrev_b64 v[12:13], 1, v[4:5]
	v_add_co_u32 v10, s1, v6, v10
	v_add_co_ci_u32_e64 v11, s1, v7, v11, s1
	s_or_b32 s7, s0, s7
	s_delay_alu instid0(VALU_DEP_3) | instskip(NEXT) | instid1(VALU_DEP_1)
	v_add_co_u32 v12, s1, v6, v12
	v_add_co_ci_u32_e64 v13, s1, v7, v13, s1
	s_waitcnt lgkmcnt(1)
	global_store_b16 v[10:11], v14, off
	s_waitcnt lgkmcnt(0)
	global_store_b16 v[12:13], v15, off
	s_and_not1_b32 exec_lo, exec_lo, s7
	s_cbranch_execnz .LBB337_320
.LBB337_321:
	s_set_inst_prefetch_distance 0x2
	s_or_b32 exec_lo, exec_lo, s6
	v_add_nc_u32_e32 v1, 1, v8
	s_delay_alu instid0(VALU_DEP_1) | instskip(NEXT) | instid1(VALU_DEP_1)
	v_and_b32_e32 v2, 0x3fffffe, v1
	v_cmp_ne_u32_e64 s0, v1, v2
	v_lshl_or_b32 v0, v2, 7, v0
	s_delay_alu instid0(VALU_DEP_2)
	s_or_not1_b32 s1, s0, exec_lo
.LBB337_322:
	s_or_b32 exec_lo, exec_lo, s5
	s_delay_alu instid0(SALU_CYCLE_1) | instskip(SKIP_1) | instid1(SALU_CYCLE_1)
	s_and_not1_b32 s0, vcc_lo, exec_lo
	s_and_b32 s1, s1, exec_lo
	s_or_b32 vcc_lo, s0, s1
.LBB337_323:
	s_or_b32 exec_lo, exec_lo, s4
	s_delay_alu instid0(SALU_CYCLE_1)
	s_and_b32 exec_lo, exec_lo, vcc_lo
	s_cbranch_execz .LBB337_326
; %bb.324:
	v_dual_mov_b32 v1, 0 :: v_dual_lshlrev_b32 v2, 1, v0
	s_mov_b32 s1, 0
	.p2align	6
.LBB337_325:                            ; =>This Inner Loop Header: Depth=1
	ds_load_u16 v5, v2
	v_lshlrev_b64 v[3:4], 1, v[0:1]
	v_add_nc_u32_e32 v0, 0x80, v0
	v_add_nc_u32_e32 v2, 0x100, v2
	s_delay_alu instid0(VALU_DEP_2) | instskip(NEXT) | instid1(VALU_DEP_4)
	v_cmp_ge_u32_e32 vcc_lo, v0, v29
	v_add_co_u32 v3, s0, v6, v3
	s_delay_alu instid0(VALU_DEP_1)
	v_add_co_ci_u32_e64 v4, s0, v7, v4, s0
	s_or_b32 s1, vcc_lo, s1
	s_waitcnt lgkmcnt(0)
	global_store_b16 v[3:4], v5, off
	s_and_not1_b32 exec_lo, exec_lo, s1
	s_cbranch_execnz .LBB337_325
.LBB337_326:
	s_or_b32 exec_lo, exec_lo, s3
	s_and_b32 s0, s2, s22
	s_delay_alu instid0(SALU_CYCLE_1)
	s_and_saveexec_b32 s1, s0
	s_cbranch_execz .LBB337_249
.LBB337_327:
	v_add_co_u32 v0, s0, s10, v29
	s_delay_alu instid0(VALU_DEP_1) | instskip(SKIP_1) | instid1(VALU_DEP_3)
	v_add_co_ci_u32_e64 v1, null, s11, 0, s0
	v_mov_b32_e32 v2, 0
	v_add_co_u32 v0, vcc_lo, v0, v30
	s_delay_alu instid0(VALU_DEP_3)
	v_add_co_ci_u32_e32 v1, vcc_lo, 0, v1, vcc_lo
	global_store_b64 v2, v[0:1], s[8:9]
	s_nop 0
	s_sendmsg sendmsg(MSG_DEALLOC_VGPRS)
	s_endpgm
	.section	.rodata,"a",@progbits
	.p2align	6, 0x0
	.amdhsa_kernel _ZN7rocprim17ROCPRIM_400000_NS6detail17trampoline_kernelINS0_14default_configENS1_25partition_config_selectorILNS1_17partition_subalgoE9EttbEEZZNS1_14partition_implILS5_9ELb0ES3_jN6thrust23THRUST_200600_302600_NS6detail15normal_iteratorINS9_10device_ptrItEEEESE_PNS0_10empty_typeENS0_5tupleIJSE_SF_EEENSH_IJSE_SG_EEENS0_18inequality_wrapperI22is_equal_div_10_uniqueItEEEPmJSF_EEE10hipError_tPvRmT3_T4_T5_T6_T7_T9_mT8_P12ihipStream_tbDpT10_ENKUlT_T0_E_clISt17integral_constantIbLb0EES17_IbLb1EEEEDaS13_S14_EUlS13_E_NS1_11comp_targetILNS1_3genE9ELNS1_11target_archE1100ELNS1_3gpuE3ELNS1_3repE0EEENS1_30default_config_static_selectorELNS0_4arch9wavefront6targetE0EEEvT1_
		.amdhsa_group_segment_fixed_size 3080
		.amdhsa_private_segment_fixed_size 0
		.amdhsa_kernarg_size 128
		.amdhsa_user_sgpr_count 15
		.amdhsa_user_sgpr_dispatch_ptr 0
		.amdhsa_user_sgpr_queue_ptr 0
		.amdhsa_user_sgpr_kernarg_segment_ptr 1
		.amdhsa_user_sgpr_dispatch_id 0
		.amdhsa_user_sgpr_private_segment_size 0
		.amdhsa_wavefront_size32 1
		.amdhsa_uses_dynamic_stack 0
		.amdhsa_enable_private_segment 0
		.amdhsa_system_sgpr_workgroup_id_x 1
		.amdhsa_system_sgpr_workgroup_id_y 0
		.amdhsa_system_sgpr_workgroup_id_z 0
		.amdhsa_system_sgpr_workgroup_info 0
		.amdhsa_system_vgpr_workitem_id 0
		.amdhsa_next_free_vgpr 81
		.amdhsa_next_free_sgpr 31
		.amdhsa_reserve_vcc 1
		.amdhsa_float_round_mode_32 0
		.amdhsa_float_round_mode_16_64 0
		.amdhsa_float_denorm_mode_32 3
		.amdhsa_float_denorm_mode_16_64 3
		.amdhsa_dx10_clamp 1
		.amdhsa_ieee_mode 1
		.amdhsa_fp16_overflow 0
		.amdhsa_workgroup_processor_mode 1
		.amdhsa_memory_ordered 1
		.amdhsa_forward_progress 0
		.amdhsa_shared_vgpr_count 0
		.amdhsa_exception_fp_ieee_invalid_op 0
		.amdhsa_exception_fp_denorm_src 0
		.amdhsa_exception_fp_ieee_div_zero 0
		.amdhsa_exception_fp_ieee_overflow 0
		.amdhsa_exception_fp_ieee_underflow 0
		.amdhsa_exception_fp_ieee_inexact 0
		.amdhsa_exception_int_div_zero 0
	.end_amdhsa_kernel
	.section	.text._ZN7rocprim17ROCPRIM_400000_NS6detail17trampoline_kernelINS0_14default_configENS1_25partition_config_selectorILNS1_17partition_subalgoE9EttbEEZZNS1_14partition_implILS5_9ELb0ES3_jN6thrust23THRUST_200600_302600_NS6detail15normal_iteratorINS9_10device_ptrItEEEESE_PNS0_10empty_typeENS0_5tupleIJSE_SF_EEENSH_IJSE_SG_EEENS0_18inequality_wrapperI22is_equal_div_10_uniqueItEEEPmJSF_EEE10hipError_tPvRmT3_T4_T5_T6_T7_T9_mT8_P12ihipStream_tbDpT10_ENKUlT_T0_E_clISt17integral_constantIbLb0EES17_IbLb1EEEEDaS13_S14_EUlS13_E_NS1_11comp_targetILNS1_3genE9ELNS1_11target_archE1100ELNS1_3gpuE3ELNS1_3repE0EEENS1_30default_config_static_selectorELNS0_4arch9wavefront6targetE0EEEvT1_,"axG",@progbits,_ZN7rocprim17ROCPRIM_400000_NS6detail17trampoline_kernelINS0_14default_configENS1_25partition_config_selectorILNS1_17partition_subalgoE9EttbEEZZNS1_14partition_implILS5_9ELb0ES3_jN6thrust23THRUST_200600_302600_NS6detail15normal_iteratorINS9_10device_ptrItEEEESE_PNS0_10empty_typeENS0_5tupleIJSE_SF_EEENSH_IJSE_SG_EEENS0_18inequality_wrapperI22is_equal_div_10_uniqueItEEEPmJSF_EEE10hipError_tPvRmT3_T4_T5_T6_T7_T9_mT8_P12ihipStream_tbDpT10_ENKUlT_T0_E_clISt17integral_constantIbLb0EES17_IbLb1EEEEDaS13_S14_EUlS13_E_NS1_11comp_targetILNS1_3genE9ELNS1_11target_archE1100ELNS1_3gpuE3ELNS1_3repE0EEENS1_30default_config_static_selectorELNS0_4arch9wavefront6targetE0EEEvT1_,comdat
.Lfunc_end337:
	.size	_ZN7rocprim17ROCPRIM_400000_NS6detail17trampoline_kernelINS0_14default_configENS1_25partition_config_selectorILNS1_17partition_subalgoE9EttbEEZZNS1_14partition_implILS5_9ELb0ES3_jN6thrust23THRUST_200600_302600_NS6detail15normal_iteratorINS9_10device_ptrItEEEESE_PNS0_10empty_typeENS0_5tupleIJSE_SF_EEENSH_IJSE_SG_EEENS0_18inequality_wrapperI22is_equal_div_10_uniqueItEEEPmJSF_EEE10hipError_tPvRmT3_T4_T5_T6_T7_T9_mT8_P12ihipStream_tbDpT10_ENKUlT_T0_E_clISt17integral_constantIbLb0EES17_IbLb1EEEEDaS13_S14_EUlS13_E_NS1_11comp_targetILNS1_3genE9ELNS1_11target_archE1100ELNS1_3gpuE3ELNS1_3repE0EEENS1_30default_config_static_selectorELNS0_4arch9wavefront6targetE0EEEvT1_, .Lfunc_end337-_ZN7rocprim17ROCPRIM_400000_NS6detail17trampoline_kernelINS0_14default_configENS1_25partition_config_selectorILNS1_17partition_subalgoE9EttbEEZZNS1_14partition_implILS5_9ELb0ES3_jN6thrust23THRUST_200600_302600_NS6detail15normal_iteratorINS9_10device_ptrItEEEESE_PNS0_10empty_typeENS0_5tupleIJSE_SF_EEENSH_IJSE_SG_EEENS0_18inequality_wrapperI22is_equal_div_10_uniqueItEEEPmJSF_EEE10hipError_tPvRmT3_T4_T5_T6_T7_T9_mT8_P12ihipStream_tbDpT10_ENKUlT_T0_E_clISt17integral_constantIbLb0EES17_IbLb1EEEEDaS13_S14_EUlS13_E_NS1_11comp_targetILNS1_3genE9ELNS1_11target_archE1100ELNS1_3gpuE3ELNS1_3repE0EEENS1_30default_config_static_selectorELNS0_4arch9wavefront6targetE0EEEvT1_
                                        ; -- End function
	.section	.AMDGPU.csdata,"",@progbits
; Kernel info:
; codeLenInByte = 15712
; NumSgprs: 33
; NumVgprs: 81
; ScratchSize: 0
; MemoryBound: 0
; FloatMode: 240
; IeeeMode: 1
; LDSByteSize: 3080 bytes/workgroup (compile time only)
; SGPRBlocks: 4
; VGPRBlocks: 10
; NumSGPRsForWavesPerEU: 33
; NumVGPRsForWavesPerEU: 81
; Occupancy: 16
; WaveLimiterHint : 1
; COMPUTE_PGM_RSRC2:SCRATCH_EN: 0
; COMPUTE_PGM_RSRC2:USER_SGPR: 15
; COMPUTE_PGM_RSRC2:TRAP_HANDLER: 0
; COMPUTE_PGM_RSRC2:TGID_X_EN: 1
; COMPUTE_PGM_RSRC2:TGID_Y_EN: 0
; COMPUTE_PGM_RSRC2:TGID_Z_EN: 0
; COMPUTE_PGM_RSRC2:TIDIG_COMP_CNT: 0
	.section	.text._ZN7rocprim17ROCPRIM_400000_NS6detail17trampoline_kernelINS0_14default_configENS1_25partition_config_selectorILNS1_17partition_subalgoE9EttbEEZZNS1_14partition_implILS5_9ELb0ES3_jN6thrust23THRUST_200600_302600_NS6detail15normal_iteratorINS9_10device_ptrItEEEESE_PNS0_10empty_typeENS0_5tupleIJSE_SF_EEENSH_IJSE_SG_EEENS0_18inequality_wrapperI22is_equal_div_10_uniqueItEEEPmJSF_EEE10hipError_tPvRmT3_T4_T5_T6_T7_T9_mT8_P12ihipStream_tbDpT10_ENKUlT_T0_E_clISt17integral_constantIbLb0EES17_IbLb1EEEEDaS13_S14_EUlS13_E_NS1_11comp_targetILNS1_3genE8ELNS1_11target_archE1030ELNS1_3gpuE2ELNS1_3repE0EEENS1_30default_config_static_selectorELNS0_4arch9wavefront6targetE0EEEvT1_,"axG",@progbits,_ZN7rocprim17ROCPRIM_400000_NS6detail17trampoline_kernelINS0_14default_configENS1_25partition_config_selectorILNS1_17partition_subalgoE9EttbEEZZNS1_14partition_implILS5_9ELb0ES3_jN6thrust23THRUST_200600_302600_NS6detail15normal_iteratorINS9_10device_ptrItEEEESE_PNS0_10empty_typeENS0_5tupleIJSE_SF_EEENSH_IJSE_SG_EEENS0_18inequality_wrapperI22is_equal_div_10_uniqueItEEEPmJSF_EEE10hipError_tPvRmT3_T4_T5_T6_T7_T9_mT8_P12ihipStream_tbDpT10_ENKUlT_T0_E_clISt17integral_constantIbLb0EES17_IbLb1EEEEDaS13_S14_EUlS13_E_NS1_11comp_targetILNS1_3genE8ELNS1_11target_archE1030ELNS1_3gpuE2ELNS1_3repE0EEENS1_30default_config_static_selectorELNS0_4arch9wavefront6targetE0EEEvT1_,comdat
	.protected	_ZN7rocprim17ROCPRIM_400000_NS6detail17trampoline_kernelINS0_14default_configENS1_25partition_config_selectorILNS1_17partition_subalgoE9EttbEEZZNS1_14partition_implILS5_9ELb0ES3_jN6thrust23THRUST_200600_302600_NS6detail15normal_iteratorINS9_10device_ptrItEEEESE_PNS0_10empty_typeENS0_5tupleIJSE_SF_EEENSH_IJSE_SG_EEENS0_18inequality_wrapperI22is_equal_div_10_uniqueItEEEPmJSF_EEE10hipError_tPvRmT3_T4_T5_T6_T7_T9_mT8_P12ihipStream_tbDpT10_ENKUlT_T0_E_clISt17integral_constantIbLb0EES17_IbLb1EEEEDaS13_S14_EUlS13_E_NS1_11comp_targetILNS1_3genE8ELNS1_11target_archE1030ELNS1_3gpuE2ELNS1_3repE0EEENS1_30default_config_static_selectorELNS0_4arch9wavefront6targetE0EEEvT1_ ; -- Begin function _ZN7rocprim17ROCPRIM_400000_NS6detail17trampoline_kernelINS0_14default_configENS1_25partition_config_selectorILNS1_17partition_subalgoE9EttbEEZZNS1_14partition_implILS5_9ELb0ES3_jN6thrust23THRUST_200600_302600_NS6detail15normal_iteratorINS9_10device_ptrItEEEESE_PNS0_10empty_typeENS0_5tupleIJSE_SF_EEENSH_IJSE_SG_EEENS0_18inequality_wrapperI22is_equal_div_10_uniqueItEEEPmJSF_EEE10hipError_tPvRmT3_T4_T5_T6_T7_T9_mT8_P12ihipStream_tbDpT10_ENKUlT_T0_E_clISt17integral_constantIbLb0EES17_IbLb1EEEEDaS13_S14_EUlS13_E_NS1_11comp_targetILNS1_3genE8ELNS1_11target_archE1030ELNS1_3gpuE2ELNS1_3repE0EEENS1_30default_config_static_selectorELNS0_4arch9wavefront6targetE0EEEvT1_
	.globl	_ZN7rocprim17ROCPRIM_400000_NS6detail17trampoline_kernelINS0_14default_configENS1_25partition_config_selectorILNS1_17partition_subalgoE9EttbEEZZNS1_14partition_implILS5_9ELb0ES3_jN6thrust23THRUST_200600_302600_NS6detail15normal_iteratorINS9_10device_ptrItEEEESE_PNS0_10empty_typeENS0_5tupleIJSE_SF_EEENSH_IJSE_SG_EEENS0_18inequality_wrapperI22is_equal_div_10_uniqueItEEEPmJSF_EEE10hipError_tPvRmT3_T4_T5_T6_T7_T9_mT8_P12ihipStream_tbDpT10_ENKUlT_T0_E_clISt17integral_constantIbLb0EES17_IbLb1EEEEDaS13_S14_EUlS13_E_NS1_11comp_targetILNS1_3genE8ELNS1_11target_archE1030ELNS1_3gpuE2ELNS1_3repE0EEENS1_30default_config_static_selectorELNS0_4arch9wavefront6targetE0EEEvT1_
	.p2align	8
	.type	_ZN7rocprim17ROCPRIM_400000_NS6detail17trampoline_kernelINS0_14default_configENS1_25partition_config_selectorILNS1_17partition_subalgoE9EttbEEZZNS1_14partition_implILS5_9ELb0ES3_jN6thrust23THRUST_200600_302600_NS6detail15normal_iteratorINS9_10device_ptrItEEEESE_PNS0_10empty_typeENS0_5tupleIJSE_SF_EEENSH_IJSE_SG_EEENS0_18inequality_wrapperI22is_equal_div_10_uniqueItEEEPmJSF_EEE10hipError_tPvRmT3_T4_T5_T6_T7_T9_mT8_P12ihipStream_tbDpT10_ENKUlT_T0_E_clISt17integral_constantIbLb0EES17_IbLb1EEEEDaS13_S14_EUlS13_E_NS1_11comp_targetILNS1_3genE8ELNS1_11target_archE1030ELNS1_3gpuE2ELNS1_3repE0EEENS1_30default_config_static_selectorELNS0_4arch9wavefront6targetE0EEEvT1_,@function
_ZN7rocprim17ROCPRIM_400000_NS6detail17trampoline_kernelINS0_14default_configENS1_25partition_config_selectorILNS1_17partition_subalgoE9EttbEEZZNS1_14partition_implILS5_9ELb0ES3_jN6thrust23THRUST_200600_302600_NS6detail15normal_iteratorINS9_10device_ptrItEEEESE_PNS0_10empty_typeENS0_5tupleIJSE_SF_EEENSH_IJSE_SG_EEENS0_18inequality_wrapperI22is_equal_div_10_uniqueItEEEPmJSF_EEE10hipError_tPvRmT3_T4_T5_T6_T7_T9_mT8_P12ihipStream_tbDpT10_ENKUlT_T0_E_clISt17integral_constantIbLb0EES17_IbLb1EEEEDaS13_S14_EUlS13_E_NS1_11comp_targetILNS1_3genE8ELNS1_11target_archE1030ELNS1_3gpuE2ELNS1_3repE0EEENS1_30default_config_static_selectorELNS0_4arch9wavefront6targetE0EEEvT1_: ; @_ZN7rocprim17ROCPRIM_400000_NS6detail17trampoline_kernelINS0_14default_configENS1_25partition_config_selectorILNS1_17partition_subalgoE9EttbEEZZNS1_14partition_implILS5_9ELb0ES3_jN6thrust23THRUST_200600_302600_NS6detail15normal_iteratorINS9_10device_ptrItEEEESE_PNS0_10empty_typeENS0_5tupleIJSE_SF_EEENSH_IJSE_SG_EEENS0_18inequality_wrapperI22is_equal_div_10_uniqueItEEEPmJSF_EEE10hipError_tPvRmT3_T4_T5_T6_T7_T9_mT8_P12ihipStream_tbDpT10_ENKUlT_T0_E_clISt17integral_constantIbLb0EES17_IbLb1EEEEDaS13_S14_EUlS13_E_NS1_11comp_targetILNS1_3genE8ELNS1_11target_archE1030ELNS1_3gpuE2ELNS1_3repE0EEENS1_30default_config_static_selectorELNS0_4arch9wavefront6targetE0EEEvT1_
; %bb.0:
	.section	.rodata,"a",@progbits
	.p2align	6, 0x0
	.amdhsa_kernel _ZN7rocprim17ROCPRIM_400000_NS6detail17trampoline_kernelINS0_14default_configENS1_25partition_config_selectorILNS1_17partition_subalgoE9EttbEEZZNS1_14partition_implILS5_9ELb0ES3_jN6thrust23THRUST_200600_302600_NS6detail15normal_iteratorINS9_10device_ptrItEEEESE_PNS0_10empty_typeENS0_5tupleIJSE_SF_EEENSH_IJSE_SG_EEENS0_18inequality_wrapperI22is_equal_div_10_uniqueItEEEPmJSF_EEE10hipError_tPvRmT3_T4_T5_T6_T7_T9_mT8_P12ihipStream_tbDpT10_ENKUlT_T0_E_clISt17integral_constantIbLb0EES17_IbLb1EEEEDaS13_S14_EUlS13_E_NS1_11comp_targetILNS1_3genE8ELNS1_11target_archE1030ELNS1_3gpuE2ELNS1_3repE0EEENS1_30default_config_static_selectorELNS0_4arch9wavefront6targetE0EEEvT1_
		.amdhsa_group_segment_fixed_size 0
		.amdhsa_private_segment_fixed_size 0
		.amdhsa_kernarg_size 128
		.amdhsa_user_sgpr_count 15
		.amdhsa_user_sgpr_dispatch_ptr 0
		.amdhsa_user_sgpr_queue_ptr 0
		.amdhsa_user_sgpr_kernarg_segment_ptr 1
		.amdhsa_user_sgpr_dispatch_id 0
		.amdhsa_user_sgpr_private_segment_size 0
		.amdhsa_wavefront_size32 1
		.amdhsa_uses_dynamic_stack 0
		.amdhsa_enable_private_segment 0
		.amdhsa_system_sgpr_workgroup_id_x 1
		.amdhsa_system_sgpr_workgroup_id_y 0
		.amdhsa_system_sgpr_workgroup_id_z 0
		.amdhsa_system_sgpr_workgroup_info 0
		.amdhsa_system_vgpr_workitem_id 0
		.amdhsa_next_free_vgpr 1
		.amdhsa_next_free_sgpr 1
		.amdhsa_reserve_vcc 0
		.amdhsa_float_round_mode_32 0
		.amdhsa_float_round_mode_16_64 0
		.amdhsa_float_denorm_mode_32 3
		.amdhsa_float_denorm_mode_16_64 3
		.amdhsa_dx10_clamp 1
		.amdhsa_ieee_mode 1
		.amdhsa_fp16_overflow 0
		.amdhsa_workgroup_processor_mode 1
		.amdhsa_memory_ordered 1
		.amdhsa_forward_progress 0
		.amdhsa_shared_vgpr_count 0
		.amdhsa_exception_fp_ieee_invalid_op 0
		.amdhsa_exception_fp_denorm_src 0
		.amdhsa_exception_fp_ieee_div_zero 0
		.amdhsa_exception_fp_ieee_overflow 0
		.amdhsa_exception_fp_ieee_underflow 0
		.amdhsa_exception_fp_ieee_inexact 0
		.amdhsa_exception_int_div_zero 0
	.end_amdhsa_kernel
	.section	.text._ZN7rocprim17ROCPRIM_400000_NS6detail17trampoline_kernelINS0_14default_configENS1_25partition_config_selectorILNS1_17partition_subalgoE9EttbEEZZNS1_14partition_implILS5_9ELb0ES3_jN6thrust23THRUST_200600_302600_NS6detail15normal_iteratorINS9_10device_ptrItEEEESE_PNS0_10empty_typeENS0_5tupleIJSE_SF_EEENSH_IJSE_SG_EEENS0_18inequality_wrapperI22is_equal_div_10_uniqueItEEEPmJSF_EEE10hipError_tPvRmT3_T4_T5_T6_T7_T9_mT8_P12ihipStream_tbDpT10_ENKUlT_T0_E_clISt17integral_constantIbLb0EES17_IbLb1EEEEDaS13_S14_EUlS13_E_NS1_11comp_targetILNS1_3genE8ELNS1_11target_archE1030ELNS1_3gpuE2ELNS1_3repE0EEENS1_30default_config_static_selectorELNS0_4arch9wavefront6targetE0EEEvT1_,"axG",@progbits,_ZN7rocprim17ROCPRIM_400000_NS6detail17trampoline_kernelINS0_14default_configENS1_25partition_config_selectorILNS1_17partition_subalgoE9EttbEEZZNS1_14partition_implILS5_9ELb0ES3_jN6thrust23THRUST_200600_302600_NS6detail15normal_iteratorINS9_10device_ptrItEEEESE_PNS0_10empty_typeENS0_5tupleIJSE_SF_EEENSH_IJSE_SG_EEENS0_18inequality_wrapperI22is_equal_div_10_uniqueItEEEPmJSF_EEE10hipError_tPvRmT3_T4_T5_T6_T7_T9_mT8_P12ihipStream_tbDpT10_ENKUlT_T0_E_clISt17integral_constantIbLb0EES17_IbLb1EEEEDaS13_S14_EUlS13_E_NS1_11comp_targetILNS1_3genE8ELNS1_11target_archE1030ELNS1_3gpuE2ELNS1_3repE0EEENS1_30default_config_static_selectorELNS0_4arch9wavefront6targetE0EEEvT1_,comdat
.Lfunc_end338:
	.size	_ZN7rocprim17ROCPRIM_400000_NS6detail17trampoline_kernelINS0_14default_configENS1_25partition_config_selectorILNS1_17partition_subalgoE9EttbEEZZNS1_14partition_implILS5_9ELb0ES3_jN6thrust23THRUST_200600_302600_NS6detail15normal_iteratorINS9_10device_ptrItEEEESE_PNS0_10empty_typeENS0_5tupleIJSE_SF_EEENSH_IJSE_SG_EEENS0_18inequality_wrapperI22is_equal_div_10_uniqueItEEEPmJSF_EEE10hipError_tPvRmT3_T4_T5_T6_T7_T9_mT8_P12ihipStream_tbDpT10_ENKUlT_T0_E_clISt17integral_constantIbLb0EES17_IbLb1EEEEDaS13_S14_EUlS13_E_NS1_11comp_targetILNS1_3genE8ELNS1_11target_archE1030ELNS1_3gpuE2ELNS1_3repE0EEENS1_30default_config_static_selectorELNS0_4arch9wavefront6targetE0EEEvT1_, .Lfunc_end338-_ZN7rocprim17ROCPRIM_400000_NS6detail17trampoline_kernelINS0_14default_configENS1_25partition_config_selectorILNS1_17partition_subalgoE9EttbEEZZNS1_14partition_implILS5_9ELb0ES3_jN6thrust23THRUST_200600_302600_NS6detail15normal_iteratorINS9_10device_ptrItEEEESE_PNS0_10empty_typeENS0_5tupleIJSE_SF_EEENSH_IJSE_SG_EEENS0_18inequality_wrapperI22is_equal_div_10_uniqueItEEEPmJSF_EEE10hipError_tPvRmT3_T4_T5_T6_T7_T9_mT8_P12ihipStream_tbDpT10_ENKUlT_T0_E_clISt17integral_constantIbLb0EES17_IbLb1EEEEDaS13_S14_EUlS13_E_NS1_11comp_targetILNS1_3genE8ELNS1_11target_archE1030ELNS1_3gpuE2ELNS1_3repE0EEENS1_30default_config_static_selectorELNS0_4arch9wavefront6targetE0EEEvT1_
                                        ; -- End function
	.section	.AMDGPU.csdata,"",@progbits
; Kernel info:
; codeLenInByte = 0
; NumSgprs: 0
; NumVgprs: 0
; ScratchSize: 0
; MemoryBound: 0
; FloatMode: 240
; IeeeMode: 1
; LDSByteSize: 0 bytes/workgroup (compile time only)
; SGPRBlocks: 0
; VGPRBlocks: 0
; NumSGPRsForWavesPerEU: 1
; NumVGPRsForWavesPerEU: 1
; Occupancy: 15
; WaveLimiterHint : 0
; COMPUTE_PGM_RSRC2:SCRATCH_EN: 0
; COMPUTE_PGM_RSRC2:USER_SGPR: 15
; COMPUTE_PGM_RSRC2:TRAP_HANDLER: 0
; COMPUTE_PGM_RSRC2:TGID_X_EN: 1
; COMPUTE_PGM_RSRC2:TGID_Y_EN: 0
; COMPUTE_PGM_RSRC2:TGID_Z_EN: 0
; COMPUTE_PGM_RSRC2:TIDIG_COMP_CNT: 0
	.section	.text._ZN6thrust23THRUST_200600_302600_NS11hip_rocprim14__parallel_for6kernelILj256ENS1_20__uninitialized_fill7functorINS0_10device_ptrIxEExEEmLj1EEEvT0_T1_SA_,"axG",@progbits,_ZN6thrust23THRUST_200600_302600_NS11hip_rocprim14__parallel_for6kernelILj256ENS1_20__uninitialized_fill7functorINS0_10device_ptrIxEExEEmLj1EEEvT0_T1_SA_,comdat
	.protected	_ZN6thrust23THRUST_200600_302600_NS11hip_rocprim14__parallel_for6kernelILj256ENS1_20__uninitialized_fill7functorINS0_10device_ptrIxEExEEmLj1EEEvT0_T1_SA_ ; -- Begin function _ZN6thrust23THRUST_200600_302600_NS11hip_rocprim14__parallel_for6kernelILj256ENS1_20__uninitialized_fill7functorINS0_10device_ptrIxEExEEmLj1EEEvT0_T1_SA_
	.globl	_ZN6thrust23THRUST_200600_302600_NS11hip_rocprim14__parallel_for6kernelILj256ENS1_20__uninitialized_fill7functorINS0_10device_ptrIxEExEEmLj1EEEvT0_T1_SA_
	.p2align	8
	.type	_ZN6thrust23THRUST_200600_302600_NS11hip_rocprim14__parallel_for6kernelILj256ENS1_20__uninitialized_fill7functorINS0_10device_ptrIxEExEEmLj1EEEvT0_T1_SA_,@function
_ZN6thrust23THRUST_200600_302600_NS11hip_rocprim14__parallel_for6kernelILj256ENS1_20__uninitialized_fill7functorINS0_10device_ptrIxEExEEmLj1EEEvT0_T1_SA_: ; @_ZN6thrust23THRUST_200600_302600_NS11hip_rocprim14__parallel_for6kernelILj256ENS1_20__uninitialized_fill7functorINS0_10device_ptrIxEExEEmLj1EEEvT0_T1_SA_
; %bb.0:
	s_load_b256 s[0:7], s[0:1], 0x0
	s_lshl_b32 s8, s15, 8
	s_waitcnt lgkmcnt(0)
	s_add_u32 s6, s8, s6
	s_addc_u32 s7, 0, s7
	s_sub_u32 s4, s4, s6
	s_subb_u32 s5, s5, s7
	s_delay_alu instid0(SALU_CYCLE_1) | instskip(NEXT) | instid1(VALU_DEP_1)
	v_cmp_gt_u64_e64 s5, 0x100, s[4:5]
	s_and_b32 vcc_lo, exec_lo, s5
	s_mov_b32 s5, 0
	s_cbranch_vccz .LBB339_2
; %bb.1:
	v_cmp_gt_u32_e32 vcc_lo, s4, v0
	s_and_b32 s5, vcc_lo, exec_lo
	s_cbranch_execz .LBB339_3
	s_branch .LBB339_4
.LBB339_2:
.LBB339_3:
	s_or_b32 s5, s5, exec_lo
.LBB339_4:
	s_delay_alu instid0(SALU_CYCLE_1)
	s_and_saveexec_b32 s4, s5
	s_cbranch_execnz .LBB339_6
; %bb.5:
	s_endpgm
.LBB339_6:
	v_dual_mov_b32 v1, 0 :: v_dual_mov_b32 v2, s2
	s_lshl_b64 s[4:5], s[6:7], 3
	v_mov_b32_e32 v3, s3
	s_add_u32 s0, s0, s4
	s_delay_alu instid0(VALU_DEP_2) | instskip(SKIP_1) | instid1(VALU_DEP_1)
	v_lshlrev_b64 v[0:1], 3, v[0:1]
	s_addc_u32 s1, s1, s5
	v_add_co_u32 v0, vcc_lo, s0, v0
	s_delay_alu instid0(VALU_DEP_2)
	v_add_co_ci_u32_e32 v1, vcc_lo, s1, v1, vcc_lo
	flat_store_b64 v[0:1], v[2:3]
	s_endpgm
	.section	.rodata,"a",@progbits
	.p2align	6, 0x0
	.amdhsa_kernel _ZN6thrust23THRUST_200600_302600_NS11hip_rocprim14__parallel_for6kernelILj256ENS1_20__uninitialized_fill7functorINS0_10device_ptrIxEExEEmLj1EEEvT0_T1_SA_
		.amdhsa_group_segment_fixed_size 0
		.amdhsa_private_segment_fixed_size 0
		.amdhsa_kernarg_size 32
		.amdhsa_user_sgpr_count 15
		.amdhsa_user_sgpr_dispatch_ptr 0
		.amdhsa_user_sgpr_queue_ptr 0
		.amdhsa_user_sgpr_kernarg_segment_ptr 1
		.amdhsa_user_sgpr_dispatch_id 0
		.amdhsa_user_sgpr_private_segment_size 0
		.amdhsa_wavefront_size32 1
		.amdhsa_uses_dynamic_stack 0
		.amdhsa_enable_private_segment 0
		.amdhsa_system_sgpr_workgroup_id_x 1
		.amdhsa_system_sgpr_workgroup_id_y 0
		.amdhsa_system_sgpr_workgroup_id_z 0
		.amdhsa_system_sgpr_workgroup_info 0
		.amdhsa_system_vgpr_workitem_id 0
		.amdhsa_next_free_vgpr 4
		.amdhsa_next_free_sgpr 16
		.amdhsa_reserve_vcc 1
		.amdhsa_float_round_mode_32 0
		.amdhsa_float_round_mode_16_64 0
		.amdhsa_float_denorm_mode_32 3
		.amdhsa_float_denorm_mode_16_64 3
		.amdhsa_dx10_clamp 1
		.amdhsa_ieee_mode 1
		.amdhsa_fp16_overflow 0
		.amdhsa_workgroup_processor_mode 1
		.amdhsa_memory_ordered 1
		.amdhsa_forward_progress 0
		.amdhsa_shared_vgpr_count 0
		.amdhsa_exception_fp_ieee_invalid_op 0
		.amdhsa_exception_fp_denorm_src 0
		.amdhsa_exception_fp_ieee_div_zero 0
		.amdhsa_exception_fp_ieee_overflow 0
		.amdhsa_exception_fp_ieee_underflow 0
		.amdhsa_exception_fp_ieee_inexact 0
		.amdhsa_exception_int_div_zero 0
	.end_amdhsa_kernel
	.section	.text._ZN6thrust23THRUST_200600_302600_NS11hip_rocprim14__parallel_for6kernelILj256ENS1_20__uninitialized_fill7functorINS0_10device_ptrIxEExEEmLj1EEEvT0_T1_SA_,"axG",@progbits,_ZN6thrust23THRUST_200600_302600_NS11hip_rocprim14__parallel_for6kernelILj256ENS1_20__uninitialized_fill7functorINS0_10device_ptrIxEExEEmLj1EEEvT0_T1_SA_,comdat
.Lfunc_end339:
	.size	_ZN6thrust23THRUST_200600_302600_NS11hip_rocprim14__parallel_for6kernelILj256ENS1_20__uninitialized_fill7functorINS0_10device_ptrIxEExEEmLj1EEEvT0_T1_SA_, .Lfunc_end339-_ZN6thrust23THRUST_200600_302600_NS11hip_rocprim14__parallel_for6kernelILj256ENS1_20__uninitialized_fill7functorINS0_10device_ptrIxEExEEmLj1EEEvT0_T1_SA_
                                        ; -- End function
	.section	.AMDGPU.csdata,"",@progbits
; Kernel info:
; codeLenInByte = 160
; NumSgprs: 18
; NumVgprs: 4
; ScratchSize: 0
; MemoryBound: 0
; FloatMode: 240
; IeeeMode: 1
; LDSByteSize: 0 bytes/workgroup (compile time only)
; SGPRBlocks: 2
; VGPRBlocks: 0
; NumSGPRsForWavesPerEU: 18
; NumVGPRsForWavesPerEU: 4
; Occupancy: 16
; WaveLimiterHint : 0
; COMPUTE_PGM_RSRC2:SCRATCH_EN: 0
; COMPUTE_PGM_RSRC2:USER_SGPR: 15
; COMPUTE_PGM_RSRC2:TRAP_HANDLER: 0
; COMPUTE_PGM_RSRC2:TGID_X_EN: 1
; COMPUTE_PGM_RSRC2:TGID_Y_EN: 0
; COMPUTE_PGM_RSRC2:TGID_Z_EN: 0
; COMPUTE_PGM_RSRC2:TIDIG_COMP_CNT: 0
	.section	.text._ZN7rocprim17ROCPRIM_400000_NS6detail17trampoline_kernelINS0_14default_configENS1_25partition_config_selectorILNS1_17partition_subalgoE9ExxbEEZZNS1_14partition_implILS5_9ELb0ES3_jN6thrust23THRUST_200600_302600_NS6detail15normal_iteratorINS9_10device_ptrIxEEEESE_PNS0_10empty_typeENS0_5tupleIJSE_SF_EEENSH_IJSE_SG_EEENS0_18inequality_wrapperINS9_8equal_toIxEEEEPmJSF_EEE10hipError_tPvRmT3_T4_T5_T6_T7_T9_mT8_P12ihipStream_tbDpT10_ENKUlT_T0_E_clISt17integral_constantIbLb0EES18_EEDaS13_S14_EUlS13_E_NS1_11comp_targetILNS1_3genE0ELNS1_11target_archE4294967295ELNS1_3gpuE0ELNS1_3repE0EEENS1_30default_config_static_selectorELNS0_4arch9wavefront6targetE0EEEvT1_,"axG",@progbits,_ZN7rocprim17ROCPRIM_400000_NS6detail17trampoline_kernelINS0_14default_configENS1_25partition_config_selectorILNS1_17partition_subalgoE9ExxbEEZZNS1_14partition_implILS5_9ELb0ES3_jN6thrust23THRUST_200600_302600_NS6detail15normal_iteratorINS9_10device_ptrIxEEEESE_PNS0_10empty_typeENS0_5tupleIJSE_SF_EEENSH_IJSE_SG_EEENS0_18inequality_wrapperINS9_8equal_toIxEEEEPmJSF_EEE10hipError_tPvRmT3_T4_T5_T6_T7_T9_mT8_P12ihipStream_tbDpT10_ENKUlT_T0_E_clISt17integral_constantIbLb0EES18_EEDaS13_S14_EUlS13_E_NS1_11comp_targetILNS1_3genE0ELNS1_11target_archE4294967295ELNS1_3gpuE0ELNS1_3repE0EEENS1_30default_config_static_selectorELNS0_4arch9wavefront6targetE0EEEvT1_,comdat
	.protected	_ZN7rocprim17ROCPRIM_400000_NS6detail17trampoline_kernelINS0_14default_configENS1_25partition_config_selectorILNS1_17partition_subalgoE9ExxbEEZZNS1_14partition_implILS5_9ELb0ES3_jN6thrust23THRUST_200600_302600_NS6detail15normal_iteratorINS9_10device_ptrIxEEEESE_PNS0_10empty_typeENS0_5tupleIJSE_SF_EEENSH_IJSE_SG_EEENS0_18inequality_wrapperINS9_8equal_toIxEEEEPmJSF_EEE10hipError_tPvRmT3_T4_T5_T6_T7_T9_mT8_P12ihipStream_tbDpT10_ENKUlT_T0_E_clISt17integral_constantIbLb0EES18_EEDaS13_S14_EUlS13_E_NS1_11comp_targetILNS1_3genE0ELNS1_11target_archE4294967295ELNS1_3gpuE0ELNS1_3repE0EEENS1_30default_config_static_selectorELNS0_4arch9wavefront6targetE0EEEvT1_ ; -- Begin function _ZN7rocprim17ROCPRIM_400000_NS6detail17trampoline_kernelINS0_14default_configENS1_25partition_config_selectorILNS1_17partition_subalgoE9ExxbEEZZNS1_14partition_implILS5_9ELb0ES3_jN6thrust23THRUST_200600_302600_NS6detail15normal_iteratorINS9_10device_ptrIxEEEESE_PNS0_10empty_typeENS0_5tupleIJSE_SF_EEENSH_IJSE_SG_EEENS0_18inequality_wrapperINS9_8equal_toIxEEEEPmJSF_EEE10hipError_tPvRmT3_T4_T5_T6_T7_T9_mT8_P12ihipStream_tbDpT10_ENKUlT_T0_E_clISt17integral_constantIbLb0EES18_EEDaS13_S14_EUlS13_E_NS1_11comp_targetILNS1_3genE0ELNS1_11target_archE4294967295ELNS1_3gpuE0ELNS1_3repE0EEENS1_30default_config_static_selectorELNS0_4arch9wavefront6targetE0EEEvT1_
	.globl	_ZN7rocprim17ROCPRIM_400000_NS6detail17trampoline_kernelINS0_14default_configENS1_25partition_config_selectorILNS1_17partition_subalgoE9ExxbEEZZNS1_14partition_implILS5_9ELb0ES3_jN6thrust23THRUST_200600_302600_NS6detail15normal_iteratorINS9_10device_ptrIxEEEESE_PNS0_10empty_typeENS0_5tupleIJSE_SF_EEENSH_IJSE_SG_EEENS0_18inequality_wrapperINS9_8equal_toIxEEEEPmJSF_EEE10hipError_tPvRmT3_T4_T5_T6_T7_T9_mT8_P12ihipStream_tbDpT10_ENKUlT_T0_E_clISt17integral_constantIbLb0EES18_EEDaS13_S14_EUlS13_E_NS1_11comp_targetILNS1_3genE0ELNS1_11target_archE4294967295ELNS1_3gpuE0ELNS1_3repE0EEENS1_30default_config_static_selectorELNS0_4arch9wavefront6targetE0EEEvT1_
	.p2align	8
	.type	_ZN7rocprim17ROCPRIM_400000_NS6detail17trampoline_kernelINS0_14default_configENS1_25partition_config_selectorILNS1_17partition_subalgoE9ExxbEEZZNS1_14partition_implILS5_9ELb0ES3_jN6thrust23THRUST_200600_302600_NS6detail15normal_iteratorINS9_10device_ptrIxEEEESE_PNS0_10empty_typeENS0_5tupleIJSE_SF_EEENSH_IJSE_SG_EEENS0_18inequality_wrapperINS9_8equal_toIxEEEEPmJSF_EEE10hipError_tPvRmT3_T4_T5_T6_T7_T9_mT8_P12ihipStream_tbDpT10_ENKUlT_T0_E_clISt17integral_constantIbLb0EES18_EEDaS13_S14_EUlS13_E_NS1_11comp_targetILNS1_3genE0ELNS1_11target_archE4294967295ELNS1_3gpuE0ELNS1_3repE0EEENS1_30default_config_static_selectorELNS0_4arch9wavefront6targetE0EEEvT1_,@function
_ZN7rocprim17ROCPRIM_400000_NS6detail17trampoline_kernelINS0_14default_configENS1_25partition_config_selectorILNS1_17partition_subalgoE9ExxbEEZZNS1_14partition_implILS5_9ELb0ES3_jN6thrust23THRUST_200600_302600_NS6detail15normal_iteratorINS9_10device_ptrIxEEEESE_PNS0_10empty_typeENS0_5tupleIJSE_SF_EEENSH_IJSE_SG_EEENS0_18inequality_wrapperINS9_8equal_toIxEEEEPmJSF_EEE10hipError_tPvRmT3_T4_T5_T6_T7_T9_mT8_P12ihipStream_tbDpT10_ENKUlT_T0_E_clISt17integral_constantIbLb0EES18_EEDaS13_S14_EUlS13_E_NS1_11comp_targetILNS1_3genE0ELNS1_11target_archE4294967295ELNS1_3gpuE0ELNS1_3repE0EEENS1_30default_config_static_selectorELNS0_4arch9wavefront6targetE0EEEvT1_: ; @_ZN7rocprim17ROCPRIM_400000_NS6detail17trampoline_kernelINS0_14default_configENS1_25partition_config_selectorILNS1_17partition_subalgoE9ExxbEEZZNS1_14partition_implILS5_9ELb0ES3_jN6thrust23THRUST_200600_302600_NS6detail15normal_iteratorINS9_10device_ptrIxEEEESE_PNS0_10empty_typeENS0_5tupleIJSE_SF_EEENSH_IJSE_SG_EEENS0_18inequality_wrapperINS9_8equal_toIxEEEEPmJSF_EEE10hipError_tPvRmT3_T4_T5_T6_T7_T9_mT8_P12ihipStream_tbDpT10_ENKUlT_T0_E_clISt17integral_constantIbLb0EES18_EEDaS13_S14_EUlS13_E_NS1_11comp_targetILNS1_3genE0ELNS1_11target_archE4294967295ELNS1_3gpuE0ELNS1_3repE0EEENS1_30default_config_static_selectorELNS0_4arch9wavefront6targetE0EEEvT1_
; %bb.0:
	.section	.rodata,"a",@progbits
	.p2align	6, 0x0
	.amdhsa_kernel _ZN7rocprim17ROCPRIM_400000_NS6detail17trampoline_kernelINS0_14default_configENS1_25partition_config_selectorILNS1_17partition_subalgoE9ExxbEEZZNS1_14partition_implILS5_9ELb0ES3_jN6thrust23THRUST_200600_302600_NS6detail15normal_iteratorINS9_10device_ptrIxEEEESE_PNS0_10empty_typeENS0_5tupleIJSE_SF_EEENSH_IJSE_SG_EEENS0_18inequality_wrapperINS9_8equal_toIxEEEEPmJSF_EEE10hipError_tPvRmT3_T4_T5_T6_T7_T9_mT8_P12ihipStream_tbDpT10_ENKUlT_T0_E_clISt17integral_constantIbLb0EES18_EEDaS13_S14_EUlS13_E_NS1_11comp_targetILNS1_3genE0ELNS1_11target_archE4294967295ELNS1_3gpuE0ELNS1_3repE0EEENS1_30default_config_static_selectorELNS0_4arch9wavefront6targetE0EEEvT1_
		.amdhsa_group_segment_fixed_size 0
		.amdhsa_private_segment_fixed_size 0
		.amdhsa_kernarg_size 112
		.amdhsa_user_sgpr_count 15
		.amdhsa_user_sgpr_dispatch_ptr 0
		.amdhsa_user_sgpr_queue_ptr 0
		.amdhsa_user_sgpr_kernarg_segment_ptr 1
		.amdhsa_user_sgpr_dispatch_id 0
		.amdhsa_user_sgpr_private_segment_size 0
		.amdhsa_wavefront_size32 1
		.amdhsa_uses_dynamic_stack 0
		.amdhsa_enable_private_segment 0
		.amdhsa_system_sgpr_workgroup_id_x 1
		.amdhsa_system_sgpr_workgroup_id_y 0
		.amdhsa_system_sgpr_workgroup_id_z 0
		.amdhsa_system_sgpr_workgroup_info 0
		.amdhsa_system_vgpr_workitem_id 0
		.amdhsa_next_free_vgpr 1
		.amdhsa_next_free_sgpr 1
		.amdhsa_reserve_vcc 0
		.amdhsa_float_round_mode_32 0
		.amdhsa_float_round_mode_16_64 0
		.amdhsa_float_denorm_mode_32 3
		.amdhsa_float_denorm_mode_16_64 3
		.amdhsa_dx10_clamp 1
		.amdhsa_ieee_mode 1
		.amdhsa_fp16_overflow 0
		.amdhsa_workgroup_processor_mode 1
		.amdhsa_memory_ordered 1
		.amdhsa_forward_progress 0
		.amdhsa_shared_vgpr_count 0
		.amdhsa_exception_fp_ieee_invalid_op 0
		.amdhsa_exception_fp_denorm_src 0
		.amdhsa_exception_fp_ieee_div_zero 0
		.amdhsa_exception_fp_ieee_overflow 0
		.amdhsa_exception_fp_ieee_underflow 0
		.amdhsa_exception_fp_ieee_inexact 0
		.amdhsa_exception_int_div_zero 0
	.end_amdhsa_kernel
	.section	.text._ZN7rocprim17ROCPRIM_400000_NS6detail17trampoline_kernelINS0_14default_configENS1_25partition_config_selectorILNS1_17partition_subalgoE9ExxbEEZZNS1_14partition_implILS5_9ELb0ES3_jN6thrust23THRUST_200600_302600_NS6detail15normal_iteratorINS9_10device_ptrIxEEEESE_PNS0_10empty_typeENS0_5tupleIJSE_SF_EEENSH_IJSE_SG_EEENS0_18inequality_wrapperINS9_8equal_toIxEEEEPmJSF_EEE10hipError_tPvRmT3_T4_T5_T6_T7_T9_mT8_P12ihipStream_tbDpT10_ENKUlT_T0_E_clISt17integral_constantIbLb0EES18_EEDaS13_S14_EUlS13_E_NS1_11comp_targetILNS1_3genE0ELNS1_11target_archE4294967295ELNS1_3gpuE0ELNS1_3repE0EEENS1_30default_config_static_selectorELNS0_4arch9wavefront6targetE0EEEvT1_,"axG",@progbits,_ZN7rocprim17ROCPRIM_400000_NS6detail17trampoline_kernelINS0_14default_configENS1_25partition_config_selectorILNS1_17partition_subalgoE9ExxbEEZZNS1_14partition_implILS5_9ELb0ES3_jN6thrust23THRUST_200600_302600_NS6detail15normal_iteratorINS9_10device_ptrIxEEEESE_PNS0_10empty_typeENS0_5tupleIJSE_SF_EEENSH_IJSE_SG_EEENS0_18inequality_wrapperINS9_8equal_toIxEEEEPmJSF_EEE10hipError_tPvRmT3_T4_T5_T6_T7_T9_mT8_P12ihipStream_tbDpT10_ENKUlT_T0_E_clISt17integral_constantIbLb0EES18_EEDaS13_S14_EUlS13_E_NS1_11comp_targetILNS1_3genE0ELNS1_11target_archE4294967295ELNS1_3gpuE0ELNS1_3repE0EEENS1_30default_config_static_selectorELNS0_4arch9wavefront6targetE0EEEvT1_,comdat
.Lfunc_end340:
	.size	_ZN7rocprim17ROCPRIM_400000_NS6detail17trampoline_kernelINS0_14default_configENS1_25partition_config_selectorILNS1_17partition_subalgoE9ExxbEEZZNS1_14partition_implILS5_9ELb0ES3_jN6thrust23THRUST_200600_302600_NS6detail15normal_iteratorINS9_10device_ptrIxEEEESE_PNS0_10empty_typeENS0_5tupleIJSE_SF_EEENSH_IJSE_SG_EEENS0_18inequality_wrapperINS9_8equal_toIxEEEEPmJSF_EEE10hipError_tPvRmT3_T4_T5_T6_T7_T9_mT8_P12ihipStream_tbDpT10_ENKUlT_T0_E_clISt17integral_constantIbLb0EES18_EEDaS13_S14_EUlS13_E_NS1_11comp_targetILNS1_3genE0ELNS1_11target_archE4294967295ELNS1_3gpuE0ELNS1_3repE0EEENS1_30default_config_static_selectorELNS0_4arch9wavefront6targetE0EEEvT1_, .Lfunc_end340-_ZN7rocprim17ROCPRIM_400000_NS6detail17trampoline_kernelINS0_14default_configENS1_25partition_config_selectorILNS1_17partition_subalgoE9ExxbEEZZNS1_14partition_implILS5_9ELb0ES3_jN6thrust23THRUST_200600_302600_NS6detail15normal_iteratorINS9_10device_ptrIxEEEESE_PNS0_10empty_typeENS0_5tupleIJSE_SF_EEENSH_IJSE_SG_EEENS0_18inequality_wrapperINS9_8equal_toIxEEEEPmJSF_EEE10hipError_tPvRmT3_T4_T5_T6_T7_T9_mT8_P12ihipStream_tbDpT10_ENKUlT_T0_E_clISt17integral_constantIbLb0EES18_EEDaS13_S14_EUlS13_E_NS1_11comp_targetILNS1_3genE0ELNS1_11target_archE4294967295ELNS1_3gpuE0ELNS1_3repE0EEENS1_30default_config_static_selectorELNS0_4arch9wavefront6targetE0EEEvT1_
                                        ; -- End function
	.section	.AMDGPU.csdata,"",@progbits
; Kernel info:
; codeLenInByte = 0
; NumSgprs: 0
; NumVgprs: 0
; ScratchSize: 0
; MemoryBound: 0
; FloatMode: 240
; IeeeMode: 1
; LDSByteSize: 0 bytes/workgroup (compile time only)
; SGPRBlocks: 0
; VGPRBlocks: 0
; NumSGPRsForWavesPerEU: 1
; NumVGPRsForWavesPerEU: 1
; Occupancy: 16
; WaveLimiterHint : 0
; COMPUTE_PGM_RSRC2:SCRATCH_EN: 0
; COMPUTE_PGM_RSRC2:USER_SGPR: 15
; COMPUTE_PGM_RSRC2:TRAP_HANDLER: 0
; COMPUTE_PGM_RSRC2:TGID_X_EN: 1
; COMPUTE_PGM_RSRC2:TGID_Y_EN: 0
; COMPUTE_PGM_RSRC2:TGID_Z_EN: 0
; COMPUTE_PGM_RSRC2:TIDIG_COMP_CNT: 0
	.section	.text._ZN7rocprim17ROCPRIM_400000_NS6detail17trampoline_kernelINS0_14default_configENS1_25partition_config_selectorILNS1_17partition_subalgoE9ExxbEEZZNS1_14partition_implILS5_9ELb0ES3_jN6thrust23THRUST_200600_302600_NS6detail15normal_iteratorINS9_10device_ptrIxEEEESE_PNS0_10empty_typeENS0_5tupleIJSE_SF_EEENSH_IJSE_SG_EEENS0_18inequality_wrapperINS9_8equal_toIxEEEEPmJSF_EEE10hipError_tPvRmT3_T4_T5_T6_T7_T9_mT8_P12ihipStream_tbDpT10_ENKUlT_T0_E_clISt17integral_constantIbLb0EES18_EEDaS13_S14_EUlS13_E_NS1_11comp_targetILNS1_3genE5ELNS1_11target_archE942ELNS1_3gpuE9ELNS1_3repE0EEENS1_30default_config_static_selectorELNS0_4arch9wavefront6targetE0EEEvT1_,"axG",@progbits,_ZN7rocprim17ROCPRIM_400000_NS6detail17trampoline_kernelINS0_14default_configENS1_25partition_config_selectorILNS1_17partition_subalgoE9ExxbEEZZNS1_14partition_implILS5_9ELb0ES3_jN6thrust23THRUST_200600_302600_NS6detail15normal_iteratorINS9_10device_ptrIxEEEESE_PNS0_10empty_typeENS0_5tupleIJSE_SF_EEENSH_IJSE_SG_EEENS0_18inequality_wrapperINS9_8equal_toIxEEEEPmJSF_EEE10hipError_tPvRmT3_T4_T5_T6_T7_T9_mT8_P12ihipStream_tbDpT10_ENKUlT_T0_E_clISt17integral_constantIbLb0EES18_EEDaS13_S14_EUlS13_E_NS1_11comp_targetILNS1_3genE5ELNS1_11target_archE942ELNS1_3gpuE9ELNS1_3repE0EEENS1_30default_config_static_selectorELNS0_4arch9wavefront6targetE0EEEvT1_,comdat
	.protected	_ZN7rocprim17ROCPRIM_400000_NS6detail17trampoline_kernelINS0_14default_configENS1_25partition_config_selectorILNS1_17partition_subalgoE9ExxbEEZZNS1_14partition_implILS5_9ELb0ES3_jN6thrust23THRUST_200600_302600_NS6detail15normal_iteratorINS9_10device_ptrIxEEEESE_PNS0_10empty_typeENS0_5tupleIJSE_SF_EEENSH_IJSE_SG_EEENS0_18inequality_wrapperINS9_8equal_toIxEEEEPmJSF_EEE10hipError_tPvRmT3_T4_T5_T6_T7_T9_mT8_P12ihipStream_tbDpT10_ENKUlT_T0_E_clISt17integral_constantIbLb0EES18_EEDaS13_S14_EUlS13_E_NS1_11comp_targetILNS1_3genE5ELNS1_11target_archE942ELNS1_3gpuE9ELNS1_3repE0EEENS1_30default_config_static_selectorELNS0_4arch9wavefront6targetE0EEEvT1_ ; -- Begin function _ZN7rocprim17ROCPRIM_400000_NS6detail17trampoline_kernelINS0_14default_configENS1_25partition_config_selectorILNS1_17partition_subalgoE9ExxbEEZZNS1_14partition_implILS5_9ELb0ES3_jN6thrust23THRUST_200600_302600_NS6detail15normal_iteratorINS9_10device_ptrIxEEEESE_PNS0_10empty_typeENS0_5tupleIJSE_SF_EEENSH_IJSE_SG_EEENS0_18inequality_wrapperINS9_8equal_toIxEEEEPmJSF_EEE10hipError_tPvRmT3_T4_T5_T6_T7_T9_mT8_P12ihipStream_tbDpT10_ENKUlT_T0_E_clISt17integral_constantIbLb0EES18_EEDaS13_S14_EUlS13_E_NS1_11comp_targetILNS1_3genE5ELNS1_11target_archE942ELNS1_3gpuE9ELNS1_3repE0EEENS1_30default_config_static_selectorELNS0_4arch9wavefront6targetE0EEEvT1_
	.globl	_ZN7rocprim17ROCPRIM_400000_NS6detail17trampoline_kernelINS0_14default_configENS1_25partition_config_selectorILNS1_17partition_subalgoE9ExxbEEZZNS1_14partition_implILS5_9ELb0ES3_jN6thrust23THRUST_200600_302600_NS6detail15normal_iteratorINS9_10device_ptrIxEEEESE_PNS0_10empty_typeENS0_5tupleIJSE_SF_EEENSH_IJSE_SG_EEENS0_18inequality_wrapperINS9_8equal_toIxEEEEPmJSF_EEE10hipError_tPvRmT3_T4_T5_T6_T7_T9_mT8_P12ihipStream_tbDpT10_ENKUlT_T0_E_clISt17integral_constantIbLb0EES18_EEDaS13_S14_EUlS13_E_NS1_11comp_targetILNS1_3genE5ELNS1_11target_archE942ELNS1_3gpuE9ELNS1_3repE0EEENS1_30default_config_static_selectorELNS0_4arch9wavefront6targetE0EEEvT1_
	.p2align	8
	.type	_ZN7rocprim17ROCPRIM_400000_NS6detail17trampoline_kernelINS0_14default_configENS1_25partition_config_selectorILNS1_17partition_subalgoE9ExxbEEZZNS1_14partition_implILS5_9ELb0ES3_jN6thrust23THRUST_200600_302600_NS6detail15normal_iteratorINS9_10device_ptrIxEEEESE_PNS0_10empty_typeENS0_5tupleIJSE_SF_EEENSH_IJSE_SG_EEENS0_18inequality_wrapperINS9_8equal_toIxEEEEPmJSF_EEE10hipError_tPvRmT3_T4_T5_T6_T7_T9_mT8_P12ihipStream_tbDpT10_ENKUlT_T0_E_clISt17integral_constantIbLb0EES18_EEDaS13_S14_EUlS13_E_NS1_11comp_targetILNS1_3genE5ELNS1_11target_archE942ELNS1_3gpuE9ELNS1_3repE0EEENS1_30default_config_static_selectorELNS0_4arch9wavefront6targetE0EEEvT1_,@function
_ZN7rocprim17ROCPRIM_400000_NS6detail17trampoline_kernelINS0_14default_configENS1_25partition_config_selectorILNS1_17partition_subalgoE9ExxbEEZZNS1_14partition_implILS5_9ELb0ES3_jN6thrust23THRUST_200600_302600_NS6detail15normal_iteratorINS9_10device_ptrIxEEEESE_PNS0_10empty_typeENS0_5tupleIJSE_SF_EEENSH_IJSE_SG_EEENS0_18inequality_wrapperINS9_8equal_toIxEEEEPmJSF_EEE10hipError_tPvRmT3_T4_T5_T6_T7_T9_mT8_P12ihipStream_tbDpT10_ENKUlT_T0_E_clISt17integral_constantIbLb0EES18_EEDaS13_S14_EUlS13_E_NS1_11comp_targetILNS1_3genE5ELNS1_11target_archE942ELNS1_3gpuE9ELNS1_3repE0EEENS1_30default_config_static_selectorELNS0_4arch9wavefront6targetE0EEEvT1_: ; @_ZN7rocprim17ROCPRIM_400000_NS6detail17trampoline_kernelINS0_14default_configENS1_25partition_config_selectorILNS1_17partition_subalgoE9ExxbEEZZNS1_14partition_implILS5_9ELb0ES3_jN6thrust23THRUST_200600_302600_NS6detail15normal_iteratorINS9_10device_ptrIxEEEESE_PNS0_10empty_typeENS0_5tupleIJSE_SF_EEENSH_IJSE_SG_EEENS0_18inequality_wrapperINS9_8equal_toIxEEEEPmJSF_EEE10hipError_tPvRmT3_T4_T5_T6_T7_T9_mT8_P12ihipStream_tbDpT10_ENKUlT_T0_E_clISt17integral_constantIbLb0EES18_EEDaS13_S14_EUlS13_E_NS1_11comp_targetILNS1_3genE5ELNS1_11target_archE942ELNS1_3gpuE9ELNS1_3repE0EEENS1_30default_config_static_selectorELNS0_4arch9wavefront6targetE0EEEvT1_
; %bb.0:
	.section	.rodata,"a",@progbits
	.p2align	6, 0x0
	.amdhsa_kernel _ZN7rocprim17ROCPRIM_400000_NS6detail17trampoline_kernelINS0_14default_configENS1_25partition_config_selectorILNS1_17partition_subalgoE9ExxbEEZZNS1_14partition_implILS5_9ELb0ES3_jN6thrust23THRUST_200600_302600_NS6detail15normal_iteratorINS9_10device_ptrIxEEEESE_PNS0_10empty_typeENS0_5tupleIJSE_SF_EEENSH_IJSE_SG_EEENS0_18inequality_wrapperINS9_8equal_toIxEEEEPmJSF_EEE10hipError_tPvRmT3_T4_T5_T6_T7_T9_mT8_P12ihipStream_tbDpT10_ENKUlT_T0_E_clISt17integral_constantIbLb0EES18_EEDaS13_S14_EUlS13_E_NS1_11comp_targetILNS1_3genE5ELNS1_11target_archE942ELNS1_3gpuE9ELNS1_3repE0EEENS1_30default_config_static_selectorELNS0_4arch9wavefront6targetE0EEEvT1_
		.amdhsa_group_segment_fixed_size 0
		.amdhsa_private_segment_fixed_size 0
		.amdhsa_kernarg_size 112
		.amdhsa_user_sgpr_count 15
		.amdhsa_user_sgpr_dispatch_ptr 0
		.amdhsa_user_sgpr_queue_ptr 0
		.amdhsa_user_sgpr_kernarg_segment_ptr 1
		.amdhsa_user_sgpr_dispatch_id 0
		.amdhsa_user_sgpr_private_segment_size 0
		.amdhsa_wavefront_size32 1
		.amdhsa_uses_dynamic_stack 0
		.amdhsa_enable_private_segment 0
		.amdhsa_system_sgpr_workgroup_id_x 1
		.amdhsa_system_sgpr_workgroup_id_y 0
		.amdhsa_system_sgpr_workgroup_id_z 0
		.amdhsa_system_sgpr_workgroup_info 0
		.amdhsa_system_vgpr_workitem_id 0
		.amdhsa_next_free_vgpr 1
		.amdhsa_next_free_sgpr 1
		.amdhsa_reserve_vcc 0
		.amdhsa_float_round_mode_32 0
		.amdhsa_float_round_mode_16_64 0
		.amdhsa_float_denorm_mode_32 3
		.amdhsa_float_denorm_mode_16_64 3
		.amdhsa_dx10_clamp 1
		.amdhsa_ieee_mode 1
		.amdhsa_fp16_overflow 0
		.amdhsa_workgroup_processor_mode 1
		.amdhsa_memory_ordered 1
		.amdhsa_forward_progress 0
		.amdhsa_shared_vgpr_count 0
		.amdhsa_exception_fp_ieee_invalid_op 0
		.amdhsa_exception_fp_denorm_src 0
		.amdhsa_exception_fp_ieee_div_zero 0
		.amdhsa_exception_fp_ieee_overflow 0
		.amdhsa_exception_fp_ieee_underflow 0
		.amdhsa_exception_fp_ieee_inexact 0
		.amdhsa_exception_int_div_zero 0
	.end_amdhsa_kernel
	.section	.text._ZN7rocprim17ROCPRIM_400000_NS6detail17trampoline_kernelINS0_14default_configENS1_25partition_config_selectorILNS1_17partition_subalgoE9ExxbEEZZNS1_14partition_implILS5_9ELb0ES3_jN6thrust23THRUST_200600_302600_NS6detail15normal_iteratorINS9_10device_ptrIxEEEESE_PNS0_10empty_typeENS0_5tupleIJSE_SF_EEENSH_IJSE_SG_EEENS0_18inequality_wrapperINS9_8equal_toIxEEEEPmJSF_EEE10hipError_tPvRmT3_T4_T5_T6_T7_T9_mT8_P12ihipStream_tbDpT10_ENKUlT_T0_E_clISt17integral_constantIbLb0EES18_EEDaS13_S14_EUlS13_E_NS1_11comp_targetILNS1_3genE5ELNS1_11target_archE942ELNS1_3gpuE9ELNS1_3repE0EEENS1_30default_config_static_selectorELNS0_4arch9wavefront6targetE0EEEvT1_,"axG",@progbits,_ZN7rocprim17ROCPRIM_400000_NS6detail17trampoline_kernelINS0_14default_configENS1_25partition_config_selectorILNS1_17partition_subalgoE9ExxbEEZZNS1_14partition_implILS5_9ELb0ES3_jN6thrust23THRUST_200600_302600_NS6detail15normal_iteratorINS9_10device_ptrIxEEEESE_PNS0_10empty_typeENS0_5tupleIJSE_SF_EEENSH_IJSE_SG_EEENS0_18inequality_wrapperINS9_8equal_toIxEEEEPmJSF_EEE10hipError_tPvRmT3_T4_T5_T6_T7_T9_mT8_P12ihipStream_tbDpT10_ENKUlT_T0_E_clISt17integral_constantIbLb0EES18_EEDaS13_S14_EUlS13_E_NS1_11comp_targetILNS1_3genE5ELNS1_11target_archE942ELNS1_3gpuE9ELNS1_3repE0EEENS1_30default_config_static_selectorELNS0_4arch9wavefront6targetE0EEEvT1_,comdat
.Lfunc_end341:
	.size	_ZN7rocprim17ROCPRIM_400000_NS6detail17trampoline_kernelINS0_14default_configENS1_25partition_config_selectorILNS1_17partition_subalgoE9ExxbEEZZNS1_14partition_implILS5_9ELb0ES3_jN6thrust23THRUST_200600_302600_NS6detail15normal_iteratorINS9_10device_ptrIxEEEESE_PNS0_10empty_typeENS0_5tupleIJSE_SF_EEENSH_IJSE_SG_EEENS0_18inequality_wrapperINS9_8equal_toIxEEEEPmJSF_EEE10hipError_tPvRmT3_T4_T5_T6_T7_T9_mT8_P12ihipStream_tbDpT10_ENKUlT_T0_E_clISt17integral_constantIbLb0EES18_EEDaS13_S14_EUlS13_E_NS1_11comp_targetILNS1_3genE5ELNS1_11target_archE942ELNS1_3gpuE9ELNS1_3repE0EEENS1_30default_config_static_selectorELNS0_4arch9wavefront6targetE0EEEvT1_, .Lfunc_end341-_ZN7rocprim17ROCPRIM_400000_NS6detail17trampoline_kernelINS0_14default_configENS1_25partition_config_selectorILNS1_17partition_subalgoE9ExxbEEZZNS1_14partition_implILS5_9ELb0ES3_jN6thrust23THRUST_200600_302600_NS6detail15normal_iteratorINS9_10device_ptrIxEEEESE_PNS0_10empty_typeENS0_5tupleIJSE_SF_EEENSH_IJSE_SG_EEENS0_18inequality_wrapperINS9_8equal_toIxEEEEPmJSF_EEE10hipError_tPvRmT3_T4_T5_T6_T7_T9_mT8_P12ihipStream_tbDpT10_ENKUlT_T0_E_clISt17integral_constantIbLb0EES18_EEDaS13_S14_EUlS13_E_NS1_11comp_targetILNS1_3genE5ELNS1_11target_archE942ELNS1_3gpuE9ELNS1_3repE0EEENS1_30default_config_static_selectorELNS0_4arch9wavefront6targetE0EEEvT1_
                                        ; -- End function
	.section	.AMDGPU.csdata,"",@progbits
; Kernel info:
; codeLenInByte = 0
; NumSgprs: 0
; NumVgprs: 0
; ScratchSize: 0
; MemoryBound: 0
; FloatMode: 240
; IeeeMode: 1
; LDSByteSize: 0 bytes/workgroup (compile time only)
; SGPRBlocks: 0
; VGPRBlocks: 0
; NumSGPRsForWavesPerEU: 1
; NumVGPRsForWavesPerEU: 1
; Occupancy: 16
; WaveLimiterHint : 0
; COMPUTE_PGM_RSRC2:SCRATCH_EN: 0
; COMPUTE_PGM_RSRC2:USER_SGPR: 15
; COMPUTE_PGM_RSRC2:TRAP_HANDLER: 0
; COMPUTE_PGM_RSRC2:TGID_X_EN: 1
; COMPUTE_PGM_RSRC2:TGID_Y_EN: 0
; COMPUTE_PGM_RSRC2:TGID_Z_EN: 0
; COMPUTE_PGM_RSRC2:TIDIG_COMP_CNT: 0
	.section	.text._ZN7rocprim17ROCPRIM_400000_NS6detail17trampoline_kernelINS0_14default_configENS1_25partition_config_selectorILNS1_17partition_subalgoE9ExxbEEZZNS1_14partition_implILS5_9ELb0ES3_jN6thrust23THRUST_200600_302600_NS6detail15normal_iteratorINS9_10device_ptrIxEEEESE_PNS0_10empty_typeENS0_5tupleIJSE_SF_EEENSH_IJSE_SG_EEENS0_18inequality_wrapperINS9_8equal_toIxEEEEPmJSF_EEE10hipError_tPvRmT3_T4_T5_T6_T7_T9_mT8_P12ihipStream_tbDpT10_ENKUlT_T0_E_clISt17integral_constantIbLb0EES18_EEDaS13_S14_EUlS13_E_NS1_11comp_targetILNS1_3genE4ELNS1_11target_archE910ELNS1_3gpuE8ELNS1_3repE0EEENS1_30default_config_static_selectorELNS0_4arch9wavefront6targetE0EEEvT1_,"axG",@progbits,_ZN7rocprim17ROCPRIM_400000_NS6detail17trampoline_kernelINS0_14default_configENS1_25partition_config_selectorILNS1_17partition_subalgoE9ExxbEEZZNS1_14partition_implILS5_9ELb0ES3_jN6thrust23THRUST_200600_302600_NS6detail15normal_iteratorINS9_10device_ptrIxEEEESE_PNS0_10empty_typeENS0_5tupleIJSE_SF_EEENSH_IJSE_SG_EEENS0_18inequality_wrapperINS9_8equal_toIxEEEEPmJSF_EEE10hipError_tPvRmT3_T4_T5_T6_T7_T9_mT8_P12ihipStream_tbDpT10_ENKUlT_T0_E_clISt17integral_constantIbLb0EES18_EEDaS13_S14_EUlS13_E_NS1_11comp_targetILNS1_3genE4ELNS1_11target_archE910ELNS1_3gpuE8ELNS1_3repE0EEENS1_30default_config_static_selectorELNS0_4arch9wavefront6targetE0EEEvT1_,comdat
	.protected	_ZN7rocprim17ROCPRIM_400000_NS6detail17trampoline_kernelINS0_14default_configENS1_25partition_config_selectorILNS1_17partition_subalgoE9ExxbEEZZNS1_14partition_implILS5_9ELb0ES3_jN6thrust23THRUST_200600_302600_NS6detail15normal_iteratorINS9_10device_ptrIxEEEESE_PNS0_10empty_typeENS0_5tupleIJSE_SF_EEENSH_IJSE_SG_EEENS0_18inequality_wrapperINS9_8equal_toIxEEEEPmJSF_EEE10hipError_tPvRmT3_T4_T5_T6_T7_T9_mT8_P12ihipStream_tbDpT10_ENKUlT_T0_E_clISt17integral_constantIbLb0EES18_EEDaS13_S14_EUlS13_E_NS1_11comp_targetILNS1_3genE4ELNS1_11target_archE910ELNS1_3gpuE8ELNS1_3repE0EEENS1_30default_config_static_selectorELNS0_4arch9wavefront6targetE0EEEvT1_ ; -- Begin function _ZN7rocprim17ROCPRIM_400000_NS6detail17trampoline_kernelINS0_14default_configENS1_25partition_config_selectorILNS1_17partition_subalgoE9ExxbEEZZNS1_14partition_implILS5_9ELb0ES3_jN6thrust23THRUST_200600_302600_NS6detail15normal_iteratorINS9_10device_ptrIxEEEESE_PNS0_10empty_typeENS0_5tupleIJSE_SF_EEENSH_IJSE_SG_EEENS0_18inequality_wrapperINS9_8equal_toIxEEEEPmJSF_EEE10hipError_tPvRmT3_T4_T5_T6_T7_T9_mT8_P12ihipStream_tbDpT10_ENKUlT_T0_E_clISt17integral_constantIbLb0EES18_EEDaS13_S14_EUlS13_E_NS1_11comp_targetILNS1_3genE4ELNS1_11target_archE910ELNS1_3gpuE8ELNS1_3repE0EEENS1_30default_config_static_selectorELNS0_4arch9wavefront6targetE0EEEvT1_
	.globl	_ZN7rocprim17ROCPRIM_400000_NS6detail17trampoline_kernelINS0_14default_configENS1_25partition_config_selectorILNS1_17partition_subalgoE9ExxbEEZZNS1_14partition_implILS5_9ELb0ES3_jN6thrust23THRUST_200600_302600_NS6detail15normal_iteratorINS9_10device_ptrIxEEEESE_PNS0_10empty_typeENS0_5tupleIJSE_SF_EEENSH_IJSE_SG_EEENS0_18inequality_wrapperINS9_8equal_toIxEEEEPmJSF_EEE10hipError_tPvRmT3_T4_T5_T6_T7_T9_mT8_P12ihipStream_tbDpT10_ENKUlT_T0_E_clISt17integral_constantIbLb0EES18_EEDaS13_S14_EUlS13_E_NS1_11comp_targetILNS1_3genE4ELNS1_11target_archE910ELNS1_3gpuE8ELNS1_3repE0EEENS1_30default_config_static_selectorELNS0_4arch9wavefront6targetE0EEEvT1_
	.p2align	8
	.type	_ZN7rocprim17ROCPRIM_400000_NS6detail17trampoline_kernelINS0_14default_configENS1_25partition_config_selectorILNS1_17partition_subalgoE9ExxbEEZZNS1_14partition_implILS5_9ELb0ES3_jN6thrust23THRUST_200600_302600_NS6detail15normal_iteratorINS9_10device_ptrIxEEEESE_PNS0_10empty_typeENS0_5tupleIJSE_SF_EEENSH_IJSE_SG_EEENS0_18inequality_wrapperINS9_8equal_toIxEEEEPmJSF_EEE10hipError_tPvRmT3_T4_T5_T6_T7_T9_mT8_P12ihipStream_tbDpT10_ENKUlT_T0_E_clISt17integral_constantIbLb0EES18_EEDaS13_S14_EUlS13_E_NS1_11comp_targetILNS1_3genE4ELNS1_11target_archE910ELNS1_3gpuE8ELNS1_3repE0EEENS1_30default_config_static_selectorELNS0_4arch9wavefront6targetE0EEEvT1_,@function
_ZN7rocprim17ROCPRIM_400000_NS6detail17trampoline_kernelINS0_14default_configENS1_25partition_config_selectorILNS1_17partition_subalgoE9ExxbEEZZNS1_14partition_implILS5_9ELb0ES3_jN6thrust23THRUST_200600_302600_NS6detail15normal_iteratorINS9_10device_ptrIxEEEESE_PNS0_10empty_typeENS0_5tupleIJSE_SF_EEENSH_IJSE_SG_EEENS0_18inequality_wrapperINS9_8equal_toIxEEEEPmJSF_EEE10hipError_tPvRmT3_T4_T5_T6_T7_T9_mT8_P12ihipStream_tbDpT10_ENKUlT_T0_E_clISt17integral_constantIbLb0EES18_EEDaS13_S14_EUlS13_E_NS1_11comp_targetILNS1_3genE4ELNS1_11target_archE910ELNS1_3gpuE8ELNS1_3repE0EEENS1_30default_config_static_selectorELNS0_4arch9wavefront6targetE0EEEvT1_: ; @_ZN7rocprim17ROCPRIM_400000_NS6detail17trampoline_kernelINS0_14default_configENS1_25partition_config_selectorILNS1_17partition_subalgoE9ExxbEEZZNS1_14partition_implILS5_9ELb0ES3_jN6thrust23THRUST_200600_302600_NS6detail15normal_iteratorINS9_10device_ptrIxEEEESE_PNS0_10empty_typeENS0_5tupleIJSE_SF_EEENSH_IJSE_SG_EEENS0_18inequality_wrapperINS9_8equal_toIxEEEEPmJSF_EEE10hipError_tPvRmT3_T4_T5_T6_T7_T9_mT8_P12ihipStream_tbDpT10_ENKUlT_T0_E_clISt17integral_constantIbLb0EES18_EEDaS13_S14_EUlS13_E_NS1_11comp_targetILNS1_3genE4ELNS1_11target_archE910ELNS1_3gpuE8ELNS1_3repE0EEENS1_30default_config_static_selectorELNS0_4arch9wavefront6targetE0EEEvT1_
; %bb.0:
	.section	.rodata,"a",@progbits
	.p2align	6, 0x0
	.amdhsa_kernel _ZN7rocprim17ROCPRIM_400000_NS6detail17trampoline_kernelINS0_14default_configENS1_25partition_config_selectorILNS1_17partition_subalgoE9ExxbEEZZNS1_14partition_implILS5_9ELb0ES3_jN6thrust23THRUST_200600_302600_NS6detail15normal_iteratorINS9_10device_ptrIxEEEESE_PNS0_10empty_typeENS0_5tupleIJSE_SF_EEENSH_IJSE_SG_EEENS0_18inequality_wrapperINS9_8equal_toIxEEEEPmJSF_EEE10hipError_tPvRmT3_T4_T5_T6_T7_T9_mT8_P12ihipStream_tbDpT10_ENKUlT_T0_E_clISt17integral_constantIbLb0EES18_EEDaS13_S14_EUlS13_E_NS1_11comp_targetILNS1_3genE4ELNS1_11target_archE910ELNS1_3gpuE8ELNS1_3repE0EEENS1_30default_config_static_selectorELNS0_4arch9wavefront6targetE0EEEvT1_
		.amdhsa_group_segment_fixed_size 0
		.amdhsa_private_segment_fixed_size 0
		.amdhsa_kernarg_size 112
		.amdhsa_user_sgpr_count 15
		.amdhsa_user_sgpr_dispatch_ptr 0
		.amdhsa_user_sgpr_queue_ptr 0
		.amdhsa_user_sgpr_kernarg_segment_ptr 1
		.amdhsa_user_sgpr_dispatch_id 0
		.amdhsa_user_sgpr_private_segment_size 0
		.amdhsa_wavefront_size32 1
		.amdhsa_uses_dynamic_stack 0
		.amdhsa_enable_private_segment 0
		.amdhsa_system_sgpr_workgroup_id_x 1
		.amdhsa_system_sgpr_workgroup_id_y 0
		.amdhsa_system_sgpr_workgroup_id_z 0
		.amdhsa_system_sgpr_workgroup_info 0
		.amdhsa_system_vgpr_workitem_id 0
		.amdhsa_next_free_vgpr 1
		.amdhsa_next_free_sgpr 1
		.amdhsa_reserve_vcc 0
		.amdhsa_float_round_mode_32 0
		.amdhsa_float_round_mode_16_64 0
		.amdhsa_float_denorm_mode_32 3
		.amdhsa_float_denorm_mode_16_64 3
		.amdhsa_dx10_clamp 1
		.amdhsa_ieee_mode 1
		.amdhsa_fp16_overflow 0
		.amdhsa_workgroup_processor_mode 1
		.amdhsa_memory_ordered 1
		.amdhsa_forward_progress 0
		.amdhsa_shared_vgpr_count 0
		.amdhsa_exception_fp_ieee_invalid_op 0
		.amdhsa_exception_fp_denorm_src 0
		.amdhsa_exception_fp_ieee_div_zero 0
		.amdhsa_exception_fp_ieee_overflow 0
		.amdhsa_exception_fp_ieee_underflow 0
		.amdhsa_exception_fp_ieee_inexact 0
		.amdhsa_exception_int_div_zero 0
	.end_amdhsa_kernel
	.section	.text._ZN7rocprim17ROCPRIM_400000_NS6detail17trampoline_kernelINS0_14default_configENS1_25partition_config_selectorILNS1_17partition_subalgoE9ExxbEEZZNS1_14partition_implILS5_9ELb0ES3_jN6thrust23THRUST_200600_302600_NS6detail15normal_iteratorINS9_10device_ptrIxEEEESE_PNS0_10empty_typeENS0_5tupleIJSE_SF_EEENSH_IJSE_SG_EEENS0_18inequality_wrapperINS9_8equal_toIxEEEEPmJSF_EEE10hipError_tPvRmT3_T4_T5_T6_T7_T9_mT8_P12ihipStream_tbDpT10_ENKUlT_T0_E_clISt17integral_constantIbLb0EES18_EEDaS13_S14_EUlS13_E_NS1_11comp_targetILNS1_3genE4ELNS1_11target_archE910ELNS1_3gpuE8ELNS1_3repE0EEENS1_30default_config_static_selectorELNS0_4arch9wavefront6targetE0EEEvT1_,"axG",@progbits,_ZN7rocprim17ROCPRIM_400000_NS6detail17trampoline_kernelINS0_14default_configENS1_25partition_config_selectorILNS1_17partition_subalgoE9ExxbEEZZNS1_14partition_implILS5_9ELb0ES3_jN6thrust23THRUST_200600_302600_NS6detail15normal_iteratorINS9_10device_ptrIxEEEESE_PNS0_10empty_typeENS0_5tupleIJSE_SF_EEENSH_IJSE_SG_EEENS0_18inequality_wrapperINS9_8equal_toIxEEEEPmJSF_EEE10hipError_tPvRmT3_T4_T5_T6_T7_T9_mT8_P12ihipStream_tbDpT10_ENKUlT_T0_E_clISt17integral_constantIbLb0EES18_EEDaS13_S14_EUlS13_E_NS1_11comp_targetILNS1_3genE4ELNS1_11target_archE910ELNS1_3gpuE8ELNS1_3repE0EEENS1_30default_config_static_selectorELNS0_4arch9wavefront6targetE0EEEvT1_,comdat
.Lfunc_end342:
	.size	_ZN7rocprim17ROCPRIM_400000_NS6detail17trampoline_kernelINS0_14default_configENS1_25partition_config_selectorILNS1_17partition_subalgoE9ExxbEEZZNS1_14partition_implILS5_9ELb0ES3_jN6thrust23THRUST_200600_302600_NS6detail15normal_iteratorINS9_10device_ptrIxEEEESE_PNS0_10empty_typeENS0_5tupleIJSE_SF_EEENSH_IJSE_SG_EEENS0_18inequality_wrapperINS9_8equal_toIxEEEEPmJSF_EEE10hipError_tPvRmT3_T4_T5_T6_T7_T9_mT8_P12ihipStream_tbDpT10_ENKUlT_T0_E_clISt17integral_constantIbLb0EES18_EEDaS13_S14_EUlS13_E_NS1_11comp_targetILNS1_3genE4ELNS1_11target_archE910ELNS1_3gpuE8ELNS1_3repE0EEENS1_30default_config_static_selectorELNS0_4arch9wavefront6targetE0EEEvT1_, .Lfunc_end342-_ZN7rocprim17ROCPRIM_400000_NS6detail17trampoline_kernelINS0_14default_configENS1_25partition_config_selectorILNS1_17partition_subalgoE9ExxbEEZZNS1_14partition_implILS5_9ELb0ES3_jN6thrust23THRUST_200600_302600_NS6detail15normal_iteratorINS9_10device_ptrIxEEEESE_PNS0_10empty_typeENS0_5tupleIJSE_SF_EEENSH_IJSE_SG_EEENS0_18inequality_wrapperINS9_8equal_toIxEEEEPmJSF_EEE10hipError_tPvRmT3_T4_T5_T6_T7_T9_mT8_P12ihipStream_tbDpT10_ENKUlT_T0_E_clISt17integral_constantIbLb0EES18_EEDaS13_S14_EUlS13_E_NS1_11comp_targetILNS1_3genE4ELNS1_11target_archE910ELNS1_3gpuE8ELNS1_3repE0EEENS1_30default_config_static_selectorELNS0_4arch9wavefront6targetE0EEEvT1_
                                        ; -- End function
	.section	.AMDGPU.csdata,"",@progbits
; Kernel info:
; codeLenInByte = 0
; NumSgprs: 0
; NumVgprs: 0
; ScratchSize: 0
; MemoryBound: 0
; FloatMode: 240
; IeeeMode: 1
; LDSByteSize: 0 bytes/workgroup (compile time only)
; SGPRBlocks: 0
; VGPRBlocks: 0
; NumSGPRsForWavesPerEU: 1
; NumVGPRsForWavesPerEU: 1
; Occupancy: 16
; WaveLimiterHint : 0
; COMPUTE_PGM_RSRC2:SCRATCH_EN: 0
; COMPUTE_PGM_RSRC2:USER_SGPR: 15
; COMPUTE_PGM_RSRC2:TRAP_HANDLER: 0
; COMPUTE_PGM_RSRC2:TGID_X_EN: 1
; COMPUTE_PGM_RSRC2:TGID_Y_EN: 0
; COMPUTE_PGM_RSRC2:TGID_Z_EN: 0
; COMPUTE_PGM_RSRC2:TIDIG_COMP_CNT: 0
	.section	.text._ZN7rocprim17ROCPRIM_400000_NS6detail17trampoline_kernelINS0_14default_configENS1_25partition_config_selectorILNS1_17partition_subalgoE9ExxbEEZZNS1_14partition_implILS5_9ELb0ES3_jN6thrust23THRUST_200600_302600_NS6detail15normal_iteratorINS9_10device_ptrIxEEEESE_PNS0_10empty_typeENS0_5tupleIJSE_SF_EEENSH_IJSE_SG_EEENS0_18inequality_wrapperINS9_8equal_toIxEEEEPmJSF_EEE10hipError_tPvRmT3_T4_T5_T6_T7_T9_mT8_P12ihipStream_tbDpT10_ENKUlT_T0_E_clISt17integral_constantIbLb0EES18_EEDaS13_S14_EUlS13_E_NS1_11comp_targetILNS1_3genE3ELNS1_11target_archE908ELNS1_3gpuE7ELNS1_3repE0EEENS1_30default_config_static_selectorELNS0_4arch9wavefront6targetE0EEEvT1_,"axG",@progbits,_ZN7rocprim17ROCPRIM_400000_NS6detail17trampoline_kernelINS0_14default_configENS1_25partition_config_selectorILNS1_17partition_subalgoE9ExxbEEZZNS1_14partition_implILS5_9ELb0ES3_jN6thrust23THRUST_200600_302600_NS6detail15normal_iteratorINS9_10device_ptrIxEEEESE_PNS0_10empty_typeENS0_5tupleIJSE_SF_EEENSH_IJSE_SG_EEENS0_18inequality_wrapperINS9_8equal_toIxEEEEPmJSF_EEE10hipError_tPvRmT3_T4_T5_T6_T7_T9_mT8_P12ihipStream_tbDpT10_ENKUlT_T0_E_clISt17integral_constantIbLb0EES18_EEDaS13_S14_EUlS13_E_NS1_11comp_targetILNS1_3genE3ELNS1_11target_archE908ELNS1_3gpuE7ELNS1_3repE0EEENS1_30default_config_static_selectorELNS0_4arch9wavefront6targetE0EEEvT1_,comdat
	.protected	_ZN7rocprim17ROCPRIM_400000_NS6detail17trampoline_kernelINS0_14default_configENS1_25partition_config_selectorILNS1_17partition_subalgoE9ExxbEEZZNS1_14partition_implILS5_9ELb0ES3_jN6thrust23THRUST_200600_302600_NS6detail15normal_iteratorINS9_10device_ptrIxEEEESE_PNS0_10empty_typeENS0_5tupleIJSE_SF_EEENSH_IJSE_SG_EEENS0_18inequality_wrapperINS9_8equal_toIxEEEEPmJSF_EEE10hipError_tPvRmT3_T4_T5_T6_T7_T9_mT8_P12ihipStream_tbDpT10_ENKUlT_T0_E_clISt17integral_constantIbLb0EES18_EEDaS13_S14_EUlS13_E_NS1_11comp_targetILNS1_3genE3ELNS1_11target_archE908ELNS1_3gpuE7ELNS1_3repE0EEENS1_30default_config_static_selectorELNS0_4arch9wavefront6targetE0EEEvT1_ ; -- Begin function _ZN7rocprim17ROCPRIM_400000_NS6detail17trampoline_kernelINS0_14default_configENS1_25partition_config_selectorILNS1_17partition_subalgoE9ExxbEEZZNS1_14partition_implILS5_9ELb0ES3_jN6thrust23THRUST_200600_302600_NS6detail15normal_iteratorINS9_10device_ptrIxEEEESE_PNS0_10empty_typeENS0_5tupleIJSE_SF_EEENSH_IJSE_SG_EEENS0_18inequality_wrapperINS9_8equal_toIxEEEEPmJSF_EEE10hipError_tPvRmT3_T4_T5_T6_T7_T9_mT8_P12ihipStream_tbDpT10_ENKUlT_T0_E_clISt17integral_constantIbLb0EES18_EEDaS13_S14_EUlS13_E_NS1_11comp_targetILNS1_3genE3ELNS1_11target_archE908ELNS1_3gpuE7ELNS1_3repE0EEENS1_30default_config_static_selectorELNS0_4arch9wavefront6targetE0EEEvT1_
	.globl	_ZN7rocprim17ROCPRIM_400000_NS6detail17trampoline_kernelINS0_14default_configENS1_25partition_config_selectorILNS1_17partition_subalgoE9ExxbEEZZNS1_14partition_implILS5_9ELb0ES3_jN6thrust23THRUST_200600_302600_NS6detail15normal_iteratorINS9_10device_ptrIxEEEESE_PNS0_10empty_typeENS0_5tupleIJSE_SF_EEENSH_IJSE_SG_EEENS0_18inequality_wrapperINS9_8equal_toIxEEEEPmJSF_EEE10hipError_tPvRmT3_T4_T5_T6_T7_T9_mT8_P12ihipStream_tbDpT10_ENKUlT_T0_E_clISt17integral_constantIbLb0EES18_EEDaS13_S14_EUlS13_E_NS1_11comp_targetILNS1_3genE3ELNS1_11target_archE908ELNS1_3gpuE7ELNS1_3repE0EEENS1_30default_config_static_selectorELNS0_4arch9wavefront6targetE0EEEvT1_
	.p2align	8
	.type	_ZN7rocprim17ROCPRIM_400000_NS6detail17trampoline_kernelINS0_14default_configENS1_25partition_config_selectorILNS1_17partition_subalgoE9ExxbEEZZNS1_14partition_implILS5_9ELb0ES3_jN6thrust23THRUST_200600_302600_NS6detail15normal_iteratorINS9_10device_ptrIxEEEESE_PNS0_10empty_typeENS0_5tupleIJSE_SF_EEENSH_IJSE_SG_EEENS0_18inequality_wrapperINS9_8equal_toIxEEEEPmJSF_EEE10hipError_tPvRmT3_T4_T5_T6_T7_T9_mT8_P12ihipStream_tbDpT10_ENKUlT_T0_E_clISt17integral_constantIbLb0EES18_EEDaS13_S14_EUlS13_E_NS1_11comp_targetILNS1_3genE3ELNS1_11target_archE908ELNS1_3gpuE7ELNS1_3repE0EEENS1_30default_config_static_selectorELNS0_4arch9wavefront6targetE0EEEvT1_,@function
_ZN7rocprim17ROCPRIM_400000_NS6detail17trampoline_kernelINS0_14default_configENS1_25partition_config_selectorILNS1_17partition_subalgoE9ExxbEEZZNS1_14partition_implILS5_9ELb0ES3_jN6thrust23THRUST_200600_302600_NS6detail15normal_iteratorINS9_10device_ptrIxEEEESE_PNS0_10empty_typeENS0_5tupleIJSE_SF_EEENSH_IJSE_SG_EEENS0_18inequality_wrapperINS9_8equal_toIxEEEEPmJSF_EEE10hipError_tPvRmT3_T4_T5_T6_T7_T9_mT8_P12ihipStream_tbDpT10_ENKUlT_T0_E_clISt17integral_constantIbLb0EES18_EEDaS13_S14_EUlS13_E_NS1_11comp_targetILNS1_3genE3ELNS1_11target_archE908ELNS1_3gpuE7ELNS1_3repE0EEENS1_30default_config_static_selectorELNS0_4arch9wavefront6targetE0EEEvT1_: ; @_ZN7rocprim17ROCPRIM_400000_NS6detail17trampoline_kernelINS0_14default_configENS1_25partition_config_selectorILNS1_17partition_subalgoE9ExxbEEZZNS1_14partition_implILS5_9ELb0ES3_jN6thrust23THRUST_200600_302600_NS6detail15normal_iteratorINS9_10device_ptrIxEEEESE_PNS0_10empty_typeENS0_5tupleIJSE_SF_EEENSH_IJSE_SG_EEENS0_18inequality_wrapperINS9_8equal_toIxEEEEPmJSF_EEE10hipError_tPvRmT3_T4_T5_T6_T7_T9_mT8_P12ihipStream_tbDpT10_ENKUlT_T0_E_clISt17integral_constantIbLb0EES18_EEDaS13_S14_EUlS13_E_NS1_11comp_targetILNS1_3genE3ELNS1_11target_archE908ELNS1_3gpuE7ELNS1_3repE0EEENS1_30default_config_static_selectorELNS0_4arch9wavefront6targetE0EEEvT1_
; %bb.0:
	.section	.rodata,"a",@progbits
	.p2align	6, 0x0
	.amdhsa_kernel _ZN7rocprim17ROCPRIM_400000_NS6detail17trampoline_kernelINS0_14default_configENS1_25partition_config_selectorILNS1_17partition_subalgoE9ExxbEEZZNS1_14partition_implILS5_9ELb0ES3_jN6thrust23THRUST_200600_302600_NS6detail15normal_iteratorINS9_10device_ptrIxEEEESE_PNS0_10empty_typeENS0_5tupleIJSE_SF_EEENSH_IJSE_SG_EEENS0_18inequality_wrapperINS9_8equal_toIxEEEEPmJSF_EEE10hipError_tPvRmT3_T4_T5_T6_T7_T9_mT8_P12ihipStream_tbDpT10_ENKUlT_T0_E_clISt17integral_constantIbLb0EES18_EEDaS13_S14_EUlS13_E_NS1_11comp_targetILNS1_3genE3ELNS1_11target_archE908ELNS1_3gpuE7ELNS1_3repE0EEENS1_30default_config_static_selectorELNS0_4arch9wavefront6targetE0EEEvT1_
		.amdhsa_group_segment_fixed_size 0
		.amdhsa_private_segment_fixed_size 0
		.amdhsa_kernarg_size 112
		.amdhsa_user_sgpr_count 15
		.amdhsa_user_sgpr_dispatch_ptr 0
		.amdhsa_user_sgpr_queue_ptr 0
		.amdhsa_user_sgpr_kernarg_segment_ptr 1
		.amdhsa_user_sgpr_dispatch_id 0
		.amdhsa_user_sgpr_private_segment_size 0
		.amdhsa_wavefront_size32 1
		.amdhsa_uses_dynamic_stack 0
		.amdhsa_enable_private_segment 0
		.amdhsa_system_sgpr_workgroup_id_x 1
		.amdhsa_system_sgpr_workgroup_id_y 0
		.amdhsa_system_sgpr_workgroup_id_z 0
		.amdhsa_system_sgpr_workgroup_info 0
		.amdhsa_system_vgpr_workitem_id 0
		.amdhsa_next_free_vgpr 1
		.amdhsa_next_free_sgpr 1
		.amdhsa_reserve_vcc 0
		.amdhsa_float_round_mode_32 0
		.amdhsa_float_round_mode_16_64 0
		.amdhsa_float_denorm_mode_32 3
		.amdhsa_float_denorm_mode_16_64 3
		.amdhsa_dx10_clamp 1
		.amdhsa_ieee_mode 1
		.amdhsa_fp16_overflow 0
		.amdhsa_workgroup_processor_mode 1
		.amdhsa_memory_ordered 1
		.amdhsa_forward_progress 0
		.amdhsa_shared_vgpr_count 0
		.amdhsa_exception_fp_ieee_invalid_op 0
		.amdhsa_exception_fp_denorm_src 0
		.amdhsa_exception_fp_ieee_div_zero 0
		.amdhsa_exception_fp_ieee_overflow 0
		.amdhsa_exception_fp_ieee_underflow 0
		.amdhsa_exception_fp_ieee_inexact 0
		.amdhsa_exception_int_div_zero 0
	.end_amdhsa_kernel
	.section	.text._ZN7rocprim17ROCPRIM_400000_NS6detail17trampoline_kernelINS0_14default_configENS1_25partition_config_selectorILNS1_17partition_subalgoE9ExxbEEZZNS1_14partition_implILS5_9ELb0ES3_jN6thrust23THRUST_200600_302600_NS6detail15normal_iteratorINS9_10device_ptrIxEEEESE_PNS0_10empty_typeENS0_5tupleIJSE_SF_EEENSH_IJSE_SG_EEENS0_18inequality_wrapperINS9_8equal_toIxEEEEPmJSF_EEE10hipError_tPvRmT3_T4_T5_T6_T7_T9_mT8_P12ihipStream_tbDpT10_ENKUlT_T0_E_clISt17integral_constantIbLb0EES18_EEDaS13_S14_EUlS13_E_NS1_11comp_targetILNS1_3genE3ELNS1_11target_archE908ELNS1_3gpuE7ELNS1_3repE0EEENS1_30default_config_static_selectorELNS0_4arch9wavefront6targetE0EEEvT1_,"axG",@progbits,_ZN7rocprim17ROCPRIM_400000_NS6detail17trampoline_kernelINS0_14default_configENS1_25partition_config_selectorILNS1_17partition_subalgoE9ExxbEEZZNS1_14partition_implILS5_9ELb0ES3_jN6thrust23THRUST_200600_302600_NS6detail15normal_iteratorINS9_10device_ptrIxEEEESE_PNS0_10empty_typeENS0_5tupleIJSE_SF_EEENSH_IJSE_SG_EEENS0_18inequality_wrapperINS9_8equal_toIxEEEEPmJSF_EEE10hipError_tPvRmT3_T4_T5_T6_T7_T9_mT8_P12ihipStream_tbDpT10_ENKUlT_T0_E_clISt17integral_constantIbLb0EES18_EEDaS13_S14_EUlS13_E_NS1_11comp_targetILNS1_3genE3ELNS1_11target_archE908ELNS1_3gpuE7ELNS1_3repE0EEENS1_30default_config_static_selectorELNS0_4arch9wavefront6targetE0EEEvT1_,comdat
.Lfunc_end343:
	.size	_ZN7rocprim17ROCPRIM_400000_NS6detail17trampoline_kernelINS0_14default_configENS1_25partition_config_selectorILNS1_17partition_subalgoE9ExxbEEZZNS1_14partition_implILS5_9ELb0ES3_jN6thrust23THRUST_200600_302600_NS6detail15normal_iteratorINS9_10device_ptrIxEEEESE_PNS0_10empty_typeENS0_5tupleIJSE_SF_EEENSH_IJSE_SG_EEENS0_18inequality_wrapperINS9_8equal_toIxEEEEPmJSF_EEE10hipError_tPvRmT3_T4_T5_T6_T7_T9_mT8_P12ihipStream_tbDpT10_ENKUlT_T0_E_clISt17integral_constantIbLb0EES18_EEDaS13_S14_EUlS13_E_NS1_11comp_targetILNS1_3genE3ELNS1_11target_archE908ELNS1_3gpuE7ELNS1_3repE0EEENS1_30default_config_static_selectorELNS0_4arch9wavefront6targetE0EEEvT1_, .Lfunc_end343-_ZN7rocprim17ROCPRIM_400000_NS6detail17trampoline_kernelINS0_14default_configENS1_25partition_config_selectorILNS1_17partition_subalgoE9ExxbEEZZNS1_14partition_implILS5_9ELb0ES3_jN6thrust23THRUST_200600_302600_NS6detail15normal_iteratorINS9_10device_ptrIxEEEESE_PNS0_10empty_typeENS0_5tupleIJSE_SF_EEENSH_IJSE_SG_EEENS0_18inequality_wrapperINS9_8equal_toIxEEEEPmJSF_EEE10hipError_tPvRmT3_T4_T5_T6_T7_T9_mT8_P12ihipStream_tbDpT10_ENKUlT_T0_E_clISt17integral_constantIbLb0EES18_EEDaS13_S14_EUlS13_E_NS1_11comp_targetILNS1_3genE3ELNS1_11target_archE908ELNS1_3gpuE7ELNS1_3repE0EEENS1_30default_config_static_selectorELNS0_4arch9wavefront6targetE0EEEvT1_
                                        ; -- End function
	.section	.AMDGPU.csdata,"",@progbits
; Kernel info:
; codeLenInByte = 0
; NumSgprs: 0
; NumVgprs: 0
; ScratchSize: 0
; MemoryBound: 0
; FloatMode: 240
; IeeeMode: 1
; LDSByteSize: 0 bytes/workgroup (compile time only)
; SGPRBlocks: 0
; VGPRBlocks: 0
; NumSGPRsForWavesPerEU: 1
; NumVGPRsForWavesPerEU: 1
; Occupancy: 16
; WaveLimiterHint : 0
; COMPUTE_PGM_RSRC2:SCRATCH_EN: 0
; COMPUTE_PGM_RSRC2:USER_SGPR: 15
; COMPUTE_PGM_RSRC2:TRAP_HANDLER: 0
; COMPUTE_PGM_RSRC2:TGID_X_EN: 1
; COMPUTE_PGM_RSRC2:TGID_Y_EN: 0
; COMPUTE_PGM_RSRC2:TGID_Z_EN: 0
; COMPUTE_PGM_RSRC2:TIDIG_COMP_CNT: 0
	.section	.text._ZN7rocprim17ROCPRIM_400000_NS6detail17trampoline_kernelINS0_14default_configENS1_25partition_config_selectorILNS1_17partition_subalgoE9ExxbEEZZNS1_14partition_implILS5_9ELb0ES3_jN6thrust23THRUST_200600_302600_NS6detail15normal_iteratorINS9_10device_ptrIxEEEESE_PNS0_10empty_typeENS0_5tupleIJSE_SF_EEENSH_IJSE_SG_EEENS0_18inequality_wrapperINS9_8equal_toIxEEEEPmJSF_EEE10hipError_tPvRmT3_T4_T5_T6_T7_T9_mT8_P12ihipStream_tbDpT10_ENKUlT_T0_E_clISt17integral_constantIbLb0EES18_EEDaS13_S14_EUlS13_E_NS1_11comp_targetILNS1_3genE2ELNS1_11target_archE906ELNS1_3gpuE6ELNS1_3repE0EEENS1_30default_config_static_selectorELNS0_4arch9wavefront6targetE0EEEvT1_,"axG",@progbits,_ZN7rocprim17ROCPRIM_400000_NS6detail17trampoline_kernelINS0_14default_configENS1_25partition_config_selectorILNS1_17partition_subalgoE9ExxbEEZZNS1_14partition_implILS5_9ELb0ES3_jN6thrust23THRUST_200600_302600_NS6detail15normal_iteratorINS9_10device_ptrIxEEEESE_PNS0_10empty_typeENS0_5tupleIJSE_SF_EEENSH_IJSE_SG_EEENS0_18inequality_wrapperINS9_8equal_toIxEEEEPmJSF_EEE10hipError_tPvRmT3_T4_T5_T6_T7_T9_mT8_P12ihipStream_tbDpT10_ENKUlT_T0_E_clISt17integral_constantIbLb0EES18_EEDaS13_S14_EUlS13_E_NS1_11comp_targetILNS1_3genE2ELNS1_11target_archE906ELNS1_3gpuE6ELNS1_3repE0EEENS1_30default_config_static_selectorELNS0_4arch9wavefront6targetE0EEEvT1_,comdat
	.protected	_ZN7rocprim17ROCPRIM_400000_NS6detail17trampoline_kernelINS0_14default_configENS1_25partition_config_selectorILNS1_17partition_subalgoE9ExxbEEZZNS1_14partition_implILS5_9ELb0ES3_jN6thrust23THRUST_200600_302600_NS6detail15normal_iteratorINS9_10device_ptrIxEEEESE_PNS0_10empty_typeENS0_5tupleIJSE_SF_EEENSH_IJSE_SG_EEENS0_18inequality_wrapperINS9_8equal_toIxEEEEPmJSF_EEE10hipError_tPvRmT3_T4_T5_T6_T7_T9_mT8_P12ihipStream_tbDpT10_ENKUlT_T0_E_clISt17integral_constantIbLb0EES18_EEDaS13_S14_EUlS13_E_NS1_11comp_targetILNS1_3genE2ELNS1_11target_archE906ELNS1_3gpuE6ELNS1_3repE0EEENS1_30default_config_static_selectorELNS0_4arch9wavefront6targetE0EEEvT1_ ; -- Begin function _ZN7rocprim17ROCPRIM_400000_NS6detail17trampoline_kernelINS0_14default_configENS1_25partition_config_selectorILNS1_17partition_subalgoE9ExxbEEZZNS1_14partition_implILS5_9ELb0ES3_jN6thrust23THRUST_200600_302600_NS6detail15normal_iteratorINS9_10device_ptrIxEEEESE_PNS0_10empty_typeENS0_5tupleIJSE_SF_EEENSH_IJSE_SG_EEENS0_18inequality_wrapperINS9_8equal_toIxEEEEPmJSF_EEE10hipError_tPvRmT3_T4_T5_T6_T7_T9_mT8_P12ihipStream_tbDpT10_ENKUlT_T0_E_clISt17integral_constantIbLb0EES18_EEDaS13_S14_EUlS13_E_NS1_11comp_targetILNS1_3genE2ELNS1_11target_archE906ELNS1_3gpuE6ELNS1_3repE0EEENS1_30default_config_static_selectorELNS0_4arch9wavefront6targetE0EEEvT1_
	.globl	_ZN7rocprim17ROCPRIM_400000_NS6detail17trampoline_kernelINS0_14default_configENS1_25partition_config_selectorILNS1_17partition_subalgoE9ExxbEEZZNS1_14partition_implILS5_9ELb0ES3_jN6thrust23THRUST_200600_302600_NS6detail15normal_iteratorINS9_10device_ptrIxEEEESE_PNS0_10empty_typeENS0_5tupleIJSE_SF_EEENSH_IJSE_SG_EEENS0_18inequality_wrapperINS9_8equal_toIxEEEEPmJSF_EEE10hipError_tPvRmT3_T4_T5_T6_T7_T9_mT8_P12ihipStream_tbDpT10_ENKUlT_T0_E_clISt17integral_constantIbLb0EES18_EEDaS13_S14_EUlS13_E_NS1_11comp_targetILNS1_3genE2ELNS1_11target_archE906ELNS1_3gpuE6ELNS1_3repE0EEENS1_30default_config_static_selectorELNS0_4arch9wavefront6targetE0EEEvT1_
	.p2align	8
	.type	_ZN7rocprim17ROCPRIM_400000_NS6detail17trampoline_kernelINS0_14default_configENS1_25partition_config_selectorILNS1_17partition_subalgoE9ExxbEEZZNS1_14partition_implILS5_9ELb0ES3_jN6thrust23THRUST_200600_302600_NS6detail15normal_iteratorINS9_10device_ptrIxEEEESE_PNS0_10empty_typeENS0_5tupleIJSE_SF_EEENSH_IJSE_SG_EEENS0_18inequality_wrapperINS9_8equal_toIxEEEEPmJSF_EEE10hipError_tPvRmT3_T4_T5_T6_T7_T9_mT8_P12ihipStream_tbDpT10_ENKUlT_T0_E_clISt17integral_constantIbLb0EES18_EEDaS13_S14_EUlS13_E_NS1_11comp_targetILNS1_3genE2ELNS1_11target_archE906ELNS1_3gpuE6ELNS1_3repE0EEENS1_30default_config_static_selectorELNS0_4arch9wavefront6targetE0EEEvT1_,@function
_ZN7rocprim17ROCPRIM_400000_NS6detail17trampoline_kernelINS0_14default_configENS1_25partition_config_selectorILNS1_17partition_subalgoE9ExxbEEZZNS1_14partition_implILS5_9ELb0ES3_jN6thrust23THRUST_200600_302600_NS6detail15normal_iteratorINS9_10device_ptrIxEEEESE_PNS0_10empty_typeENS0_5tupleIJSE_SF_EEENSH_IJSE_SG_EEENS0_18inequality_wrapperINS9_8equal_toIxEEEEPmJSF_EEE10hipError_tPvRmT3_T4_T5_T6_T7_T9_mT8_P12ihipStream_tbDpT10_ENKUlT_T0_E_clISt17integral_constantIbLb0EES18_EEDaS13_S14_EUlS13_E_NS1_11comp_targetILNS1_3genE2ELNS1_11target_archE906ELNS1_3gpuE6ELNS1_3repE0EEENS1_30default_config_static_selectorELNS0_4arch9wavefront6targetE0EEEvT1_: ; @_ZN7rocprim17ROCPRIM_400000_NS6detail17trampoline_kernelINS0_14default_configENS1_25partition_config_selectorILNS1_17partition_subalgoE9ExxbEEZZNS1_14partition_implILS5_9ELb0ES3_jN6thrust23THRUST_200600_302600_NS6detail15normal_iteratorINS9_10device_ptrIxEEEESE_PNS0_10empty_typeENS0_5tupleIJSE_SF_EEENSH_IJSE_SG_EEENS0_18inequality_wrapperINS9_8equal_toIxEEEEPmJSF_EEE10hipError_tPvRmT3_T4_T5_T6_T7_T9_mT8_P12ihipStream_tbDpT10_ENKUlT_T0_E_clISt17integral_constantIbLb0EES18_EEDaS13_S14_EUlS13_E_NS1_11comp_targetILNS1_3genE2ELNS1_11target_archE906ELNS1_3gpuE6ELNS1_3repE0EEENS1_30default_config_static_selectorELNS0_4arch9wavefront6targetE0EEEvT1_
; %bb.0:
	.section	.rodata,"a",@progbits
	.p2align	6, 0x0
	.amdhsa_kernel _ZN7rocprim17ROCPRIM_400000_NS6detail17trampoline_kernelINS0_14default_configENS1_25partition_config_selectorILNS1_17partition_subalgoE9ExxbEEZZNS1_14partition_implILS5_9ELb0ES3_jN6thrust23THRUST_200600_302600_NS6detail15normal_iteratorINS9_10device_ptrIxEEEESE_PNS0_10empty_typeENS0_5tupleIJSE_SF_EEENSH_IJSE_SG_EEENS0_18inequality_wrapperINS9_8equal_toIxEEEEPmJSF_EEE10hipError_tPvRmT3_T4_T5_T6_T7_T9_mT8_P12ihipStream_tbDpT10_ENKUlT_T0_E_clISt17integral_constantIbLb0EES18_EEDaS13_S14_EUlS13_E_NS1_11comp_targetILNS1_3genE2ELNS1_11target_archE906ELNS1_3gpuE6ELNS1_3repE0EEENS1_30default_config_static_selectorELNS0_4arch9wavefront6targetE0EEEvT1_
		.amdhsa_group_segment_fixed_size 0
		.amdhsa_private_segment_fixed_size 0
		.amdhsa_kernarg_size 112
		.amdhsa_user_sgpr_count 15
		.amdhsa_user_sgpr_dispatch_ptr 0
		.amdhsa_user_sgpr_queue_ptr 0
		.amdhsa_user_sgpr_kernarg_segment_ptr 1
		.amdhsa_user_sgpr_dispatch_id 0
		.amdhsa_user_sgpr_private_segment_size 0
		.amdhsa_wavefront_size32 1
		.amdhsa_uses_dynamic_stack 0
		.amdhsa_enable_private_segment 0
		.amdhsa_system_sgpr_workgroup_id_x 1
		.amdhsa_system_sgpr_workgroup_id_y 0
		.amdhsa_system_sgpr_workgroup_id_z 0
		.amdhsa_system_sgpr_workgroup_info 0
		.amdhsa_system_vgpr_workitem_id 0
		.amdhsa_next_free_vgpr 1
		.amdhsa_next_free_sgpr 1
		.amdhsa_reserve_vcc 0
		.amdhsa_float_round_mode_32 0
		.amdhsa_float_round_mode_16_64 0
		.amdhsa_float_denorm_mode_32 3
		.amdhsa_float_denorm_mode_16_64 3
		.amdhsa_dx10_clamp 1
		.amdhsa_ieee_mode 1
		.amdhsa_fp16_overflow 0
		.amdhsa_workgroup_processor_mode 1
		.amdhsa_memory_ordered 1
		.amdhsa_forward_progress 0
		.amdhsa_shared_vgpr_count 0
		.amdhsa_exception_fp_ieee_invalid_op 0
		.amdhsa_exception_fp_denorm_src 0
		.amdhsa_exception_fp_ieee_div_zero 0
		.amdhsa_exception_fp_ieee_overflow 0
		.amdhsa_exception_fp_ieee_underflow 0
		.amdhsa_exception_fp_ieee_inexact 0
		.amdhsa_exception_int_div_zero 0
	.end_amdhsa_kernel
	.section	.text._ZN7rocprim17ROCPRIM_400000_NS6detail17trampoline_kernelINS0_14default_configENS1_25partition_config_selectorILNS1_17partition_subalgoE9ExxbEEZZNS1_14partition_implILS5_9ELb0ES3_jN6thrust23THRUST_200600_302600_NS6detail15normal_iteratorINS9_10device_ptrIxEEEESE_PNS0_10empty_typeENS0_5tupleIJSE_SF_EEENSH_IJSE_SG_EEENS0_18inequality_wrapperINS9_8equal_toIxEEEEPmJSF_EEE10hipError_tPvRmT3_T4_T5_T6_T7_T9_mT8_P12ihipStream_tbDpT10_ENKUlT_T0_E_clISt17integral_constantIbLb0EES18_EEDaS13_S14_EUlS13_E_NS1_11comp_targetILNS1_3genE2ELNS1_11target_archE906ELNS1_3gpuE6ELNS1_3repE0EEENS1_30default_config_static_selectorELNS0_4arch9wavefront6targetE0EEEvT1_,"axG",@progbits,_ZN7rocprim17ROCPRIM_400000_NS6detail17trampoline_kernelINS0_14default_configENS1_25partition_config_selectorILNS1_17partition_subalgoE9ExxbEEZZNS1_14partition_implILS5_9ELb0ES3_jN6thrust23THRUST_200600_302600_NS6detail15normal_iteratorINS9_10device_ptrIxEEEESE_PNS0_10empty_typeENS0_5tupleIJSE_SF_EEENSH_IJSE_SG_EEENS0_18inequality_wrapperINS9_8equal_toIxEEEEPmJSF_EEE10hipError_tPvRmT3_T4_T5_T6_T7_T9_mT8_P12ihipStream_tbDpT10_ENKUlT_T0_E_clISt17integral_constantIbLb0EES18_EEDaS13_S14_EUlS13_E_NS1_11comp_targetILNS1_3genE2ELNS1_11target_archE906ELNS1_3gpuE6ELNS1_3repE0EEENS1_30default_config_static_selectorELNS0_4arch9wavefront6targetE0EEEvT1_,comdat
.Lfunc_end344:
	.size	_ZN7rocprim17ROCPRIM_400000_NS6detail17trampoline_kernelINS0_14default_configENS1_25partition_config_selectorILNS1_17partition_subalgoE9ExxbEEZZNS1_14partition_implILS5_9ELb0ES3_jN6thrust23THRUST_200600_302600_NS6detail15normal_iteratorINS9_10device_ptrIxEEEESE_PNS0_10empty_typeENS0_5tupleIJSE_SF_EEENSH_IJSE_SG_EEENS0_18inequality_wrapperINS9_8equal_toIxEEEEPmJSF_EEE10hipError_tPvRmT3_T4_T5_T6_T7_T9_mT8_P12ihipStream_tbDpT10_ENKUlT_T0_E_clISt17integral_constantIbLb0EES18_EEDaS13_S14_EUlS13_E_NS1_11comp_targetILNS1_3genE2ELNS1_11target_archE906ELNS1_3gpuE6ELNS1_3repE0EEENS1_30default_config_static_selectorELNS0_4arch9wavefront6targetE0EEEvT1_, .Lfunc_end344-_ZN7rocprim17ROCPRIM_400000_NS6detail17trampoline_kernelINS0_14default_configENS1_25partition_config_selectorILNS1_17partition_subalgoE9ExxbEEZZNS1_14partition_implILS5_9ELb0ES3_jN6thrust23THRUST_200600_302600_NS6detail15normal_iteratorINS9_10device_ptrIxEEEESE_PNS0_10empty_typeENS0_5tupleIJSE_SF_EEENSH_IJSE_SG_EEENS0_18inequality_wrapperINS9_8equal_toIxEEEEPmJSF_EEE10hipError_tPvRmT3_T4_T5_T6_T7_T9_mT8_P12ihipStream_tbDpT10_ENKUlT_T0_E_clISt17integral_constantIbLb0EES18_EEDaS13_S14_EUlS13_E_NS1_11comp_targetILNS1_3genE2ELNS1_11target_archE906ELNS1_3gpuE6ELNS1_3repE0EEENS1_30default_config_static_selectorELNS0_4arch9wavefront6targetE0EEEvT1_
                                        ; -- End function
	.section	.AMDGPU.csdata,"",@progbits
; Kernel info:
; codeLenInByte = 0
; NumSgprs: 0
; NumVgprs: 0
; ScratchSize: 0
; MemoryBound: 0
; FloatMode: 240
; IeeeMode: 1
; LDSByteSize: 0 bytes/workgroup (compile time only)
; SGPRBlocks: 0
; VGPRBlocks: 0
; NumSGPRsForWavesPerEU: 1
; NumVGPRsForWavesPerEU: 1
; Occupancy: 15
; WaveLimiterHint : 0
; COMPUTE_PGM_RSRC2:SCRATCH_EN: 0
; COMPUTE_PGM_RSRC2:USER_SGPR: 15
; COMPUTE_PGM_RSRC2:TRAP_HANDLER: 0
; COMPUTE_PGM_RSRC2:TGID_X_EN: 1
; COMPUTE_PGM_RSRC2:TGID_Y_EN: 0
; COMPUTE_PGM_RSRC2:TGID_Z_EN: 0
; COMPUTE_PGM_RSRC2:TIDIG_COMP_CNT: 0
	.section	.text._ZN7rocprim17ROCPRIM_400000_NS6detail17trampoline_kernelINS0_14default_configENS1_25partition_config_selectorILNS1_17partition_subalgoE9ExxbEEZZNS1_14partition_implILS5_9ELb0ES3_jN6thrust23THRUST_200600_302600_NS6detail15normal_iteratorINS9_10device_ptrIxEEEESE_PNS0_10empty_typeENS0_5tupleIJSE_SF_EEENSH_IJSE_SG_EEENS0_18inequality_wrapperINS9_8equal_toIxEEEEPmJSF_EEE10hipError_tPvRmT3_T4_T5_T6_T7_T9_mT8_P12ihipStream_tbDpT10_ENKUlT_T0_E_clISt17integral_constantIbLb0EES18_EEDaS13_S14_EUlS13_E_NS1_11comp_targetILNS1_3genE10ELNS1_11target_archE1200ELNS1_3gpuE4ELNS1_3repE0EEENS1_30default_config_static_selectorELNS0_4arch9wavefront6targetE0EEEvT1_,"axG",@progbits,_ZN7rocprim17ROCPRIM_400000_NS6detail17trampoline_kernelINS0_14default_configENS1_25partition_config_selectorILNS1_17partition_subalgoE9ExxbEEZZNS1_14partition_implILS5_9ELb0ES3_jN6thrust23THRUST_200600_302600_NS6detail15normal_iteratorINS9_10device_ptrIxEEEESE_PNS0_10empty_typeENS0_5tupleIJSE_SF_EEENSH_IJSE_SG_EEENS0_18inequality_wrapperINS9_8equal_toIxEEEEPmJSF_EEE10hipError_tPvRmT3_T4_T5_T6_T7_T9_mT8_P12ihipStream_tbDpT10_ENKUlT_T0_E_clISt17integral_constantIbLb0EES18_EEDaS13_S14_EUlS13_E_NS1_11comp_targetILNS1_3genE10ELNS1_11target_archE1200ELNS1_3gpuE4ELNS1_3repE0EEENS1_30default_config_static_selectorELNS0_4arch9wavefront6targetE0EEEvT1_,comdat
	.protected	_ZN7rocprim17ROCPRIM_400000_NS6detail17trampoline_kernelINS0_14default_configENS1_25partition_config_selectorILNS1_17partition_subalgoE9ExxbEEZZNS1_14partition_implILS5_9ELb0ES3_jN6thrust23THRUST_200600_302600_NS6detail15normal_iteratorINS9_10device_ptrIxEEEESE_PNS0_10empty_typeENS0_5tupleIJSE_SF_EEENSH_IJSE_SG_EEENS0_18inequality_wrapperINS9_8equal_toIxEEEEPmJSF_EEE10hipError_tPvRmT3_T4_T5_T6_T7_T9_mT8_P12ihipStream_tbDpT10_ENKUlT_T0_E_clISt17integral_constantIbLb0EES18_EEDaS13_S14_EUlS13_E_NS1_11comp_targetILNS1_3genE10ELNS1_11target_archE1200ELNS1_3gpuE4ELNS1_3repE0EEENS1_30default_config_static_selectorELNS0_4arch9wavefront6targetE0EEEvT1_ ; -- Begin function _ZN7rocprim17ROCPRIM_400000_NS6detail17trampoline_kernelINS0_14default_configENS1_25partition_config_selectorILNS1_17partition_subalgoE9ExxbEEZZNS1_14partition_implILS5_9ELb0ES3_jN6thrust23THRUST_200600_302600_NS6detail15normal_iteratorINS9_10device_ptrIxEEEESE_PNS0_10empty_typeENS0_5tupleIJSE_SF_EEENSH_IJSE_SG_EEENS0_18inequality_wrapperINS9_8equal_toIxEEEEPmJSF_EEE10hipError_tPvRmT3_T4_T5_T6_T7_T9_mT8_P12ihipStream_tbDpT10_ENKUlT_T0_E_clISt17integral_constantIbLb0EES18_EEDaS13_S14_EUlS13_E_NS1_11comp_targetILNS1_3genE10ELNS1_11target_archE1200ELNS1_3gpuE4ELNS1_3repE0EEENS1_30default_config_static_selectorELNS0_4arch9wavefront6targetE0EEEvT1_
	.globl	_ZN7rocprim17ROCPRIM_400000_NS6detail17trampoline_kernelINS0_14default_configENS1_25partition_config_selectorILNS1_17partition_subalgoE9ExxbEEZZNS1_14partition_implILS5_9ELb0ES3_jN6thrust23THRUST_200600_302600_NS6detail15normal_iteratorINS9_10device_ptrIxEEEESE_PNS0_10empty_typeENS0_5tupleIJSE_SF_EEENSH_IJSE_SG_EEENS0_18inequality_wrapperINS9_8equal_toIxEEEEPmJSF_EEE10hipError_tPvRmT3_T4_T5_T6_T7_T9_mT8_P12ihipStream_tbDpT10_ENKUlT_T0_E_clISt17integral_constantIbLb0EES18_EEDaS13_S14_EUlS13_E_NS1_11comp_targetILNS1_3genE10ELNS1_11target_archE1200ELNS1_3gpuE4ELNS1_3repE0EEENS1_30default_config_static_selectorELNS0_4arch9wavefront6targetE0EEEvT1_
	.p2align	8
	.type	_ZN7rocprim17ROCPRIM_400000_NS6detail17trampoline_kernelINS0_14default_configENS1_25partition_config_selectorILNS1_17partition_subalgoE9ExxbEEZZNS1_14partition_implILS5_9ELb0ES3_jN6thrust23THRUST_200600_302600_NS6detail15normal_iteratorINS9_10device_ptrIxEEEESE_PNS0_10empty_typeENS0_5tupleIJSE_SF_EEENSH_IJSE_SG_EEENS0_18inequality_wrapperINS9_8equal_toIxEEEEPmJSF_EEE10hipError_tPvRmT3_T4_T5_T6_T7_T9_mT8_P12ihipStream_tbDpT10_ENKUlT_T0_E_clISt17integral_constantIbLb0EES18_EEDaS13_S14_EUlS13_E_NS1_11comp_targetILNS1_3genE10ELNS1_11target_archE1200ELNS1_3gpuE4ELNS1_3repE0EEENS1_30default_config_static_selectorELNS0_4arch9wavefront6targetE0EEEvT1_,@function
_ZN7rocprim17ROCPRIM_400000_NS6detail17trampoline_kernelINS0_14default_configENS1_25partition_config_selectorILNS1_17partition_subalgoE9ExxbEEZZNS1_14partition_implILS5_9ELb0ES3_jN6thrust23THRUST_200600_302600_NS6detail15normal_iteratorINS9_10device_ptrIxEEEESE_PNS0_10empty_typeENS0_5tupleIJSE_SF_EEENSH_IJSE_SG_EEENS0_18inequality_wrapperINS9_8equal_toIxEEEEPmJSF_EEE10hipError_tPvRmT3_T4_T5_T6_T7_T9_mT8_P12ihipStream_tbDpT10_ENKUlT_T0_E_clISt17integral_constantIbLb0EES18_EEDaS13_S14_EUlS13_E_NS1_11comp_targetILNS1_3genE10ELNS1_11target_archE1200ELNS1_3gpuE4ELNS1_3repE0EEENS1_30default_config_static_selectorELNS0_4arch9wavefront6targetE0EEEvT1_: ; @_ZN7rocprim17ROCPRIM_400000_NS6detail17trampoline_kernelINS0_14default_configENS1_25partition_config_selectorILNS1_17partition_subalgoE9ExxbEEZZNS1_14partition_implILS5_9ELb0ES3_jN6thrust23THRUST_200600_302600_NS6detail15normal_iteratorINS9_10device_ptrIxEEEESE_PNS0_10empty_typeENS0_5tupleIJSE_SF_EEENSH_IJSE_SG_EEENS0_18inequality_wrapperINS9_8equal_toIxEEEEPmJSF_EEE10hipError_tPvRmT3_T4_T5_T6_T7_T9_mT8_P12ihipStream_tbDpT10_ENKUlT_T0_E_clISt17integral_constantIbLb0EES18_EEDaS13_S14_EUlS13_E_NS1_11comp_targetILNS1_3genE10ELNS1_11target_archE1200ELNS1_3gpuE4ELNS1_3repE0EEENS1_30default_config_static_selectorELNS0_4arch9wavefront6targetE0EEEvT1_
; %bb.0:
	.section	.rodata,"a",@progbits
	.p2align	6, 0x0
	.amdhsa_kernel _ZN7rocprim17ROCPRIM_400000_NS6detail17trampoline_kernelINS0_14default_configENS1_25partition_config_selectorILNS1_17partition_subalgoE9ExxbEEZZNS1_14partition_implILS5_9ELb0ES3_jN6thrust23THRUST_200600_302600_NS6detail15normal_iteratorINS9_10device_ptrIxEEEESE_PNS0_10empty_typeENS0_5tupleIJSE_SF_EEENSH_IJSE_SG_EEENS0_18inequality_wrapperINS9_8equal_toIxEEEEPmJSF_EEE10hipError_tPvRmT3_T4_T5_T6_T7_T9_mT8_P12ihipStream_tbDpT10_ENKUlT_T0_E_clISt17integral_constantIbLb0EES18_EEDaS13_S14_EUlS13_E_NS1_11comp_targetILNS1_3genE10ELNS1_11target_archE1200ELNS1_3gpuE4ELNS1_3repE0EEENS1_30default_config_static_selectorELNS0_4arch9wavefront6targetE0EEEvT1_
		.amdhsa_group_segment_fixed_size 0
		.amdhsa_private_segment_fixed_size 0
		.amdhsa_kernarg_size 112
		.amdhsa_user_sgpr_count 15
		.amdhsa_user_sgpr_dispatch_ptr 0
		.amdhsa_user_sgpr_queue_ptr 0
		.amdhsa_user_sgpr_kernarg_segment_ptr 1
		.amdhsa_user_sgpr_dispatch_id 0
		.amdhsa_user_sgpr_private_segment_size 0
		.amdhsa_wavefront_size32 1
		.amdhsa_uses_dynamic_stack 0
		.amdhsa_enable_private_segment 0
		.amdhsa_system_sgpr_workgroup_id_x 1
		.amdhsa_system_sgpr_workgroup_id_y 0
		.amdhsa_system_sgpr_workgroup_id_z 0
		.amdhsa_system_sgpr_workgroup_info 0
		.amdhsa_system_vgpr_workitem_id 0
		.amdhsa_next_free_vgpr 1
		.amdhsa_next_free_sgpr 1
		.amdhsa_reserve_vcc 0
		.amdhsa_float_round_mode_32 0
		.amdhsa_float_round_mode_16_64 0
		.amdhsa_float_denorm_mode_32 3
		.amdhsa_float_denorm_mode_16_64 3
		.amdhsa_dx10_clamp 1
		.amdhsa_ieee_mode 1
		.amdhsa_fp16_overflow 0
		.amdhsa_workgroup_processor_mode 1
		.amdhsa_memory_ordered 1
		.amdhsa_forward_progress 0
		.amdhsa_shared_vgpr_count 0
		.amdhsa_exception_fp_ieee_invalid_op 0
		.amdhsa_exception_fp_denorm_src 0
		.amdhsa_exception_fp_ieee_div_zero 0
		.amdhsa_exception_fp_ieee_overflow 0
		.amdhsa_exception_fp_ieee_underflow 0
		.amdhsa_exception_fp_ieee_inexact 0
		.amdhsa_exception_int_div_zero 0
	.end_amdhsa_kernel
	.section	.text._ZN7rocprim17ROCPRIM_400000_NS6detail17trampoline_kernelINS0_14default_configENS1_25partition_config_selectorILNS1_17partition_subalgoE9ExxbEEZZNS1_14partition_implILS5_9ELb0ES3_jN6thrust23THRUST_200600_302600_NS6detail15normal_iteratorINS9_10device_ptrIxEEEESE_PNS0_10empty_typeENS0_5tupleIJSE_SF_EEENSH_IJSE_SG_EEENS0_18inequality_wrapperINS9_8equal_toIxEEEEPmJSF_EEE10hipError_tPvRmT3_T4_T5_T6_T7_T9_mT8_P12ihipStream_tbDpT10_ENKUlT_T0_E_clISt17integral_constantIbLb0EES18_EEDaS13_S14_EUlS13_E_NS1_11comp_targetILNS1_3genE10ELNS1_11target_archE1200ELNS1_3gpuE4ELNS1_3repE0EEENS1_30default_config_static_selectorELNS0_4arch9wavefront6targetE0EEEvT1_,"axG",@progbits,_ZN7rocprim17ROCPRIM_400000_NS6detail17trampoline_kernelINS0_14default_configENS1_25partition_config_selectorILNS1_17partition_subalgoE9ExxbEEZZNS1_14partition_implILS5_9ELb0ES3_jN6thrust23THRUST_200600_302600_NS6detail15normal_iteratorINS9_10device_ptrIxEEEESE_PNS0_10empty_typeENS0_5tupleIJSE_SF_EEENSH_IJSE_SG_EEENS0_18inequality_wrapperINS9_8equal_toIxEEEEPmJSF_EEE10hipError_tPvRmT3_T4_T5_T6_T7_T9_mT8_P12ihipStream_tbDpT10_ENKUlT_T0_E_clISt17integral_constantIbLb0EES18_EEDaS13_S14_EUlS13_E_NS1_11comp_targetILNS1_3genE10ELNS1_11target_archE1200ELNS1_3gpuE4ELNS1_3repE0EEENS1_30default_config_static_selectorELNS0_4arch9wavefront6targetE0EEEvT1_,comdat
.Lfunc_end345:
	.size	_ZN7rocprim17ROCPRIM_400000_NS6detail17trampoline_kernelINS0_14default_configENS1_25partition_config_selectorILNS1_17partition_subalgoE9ExxbEEZZNS1_14partition_implILS5_9ELb0ES3_jN6thrust23THRUST_200600_302600_NS6detail15normal_iteratorINS9_10device_ptrIxEEEESE_PNS0_10empty_typeENS0_5tupleIJSE_SF_EEENSH_IJSE_SG_EEENS0_18inequality_wrapperINS9_8equal_toIxEEEEPmJSF_EEE10hipError_tPvRmT3_T4_T5_T6_T7_T9_mT8_P12ihipStream_tbDpT10_ENKUlT_T0_E_clISt17integral_constantIbLb0EES18_EEDaS13_S14_EUlS13_E_NS1_11comp_targetILNS1_3genE10ELNS1_11target_archE1200ELNS1_3gpuE4ELNS1_3repE0EEENS1_30default_config_static_selectorELNS0_4arch9wavefront6targetE0EEEvT1_, .Lfunc_end345-_ZN7rocprim17ROCPRIM_400000_NS6detail17trampoline_kernelINS0_14default_configENS1_25partition_config_selectorILNS1_17partition_subalgoE9ExxbEEZZNS1_14partition_implILS5_9ELb0ES3_jN6thrust23THRUST_200600_302600_NS6detail15normal_iteratorINS9_10device_ptrIxEEEESE_PNS0_10empty_typeENS0_5tupleIJSE_SF_EEENSH_IJSE_SG_EEENS0_18inequality_wrapperINS9_8equal_toIxEEEEPmJSF_EEE10hipError_tPvRmT3_T4_T5_T6_T7_T9_mT8_P12ihipStream_tbDpT10_ENKUlT_T0_E_clISt17integral_constantIbLb0EES18_EEDaS13_S14_EUlS13_E_NS1_11comp_targetILNS1_3genE10ELNS1_11target_archE1200ELNS1_3gpuE4ELNS1_3repE0EEENS1_30default_config_static_selectorELNS0_4arch9wavefront6targetE0EEEvT1_
                                        ; -- End function
	.section	.AMDGPU.csdata,"",@progbits
; Kernel info:
; codeLenInByte = 0
; NumSgprs: 0
; NumVgprs: 0
; ScratchSize: 0
; MemoryBound: 0
; FloatMode: 240
; IeeeMode: 1
; LDSByteSize: 0 bytes/workgroup (compile time only)
; SGPRBlocks: 0
; VGPRBlocks: 0
; NumSGPRsForWavesPerEU: 1
; NumVGPRsForWavesPerEU: 1
; Occupancy: 15
; WaveLimiterHint : 0
; COMPUTE_PGM_RSRC2:SCRATCH_EN: 0
; COMPUTE_PGM_RSRC2:USER_SGPR: 15
; COMPUTE_PGM_RSRC2:TRAP_HANDLER: 0
; COMPUTE_PGM_RSRC2:TGID_X_EN: 1
; COMPUTE_PGM_RSRC2:TGID_Y_EN: 0
; COMPUTE_PGM_RSRC2:TGID_Z_EN: 0
; COMPUTE_PGM_RSRC2:TIDIG_COMP_CNT: 0
	.section	.text._ZN7rocprim17ROCPRIM_400000_NS6detail17trampoline_kernelINS0_14default_configENS1_25partition_config_selectorILNS1_17partition_subalgoE9ExxbEEZZNS1_14partition_implILS5_9ELb0ES3_jN6thrust23THRUST_200600_302600_NS6detail15normal_iteratorINS9_10device_ptrIxEEEESE_PNS0_10empty_typeENS0_5tupleIJSE_SF_EEENSH_IJSE_SG_EEENS0_18inequality_wrapperINS9_8equal_toIxEEEEPmJSF_EEE10hipError_tPvRmT3_T4_T5_T6_T7_T9_mT8_P12ihipStream_tbDpT10_ENKUlT_T0_E_clISt17integral_constantIbLb0EES18_EEDaS13_S14_EUlS13_E_NS1_11comp_targetILNS1_3genE9ELNS1_11target_archE1100ELNS1_3gpuE3ELNS1_3repE0EEENS1_30default_config_static_selectorELNS0_4arch9wavefront6targetE0EEEvT1_,"axG",@progbits,_ZN7rocprim17ROCPRIM_400000_NS6detail17trampoline_kernelINS0_14default_configENS1_25partition_config_selectorILNS1_17partition_subalgoE9ExxbEEZZNS1_14partition_implILS5_9ELb0ES3_jN6thrust23THRUST_200600_302600_NS6detail15normal_iteratorINS9_10device_ptrIxEEEESE_PNS0_10empty_typeENS0_5tupleIJSE_SF_EEENSH_IJSE_SG_EEENS0_18inequality_wrapperINS9_8equal_toIxEEEEPmJSF_EEE10hipError_tPvRmT3_T4_T5_T6_T7_T9_mT8_P12ihipStream_tbDpT10_ENKUlT_T0_E_clISt17integral_constantIbLb0EES18_EEDaS13_S14_EUlS13_E_NS1_11comp_targetILNS1_3genE9ELNS1_11target_archE1100ELNS1_3gpuE3ELNS1_3repE0EEENS1_30default_config_static_selectorELNS0_4arch9wavefront6targetE0EEEvT1_,comdat
	.protected	_ZN7rocprim17ROCPRIM_400000_NS6detail17trampoline_kernelINS0_14default_configENS1_25partition_config_selectorILNS1_17partition_subalgoE9ExxbEEZZNS1_14partition_implILS5_9ELb0ES3_jN6thrust23THRUST_200600_302600_NS6detail15normal_iteratorINS9_10device_ptrIxEEEESE_PNS0_10empty_typeENS0_5tupleIJSE_SF_EEENSH_IJSE_SG_EEENS0_18inequality_wrapperINS9_8equal_toIxEEEEPmJSF_EEE10hipError_tPvRmT3_T4_T5_T6_T7_T9_mT8_P12ihipStream_tbDpT10_ENKUlT_T0_E_clISt17integral_constantIbLb0EES18_EEDaS13_S14_EUlS13_E_NS1_11comp_targetILNS1_3genE9ELNS1_11target_archE1100ELNS1_3gpuE3ELNS1_3repE0EEENS1_30default_config_static_selectorELNS0_4arch9wavefront6targetE0EEEvT1_ ; -- Begin function _ZN7rocprim17ROCPRIM_400000_NS6detail17trampoline_kernelINS0_14default_configENS1_25partition_config_selectorILNS1_17partition_subalgoE9ExxbEEZZNS1_14partition_implILS5_9ELb0ES3_jN6thrust23THRUST_200600_302600_NS6detail15normal_iteratorINS9_10device_ptrIxEEEESE_PNS0_10empty_typeENS0_5tupleIJSE_SF_EEENSH_IJSE_SG_EEENS0_18inequality_wrapperINS9_8equal_toIxEEEEPmJSF_EEE10hipError_tPvRmT3_T4_T5_T6_T7_T9_mT8_P12ihipStream_tbDpT10_ENKUlT_T0_E_clISt17integral_constantIbLb0EES18_EEDaS13_S14_EUlS13_E_NS1_11comp_targetILNS1_3genE9ELNS1_11target_archE1100ELNS1_3gpuE3ELNS1_3repE0EEENS1_30default_config_static_selectorELNS0_4arch9wavefront6targetE0EEEvT1_
	.globl	_ZN7rocprim17ROCPRIM_400000_NS6detail17trampoline_kernelINS0_14default_configENS1_25partition_config_selectorILNS1_17partition_subalgoE9ExxbEEZZNS1_14partition_implILS5_9ELb0ES3_jN6thrust23THRUST_200600_302600_NS6detail15normal_iteratorINS9_10device_ptrIxEEEESE_PNS0_10empty_typeENS0_5tupleIJSE_SF_EEENSH_IJSE_SG_EEENS0_18inequality_wrapperINS9_8equal_toIxEEEEPmJSF_EEE10hipError_tPvRmT3_T4_T5_T6_T7_T9_mT8_P12ihipStream_tbDpT10_ENKUlT_T0_E_clISt17integral_constantIbLb0EES18_EEDaS13_S14_EUlS13_E_NS1_11comp_targetILNS1_3genE9ELNS1_11target_archE1100ELNS1_3gpuE3ELNS1_3repE0EEENS1_30default_config_static_selectorELNS0_4arch9wavefront6targetE0EEEvT1_
	.p2align	8
	.type	_ZN7rocprim17ROCPRIM_400000_NS6detail17trampoline_kernelINS0_14default_configENS1_25partition_config_selectorILNS1_17partition_subalgoE9ExxbEEZZNS1_14partition_implILS5_9ELb0ES3_jN6thrust23THRUST_200600_302600_NS6detail15normal_iteratorINS9_10device_ptrIxEEEESE_PNS0_10empty_typeENS0_5tupleIJSE_SF_EEENSH_IJSE_SG_EEENS0_18inequality_wrapperINS9_8equal_toIxEEEEPmJSF_EEE10hipError_tPvRmT3_T4_T5_T6_T7_T9_mT8_P12ihipStream_tbDpT10_ENKUlT_T0_E_clISt17integral_constantIbLb0EES18_EEDaS13_S14_EUlS13_E_NS1_11comp_targetILNS1_3genE9ELNS1_11target_archE1100ELNS1_3gpuE3ELNS1_3repE0EEENS1_30default_config_static_selectorELNS0_4arch9wavefront6targetE0EEEvT1_,@function
_ZN7rocprim17ROCPRIM_400000_NS6detail17trampoline_kernelINS0_14default_configENS1_25partition_config_selectorILNS1_17partition_subalgoE9ExxbEEZZNS1_14partition_implILS5_9ELb0ES3_jN6thrust23THRUST_200600_302600_NS6detail15normal_iteratorINS9_10device_ptrIxEEEESE_PNS0_10empty_typeENS0_5tupleIJSE_SF_EEENSH_IJSE_SG_EEENS0_18inequality_wrapperINS9_8equal_toIxEEEEPmJSF_EEE10hipError_tPvRmT3_T4_T5_T6_T7_T9_mT8_P12ihipStream_tbDpT10_ENKUlT_T0_E_clISt17integral_constantIbLb0EES18_EEDaS13_S14_EUlS13_E_NS1_11comp_targetILNS1_3genE9ELNS1_11target_archE1100ELNS1_3gpuE3ELNS1_3repE0EEENS1_30default_config_static_selectorELNS0_4arch9wavefront6targetE0EEEvT1_: ; @_ZN7rocprim17ROCPRIM_400000_NS6detail17trampoline_kernelINS0_14default_configENS1_25partition_config_selectorILNS1_17partition_subalgoE9ExxbEEZZNS1_14partition_implILS5_9ELb0ES3_jN6thrust23THRUST_200600_302600_NS6detail15normal_iteratorINS9_10device_ptrIxEEEESE_PNS0_10empty_typeENS0_5tupleIJSE_SF_EEENSH_IJSE_SG_EEENS0_18inequality_wrapperINS9_8equal_toIxEEEEPmJSF_EEE10hipError_tPvRmT3_T4_T5_T6_T7_T9_mT8_P12ihipStream_tbDpT10_ENKUlT_T0_E_clISt17integral_constantIbLb0EES18_EEDaS13_S14_EUlS13_E_NS1_11comp_targetILNS1_3genE9ELNS1_11target_archE1100ELNS1_3gpuE3ELNS1_3repE0EEENS1_30default_config_static_selectorELNS0_4arch9wavefront6targetE0EEEvT1_
; %bb.0:
	s_clause 0x4
	s_load_b128 s[4:7], s[0:1], 0x8
	s_load_b32 s14, s[0:1], 0x68
	s_load_b128 s[16:19], s[0:1], 0x40
	s_load_b64 s[2:3], s[0:1], 0x50
	s_load_b64 s[8:9], s[0:1], 0x18
	s_mov_b32 s23, 0
	v_lshlrev_b32_e32 v55, 3, v0
	v_lshrrev_b32_e32 v33, 2, v0
	v_or_b32_e32 v38, 0x200, v0
	v_or_b32_e32 v36, 0x400, v0
	;; [unrolled: 1-line block ×7, first 2 shown]
	s_waitcnt lgkmcnt(0)
	s_lshl_b64 s[12:13], s[6:7], 3
	s_delay_alu instid0(SALU_CYCLE_1)
	s_add_u32 s21, s4, s12
	s_addc_u32 s24, s5, s13
	s_add_i32 s20, s14, -1
	s_load_b64 s[10:11], s[18:19], 0x0
	s_lshl_b32 s4, s20, 12
	s_lshl_b32 s5, s14, 12
	s_add_i32 s4, s6, s4
	s_lshl_b32 s22, s15, 12
	s_sub_i32 s19, s2, s4
	s_add_u32 s4, s6, s5
	s_addc_u32 s5, s7, 0
	s_cmp_eq_u32 s15, s20
	v_cmp_ge_u64_e64 s2, s[4:5], s[2:3]
	s_cselect_b32 s14, -1, 0
	s_lshl_b64 s[4:5], s[22:23], 3
	s_mov_b32 s22, -1
	s_delay_alu instid0(VALU_DEP_1) | instskip(NEXT) | instid1(SALU_CYCLE_1)
	s_and_b32 s20, s14, s2
	s_xor_b32 s18, s20, -1
	s_add_u32 s21, s21, s4
	s_addc_u32 s3, s24, s5
	s_and_b32 vcc_lo, exec_lo, s18
	s_cbranch_vccz .LBB346_2
; %bb.1:
	v_add_co_u32 v1, s2, s21, v55
	s_delay_alu instid0(VALU_DEP_1) | instskip(SKIP_1) | instid1(VALU_DEP_3)
	v_add_co_ci_u32_e64 v2, null, s3, 0, s2
	v_lshrrev_b32_e32 v18, 2, v38
	v_add_co_u32 v3, vcc_lo, 0x1000, v1
	s_delay_alu instid0(VALU_DEP_3)
	v_add_co_ci_u32_e32 v4, vcc_lo, 0, v2, vcc_lo
	v_add_co_u32 v5, vcc_lo, 0x2000, v1
	v_add_co_ci_u32_e32 v6, vcc_lo, 0, v2, vcc_lo
	v_add_co_u32 v7, vcc_lo, 0x3000, v1
	;; [unrolled: 2-line block ×6, first 2 shown]
	v_add_co_ci_u32_e32 v16, vcc_lo, 0, v2, vcc_lo
	s_clause 0x7
	flat_load_b64 v[1:2], v[1:2]
	flat_load_b64 v[3:4], v[3:4]
	flat_load_b64 v[5:6], v[5:6]
	flat_load_b64 v[7:8], v[7:8]
	flat_load_b64 v[9:10], v[9:10]
	flat_load_b64 v[11:12], v[11:12]
	flat_load_b64 v[13:14], v[13:14]
	flat_load_b64 v[15:16], v[15:16]
	v_lshrrev_b32_e32 v19, 2, v36
	v_lshrrev_b32_e32 v20, 2, v40
	;; [unrolled: 1-line block ×3, first 2 shown]
	v_and_b32_e32 v17, 0x78, v33
	v_lshrrev_b32_e32 v22, 2, v37
	v_lshrrev_b32_e32 v23, 2, v34
	;; [unrolled: 1-line block ×3, first 2 shown]
	v_and_b32_e32 v18, 0xf8, v18
	v_and_b32_e32 v19, 0x178, v19
	;; [unrolled: 1-line block ×4, first 2 shown]
	v_add_nc_u32_e32 v17, v17, v55
	v_and_b32_e32 v22, 0x2f8, v22
	v_and_b32_e32 v23, 0x378, v23
	v_and_b32_e32 v24, 0x3f8, v24
	v_add_nc_u32_e32 v18, v18, v55
	v_add_nc_u32_e32 v19, v19, v55
	;; [unrolled: 1-line block ×4, first 2 shown]
	s_mov_b32 s22, 0
	v_add_nc_u32_e32 v22, v22, v55
	v_add_nc_u32_e32 v23, v23, v55
	;; [unrolled: 1-line block ×3, first 2 shown]
	s_waitcnt vmcnt(7) lgkmcnt(0)
	ds_store_b64 v17, v[1:2]
	s_waitcnt vmcnt(6)
	ds_store_b64 v18, v[3:4] offset:4096
	s_waitcnt vmcnt(5)
	ds_store_b64 v19, v[5:6] offset:8192
	s_waitcnt vmcnt(4)
	ds_store_b64 v20, v[7:8] offset:12288
	s_waitcnt vmcnt(3)
	ds_store_b64 v21, v[9:10] offset:16384
	s_waitcnt vmcnt(2)
	ds_store_b64 v22, v[11:12] offset:20480
	s_waitcnt vmcnt(1)
	ds_store_b64 v23, v[13:14] offset:24576
	s_waitcnt vmcnt(0)
	ds_store_b64 v24, v[15:16] offset:28672
	s_waitcnt lgkmcnt(0)
	s_barrier
.LBB346_2:
	v_cmp_gt_u32_e64 s2, s19, v0
	s_and_not1_b32 vcc_lo, exec_lo, s22
	s_cbranch_vccnz .LBB346_20
; %bb.3:
                                        ; implicit-def: $vgpr1_vgpr2_vgpr3_vgpr4_vgpr5_vgpr6_vgpr7_vgpr8_vgpr9_vgpr10_vgpr11_vgpr12_vgpr13_vgpr14_vgpr15_vgpr16
	s_delay_alu instid0(VALU_DEP_1)
	s_and_saveexec_b32 s22, s2
	s_cbranch_execz .LBB346_11
; %bb.4:
	v_add_co_u32 v1, s2, s21, v55
	s_delay_alu instid0(VALU_DEP_1) | instskip(SKIP_2) | instid1(SALU_CYCLE_1)
	v_add_co_ci_u32_e64 v2, null, s3, 0, s2
	flat_load_b64 v[1:2], v[1:2]
	s_or_b32 exec_lo, exec_lo, s22
	s_mov_b32 s2, exec_lo
	v_cmpx_gt_u32_e64 s19, v38
	s_cbranch_execnz .LBB346_12
.LBB346_5:
	s_or_b32 exec_lo, exec_lo, s2
	s_delay_alu instid0(SALU_CYCLE_1)
	s_mov_b32 s2, exec_lo
	v_cmpx_gt_u32_e64 s19, v36
	s_cbranch_execz .LBB346_13
.LBB346_6:
	v_lshlrev_b32_e32 v5, 3, v36
	s_delay_alu instid0(VALU_DEP_1) | instskip(NEXT) | instid1(VALU_DEP_1)
	v_add_co_u32 v5, s22, s21, v5
	v_add_co_ci_u32_e64 v6, null, s3, 0, s22
	flat_load_b64 v[5:6], v[5:6]
	s_or_b32 exec_lo, exec_lo, s2
	s_delay_alu instid0(SALU_CYCLE_1)
	s_mov_b32 s2, exec_lo
	v_cmpx_gt_u32_e64 s19, v40
	s_cbranch_execnz .LBB346_14
.LBB346_7:
	s_or_b32 exec_lo, exec_lo, s2
	s_delay_alu instid0(SALU_CYCLE_1)
	s_mov_b32 s2, exec_lo
	v_cmpx_gt_u32_e64 s19, v39
	s_cbranch_execz .LBB346_15
.LBB346_8:
	v_lshlrev_b32_e32 v9, 3, v39
	s_delay_alu instid0(VALU_DEP_1) | instskip(NEXT) | instid1(VALU_DEP_1)
	v_add_co_u32 v9, s22, s21, v9
	v_add_co_ci_u32_e64 v10, null, s3, 0, s22
	flat_load_b64 v[9:10], v[9:10]
	s_or_b32 exec_lo, exec_lo, s2
	s_delay_alu instid0(SALU_CYCLE_1)
	s_mov_b32 s2, exec_lo
	v_cmpx_gt_u32_e64 s19, v37
	s_cbranch_execnz .LBB346_16
.LBB346_9:
	s_or_b32 exec_lo, exec_lo, s2
	s_delay_alu instid0(SALU_CYCLE_1)
	s_mov_b32 s2, exec_lo
	v_cmpx_gt_u32_e64 s19, v34
	s_cbranch_execz .LBB346_17
.LBB346_10:
	v_lshlrev_b32_e32 v13, 3, v34
	s_delay_alu instid0(VALU_DEP_1) | instskip(NEXT) | instid1(VALU_DEP_1)
	v_add_co_u32 v13, s22, s21, v13
	v_add_co_ci_u32_e64 v14, null, s3, 0, s22
	flat_load_b64 v[13:14], v[13:14]
	s_or_b32 exec_lo, exec_lo, s2
	s_delay_alu instid0(SALU_CYCLE_1)
	s_mov_b32 s2, exec_lo
	v_cmpx_gt_u32_e64 s19, v35
	s_cbranch_execnz .LBB346_18
	s_branch .LBB346_19
.LBB346_11:
	s_or_b32 exec_lo, exec_lo, s22
	s_delay_alu instid0(SALU_CYCLE_1)
	s_mov_b32 s2, exec_lo
	v_cmpx_gt_u32_e64 s19, v38
	s_cbranch_execz .LBB346_5
.LBB346_12:
	v_lshlrev_b32_e32 v3, 3, v38
	s_delay_alu instid0(VALU_DEP_1) | instskip(NEXT) | instid1(VALU_DEP_1)
	v_add_co_u32 v3, s22, s21, v3
	v_add_co_ci_u32_e64 v4, null, s3, 0, s22
	flat_load_b64 v[3:4], v[3:4]
	s_or_b32 exec_lo, exec_lo, s2
	s_delay_alu instid0(SALU_CYCLE_1)
	s_mov_b32 s2, exec_lo
	v_cmpx_gt_u32_e64 s19, v36
	s_cbranch_execnz .LBB346_6
.LBB346_13:
	s_or_b32 exec_lo, exec_lo, s2
	s_delay_alu instid0(SALU_CYCLE_1)
	s_mov_b32 s2, exec_lo
	v_cmpx_gt_u32_e64 s19, v40
	s_cbranch_execz .LBB346_7
.LBB346_14:
	v_lshlrev_b32_e32 v7, 3, v40
	s_delay_alu instid0(VALU_DEP_1) | instskip(NEXT) | instid1(VALU_DEP_1)
	v_add_co_u32 v7, s22, s21, v7
	v_add_co_ci_u32_e64 v8, null, s3, 0, s22
	flat_load_b64 v[7:8], v[7:8]
	s_or_b32 exec_lo, exec_lo, s2
	s_delay_alu instid0(SALU_CYCLE_1)
	s_mov_b32 s2, exec_lo
	v_cmpx_gt_u32_e64 s19, v39
	s_cbranch_execnz .LBB346_8
.LBB346_15:
	s_or_b32 exec_lo, exec_lo, s2
	s_delay_alu instid0(SALU_CYCLE_1)
	s_mov_b32 s2, exec_lo
	v_cmpx_gt_u32_e64 s19, v37
	s_cbranch_execz .LBB346_9
.LBB346_16:
	v_lshlrev_b32_e32 v11, 3, v37
	s_delay_alu instid0(VALU_DEP_1) | instskip(NEXT) | instid1(VALU_DEP_1)
	v_add_co_u32 v11, s22, s21, v11
	v_add_co_ci_u32_e64 v12, null, s3, 0, s22
	flat_load_b64 v[11:12], v[11:12]
	s_or_b32 exec_lo, exec_lo, s2
	s_delay_alu instid0(SALU_CYCLE_1)
	s_mov_b32 s2, exec_lo
	v_cmpx_gt_u32_e64 s19, v34
	s_cbranch_execnz .LBB346_10
.LBB346_17:
	s_or_b32 exec_lo, exec_lo, s2
	s_delay_alu instid0(SALU_CYCLE_1)
	s_mov_b32 s2, exec_lo
	v_cmpx_gt_u32_e64 s19, v35
	s_cbranch_execz .LBB346_19
.LBB346_18:
	v_lshlrev_b32_e32 v15, 3, v35
	s_delay_alu instid0(VALU_DEP_1) | instskip(NEXT) | instid1(VALU_DEP_1)
	v_add_co_u32 v15, s22, s21, v15
	v_add_co_ci_u32_e64 v16, null, s3, 0, s22
	flat_load_b64 v[15:16], v[15:16]
.LBB346_19:
	s_or_b32 exec_lo, exec_lo, s2
	v_lshrrev_b32_e32 v17, 2, v38
	v_lshrrev_b32_e32 v18, 2, v36
	;; [unrolled: 1-line block ×4, first 2 shown]
	v_and_b32_e32 v19, 0x78, v33
	v_lshrrev_b32_e32 v22, 2, v37
	v_lshrrev_b32_e32 v23, 2, v34
	;; [unrolled: 1-line block ×3, first 2 shown]
	v_and_b32_e32 v17, 0xf8, v17
	v_and_b32_e32 v18, 0x1f8, v18
	;; [unrolled: 1-line block ×4, first 2 shown]
	v_add_nc_u32_e32 v19, v19, v55
	v_and_b32_e32 v22, 0x3f8, v22
	v_and_b32_e32 v23, 0x3f8, v23
	;; [unrolled: 1-line block ×3, first 2 shown]
	v_add_nc_u32_e32 v17, v17, v55
	v_add_nc_u32_e32 v18, v18, v55
	;; [unrolled: 1-line block ×7, first 2 shown]
	s_waitcnt vmcnt(0) lgkmcnt(0)
	ds_store_b64 v19, v[1:2]
	ds_store_b64 v17, v[3:4] offset:4096
	ds_store_b64 v18, v[5:6] offset:8192
	;; [unrolled: 1-line block ×7, first 2 shown]
	s_waitcnt lgkmcnt(0)
	s_barrier
.LBB346_20:
	v_add_lshl_u32 v41, v33, v55, 3
	s_waitcnt lgkmcnt(0)
	buffer_gl0_inv
	s_add_u32 s2, s8, s12
	s_addc_u32 s8, s9, s13
	s_add_u32 s2, s2, s4
	ds_load_2addr_b64 v[29:32], v41 offset1:1
	ds_load_2addr_b64 v[25:28], v41 offset0:2 offset1:3
	ds_load_2addr_b64 v[21:24], v41 offset0:4 offset1:5
	ds_load_2addr_b64 v[17:20], v41 offset0:6 offset1:7
	s_addc_u32 s4, s8, s5
	s_and_b32 vcc_lo, exec_lo, s18
	s_mov_b32 s5, -1
	s_waitcnt lgkmcnt(0)
	s_barrier
	buffer_gl0_inv
	s_cbranch_vccz .LBB346_22
; %bb.21:
	v_add_co_u32 v1, s5, s2, v55
	s_delay_alu instid0(VALU_DEP_1) | instskip(SKIP_1) | instid1(VALU_DEP_3)
	v_add_co_ci_u32_e64 v2, null, s4, 0, s5
	v_lshrrev_b32_e32 v43, 2, v38
	v_add_co_u32 v3, vcc_lo, 0x1000, v1
	s_delay_alu instid0(VALU_DEP_3)
	v_add_co_ci_u32_e32 v4, vcc_lo, 0, v2, vcc_lo
	v_add_co_u32 v5, vcc_lo, 0x2000, v1
	v_add_co_ci_u32_e32 v6, vcc_lo, 0, v2, vcc_lo
	v_add_co_u32 v7, vcc_lo, 0x3000, v1
	;; [unrolled: 2-line block ×6, first 2 shown]
	v_add_co_ci_u32_e32 v16, vcc_lo, 0, v2, vcc_lo
	s_clause 0x7
	flat_load_b64 v[1:2], v[1:2]
	flat_load_b64 v[3:4], v[3:4]
	;; [unrolled: 1-line block ×8, first 2 shown]
	v_lshrrev_b32_e32 v44, 2, v36
	v_lshrrev_b32_e32 v45, 2, v40
	;; [unrolled: 1-line block ×3, first 2 shown]
	v_and_b32_e32 v42, 0x78, v33
	v_lshrrev_b32_e32 v47, 2, v37
	v_lshrrev_b32_e32 v48, 2, v34
	;; [unrolled: 1-line block ×3, first 2 shown]
	v_and_b32_e32 v43, 0xf8, v43
	v_and_b32_e32 v44, 0x178, v44
	;; [unrolled: 1-line block ×4, first 2 shown]
	v_add_nc_u32_e32 v42, v42, v55
	v_and_b32_e32 v47, 0x2f8, v47
	v_and_b32_e32 v48, 0x378, v48
	v_and_b32_e32 v49, 0x3f8, v49
	v_add_nc_u32_e32 v43, v43, v55
	v_add_nc_u32_e32 v44, v44, v55
	;; [unrolled: 1-line block ×4, first 2 shown]
	s_mov_b32 s5, 0
	v_add_nc_u32_e32 v47, v47, v55
	v_add_nc_u32_e32 v48, v48, v55
	;; [unrolled: 1-line block ×3, first 2 shown]
	s_waitcnt vmcnt(7) lgkmcnt(7)
	ds_store_b64 v42, v[1:2]
	s_waitcnt vmcnt(6) lgkmcnt(7)
	ds_store_b64 v43, v[3:4] offset:4096
	s_waitcnt vmcnt(5) lgkmcnt(7)
	ds_store_b64 v44, v[5:6] offset:8192
	;; [unrolled: 2-line block ×7, first 2 shown]
	s_waitcnt lgkmcnt(0)
	s_barrier
.LBB346_22:
	s_and_not1_b32 vcc_lo, exec_lo, s5
	s_cbranch_vccnz .LBB346_40
; %bb.23:
	s_mov_b32 s5, exec_lo
                                        ; implicit-def: $vgpr1_vgpr2
	v_cmpx_gt_u32_e64 s19, v0
	s_cbranch_execz .LBB346_25
; %bb.24:
	v_add_co_u32 v1, s8, s2, v55
	s_delay_alu instid0(VALU_DEP_1)
	v_add_co_ci_u32_e64 v2, null, s4, 0, s8
	flat_load_b64 v[1:2], v[1:2]
.LBB346_25:
	s_or_b32 exec_lo, exec_lo, s5
	s_delay_alu instid0(SALU_CYCLE_1)
	s_mov_b32 s5, exec_lo
                                        ; implicit-def: $vgpr3_vgpr4
	v_cmpx_gt_u32_e64 s19, v38
	s_cbranch_execz .LBB346_27
; %bb.26:
	v_lshlrev_b32_e32 v3, 3, v38
	s_delay_alu instid0(VALU_DEP_1) | instskip(NEXT) | instid1(VALU_DEP_1)
	v_add_co_u32 v3, s8, s2, v3
	v_add_co_ci_u32_e64 v4, null, s4, 0, s8
	flat_load_b64 v[3:4], v[3:4]
.LBB346_27:
	s_or_b32 exec_lo, exec_lo, s5
	s_delay_alu instid0(SALU_CYCLE_1)
	s_mov_b32 s5, exec_lo
                                        ; implicit-def: $vgpr5_vgpr6
	v_cmpx_gt_u32_e64 s19, v36
	s_cbranch_execz .LBB346_29
; %bb.28:
	v_lshlrev_b32_e32 v5, 3, v36
	s_delay_alu instid0(VALU_DEP_1) | instskip(NEXT) | instid1(VALU_DEP_1)
	v_add_co_u32 v5, s8, s2, v5
	v_add_co_ci_u32_e64 v6, null, s4, 0, s8
	flat_load_b64 v[5:6], v[5:6]
.LBB346_29:
	s_or_b32 exec_lo, exec_lo, s5
	s_delay_alu instid0(SALU_CYCLE_1)
	s_mov_b32 s5, exec_lo
                                        ; implicit-def: $vgpr7_vgpr8
	v_cmpx_gt_u32_e64 s19, v40
	s_cbranch_execz .LBB346_31
; %bb.30:
	v_lshlrev_b32_e32 v7, 3, v40
	s_delay_alu instid0(VALU_DEP_1) | instskip(NEXT) | instid1(VALU_DEP_1)
	v_add_co_u32 v7, s8, s2, v7
	v_add_co_ci_u32_e64 v8, null, s4, 0, s8
	flat_load_b64 v[7:8], v[7:8]
.LBB346_31:
	s_or_b32 exec_lo, exec_lo, s5
	s_delay_alu instid0(SALU_CYCLE_1)
	s_mov_b32 s5, exec_lo
                                        ; implicit-def: $vgpr9_vgpr10
	v_cmpx_gt_u32_e64 s19, v39
	s_cbranch_execz .LBB346_33
; %bb.32:
	v_lshlrev_b32_e32 v9, 3, v39
	s_delay_alu instid0(VALU_DEP_1) | instskip(NEXT) | instid1(VALU_DEP_1)
	v_add_co_u32 v9, s8, s2, v9
	v_add_co_ci_u32_e64 v10, null, s4, 0, s8
	flat_load_b64 v[9:10], v[9:10]
.LBB346_33:
	s_or_b32 exec_lo, exec_lo, s5
	s_delay_alu instid0(SALU_CYCLE_1)
	s_mov_b32 s5, exec_lo
                                        ; implicit-def: $vgpr11_vgpr12
	v_cmpx_gt_u32_e64 s19, v37
	s_cbranch_execz .LBB346_35
; %bb.34:
	v_lshlrev_b32_e32 v11, 3, v37
	s_delay_alu instid0(VALU_DEP_1) | instskip(NEXT) | instid1(VALU_DEP_1)
	v_add_co_u32 v11, s8, s2, v11
	v_add_co_ci_u32_e64 v12, null, s4, 0, s8
	flat_load_b64 v[11:12], v[11:12]
.LBB346_35:
	s_or_b32 exec_lo, exec_lo, s5
	s_delay_alu instid0(SALU_CYCLE_1)
	s_mov_b32 s5, exec_lo
                                        ; implicit-def: $vgpr13_vgpr14
	v_cmpx_gt_u32_e64 s19, v34
	s_cbranch_execz .LBB346_37
; %bb.36:
	v_lshlrev_b32_e32 v13, 3, v34
	s_delay_alu instid0(VALU_DEP_1) | instskip(NEXT) | instid1(VALU_DEP_1)
	v_add_co_u32 v13, s8, s2, v13
	v_add_co_ci_u32_e64 v14, null, s4, 0, s8
	flat_load_b64 v[13:14], v[13:14]
.LBB346_37:
	s_or_b32 exec_lo, exec_lo, s5
	s_delay_alu instid0(SALU_CYCLE_1)
	s_mov_b32 s5, exec_lo
                                        ; implicit-def: $vgpr15_vgpr16
	v_cmpx_gt_u32_e64 s19, v35
	s_cbranch_execz .LBB346_39
; %bb.38:
	v_lshlrev_b32_e32 v15, 3, v35
	s_delay_alu instid0(VALU_DEP_1) | instskip(NEXT) | instid1(VALU_DEP_1)
	v_add_co_u32 v15, s2, s2, v15
	v_add_co_ci_u32_e64 v16, null, s4, 0, s2
	flat_load_b64 v[15:16], v[15:16]
.LBB346_39:
	s_or_b32 exec_lo, exec_lo, s5
	v_lshrrev_b32_e32 v38, 2, v38
	v_lshrrev_b32_e32 v36, 2, v36
	v_lshrrev_b32_e32 v40, 2, v40
	v_lshrrev_b32_e32 v39, 2, v39
	v_and_b32_e32 v33, 0x78, v33
	v_lshrrev_b32_e32 v37, 2, v37
	v_lshrrev_b32_e32 v34, 2, v34
	;; [unrolled: 1-line block ×3, first 2 shown]
	v_and_b32_e32 v38, 0xf8, v38
	v_and_b32_e32 v36, 0x1f8, v36
	v_and_b32_e32 v40, 0x1f8, v40
	v_and_b32_e32 v39, 0x3f8, v39
	v_add_nc_u32_e32 v33, v33, v55
	v_and_b32_e32 v37, 0x3f8, v37
	v_and_b32_e32 v34, 0x3f8, v34
	;; [unrolled: 1-line block ×3, first 2 shown]
	v_add_nc_u32_e32 v38, v38, v55
	v_add_nc_u32_e32 v36, v36, v55
	v_add_nc_u32_e32 v40, v40, v55
	v_add_nc_u32_e32 v39, v39, v55
	v_add_nc_u32_e32 v37, v37, v55
	v_add_nc_u32_e32 v34, v34, v55
	v_add_nc_u32_e32 v35, v35, v55
	s_waitcnt vmcnt(0) lgkmcnt(0)
	ds_store_b64 v33, v[1:2]
	ds_store_b64 v38, v[3:4] offset:4096
	ds_store_b64 v36, v[5:6] offset:8192
	;; [unrolled: 1-line block ×7, first 2 shown]
	s_waitcnt lgkmcnt(0)
	s_barrier
.LBB346_40:
	buffer_gl0_inv
	ds_load_2addr_b64 v[13:16], v41 offset1:1
	ds_load_2addr_b64 v[9:12], v41 offset0:2 offset1:3
	ds_load_2addr_b64 v[5:8], v41 offset0:4 offset1:5
	;; [unrolled: 1-line block ×3, first 2 shown]
	s_cmp_lg_u32 s15, 0
	s_mov_b32 s12, 0
	s_cselect_b32 s9, -1, 0
	s_cmp_lg_u64 s[6:7], 0
	s_waitcnt lgkmcnt(0)
	s_cselect_b32 s2, -1, 0
	s_barrier
	s_or_b32 s2, s9, s2
	buffer_gl0_inv
	s_and_b32 vcc_lo, exec_lo, s2
	s_cbranch_vccz .LBB346_45
; %bb.41:
	v_add_co_u32 v33, s2, -8, s21
	s_delay_alu instid0(VALU_DEP_1)
	v_add_co_ci_u32_e64 v34, null, -1, s3, s2
	s_mov_b32 s3, -1
	s_and_b32 vcc_lo, exec_lo, s18
	flat_load_b64 v[35:36], v[33:34]
	ds_store_b64 v55, v[19:20]
	s_cbranch_vccz .LBB346_46
; %bb.42:
	s_waitcnt vmcnt(0) lgkmcnt(1)
	v_dual_mov_b32 v33, v35 :: v_dual_mov_b32 v34, v36
	s_mov_b32 s3, 0
	s_mov_b32 s2, exec_lo
	s_waitcnt lgkmcnt(0)
	s_barrier
	buffer_gl0_inv
	v_cmpx_ne_u32_e32 0, v0
	s_cbranch_execz .LBB346_44
; %bb.43:
	v_add_nc_u32_e32 v33, -8, v55
	ds_load_b64 v[33:34], v33
.LBB346_44:
	s_or_b32 exec_lo, exec_lo, s2
	v_cmp_ne_u64_e32 vcc_lo, v[17:18], v[19:20]
	s_waitcnt lgkmcnt(0)
	v_cmp_ne_u64_e64 s2, v[33:34], v[29:30]
	v_cndmask_b32_e64 v37, 0, 1, vcc_lo
	v_cmp_ne_u64_e32 vcc_lo, v[23:24], v[17:18]
	s_delay_alu instid0(VALU_DEP_2) | instskip(SKIP_2) | instid1(VALU_DEP_2)
	v_lshlrev_b16 v37, 8, v37
	v_cndmask_b32_e64 v38, 0, 1, vcc_lo
	v_cmp_ne_u64_e32 vcc_lo, v[21:22], v[23:24]
	v_or_b32_e32 v37, v38, v37
	v_cndmask_b32_e64 v39, 0, 1, vcc_lo
	v_cmp_ne_u64_e32 vcc_lo, v[25:26], v[27:28]
	s_delay_alu instid0(VALU_DEP_3) | instskip(NEXT) | instid1(VALU_DEP_3)
	v_lshlrev_b32_e32 v37, 16, v37
	v_lshlrev_b16 v39, 8, v39
	v_cndmask_b32_e64 v40, 0, 1, vcc_lo
	v_cmp_ne_u64_e32 vcc_lo, v[27:28], v[21:22]
	s_delay_alu instid0(VALU_DEP_2) | instskip(SKIP_2) | instid1(VALU_DEP_2)
	v_lshlrev_b16 v40, 8, v40
	v_cndmask_b32_e64 v41, 0, 1, vcc_lo
	v_cmp_ne_u64_e32 vcc_lo, v[31:32], v[25:26]
	v_or_b32_e32 v39, v41, v39
	v_cndmask_b32_e64 v42, 0, 1, vcc_lo
	v_cmp_ne_u64_e32 vcc_lo, v[29:30], v[31:32]
	s_delay_alu instid0(VALU_DEP_3) | instskip(NEXT) | instid1(VALU_DEP_3)
	v_and_b32_e32 v39, 0xffff, v39
	v_or_b32_e32 v40, v42, v40
	v_cndmask_b32_e64 v43, 0, 1, vcc_lo
	s_delay_alu instid0(VALU_DEP_3) | instskip(NEXT) | instid1(VALU_DEP_3)
	v_or_b32_e32 v34, v39, v37
	v_lshlrev_b32_e32 v38, 16, v40
	s_delay_alu instid0(VALU_DEP_3) | instskip(NEXT) | instid1(VALU_DEP_1)
	v_lshlrev_b16 v42, 8, v43
	v_and_b32_e32 v40, 0xffff, v42
	s_delay_alu instid0(VALU_DEP_1)
	v_or_b32_e32 v33, v40, v38
	s_and_b32 vcc_lo, exec_lo, s3
	s_cbranch_vccnz .LBB346_47
	s_branch .LBB346_50
.LBB346_45:
                                        ; implicit-def: $sgpr2
                                        ; implicit-def: $vgpr34
	s_branch .LBB346_51
.LBB346_46:
                                        ; implicit-def: $sgpr2
                                        ; implicit-def: $vgpr34
	s_and_b32 vcc_lo, exec_lo, s3
	s_cbranch_vccz .LBB346_50
.LBB346_47:
	s_mov_b32 s2, exec_lo
	s_waitcnt vmcnt(0) lgkmcnt(0)
	s_barrier
	buffer_gl0_inv
	v_cmpx_ne_u32_e32 0, v0
	s_cbranch_execz .LBB346_49
; %bb.48:
	v_add_nc_u32_e32 v33, -8, v55
	ds_load_b64 v[35:36], v33
.LBB346_49:
	s_or_b32 exec_lo, exec_lo, s2
	v_or_b32_e32 v33, 7, v55
	v_or_b32_e32 v34, 6, v55
	v_cmp_ne_u64_e32 vcc_lo, v[17:18], v[19:20]
	v_or_b32_e32 v37, 5, v55
	v_cmp_ne_u64_e64 s3, v[23:24], v[17:18]
	v_cmp_gt_u32_e64 s2, s19, v33
	v_cmp_gt_u32_e64 s4, s19, v34
	v_cmp_ne_u64_e64 s5, v[21:22], v[23:24]
	v_cmp_gt_u32_e64 s6, s19, v37
	v_or_b32_e32 v37, 3, v55
	s_and_b32 s2, s2, vcc_lo
	v_or_b32_e32 v38, 4, v55
	v_cndmask_b32_e64 v33, 0, 1, s2
	s_and_b32 s2, s4, s3
	v_cmp_ne_u64_e32 vcc_lo, v[25:26], v[27:28]
	v_cndmask_b32_e64 v34, 0, 1, s2
	s_and_b32 s2, s6, s5
	v_cmp_gt_u32_e64 s3, s19, v38
	v_cndmask_b32_e64 v39, 0, 1, s2
	v_cmp_gt_u32_e64 s2, s19, v37
	v_or_b32_e32 v37, 2, v55
	v_or_b32_e32 v38, 1, v55
	v_cmp_ne_u64_e64 s4, v[27:28], v[21:22]
	v_cmp_ne_u64_e64 s6, v[29:30], v[31:32]
	s_and_b32 s2, s2, vcc_lo
	v_cmp_ne_u64_e32 vcc_lo, v[31:32], v[25:26]
	v_cndmask_b32_e64 v40, 0, 1, s2
	v_cmp_gt_u32_e64 s2, s19, v37
	v_cmp_gt_u32_e64 s5, s19, v38
	s_and_b32 s3, s3, s4
	v_lshlrev_b16 v39, 8, v39
	v_cndmask_b32_e64 v37, 0, 1, s3
	s_and_b32 s2, s2, vcc_lo
	v_lshlrev_b16 v40, 8, v40
	v_cndmask_b32_e64 v38, 0, 1, s2
	s_and_b32 s2, s5, s6
	v_lshlrev_b16 v33, 8, v33
	v_cndmask_b32_e64 v41, 0, 1, s2
	v_or_b32_e32 v37, v37, v39
	v_or_b32_e32 v38, v38, v40
	s_waitcnt lgkmcnt(0)
	v_cmp_ne_u64_e32 vcc_lo, v[35:36], v[29:30]
	v_or_b32_e32 v33, v34, v33
	v_lshlrev_b16 v40, 8, v41
	v_and_b32_e32 v37, 0xffff, v37
	v_lshlrev_b32_e32 v34, 16, v38
	v_cmp_gt_u32_e64 s2, s19, v55
	v_lshlrev_b32_e32 v39, 16, v33
	v_and_b32_e32 v38, 0xffff, v40
	s_delay_alu instid0(VALU_DEP_3) | instskip(NEXT) | instid1(VALU_DEP_1)
	s_and_b32 s2, s2, vcc_lo
	v_or_b32_e32 v33, v38, v34
	s_delay_alu instid0(VALU_DEP_3)
	v_or_b32_e32 v34, v37, v39
.LBB346_50:
	s_mov_b32 s12, -1
	s_cbranch_execnz .LBB346_59
.LBB346_51:
	v_cmp_ne_u64_e64 s3, v[17:18], v[19:20]
	v_cmp_ne_u64_e64 s4, v[23:24], v[17:18]
	;; [unrolled: 1-line block ×7, first 2 shown]
	s_and_b32 vcc_lo, exec_lo, s18
	ds_store_b64 v55, v[19:20]
	s_cbranch_vccz .LBB346_55
; %bb.52:
	v_cndmask_b32_e64 v33, 0, 1, s3
	s_waitcnt vmcnt(0) lgkmcnt(2)
	v_cndmask_b32_e64 v35, 0, 1, s5
	v_cndmask_b32_e64 v37, 0, 1, s7
	;; [unrolled: 1-line block ×6, first 2 shown]
	v_lshlrev_b16 v35, 8, v35
	v_lshlrev_b16 v33, 8, v33
	;; [unrolled: 1-line block ×4, first 2 shown]
	s_mov_b32 s3, 0
	v_or_b32_e32 v35, v36, v35
	v_or_b32_e32 v33, v34, v33
	;; [unrolled: 1-line block ×4, first 2 shown]
	s_mov_b32 s4, exec_lo
	v_and_b32_e32 v35, 0xffff, v35
	v_lshlrev_b32_e32 v33, 16, v33
	v_lshlrev_b32_e32 v37, 16, v34
	v_and_b32_e32 v36, 0xffff, v36
	s_waitcnt lgkmcnt(0)
	s_barrier
	v_or_b32_e32 v34, v35, v33
	buffer_gl0_inv
	v_or_b32_e32 v33, v36, v37
                                        ; implicit-def: $sgpr2
	v_cmpx_ne_u32_e32 0, v0
	s_xor_b32 s4, exec_lo, s4
	s_cbranch_execz .LBB346_54
; %bb.53:
	v_add_nc_u32_e32 v35, -8, v55
	s_or_b32 s12, s12, exec_lo
	ds_load_b64 v[35:36], v35
	s_waitcnt lgkmcnt(0)
	v_cmp_ne_u64_e32 vcc_lo, v[35:36], v[29:30]
	s_and_b32 s2, vcc_lo, exec_lo
.LBB346_54:
	s_or_b32 exec_lo, exec_lo, s4
	s_delay_alu instid0(SALU_CYCLE_1)
	s_and_b32 vcc_lo, exec_lo, s3
	s_cbranch_vccnz .LBB346_56
	s_branch .LBB346_59
.LBB346_55:
                                        ; implicit-def: $sgpr2
                                        ; implicit-def: $vgpr34
	s_cbranch_execz .LBB346_59
.LBB346_56:
	v_or_b32_e32 v33, 7, v55
	v_or_b32_e32 v34, 6, v55
	v_cmp_ne_u64_e32 vcc_lo, v[17:18], v[19:20]
	v_cmp_ne_u64_e64 s2, v[23:24], v[17:18]
	s_waitcnt vmcnt(0) lgkmcnt(2)
	v_or_b32_e32 v35, 4, v55
	v_cmp_gt_u32_e64 s3, s19, v33
	v_or_b32_e32 v33, 5, v55
	v_cmp_gt_u32_e64 s5, s19, v34
	v_cmp_ne_u64_e64 s4, v[21:22], v[23:24]
	v_cmp_ne_u64_e64 s6, v[27:28], v[21:22]
	s_and_b32 s3, s3, vcc_lo
	v_cmp_gt_u32_e32 vcc_lo, s19, v33
	v_cndmask_b32_e64 v34, 0, 1, s3
	v_cmp_gt_u32_e64 s3, s19, v35
	s_and_b32 s2, s5, s2
	v_or_b32_e32 v36, 3, v55
	v_cndmask_b32_e64 v33, 0, 1, s2
	s_and_b32 s2, vcc_lo, s4
	v_or_b32_e32 v38, 1, v55
	v_cndmask_b32_e64 v35, 0, 1, s2
	s_and_b32 s2, s3, s6
	v_cmp_ne_u64_e32 vcc_lo, v[25:26], v[27:28]
	v_cndmask_b32_e64 v37, 0, 1, s2
	v_cmp_gt_u32_e64 s2, s19, v36
	v_cmp_ne_u64_e64 s3, v[29:30], v[31:32]
	v_or_b32_e32 v39, 2, v55
	v_cmp_gt_u32_e64 s4, s19, v38
	v_cmp_ne_u64_e64 s5, v[31:32], v[25:26]
	s_and_b32 s2, s2, vcc_lo
	v_lshlrev_b16 v35, 8, v35
	v_cmp_gt_u32_e64 s6, s19, v39
	v_cndmask_b32_e64 v36, 0, 1, s2
	s_and_b32 s2, s4, s3
	v_lshlrev_b16 v34, 8, v34
	v_cndmask_b32_e64 v38, 0, 1, s2
	s_and_b32 s2, s6, s5
	v_lshlrev_b16 v36, 8, v36
	v_cndmask_b32_e64 v39, 0, 1, s2
	v_or_b32_e32 v35, v37, v35
	v_lshlrev_b16 v38, 8, v38
	v_or_b32_e32 v33, v33, v34
	s_mov_b32 s3, exec_lo
	v_or_b32_e32 v34, v39, v36
	v_and_b32_e32 v35, 0xffff, v35
	v_or_b32_e32 v36, 1, v38
	v_lshlrev_b32_e32 v33, 16, v33
	s_waitcnt lgkmcnt(0)
	v_lshlrev_b32_e32 v37, 16, v34
	s_barrier
	v_and_b32_e32 v36, 0xffff, v36
	v_or_b32_e32 v34, v35, v33
	buffer_gl0_inv
                                        ; implicit-def: $sgpr2
	v_or_b32_e32 v33, v36, v37
	v_cmpx_ne_u32_e32 0, v0
	s_cbranch_execz .LBB346_58
; %bb.57:
	v_add_nc_u32_e32 v35, -8, v55
	v_cmp_gt_u32_e64 s2, s19, v55
	s_or_b32 s12, s12, exec_lo
	ds_load_b64 v[35:36], v35
	s_waitcnt lgkmcnt(0)
	v_cmp_ne_u64_e32 vcc_lo, v[35:36], v[29:30]
	s_and_b32 s2, s2, vcc_lo
	s_delay_alu instid0(SALU_CYCLE_1)
	s_and_b32 s2, s2, exec_lo
.LBB346_58:
	s_or_b32 exec_lo, exec_lo, s3
.LBB346_59:
	s_and_saveexec_b32 s3, s12
	s_cbranch_execz .LBB346_61
; %bb.60:
	s_waitcnt vmcnt(0) lgkmcnt(1)
	v_and_b32_e32 v35, 0xffffff00, v33
	v_cndmask_b32_e64 v36, 0, 1, s2
	s_delay_alu instid0(VALU_DEP_1) | instskip(NEXT) | instid1(VALU_DEP_1)
	v_or_b32_e32 v35, v36, v35
	v_and_b32_e32 v35, 0xffff, v35
	s_delay_alu instid0(VALU_DEP_1)
	v_and_or_b32 v33, 0xffff0000, v33, v35
.LBB346_61:
	s_or_b32 exec_lo, exec_lo, s3
	s_load_b64 s[12:13], s[0:1], 0x60
	s_and_not1_b32 vcc_lo, exec_lo, s20
	s_cbranch_vccnz .LBB346_63
; %bb.62:
	v_cmp_gt_u32_e32 vcc_lo, s19, v55
	s_waitcnt vmcnt(0) lgkmcnt(0)
	v_or_b32_e32 v36, 1, v55
	v_and_b32_e32 v37, 0xffffff00, v34
	v_or_b32_e32 v38, 2, v55
	v_cndmask_b32_e32 v35, 0, v33, vcc_lo
	s_delay_alu instid0(VALU_DEP_4) | instskip(SKIP_1) | instid1(VALU_DEP_4)
	v_cmp_gt_u32_e32 vcc_lo, s19, v36
	v_or_b32_e32 v36, 4, v55
	v_cmp_gt_u32_e64 s2, s19, v38
	v_or_b32_e32 v38, 3, v55
	v_and_b32_e32 v35, 0xff, v35
	s_delay_alu instid0(VALU_DEP_2) | instskip(NEXT) | instid1(VALU_DEP_2)
	v_cmp_gt_u32_e64 s3, s19, v38
	v_cndmask_b32_e32 v35, v35, v33, vcc_lo
	v_cmp_gt_u32_e32 vcc_lo, s19, v36
	v_cndmask_b32_e32 v36, v37, v34, vcc_lo
	v_or_b32_e32 v37, 5, v55
	s_delay_alu instid0(VALU_DEP_2) | instskip(SKIP_1) | instid1(VALU_DEP_1)
	v_and_b32_e32 v36, 0xffff00ff, v36
	v_and_b32_e32 v35, 0xffff, v35
	v_cndmask_b32_e64 v35, v35, v33, s2
	s_delay_alu instid0(VALU_DEP_4) | instskip(SKIP_1) | instid1(VALU_DEP_3)
	v_cmp_gt_u32_e64 s2, s19, v37
	v_or_b32_e32 v37, 6, v55
	v_and_b32_e32 v35, 0xffffff, v35
	s_delay_alu instid0(VALU_DEP_3) | instskip(NEXT) | instid1(VALU_DEP_2)
	v_cndmask_b32_e64 v36, v36, v34, s2
	v_cndmask_b32_e64 v35, v35, v33, s3
	s_delay_alu instid0(VALU_DEP_1) | instskip(SKIP_2) | instid1(VALU_DEP_3)
	v_dual_cndmask_b32 v35, v35, v33 :: v_dual_and_b32 v36, 0xff00ffff, v36
	v_cmp_gt_u32_e32 vcc_lo, s19, v37
	v_or_b32_e32 v37, 7, v55
	v_cndmask_b32_e64 v35, v35, v33, s2
	s_delay_alu instid0(VALU_DEP_1) | instskip(NEXT) | instid1(VALU_DEP_1)
	v_dual_cndmask_b32 v36, v36, v34 :: v_dual_cndmask_b32 v35, v35, v33
	v_and_b32_e32 v36, 0xffffff, v36
	s_delay_alu instid0(VALU_DEP_4) | instskip(NEXT) | instid1(VALU_DEP_2)
	v_cmp_gt_u32_e32 vcc_lo, s19, v37
	v_dual_cndmask_b32 v34, v36, v34 :: v_dual_cndmask_b32 v33, v35, v33
.LBB346_63:
	s_delay_alu instid0(VALU_DEP_1) | instskip(SKIP_1) | instid1(VALU_DEP_2)
	v_and_b32_e32 v44, 0xff, v33
	s_waitcnt vmcnt(0) lgkmcnt(0)
	v_alignbit_b32 v35, v34, v33, 24
	v_bfe_u32 v46, v33, 8, 8
	v_bfe_u32 v48, v33, 16, 8
	v_and_b32_e32 v52, 0xff, v34
	v_bfe_u32 v54, v34, 8, 8
	v_and_b32_e32 v50, 0xff, v35
	v_add_nc_u32_e32 v35, v46, v44
	v_mbcnt_lo_u32_b32 v58, -1, 0
	v_bfe_u32 v57, v34, 16, 8
	v_lshrrev_b32_e32 v56, 24, v34
	v_lshrrev_b32_e32 v59, 5, v0
	v_add3_u32 v35, v35, v48, v50
	v_and_b32_e32 v36, 15, v58
	v_and_b32_e32 v37, 16, v58
	s_and_b32 vcc_lo, exec_lo, s9
	s_mov_b32 s9, -1
	v_add3_u32 v35, v35, v52, v54
	v_cmp_eq_u32_e64 s4, 0, v36
	v_cmp_lt_u32_e64 s2, 1, v36
	v_cmp_lt_u32_e64 s5, 3, v36
	;; [unrolled: 1-line block ×3, first 2 shown]
	v_add3_u32 v60, v35, v57, v56
	v_or_b32_e32 v35, 31, v0
	v_cmp_eq_u32_e64 s7, 0, v37
	s_barrier
	buffer_gl0_inv
	v_cmp_eq_u32_e64 s6, v35, v0
	s_cbranch_vccz .LBB346_89
; %bb.64:
	v_mov_b32_dpp v35, v60 row_shr:1 row_mask:0xf bank_mask:0xf
	s_delay_alu instid0(VALU_DEP_1) | instskip(NEXT) | instid1(VALU_DEP_1)
	v_cndmask_b32_e64 v35, v35, 0, s4
	v_add_nc_u32_e32 v35, v35, v60
	s_delay_alu instid0(VALU_DEP_1) | instskip(NEXT) | instid1(VALU_DEP_1)
	v_mov_b32_dpp v36, v35 row_shr:2 row_mask:0xf bank_mask:0xf
	v_cndmask_b32_e64 v36, 0, v36, s2
	s_delay_alu instid0(VALU_DEP_1) | instskip(NEXT) | instid1(VALU_DEP_1)
	v_add_nc_u32_e32 v35, v35, v36
	v_mov_b32_dpp v36, v35 row_shr:4 row_mask:0xf bank_mask:0xf
	s_delay_alu instid0(VALU_DEP_1) | instskip(NEXT) | instid1(VALU_DEP_1)
	v_cndmask_b32_e64 v36, 0, v36, s5
	v_add_nc_u32_e32 v35, v35, v36
	s_delay_alu instid0(VALU_DEP_1) | instskip(NEXT) | instid1(VALU_DEP_1)
	v_mov_b32_dpp v36, v35 row_shr:8 row_mask:0xf bank_mask:0xf
	v_cndmask_b32_e64 v36, 0, v36, s3
	s_delay_alu instid0(VALU_DEP_1) | instskip(SKIP_3) | instid1(VALU_DEP_1)
	v_add_nc_u32_e32 v35, v35, v36
	ds_swizzle_b32 v36, v35 offset:swizzle(BROADCAST,32,15)
	s_waitcnt lgkmcnt(0)
	v_cndmask_b32_e64 v36, v36, 0, s7
	v_add_nc_u32_e32 v35, v35, v36
	s_and_saveexec_b32 s8, s6
	s_cbranch_execz .LBB346_66
; %bb.65:
	v_lshlrev_b32_e32 v36, 2, v59
	ds_store_b32 v36, v35
.LBB346_66:
	s_or_b32 exec_lo, exec_lo, s8
	s_delay_alu instid0(SALU_CYCLE_1)
	s_mov_b32 s8, exec_lo
	s_waitcnt lgkmcnt(0)
	s_barrier
	buffer_gl0_inv
	v_cmpx_gt_u32_e32 16, v0
	s_cbranch_execz .LBB346_68
; %bb.67:
	v_lshlrev_b32_e32 v36, 2, v0
	ds_load_b32 v37, v36
	s_waitcnt lgkmcnt(0)
	v_mov_b32_dpp v38, v37 row_shr:1 row_mask:0xf bank_mask:0xf
	s_delay_alu instid0(VALU_DEP_1) | instskip(NEXT) | instid1(VALU_DEP_1)
	v_cndmask_b32_e64 v38, v38, 0, s4
	v_add_nc_u32_e32 v37, v38, v37
	s_delay_alu instid0(VALU_DEP_1) | instskip(NEXT) | instid1(VALU_DEP_1)
	v_mov_b32_dpp v38, v37 row_shr:2 row_mask:0xf bank_mask:0xf
	v_cndmask_b32_e64 v38, 0, v38, s2
	s_delay_alu instid0(VALU_DEP_1) | instskip(NEXT) | instid1(VALU_DEP_1)
	v_add_nc_u32_e32 v37, v37, v38
	v_mov_b32_dpp v38, v37 row_shr:4 row_mask:0xf bank_mask:0xf
	s_delay_alu instid0(VALU_DEP_1) | instskip(NEXT) | instid1(VALU_DEP_1)
	v_cndmask_b32_e64 v38, 0, v38, s5
	v_add_nc_u32_e32 v37, v37, v38
	s_delay_alu instid0(VALU_DEP_1) | instskip(NEXT) | instid1(VALU_DEP_1)
	v_mov_b32_dpp v38, v37 row_shr:8 row_mask:0xf bank_mask:0xf
	v_cndmask_b32_e64 v38, 0, v38, s3
	s_delay_alu instid0(VALU_DEP_1)
	v_add_nc_u32_e32 v37, v37, v38
	ds_store_b32 v36, v37
.LBB346_68:
	s_or_b32 exec_lo, exec_lo, s8
	v_cmp_gt_u32_e32 vcc_lo, 32, v0
	s_mov_b32 s9, exec_lo
	s_waitcnt lgkmcnt(0)
	s_barrier
	buffer_gl0_inv
                                        ; implicit-def: $vgpr43
	v_cmpx_lt_u32_e32 31, v0
	s_cbranch_execz .LBB346_70
; %bb.69:
	v_lshl_add_u32 v36, v59, 2, -4
	ds_load_b32 v43, v36
	s_waitcnt lgkmcnt(0)
	v_add_nc_u32_e32 v35, v43, v35
.LBB346_70:
	s_or_b32 exec_lo, exec_lo, s9
	v_add_nc_u32_e32 v36, -1, v58
	s_delay_alu instid0(VALU_DEP_1) | instskip(NEXT) | instid1(VALU_DEP_1)
	v_cmp_gt_i32_e64 s8, 0, v36
	v_cndmask_b32_e64 v36, v36, v58, s8
	v_cmp_eq_u32_e64 s8, 0, v58
	s_delay_alu instid0(VALU_DEP_2)
	v_lshlrev_b32_e32 v36, 2, v36
	ds_bpermute_b32 v45, v36, v35
	s_and_saveexec_b32 s9, vcc_lo
	s_cbranch_execz .LBB346_88
; %bb.71:
	v_mov_b32_e32 v39, 0
	ds_load_b32 v35, v39 offset:60
	s_and_saveexec_b32 s19, s8
	s_cbranch_execz .LBB346_73
; %bb.72:
	s_add_i32 s20, s15, 32
	s_mov_b32 s21, 0
	v_mov_b32_e32 v36, 1
	s_lshl_b64 s[20:21], s[20:21], 3
	s_delay_alu instid0(SALU_CYCLE_1)
	s_add_u32 s20, s12, s20
	s_addc_u32 s21, s13, s21
	s_waitcnt lgkmcnt(0)
	global_store_b64 v39, v[35:36], s[20:21]
.LBB346_73:
	s_or_b32 exec_lo, exec_lo, s19
	v_xad_u32 v37, v58, -1, s15
	s_mov_b32 s20, 0
	s_mov_b32 s19, exec_lo
	s_delay_alu instid0(VALU_DEP_1) | instskip(NEXT) | instid1(VALU_DEP_1)
	v_add_nc_u32_e32 v38, 32, v37
	v_lshlrev_b64 v[38:39], 3, v[38:39]
	s_delay_alu instid0(VALU_DEP_1) | instskip(NEXT) | instid1(VALU_DEP_2)
	v_add_co_u32 v41, vcc_lo, s12, v38
	v_add_co_ci_u32_e32 v42, vcc_lo, s13, v39, vcc_lo
	global_load_b64 v[39:40], v[41:42], off glc
	s_waitcnt vmcnt(0)
	v_and_b32_e32 v36, 0xff, v40
	s_delay_alu instid0(VALU_DEP_1)
	v_cmpx_eq_u16_e32 0, v36
	s_cbranch_execz .LBB346_76
.LBB346_74:                             ; =>This Inner Loop Header: Depth=1
	global_load_b64 v[39:40], v[41:42], off glc
	s_waitcnt vmcnt(0)
	v_and_b32_e32 v36, 0xff, v40
	s_delay_alu instid0(VALU_DEP_1) | instskip(SKIP_1) | instid1(SALU_CYCLE_1)
	v_cmp_ne_u16_e32 vcc_lo, 0, v36
	s_or_b32 s20, vcc_lo, s20
	s_and_not1_b32 exec_lo, exec_lo, s20
	s_cbranch_execnz .LBB346_74
; %bb.75:
	s_or_b32 exec_lo, exec_lo, s20
.LBB346_76:
	s_delay_alu instid0(SALU_CYCLE_1)
	s_or_b32 exec_lo, exec_lo, s19
	v_cmp_ne_u32_e32 vcc_lo, 31, v58
	v_lshlrev_b32_e64 v49, v58, -1
	v_add_nc_u32_e32 v53, 2, v58
	v_add_nc_u32_e32 v66, 16, v58
	v_add_co_ci_u32_e32 v36, vcc_lo, 0, v58, vcc_lo
	s_delay_alu instid0(VALU_DEP_1)
	v_lshlrev_b32_e32 v47, 2, v36
	v_and_b32_e32 v36, 0xff, v40
	ds_bpermute_b32 v38, v47, v39
	v_cmp_eq_u16_e32 vcc_lo, 2, v36
	v_and_or_b32 v36, vcc_lo, v49, 0x80000000
	v_cmp_gt_u32_e32 vcc_lo, 30, v58
	s_delay_alu instid0(VALU_DEP_2) | instskip(SKIP_1) | instid1(VALU_DEP_2)
	v_ctz_i32_b32_e32 v36, v36
	v_cndmask_b32_e64 v41, 0, 1, vcc_lo
	v_cmp_lt_u32_e32 vcc_lo, v58, v36
	s_waitcnt lgkmcnt(0)
	s_delay_alu instid0(VALU_DEP_2) | instskip(NEXT) | instid1(VALU_DEP_1)
	v_dual_cndmask_b32 v38, 0, v38 :: v_dual_lshlrev_b32 v41, 1, v41
	v_add_lshl_u32 v51, v41, v58, 2
	v_cmp_gt_u32_e32 vcc_lo, 28, v58
	s_delay_alu instid0(VALU_DEP_3) | instskip(SKIP_4) | instid1(VALU_DEP_1)
	v_add_nc_u32_e32 v38, v38, v39
	v_cndmask_b32_e64 v41, 0, 1, vcc_lo
	v_cmp_le_u32_e32 vcc_lo, v53, v36
	ds_bpermute_b32 v39, v51, v38
	v_lshlrev_b32_e32 v41, 2, v41
	v_add_lshl_u32 v61, v41, v58, 2
	s_waitcnt lgkmcnt(0)
	v_cndmask_b32_e32 v39, 0, v39, vcc_lo
	v_cmp_gt_u32_e32 vcc_lo, 24, v58
	s_delay_alu instid0(VALU_DEP_2) | instskip(SKIP_4) | instid1(VALU_DEP_2)
	v_add_nc_u32_e32 v38, v38, v39
	v_cndmask_b32_e64 v41, 0, 1, vcc_lo
	ds_bpermute_b32 v39, v61, v38
	v_add_nc_u32_e32 v62, 4, v58
	v_lshlrev_b32_e32 v41, 3, v41
	v_cmp_le_u32_e32 vcc_lo, v62, v36
	s_delay_alu instid0(VALU_DEP_2) | instskip(SKIP_3) | instid1(VALU_DEP_2)
	v_add_lshl_u32 v63, v41, v58, 2
	s_waitcnt lgkmcnt(0)
	v_cndmask_b32_e32 v39, 0, v39, vcc_lo
	v_cmp_gt_u32_e32 vcc_lo, 16, v58
	v_add_nc_u32_e32 v38, v38, v39
	v_cndmask_b32_e64 v41, 0, 1, vcc_lo
	ds_bpermute_b32 v39, v63, v38
	v_add_nc_u32_e32 v64, 8, v58
	v_lshlrev_b32_e32 v41, 4, v41
	s_delay_alu instid0(VALU_DEP_2) | instskip(NEXT) | instid1(VALU_DEP_2)
	v_cmp_le_u32_e32 vcc_lo, v64, v36
	v_add_lshl_u32 v65, v41, v58, 2
	s_waitcnt lgkmcnt(0)
	v_cndmask_b32_e32 v39, 0, v39, vcc_lo
	v_cmp_le_u32_e32 vcc_lo, v66, v36
	s_delay_alu instid0(VALU_DEP_2) | instskip(SKIP_3) | instid1(VALU_DEP_1)
	v_add_nc_u32_e32 v38, v38, v39
	ds_bpermute_b32 v39, v65, v38
	s_waitcnt lgkmcnt(0)
	v_cndmask_b32_e32 v36, 0, v39, vcc_lo
	v_dual_mov_b32 v38, 0 :: v_dual_add_nc_u32 v39, v38, v36
	s_branch .LBB346_78
.LBB346_77:                             ;   in Loop: Header=BB346_78 Depth=1
	s_or_b32 exec_lo, exec_lo, s19
	ds_bpermute_b32 v42, v47, v39
	v_and_b32_e32 v41, 0xff, v40
	v_subrev_nc_u32_e32 v37, 32, v37
	s_delay_alu instid0(VALU_DEP_2) | instskip(SKIP_1) | instid1(VALU_DEP_1)
	v_cmp_eq_u16_e32 vcc_lo, 2, v41
	v_and_or_b32 v41, vcc_lo, v49, 0x80000000
	v_ctz_i32_b32_e32 v41, v41
	s_delay_alu instid0(VALU_DEP_1) | instskip(SKIP_3) | instid1(VALU_DEP_2)
	v_cmp_lt_u32_e32 vcc_lo, v58, v41
	s_waitcnt lgkmcnt(0)
	v_cndmask_b32_e32 v42, 0, v42, vcc_lo
	v_cmp_le_u32_e32 vcc_lo, v53, v41
	v_add_nc_u32_e32 v39, v42, v39
	ds_bpermute_b32 v42, v51, v39
	s_waitcnt lgkmcnt(0)
	v_cndmask_b32_e32 v42, 0, v42, vcc_lo
	v_cmp_le_u32_e32 vcc_lo, v62, v41
	s_delay_alu instid0(VALU_DEP_2) | instskip(SKIP_4) | instid1(VALU_DEP_2)
	v_add_nc_u32_e32 v39, v39, v42
	ds_bpermute_b32 v42, v61, v39
	s_waitcnt lgkmcnt(0)
	v_cndmask_b32_e32 v42, 0, v42, vcc_lo
	v_cmp_le_u32_e32 vcc_lo, v64, v41
	v_add_nc_u32_e32 v39, v39, v42
	ds_bpermute_b32 v42, v63, v39
	s_waitcnt lgkmcnt(0)
	v_cndmask_b32_e32 v42, 0, v42, vcc_lo
	v_cmp_le_u32_e32 vcc_lo, v66, v41
	s_delay_alu instid0(VALU_DEP_2) | instskip(SKIP_3) | instid1(VALU_DEP_1)
	v_add_nc_u32_e32 v39, v39, v42
	ds_bpermute_b32 v42, v65, v39
	s_waitcnt lgkmcnt(0)
	v_cndmask_b32_e32 v41, 0, v42, vcc_lo
	v_add3_u32 v39, v41, v36, v39
.LBB346_78:                             ; =>This Loop Header: Depth=1
                                        ;     Child Loop BB346_81 Depth 2
	v_and_b32_e32 v36, 0xff, v40
	s_delay_alu instid0(VALU_DEP_1) | instskip(SKIP_2) | instid1(VALU_DEP_1)
	v_cmp_ne_u16_e32 vcc_lo, 2, v36
	v_cndmask_b32_e64 v36, 0, 1, vcc_lo
	;;#ASMSTART
	;;#ASMEND
	v_cmp_ne_u32_e32 vcc_lo, 0, v36
	v_mov_b32_e32 v36, v39
	s_cmp_lg_u32 vcc_lo, exec_lo
	s_cbranch_scc1 .LBB346_83
; %bb.79:                               ;   in Loop: Header=BB346_78 Depth=1
	v_lshlrev_b64 v[39:40], 3, v[37:38]
	s_mov_b32 s19, exec_lo
	s_delay_alu instid0(VALU_DEP_1) | instskip(NEXT) | instid1(VALU_DEP_2)
	v_add_co_u32 v41, vcc_lo, s12, v39
	v_add_co_ci_u32_e32 v42, vcc_lo, s13, v40, vcc_lo
	global_load_b64 v[39:40], v[41:42], off glc
	s_waitcnt vmcnt(0)
	v_and_b32_e32 v67, 0xff, v40
	s_delay_alu instid0(VALU_DEP_1)
	v_cmpx_eq_u16_e32 0, v67
	s_cbranch_execz .LBB346_77
; %bb.80:                               ;   in Loop: Header=BB346_78 Depth=1
	s_mov_b32 s20, 0
.LBB346_81:                             ;   Parent Loop BB346_78 Depth=1
                                        ; =>  This Inner Loop Header: Depth=2
	global_load_b64 v[39:40], v[41:42], off glc
	s_waitcnt vmcnt(0)
	v_and_b32_e32 v67, 0xff, v40
	s_delay_alu instid0(VALU_DEP_1) | instskip(SKIP_1) | instid1(SALU_CYCLE_1)
	v_cmp_ne_u16_e32 vcc_lo, 0, v67
	s_or_b32 s20, vcc_lo, s20
	s_and_not1_b32 exec_lo, exec_lo, s20
	s_cbranch_execnz .LBB346_81
; %bb.82:                               ;   in Loop: Header=BB346_78 Depth=1
	s_or_b32 exec_lo, exec_lo, s20
	s_branch .LBB346_77
.LBB346_83:                             ;   in Loop: Header=BB346_78 Depth=1
                                        ; implicit-def: $vgpr39
                                        ; implicit-def: $vgpr40
	s_cbranch_execz .LBB346_78
; %bb.84:
	s_and_saveexec_b32 s19, s8
	s_cbranch_execz .LBB346_86
; %bb.85:
	s_add_i32 s20, s15, 32
	s_mov_b32 s21, 0
	v_dual_mov_b32 v38, 2 :: v_dual_add_nc_u32 v37, v36, v35
	s_lshl_b64 s[20:21], s[20:21], 3
	v_mov_b32_e32 v39, 0
	s_add_u32 s20, s12, s20
	s_addc_u32 s21, s13, s21
	global_store_b64 v39, v[37:38], s[20:21]
	ds_store_b64 v39, v[35:36] offset:33792
.LBB346_86:
	s_or_b32 exec_lo, exec_lo, s19
	v_cmp_eq_u32_e32 vcc_lo, 0, v0
	s_and_b32 exec_lo, exec_lo, vcc_lo
	s_cbranch_execz .LBB346_88
; %bb.87:
	v_mov_b32_e32 v35, 0
	ds_store_b32 v35, v36 offset:60
.LBB346_88:
	s_or_b32 exec_lo, exec_lo, s9
	v_mov_b32_e32 v35, 0
	s_waitcnt lgkmcnt(0)
	s_waitcnt_vscnt null, 0x0
	s_barrier
	buffer_gl0_inv
	v_cndmask_b32_e64 v37, v45, v43, s8
	ds_load_b32 v36, v35 offset:60
	v_cmp_ne_u32_e32 vcc_lo, 0, v0
	s_waitcnt lgkmcnt(0)
	s_barrier
	buffer_gl0_inv
	v_cndmask_b32_e32 v37, 0, v37, vcc_lo
	s_delay_alu instid0(VALU_DEP_1) | instskip(SKIP_2) | instid1(VALU_DEP_1)
	v_add_nc_u32_e32 v53, v36, v37
	ds_load_b64 v[35:36], v35 offset:33792
	v_add_nc_u32_e32 v51, v53, v44
	v_add_nc_u32_e32 v49, v51, v46
	s_delay_alu instid0(VALU_DEP_1) | instskip(NEXT) | instid1(VALU_DEP_1)
	v_add_nc_u32_e32 v47, v49, v48
	v_add_nc_u32_e32 v45, v47, v50
	s_waitcnt lgkmcnt(0)
	v_readfirstlane_b32 s8, v36
	s_delay_alu instid0(VALU_DEP_2) | instskip(NEXT) | instid1(VALU_DEP_1)
	v_add_nc_u32_e32 v43, v45, v52
	v_add_nc_u32_e32 v41, v43, v54
	s_delay_alu instid0(VALU_DEP_1)
	v_add_nc_u32_e32 v39, v41, v57
	v_lshrrev_b64 v[37:38], 24, v[33:34]
	s_branch .LBB346_99
.LBB346_89:
                                        ; implicit-def: $vgpr39
                                        ; implicit-def: $vgpr41
                                        ; implicit-def: $vgpr43
                                        ; implicit-def: $vgpr45
                                        ; implicit-def: $vgpr47
                                        ; implicit-def: $vgpr49
                                        ; implicit-def: $vgpr51
                                        ; implicit-def: $vgpr53
                                        ; implicit-def: $sgpr8
                                        ; implicit-def: $vgpr35
	v_lshrrev_b64 v[37:38], 24, v[33:34]
	s_and_b32 vcc_lo, exec_lo, s9
	s_cbranch_vccz .LBB346_99
; %bb.90:
	v_mov_b32_dpp v35, v60 row_shr:1 row_mask:0xf bank_mask:0xf
	s_delay_alu instid0(VALU_DEP_1) | instskip(NEXT) | instid1(VALU_DEP_1)
	v_cndmask_b32_e64 v35, v35, 0, s4
	v_add_nc_u32_e32 v35, v35, v60
	s_delay_alu instid0(VALU_DEP_1) | instskip(NEXT) | instid1(VALU_DEP_1)
	v_mov_b32_dpp v36, v35 row_shr:2 row_mask:0xf bank_mask:0xf
	v_cndmask_b32_e64 v36, 0, v36, s2
	s_delay_alu instid0(VALU_DEP_1) | instskip(NEXT) | instid1(VALU_DEP_1)
	v_add_nc_u32_e32 v35, v35, v36
	v_mov_b32_dpp v36, v35 row_shr:4 row_mask:0xf bank_mask:0xf
	s_delay_alu instid0(VALU_DEP_1) | instskip(NEXT) | instid1(VALU_DEP_1)
	v_cndmask_b32_e64 v36, 0, v36, s5
	v_add_nc_u32_e32 v35, v35, v36
	s_delay_alu instid0(VALU_DEP_1) | instskip(NEXT) | instid1(VALU_DEP_1)
	v_mov_b32_dpp v36, v35 row_shr:8 row_mask:0xf bank_mask:0xf
	v_cndmask_b32_e64 v36, 0, v36, s3
	s_delay_alu instid0(VALU_DEP_1) | instskip(SKIP_3) | instid1(VALU_DEP_1)
	v_add_nc_u32_e32 v35, v35, v36
	ds_swizzle_b32 v36, v35 offset:swizzle(BROADCAST,32,15)
	s_waitcnt lgkmcnt(0)
	v_cndmask_b32_e64 v36, v36, 0, s7
	v_add_nc_u32_e32 v35, v35, v36
	s_and_saveexec_b32 s7, s6
	s_cbranch_execz .LBB346_92
; %bb.91:
	v_lshlrev_b32_e32 v36, 2, v59
	ds_store_b32 v36, v35
.LBB346_92:
	s_or_b32 exec_lo, exec_lo, s7
	s_delay_alu instid0(SALU_CYCLE_1)
	s_mov_b32 s6, exec_lo
	s_waitcnt lgkmcnt(0)
	s_barrier
	buffer_gl0_inv
	v_cmpx_gt_u32_e32 16, v0
	s_cbranch_execz .LBB346_94
; %bb.93:
	v_lshlrev_b32_e32 v36, 2, v0
	ds_load_b32 v38, v36
	s_waitcnt lgkmcnt(0)
	v_mov_b32_dpp v39, v38 row_shr:1 row_mask:0xf bank_mask:0xf
	s_delay_alu instid0(VALU_DEP_1) | instskip(NEXT) | instid1(VALU_DEP_1)
	v_cndmask_b32_e64 v39, v39, 0, s4
	v_add_nc_u32_e32 v38, v39, v38
	s_delay_alu instid0(VALU_DEP_1) | instskip(NEXT) | instid1(VALU_DEP_1)
	v_mov_b32_dpp v39, v38 row_shr:2 row_mask:0xf bank_mask:0xf
	v_cndmask_b32_e64 v39, 0, v39, s2
	s_delay_alu instid0(VALU_DEP_1) | instskip(NEXT) | instid1(VALU_DEP_1)
	v_add_nc_u32_e32 v38, v38, v39
	v_mov_b32_dpp v39, v38 row_shr:4 row_mask:0xf bank_mask:0xf
	s_delay_alu instid0(VALU_DEP_1) | instskip(NEXT) | instid1(VALU_DEP_1)
	v_cndmask_b32_e64 v39, 0, v39, s5
	v_add_nc_u32_e32 v38, v38, v39
	s_delay_alu instid0(VALU_DEP_1) | instskip(NEXT) | instid1(VALU_DEP_1)
	v_mov_b32_dpp v39, v38 row_shr:8 row_mask:0xf bank_mask:0xf
	v_cndmask_b32_e64 v39, 0, v39, s3
	s_delay_alu instid0(VALU_DEP_1)
	v_add_nc_u32_e32 v38, v38, v39
	ds_store_b32 v36, v38
.LBB346_94:
	s_or_b32 exec_lo, exec_lo, s6
	v_mov_b32_e32 v36, 0
	v_mov_b32_e32 v38, 0
	s_mov_b32 s2, exec_lo
	s_waitcnt lgkmcnt(0)
	s_barrier
	buffer_gl0_inv
	v_cmpx_lt_u32_e32 31, v0
	s_cbranch_execz .LBB346_96
; %bb.95:
	v_lshl_add_u32 v38, v59, 2, -4
	ds_load_b32 v38, v38
.LBB346_96:
	s_or_b32 exec_lo, exec_lo, s2
	v_add_nc_u32_e32 v39, -1, v58
	s_waitcnt lgkmcnt(0)
	v_add_nc_u32_e32 v35, v38, v35
	s_mov_b32 s8, 0
	s_delay_alu instid0(VALU_DEP_2) | instskip(SKIP_2) | instid1(VALU_DEP_2)
	v_cmp_gt_i32_e32 vcc_lo, 0, v39
	v_cndmask_b32_e32 v39, v39, v58, vcc_lo
	v_cmp_eq_u32_e32 vcc_lo, 0, v0
	v_lshlrev_b32_e32 v39, 2, v39
	ds_bpermute_b32 v39, v39, v35
	ds_load_b32 v35, v36 offset:60
	s_and_saveexec_b32 s2, vcc_lo
	s_cbranch_execz .LBB346_98
; %bb.97:
	v_mov_b32_e32 v40, 0
	v_mov_b32_e32 v36, 2
	s_waitcnt lgkmcnt(0)
	global_store_b64 v40, v[35:36], s[12:13] offset:256
.LBB346_98:
	s_or_b32 exec_lo, exec_lo, s2
	v_cmp_eq_u32_e64 s2, 0, v58
	s_waitcnt lgkmcnt(0)
	s_waitcnt_vscnt null, 0x0
	s_barrier
	buffer_gl0_inv
	v_cndmask_b32_e64 v36, v39, v38, s2
	s_delay_alu instid0(VALU_DEP_1) | instskip(NEXT) | instid1(VALU_DEP_1)
	v_cndmask_b32_e64 v53, v36, 0, vcc_lo
	v_add_nc_u32_e32 v51, v53, v44
	s_delay_alu instid0(VALU_DEP_1) | instskip(NEXT) | instid1(VALU_DEP_1)
	v_add_nc_u32_e32 v49, v51, v46
	v_add_nc_u32_e32 v47, v49, v48
	s_delay_alu instid0(VALU_DEP_1) | instskip(NEXT) | instid1(VALU_DEP_1)
	v_add_nc_u32_e32 v45, v47, v50
	v_add_nc_u32_e32 v43, v45, v52
	s_delay_alu instid0(VALU_DEP_1) | instskip(NEXT) | instid1(VALU_DEP_1)
	v_add_nc_u32_e32 v41, v43, v54
	v_add_nc_u32_e32 v39, v41, v57
.LBB346_99:
	s_load_b128 s[4:7], s[0:1], 0x28
	v_add_nc_u32_e32 v59, s8, v35
	v_cmp_gt_u32_e64 s0, 0x201, v35
	v_lshrrev_b32_e32 v58, 8, v33
	v_lshrrev_b32_e32 v57, 16, v33
	;; [unrolled: 1-line block ×4, first 2 shown]
	v_cmp_lt_u32_e64 s1, v53, v59
	s_and_b32 vcc_lo, exec_lo, s0
	s_mov_b32 s2, -1
	s_cbranch_vccz .LBB346_125
; %bb.100:
	s_lshl_b64 s[2:3], s[10:11], 3
	s_waitcnt lgkmcnt(0)
	s_add_u32 s2, s4, s2
	s_addc_u32 s3, s5, s3
	s_or_b32 s9, s18, s1
	s_delay_alu instid0(SALU_CYCLE_1)
	s_and_saveexec_b32 s1, s9
	s_cbranch_execz .LBB346_103
; %bb.101:
	v_and_b32_e32 v40, 1, v33
	s_delay_alu instid0(VALU_DEP_1)
	v_cmp_eq_u32_e32 vcc_lo, 1, v40
	s_and_b32 exec_lo, exec_lo, vcc_lo
	s_cbranch_execz .LBB346_103
; %bb.102:
	v_mov_b32_e32 v54, 0
	s_delay_alu instid0(VALU_DEP_1) | instskip(NEXT) | instid1(VALU_DEP_1)
	v_lshlrev_b64 v[60:61], 3, v[53:54]
	v_add_co_u32 v60, vcc_lo, s2, v60
	s_delay_alu instid0(VALU_DEP_2)
	v_add_co_ci_u32_e32 v61, vcc_lo, s3, v61, vcc_lo
	global_store_b64 v[60:61], v[29:30], off
.LBB346_103:
	s_or_b32 exec_lo, exec_lo, s1
	v_cmp_lt_u32_e32 vcc_lo, v51, v59
	s_or_b32 s9, s18, vcc_lo
	s_delay_alu instid0(SALU_CYCLE_1)
	s_and_saveexec_b32 s1, s9
	s_cbranch_execz .LBB346_106
; %bb.104:
	v_and_b32_e32 v40, 1, v58
	s_delay_alu instid0(VALU_DEP_1)
	v_cmp_eq_u32_e32 vcc_lo, 1, v40
	s_and_b32 exec_lo, exec_lo, vcc_lo
	s_cbranch_execz .LBB346_106
; %bb.105:
	v_mov_b32_e32 v52, 0
	s_delay_alu instid0(VALU_DEP_1) | instskip(NEXT) | instid1(VALU_DEP_1)
	v_lshlrev_b64 v[60:61], 3, v[51:52]
	v_add_co_u32 v60, vcc_lo, s2, v60
	s_delay_alu instid0(VALU_DEP_2)
	v_add_co_ci_u32_e32 v61, vcc_lo, s3, v61, vcc_lo
	global_store_b64 v[60:61], v[31:32], off
.LBB346_106:
	s_or_b32 exec_lo, exec_lo, s1
	v_cmp_lt_u32_e32 vcc_lo, v49, v59
	s_or_b32 s9, s18, vcc_lo
	;; [unrolled: 21-line block ×7, first 2 shown]
	s_delay_alu instid0(SALU_CYCLE_1)
	s_and_saveexec_b32 s1, s9
	s_cbranch_execz .LBB346_124
; %bb.122:
	v_and_b32_e32 v40, 1, v56
	s_delay_alu instid0(VALU_DEP_1)
	v_cmp_eq_u32_e32 vcc_lo, 1, v40
	s_and_b32 exec_lo, exec_lo, vcc_lo
	s_cbranch_execz .LBB346_124
; %bb.123:
	v_mov_b32_e32 v40, 0
	s_delay_alu instid0(VALU_DEP_1) | instskip(NEXT) | instid1(VALU_DEP_1)
	v_lshlrev_b64 v[60:61], 3, v[39:40]
	v_add_co_u32 v60, vcc_lo, s2, v60
	s_delay_alu instid0(VALU_DEP_2)
	v_add_co_ci_u32_e32 v61, vcc_lo, s3, v61, vcc_lo
	global_store_b64 v[60:61], v[19:20], off
.LBB346_124:
	s_or_b32 exec_lo, exec_lo, s1
	s_mov_b32 s2, 0
.LBB346_125:
	v_and_b32_e32 v33, 1, v33
	s_and_b32 vcc_lo, exec_lo, s2
	s_delay_alu instid0(VALU_DEP_1)
	v_cmp_eq_u32_e64 s1, 1, v33
	s_cbranch_vccz .LBB346_146
; %bb.126:
	s_delay_alu instid0(VALU_DEP_1)
	s_and_saveexec_b32 s2, s1
	s_cbranch_execz .LBB346_128
; %bb.127:
	v_subrev_nc_u32_e32 v40, s8, v53
	s_delay_alu instid0(VALU_DEP_1)
	v_lshlrev_b32_e32 v40, 3, v40
	ds_store_b64 v40, v[29:30]
.LBB346_128:
	s_or_b32 exec_lo, exec_lo, s2
	v_and_b32_e32 v29, 1, v58
	s_mov_b32 s1, exec_lo
	s_delay_alu instid0(VALU_DEP_1)
	v_cmpx_eq_u32_e32 1, v29
	s_cbranch_execz .LBB346_130
; %bb.129:
	v_subrev_nc_u32_e32 v29, s8, v51
	s_delay_alu instid0(VALU_DEP_1)
	v_lshlrev_b32_e32 v29, 3, v29
	ds_store_b64 v29, v[31:32]
.LBB346_130:
	s_or_b32 exec_lo, exec_lo, s1
	v_and_b32_e32 v29, 1, v57
	s_mov_b32 s1, exec_lo
	s_delay_alu instid0(VALU_DEP_1)
	v_cmpx_eq_u32_e32 1, v29
	;; [unrolled: 12-line block ×7, first 2 shown]
	s_cbranch_execz .LBB346_142
; %bb.141:
	v_subrev_nc_u32_e32 v17, s8, v39
	s_delay_alu instid0(VALU_DEP_1)
	v_lshlrev_b32_e32 v17, 3, v17
	ds_store_b64 v17, v[19:20]
.LBB346_142:
	s_or_b32 exec_lo, exec_lo, s1
	s_delay_alu instid0(SALU_CYCLE_1)
	s_mov_b32 s2, exec_lo
	s_waitcnt lgkmcnt(0)
	s_waitcnt_vscnt null, 0x0
	s_barrier
	buffer_gl0_inv
	v_cmpx_lt_u32_e64 v0, v35
	s_cbranch_execz .LBB346_145
; %bb.143:
	s_mov_b32 s9, 0
	s_lshl_b64 s[12:13], s[10:11], 3
	s_lshl_b64 s[20:21], s[8:9], 3
	v_dual_mov_b32 v19, v55 :: v_dual_mov_b32 v20, v0
	s_add_u32 s1, s12, s20
	s_addc_u32 s3, s13, s21
	s_add_u32 s1, s4, s1
	s_addc_u32 s3, s5, s3
	v_add_co_u32 v17, s1, s1, v55
	s_delay_alu instid0(VALU_DEP_1)
	v_add_co_ci_u32_e64 v18, null, s3, 0, s1
	.p2align	6
.LBB346_144:                            ; =>This Inner Loop Header: Depth=1
	ds_load_b64 v[21:22], v19
	v_add_nc_u32_e32 v20, 0x200, v20
	v_add_nc_u32_e32 v19, 0x1000, v19
	s_delay_alu instid0(VALU_DEP_2) | instskip(SKIP_4) | instid1(VALU_DEP_1)
	v_cmp_ge_u32_e32 vcc_lo, v20, v35
	s_or_b32 s9, vcc_lo, s9
	s_waitcnt lgkmcnt(0)
	global_store_b64 v[17:18], v[21:22], off
	v_add_co_u32 v17, s1, 0x1000, v17
	v_add_co_ci_u32_e64 v18, s1, 0, v18, s1
	s_and_not1_b32 exec_lo, exec_lo, s9
	s_cbranch_execnz .LBB346_144
.LBB346_145:
	s_or_b32 exec_lo, exec_lo, s2
.LBB346_146:
	s_delay_alu instid0(SALU_CYCLE_1)
	s_and_b32 vcc_lo, exec_lo, s0
	s_mov_b32 s0, -1
	s_waitcnt lgkmcnt(0)
	s_waitcnt_vscnt null, 0x0
	s_barrier
	buffer_gl0_inv
	s_cbranch_vccz .LBB346_174
; %bb.147:
	v_cmp_lt_u32_e32 vcc_lo, v53, v59
	s_lshl_b64 s[0:1], s[10:11], 3
	s_delay_alu instid0(SALU_CYCLE_1) | instskip(SKIP_2) | instid1(SALU_CYCLE_1)
	s_add_u32 s0, s6, s0
	s_addc_u32 s1, s7, s1
	s_or_b32 s3, s18, vcc_lo
	s_and_saveexec_b32 s2, s3
	s_cbranch_execz .LBB346_150
; %bb.148:
	v_cmp_eq_u32_e32 vcc_lo, 1, v33
	s_and_b32 exec_lo, exec_lo, vcc_lo
	s_cbranch_execz .LBB346_150
; %bb.149:
	v_mov_b32_e32 v54, 0
	s_delay_alu instid0(VALU_DEP_1) | instskip(NEXT) | instid1(VALU_DEP_1)
	v_lshlrev_b64 v[17:18], 3, v[53:54]
	v_add_co_u32 v17, vcc_lo, s0, v17
	s_delay_alu instid0(VALU_DEP_2)
	v_add_co_ci_u32_e32 v18, vcc_lo, s1, v18, vcc_lo
	global_store_b64 v[17:18], v[13:14], off
.LBB346_150:
	s_or_b32 exec_lo, exec_lo, s2
	v_cmp_lt_u32_e32 vcc_lo, v51, v59
	s_or_b32 s3, s18, vcc_lo
	s_delay_alu instid0(SALU_CYCLE_1)
	s_and_saveexec_b32 s2, s3
	s_cbranch_execz .LBB346_153
; %bb.151:
	v_and_b32_e32 v17, 1, v58
	s_delay_alu instid0(VALU_DEP_1)
	v_cmp_eq_u32_e32 vcc_lo, 1, v17
	s_and_b32 exec_lo, exec_lo, vcc_lo
	s_cbranch_execz .LBB346_153
; %bb.152:
	v_mov_b32_e32 v52, 0
	s_delay_alu instid0(VALU_DEP_1) | instskip(NEXT) | instid1(VALU_DEP_1)
	v_lshlrev_b64 v[17:18], 3, v[51:52]
	v_add_co_u32 v17, vcc_lo, s0, v17
	s_delay_alu instid0(VALU_DEP_2)
	v_add_co_ci_u32_e32 v18, vcc_lo, s1, v18, vcc_lo
	global_store_b64 v[17:18], v[15:16], off
.LBB346_153:
	s_or_b32 exec_lo, exec_lo, s2
	v_cmp_lt_u32_e32 vcc_lo, v49, v59
	s_or_b32 s3, s18, vcc_lo
	s_delay_alu instid0(SALU_CYCLE_1)
	s_and_saveexec_b32 s2, s3
	s_cbranch_execz .LBB346_156
; %bb.154:
	v_and_b32_e32 v17, 1, v57
	s_delay_alu instid0(VALU_DEP_1)
	v_cmp_eq_u32_e32 vcc_lo, 1, v17
	s_and_b32 exec_lo, exec_lo, vcc_lo
	s_cbranch_execz .LBB346_156
; %bb.155:
	v_mov_b32_e32 v50, 0
	s_delay_alu instid0(VALU_DEP_1) | instskip(NEXT) | instid1(VALU_DEP_1)
	v_lshlrev_b64 v[17:18], 3, v[49:50]
	v_add_co_u32 v17, vcc_lo, s0, v17
	s_delay_alu instid0(VALU_DEP_2)
	v_add_co_ci_u32_e32 v18, vcc_lo, s1, v18, vcc_lo
	global_store_b64 v[17:18], v[9:10], off
.LBB346_156:
	;; [unrolled: 21-line block ×7, first 2 shown]
	s_or_b32 exec_lo, exec_lo, s2
.LBB346_172:
	v_cmp_eq_u32_e32 vcc_lo, 0, v0
	s_and_b32 s0, vcc_lo, s14
	s_delay_alu instid0(SALU_CYCLE_1)
	s_and_saveexec_b32 s1, s0
	s_cbranch_execz .LBB346_195
.LBB346_173:
	v_add_co_u32 v0, s0, s10, v35
	s_delay_alu instid0(VALU_DEP_1) | instskip(SKIP_1) | instid1(VALU_DEP_3)
	v_add_co_ci_u32_e64 v1, null, s11, 0, s0
	v_mov_b32_e32 v2, 0
	v_add_co_u32 v0, vcc_lo, v0, s8
	s_delay_alu instid0(VALU_DEP_3)
	v_add_co_ci_u32_e32 v1, vcc_lo, 0, v1, vcc_lo
	global_store_b64 v2, v[0:1], s[16:17]
	s_nop 0
	s_sendmsg sendmsg(MSG_DEALLOC_VGPRS)
	s_endpgm
.LBB346_174:
	s_and_b32 vcc_lo, exec_lo, s0
	s_cbranch_vccz .LBB346_172
; %bb.175:
	s_mov_b32 s0, exec_lo
	v_cmpx_eq_u32_e32 1, v33
	s_cbranch_execz .LBB346_177
; %bb.176:
	v_subrev_nc_u32_e32 v17, s8, v53
	s_delay_alu instid0(VALU_DEP_1)
	v_lshlrev_b32_e32 v17, 3, v17
	ds_store_b64 v17, v[13:14]
.LBB346_177:
	s_or_b32 exec_lo, exec_lo, s0
	v_and_b32_e32 v13, 1, v58
	s_mov_b32 s0, exec_lo
	s_delay_alu instid0(VALU_DEP_1)
	v_cmpx_eq_u32_e32 1, v13
	s_cbranch_execz .LBB346_179
; %bb.178:
	v_subrev_nc_u32_e32 v13, s8, v51
	s_delay_alu instid0(VALU_DEP_1)
	v_lshlrev_b32_e32 v13, 3, v13
	ds_store_b64 v13, v[15:16]
.LBB346_179:
	s_or_b32 exec_lo, exec_lo, s0
	v_and_b32_e32 v13, 1, v57
	s_mov_b32 s0, exec_lo
	s_delay_alu instid0(VALU_DEP_1)
	;; [unrolled: 12-line block ×7, first 2 shown]
	v_cmpx_eq_u32_e32 1, v1
	s_cbranch_execz .LBB346_191
; %bb.190:
	v_subrev_nc_u32_e32 v1, s8, v39
	s_delay_alu instid0(VALU_DEP_1)
	v_lshlrev_b32_e32 v1, 3, v1
	ds_store_b64 v1, v[3:4]
.LBB346_191:
	s_or_b32 exec_lo, exec_lo, s0
	s_delay_alu instid0(SALU_CYCLE_1)
	s_mov_b32 s1, exec_lo
	s_waitcnt lgkmcnt(0)
	s_waitcnt_vscnt null, 0x0
	s_barrier
	buffer_gl0_inv
	v_cmpx_lt_u32_e64 v0, v35
	s_cbranch_execz .LBB346_194
; %bb.192:
	s_mov_b32 s9, 0
	s_lshl_b64 s[2:3], s[10:11], 3
	s_lshl_b64 s[4:5], s[8:9], 3
	v_mov_b32_e32 v3, v0
	s_add_u32 s0, s2, s4
	s_addc_u32 s2, s3, s5
	s_add_u32 s0, s6, s0
	s_addc_u32 s2, s7, s2
	v_add_co_u32 v1, s0, s0, v55
	s_delay_alu instid0(VALU_DEP_1)
	v_add_co_ci_u32_e64 v2, null, s2, 0, s0
	.p2align	6
.LBB346_193:                            ; =>This Inner Loop Header: Depth=1
	ds_load_b64 v[4:5], v55
	v_add_nc_u32_e32 v3, 0x200, v3
	v_add_nc_u32_e32 v55, 0x1000, v55
	s_delay_alu instid0(VALU_DEP_2) | instskip(SKIP_4) | instid1(VALU_DEP_1)
	v_cmp_ge_u32_e32 vcc_lo, v3, v35
	s_or_b32 s9, vcc_lo, s9
	s_waitcnt lgkmcnt(0)
	global_store_b64 v[1:2], v[4:5], off
	v_add_co_u32 v1, s0, 0x1000, v1
	v_add_co_ci_u32_e64 v2, s0, 0, v2, s0
	s_and_not1_b32 exec_lo, exec_lo, s9
	s_cbranch_execnz .LBB346_193
.LBB346_194:
	s_or_b32 exec_lo, exec_lo, s1
	v_cmp_eq_u32_e32 vcc_lo, 0, v0
	s_and_b32 s0, vcc_lo, s14
	s_delay_alu instid0(SALU_CYCLE_1)
	s_and_saveexec_b32 s1, s0
	s_cbranch_execnz .LBB346_173
.LBB346_195:
	s_nop 0
	s_sendmsg sendmsg(MSG_DEALLOC_VGPRS)
	s_endpgm
	.section	.rodata,"a",@progbits
	.p2align	6, 0x0
	.amdhsa_kernel _ZN7rocprim17ROCPRIM_400000_NS6detail17trampoline_kernelINS0_14default_configENS1_25partition_config_selectorILNS1_17partition_subalgoE9ExxbEEZZNS1_14partition_implILS5_9ELb0ES3_jN6thrust23THRUST_200600_302600_NS6detail15normal_iteratorINS9_10device_ptrIxEEEESE_PNS0_10empty_typeENS0_5tupleIJSE_SF_EEENSH_IJSE_SG_EEENS0_18inequality_wrapperINS9_8equal_toIxEEEEPmJSF_EEE10hipError_tPvRmT3_T4_T5_T6_T7_T9_mT8_P12ihipStream_tbDpT10_ENKUlT_T0_E_clISt17integral_constantIbLb0EES18_EEDaS13_S14_EUlS13_E_NS1_11comp_targetILNS1_3genE9ELNS1_11target_archE1100ELNS1_3gpuE3ELNS1_3repE0EEENS1_30default_config_static_selectorELNS0_4arch9wavefront6targetE0EEEvT1_
		.amdhsa_group_segment_fixed_size 33800
		.amdhsa_private_segment_fixed_size 0
		.amdhsa_kernarg_size 112
		.amdhsa_user_sgpr_count 15
		.amdhsa_user_sgpr_dispatch_ptr 0
		.amdhsa_user_sgpr_queue_ptr 0
		.amdhsa_user_sgpr_kernarg_segment_ptr 1
		.amdhsa_user_sgpr_dispatch_id 0
		.amdhsa_user_sgpr_private_segment_size 0
		.amdhsa_wavefront_size32 1
		.amdhsa_uses_dynamic_stack 0
		.amdhsa_enable_private_segment 0
		.amdhsa_system_sgpr_workgroup_id_x 1
		.amdhsa_system_sgpr_workgroup_id_y 0
		.amdhsa_system_sgpr_workgroup_id_z 0
		.amdhsa_system_sgpr_workgroup_info 0
		.amdhsa_system_vgpr_workitem_id 0
		.amdhsa_next_free_vgpr 68
		.amdhsa_next_free_sgpr 25
		.amdhsa_reserve_vcc 1
		.amdhsa_float_round_mode_32 0
		.amdhsa_float_round_mode_16_64 0
		.amdhsa_float_denorm_mode_32 3
		.amdhsa_float_denorm_mode_16_64 3
		.amdhsa_dx10_clamp 1
		.amdhsa_ieee_mode 1
		.amdhsa_fp16_overflow 0
		.amdhsa_workgroup_processor_mode 1
		.amdhsa_memory_ordered 1
		.amdhsa_forward_progress 0
		.amdhsa_shared_vgpr_count 0
		.amdhsa_exception_fp_ieee_invalid_op 0
		.amdhsa_exception_fp_denorm_src 0
		.amdhsa_exception_fp_ieee_div_zero 0
		.amdhsa_exception_fp_ieee_overflow 0
		.amdhsa_exception_fp_ieee_underflow 0
		.amdhsa_exception_fp_ieee_inexact 0
		.amdhsa_exception_int_div_zero 0
	.end_amdhsa_kernel
	.section	.text._ZN7rocprim17ROCPRIM_400000_NS6detail17trampoline_kernelINS0_14default_configENS1_25partition_config_selectorILNS1_17partition_subalgoE9ExxbEEZZNS1_14partition_implILS5_9ELb0ES3_jN6thrust23THRUST_200600_302600_NS6detail15normal_iteratorINS9_10device_ptrIxEEEESE_PNS0_10empty_typeENS0_5tupleIJSE_SF_EEENSH_IJSE_SG_EEENS0_18inequality_wrapperINS9_8equal_toIxEEEEPmJSF_EEE10hipError_tPvRmT3_T4_T5_T6_T7_T9_mT8_P12ihipStream_tbDpT10_ENKUlT_T0_E_clISt17integral_constantIbLb0EES18_EEDaS13_S14_EUlS13_E_NS1_11comp_targetILNS1_3genE9ELNS1_11target_archE1100ELNS1_3gpuE3ELNS1_3repE0EEENS1_30default_config_static_selectorELNS0_4arch9wavefront6targetE0EEEvT1_,"axG",@progbits,_ZN7rocprim17ROCPRIM_400000_NS6detail17trampoline_kernelINS0_14default_configENS1_25partition_config_selectorILNS1_17partition_subalgoE9ExxbEEZZNS1_14partition_implILS5_9ELb0ES3_jN6thrust23THRUST_200600_302600_NS6detail15normal_iteratorINS9_10device_ptrIxEEEESE_PNS0_10empty_typeENS0_5tupleIJSE_SF_EEENSH_IJSE_SG_EEENS0_18inequality_wrapperINS9_8equal_toIxEEEEPmJSF_EEE10hipError_tPvRmT3_T4_T5_T6_T7_T9_mT8_P12ihipStream_tbDpT10_ENKUlT_T0_E_clISt17integral_constantIbLb0EES18_EEDaS13_S14_EUlS13_E_NS1_11comp_targetILNS1_3genE9ELNS1_11target_archE1100ELNS1_3gpuE3ELNS1_3repE0EEENS1_30default_config_static_selectorELNS0_4arch9wavefront6targetE0EEEvT1_,comdat
.Lfunc_end346:
	.size	_ZN7rocprim17ROCPRIM_400000_NS6detail17trampoline_kernelINS0_14default_configENS1_25partition_config_selectorILNS1_17partition_subalgoE9ExxbEEZZNS1_14partition_implILS5_9ELb0ES3_jN6thrust23THRUST_200600_302600_NS6detail15normal_iteratorINS9_10device_ptrIxEEEESE_PNS0_10empty_typeENS0_5tupleIJSE_SF_EEENSH_IJSE_SG_EEENS0_18inequality_wrapperINS9_8equal_toIxEEEEPmJSF_EEE10hipError_tPvRmT3_T4_T5_T6_T7_T9_mT8_P12ihipStream_tbDpT10_ENKUlT_T0_E_clISt17integral_constantIbLb0EES18_EEDaS13_S14_EUlS13_E_NS1_11comp_targetILNS1_3genE9ELNS1_11target_archE1100ELNS1_3gpuE3ELNS1_3repE0EEENS1_30default_config_static_selectorELNS0_4arch9wavefront6targetE0EEEvT1_, .Lfunc_end346-_ZN7rocprim17ROCPRIM_400000_NS6detail17trampoline_kernelINS0_14default_configENS1_25partition_config_selectorILNS1_17partition_subalgoE9ExxbEEZZNS1_14partition_implILS5_9ELb0ES3_jN6thrust23THRUST_200600_302600_NS6detail15normal_iteratorINS9_10device_ptrIxEEEESE_PNS0_10empty_typeENS0_5tupleIJSE_SF_EEENSH_IJSE_SG_EEENS0_18inequality_wrapperINS9_8equal_toIxEEEEPmJSF_EEE10hipError_tPvRmT3_T4_T5_T6_T7_T9_mT8_P12ihipStream_tbDpT10_ENKUlT_T0_E_clISt17integral_constantIbLb0EES18_EEDaS13_S14_EUlS13_E_NS1_11comp_targetILNS1_3genE9ELNS1_11target_archE1100ELNS1_3gpuE3ELNS1_3repE0EEENS1_30default_config_static_selectorELNS0_4arch9wavefront6targetE0EEEvT1_
                                        ; -- End function
	.section	.AMDGPU.csdata,"",@progbits
; Kernel info:
; codeLenInByte = 9336
; NumSgprs: 27
; NumVgprs: 68
; ScratchSize: 0
; MemoryBound: 0
; FloatMode: 240
; IeeeMode: 1
; LDSByteSize: 33800 bytes/workgroup (compile time only)
; SGPRBlocks: 3
; VGPRBlocks: 8
; NumSGPRsForWavesPerEU: 27
; NumVGPRsForWavesPerEU: 68
; Occupancy: 12
; WaveLimiterHint : 1
; COMPUTE_PGM_RSRC2:SCRATCH_EN: 0
; COMPUTE_PGM_RSRC2:USER_SGPR: 15
; COMPUTE_PGM_RSRC2:TRAP_HANDLER: 0
; COMPUTE_PGM_RSRC2:TGID_X_EN: 1
; COMPUTE_PGM_RSRC2:TGID_Y_EN: 0
; COMPUTE_PGM_RSRC2:TGID_Z_EN: 0
; COMPUTE_PGM_RSRC2:TIDIG_COMP_CNT: 0
	.section	.text._ZN7rocprim17ROCPRIM_400000_NS6detail17trampoline_kernelINS0_14default_configENS1_25partition_config_selectorILNS1_17partition_subalgoE9ExxbEEZZNS1_14partition_implILS5_9ELb0ES3_jN6thrust23THRUST_200600_302600_NS6detail15normal_iteratorINS9_10device_ptrIxEEEESE_PNS0_10empty_typeENS0_5tupleIJSE_SF_EEENSH_IJSE_SG_EEENS0_18inequality_wrapperINS9_8equal_toIxEEEEPmJSF_EEE10hipError_tPvRmT3_T4_T5_T6_T7_T9_mT8_P12ihipStream_tbDpT10_ENKUlT_T0_E_clISt17integral_constantIbLb0EES18_EEDaS13_S14_EUlS13_E_NS1_11comp_targetILNS1_3genE8ELNS1_11target_archE1030ELNS1_3gpuE2ELNS1_3repE0EEENS1_30default_config_static_selectorELNS0_4arch9wavefront6targetE0EEEvT1_,"axG",@progbits,_ZN7rocprim17ROCPRIM_400000_NS6detail17trampoline_kernelINS0_14default_configENS1_25partition_config_selectorILNS1_17partition_subalgoE9ExxbEEZZNS1_14partition_implILS5_9ELb0ES3_jN6thrust23THRUST_200600_302600_NS6detail15normal_iteratorINS9_10device_ptrIxEEEESE_PNS0_10empty_typeENS0_5tupleIJSE_SF_EEENSH_IJSE_SG_EEENS0_18inequality_wrapperINS9_8equal_toIxEEEEPmJSF_EEE10hipError_tPvRmT3_T4_T5_T6_T7_T9_mT8_P12ihipStream_tbDpT10_ENKUlT_T0_E_clISt17integral_constantIbLb0EES18_EEDaS13_S14_EUlS13_E_NS1_11comp_targetILNS1_3genE8ELNS1_11target_archE1030ELNS1_3gpuE2ELNS1_3repE0EEENS1_30default_config_static_selectorELNS0_4arch9wavefront6targetE0EEEvT1_,comdat
	.protected	_ZN7rocprim17ROCPRIM_400000_NS6detail17trampoline_kernelINS0_14default_configENS1_25partition_config_selectorILNS1_17partition_subalgoE9ExxbEEZZNS1_14partition_implILS5_9ELb0ES3_jN6thrust23THRUST_200600_302600_NS6detail15normal_iteratorINS9_10device_ptrIxEEEESE_PNS0_10empty_typeENS0_5tupleIJSE_SF_EEENSH_IJSE_SG_EEENS0_18inequality_wrapperINS9_8equal_toIxEEEEPmJSF_EEE10hipError_tPvRmT3_T4_T5_T6_T7_T9_mT8_P12ihipStream_tbDpT10_ENKUlT_T0_E_clISt17integral_constantIbLb0EES18_EEDaS13_S14_EUlS13_E_NS1_11comp_targetILNS1_3genE8ELNS1_11target_archE1030ELNS1_3gpuE2ELNS1_3repE0EEENS1_30default_config_static_selectorELNS0_4arch9wavefront6targetE0EEEvT1_ ; -- Begin function _ZN7rocprim17ROCPRIM_400000_NS6detail17trampoline_kernelINS0_14default_configENS1_25partition_config_selectorILNS1_17partition_subalgoE9ExxbEEZZNS1_14partition_implILS5_9ELb0ES3_jN6thrust23THRUST_200600_302600_NS6detail15normal_iteratorINS9_10device_ptrIxEEEESE_PNS0_10empty_typeENS0_5tupleIJSE_SF_EEENSH_IJSE_SG_EEENS0_18inequality_wrapperINS9_8equal_toIxEEEEPmJSF_EEE10hipError_tPvRmT3_T4_T5_T6_T7_T9_mT8_P12ihipStream_tbDpT10_ENKUlT_T0_E_clISt17integral_constantIbLb0EES18_EEDaS13_S14_EUlS13_E_NS1_11comp_targetILNS1_3genE8ELNS1_11target_archE1030ELNS1_3gpuE2ELNS1_3repE0EEENS1_30default_config_static_selectorELNS0_4arch9wavefront6targetE0EEEvT1_
	.globl	_ZN7rocprim17ROCPRIM_400000_NS6detail17trampoline_kernelINS0_14default_configENS1_25partition_config_selectorILNS1_17partition_subalgoE9ExxbEEZZNS1_14partition_implILS5_9ELb0ES3_jN6thrust23THRUST_200600_302600_NS6detail15normal_iteratorINS9_10device_ptrIxEEEESE_PNS0_10empty_typeENS0_5tupleIJSE_SF_EEENSH_IJSE_SG_EEENS0_18inequality_wrapperINS9_8equal_toIxEEEEPmJSF_EEE10hipError_tPvRmT3_T4_T5_T6_T7_T9_mT8_P12ihipStream_tbDpT10_ENKUlT_T0_E_clISt17integral_constantIbLb0EES18_EEDaS13_S14_EUlS13_E_NS1_11comp_targetILNS1_3genE8ELNS1_11target_archE1030ELNS1_3gpuE2ELNS1_3repE0EEENS1_30default_config_static_selectorELNS0_4arch9wavefront6targetE0EEEvT1_
	.p2align	8
	.type	_ZN7rocprim17ROCPRIM_400000_NS6detail17trampoline_kernelINS0_14default_configENS1_25partition_config_selectorILNS1_17partition_subalgoE9ExxbEEZZNS1_14partition_implILS5_9ELb0ES3_jN6thrust23THRUST_200600_302600_NS6detail15normal_iteratorINS9_10device_ptrIxEEEESE_PNS0_10empty_typeENS0_5tupleIJSE_SF_EEENSH_IJSE_SG_EEENS0_18inequality_wrapperINS9_8equal_toIxEEEEPmJSF_EEE10hipError_tPvRmT3_T4_T5_T6_T7_T9_mT8_P12ihipStream_tbDpT10_ENKUlT_T0_E_clISt17integral_constantIbLb0EES18_EEDaS13_S14_EUlS13_E_NS1_11comp_targetILNS1_3genE8ELNS1_11target_archE1030ELNS1_3gpuE2ELNS1_3repE0EEENS1_30default_config_static_selectorELNS0_4arch9wavefront6targetE0EEEvT1_,@function
_ZN7rocprim17ROCPRIM_400000_NS6detail17trampoline_kernelINS0_14default_configENS1_25partition_config_selectorILNS1_17partition_subalgoE9ExxbEEZZNS1_14partition_implILS5_9ELb0ES3_jN6thrust23THRUST_200600_302600_NS6detail15normal_iteratorINS9_10device_ptrIxEEEESE_PNS0_10empty_typeENS0_5tupleIJSE_SF_EEENSH_IJSE_SG_EEENS0_18inequality_wrapperINS9_8equal_toIxEEEEPmJSF_EEE10hipError_tPvRmT3_T4_T5_T6_T7_T9_mT8_P12ihipStream_tbDpT10_ENKUlT_T0_E_clISt17integral_constantIbLb0EES18_EEDaS13_S14_EUlS13_E_NS1_11comp_targetILNS1_3genE8ELNS1_11target_archE1030ELNS1_3gpuE2ELNS1_3repE0EEENS1_30default_config_static_selectorELNS0_4arch9wavefront6targetE0EEEvT1_: ; @_ZN7rocprim17ROCPRIM_400000_NS6detail17trampoline_kernelINS0_14default_configENS1_25partition_config_selectorILNS1_17partition_subalgoE9ExxbEEZZNS1_14partition_implILS5_9ELb0ES3_jN6thrust23THRUST_200600_302600_NS6detail15normal_iteratorINS9_10device_ptrIxEEEESE_PNS0_10empty_typeENS0_5tupleIJSE_SF_EEENSH_IJSE_SG_EEENS0_18inequality_wrapperINS9_8equal_toIxEEEEPmJSF_EEE10hipError_tPvRmT3_T4_T5_T6_T7_T9_mT8_P12ihipStream_tbDpT10_ENKUlT_T0_E_clISt17integral_constantIbLb0EES18_EEDaS13_S14_EUlS13_E_NS1_11comp_targetILNS1_3genE8ELNS1_11target_archE1030ELNS1_3gpuE2ELNS1_3repE0EEENS1_30default_config_static_selectorELNS0_4arch9wavefront6targetE0EEEvT1_
; %bb.0:
	.section	.rodata,"a",@progbits
	.p2align	6, 0x0
	.amdhsa_kernel _ZN7rocprim17ROCPRIM_400000_NS6detail17trampoline_kernelINS0_14default_configENS1_25partition_config_selectorILNS1_17partition_subalgoE9ExxbEEZZNS1_14partition_implILS5_9ELb0ES3_jN6thrust23THRUST_200600_302600_NS6detail15normal_iteratorINS9_10device_ptrIxEEEESE_PNS0_10empty_typeENS0_5tupleIJSE_SF_EEENSH_IJSE_SG_EEENS0_18inequality_wrapperINS9_8equal_toIxEEEEPmJSF_EEE10hipError_tPvRmT3_T4_T5_T6_T7_T9_mT8_P12ihipStream_tbDpT10_ENKUlT_T0_E_clISt17integral_constantIbLb0EES18_EEDaS13_S14_EUlS13_E_NS1_11comp_targetILNS1_3genE8ELNS1_11target_archE1030ELNS1_3gpuE2ELNS1_3repE0EEENS1_30default_config_static_selectorELNS0_4arch9wavefront6targetE0EEEvT1_
		.amdhsa_group_segment_fixed_size 0
		.amdhsa_private_segment_fixed_size 0
		.amdhsa_kernarg_size 112
		.amdhsa_user_sgpr_count 15
		.amdhsa_user_sgpr_dispatch_ptr 0
		.amdhsa_user_sgpr_queue_ptr 0
		.amdhsa_user_sgpr_kernarg_segment_ptr 1
		.amdhsa_user_sgpr_dispatch_id 0
		.amdhsa_user_sgpr_private_segment_size 0
		.amdhsa_wavefront_size32 1
		.amdhsa_uses_dynamic_stack 0
		.amdhsa_enable_private_segment 0
		.amdhsa_system_sgpr_workgroup_id_x 1
		.amdhsa_system_sgpr_workgroup_id_y 0
		.amdhsa_system_sgpr_workgroup_id_z 0
		.amdhsa_system_sgpr_workgroup_info 0
		.amdhsa_system_vgpr_workitem_id 0
		.amdhsa_next_free_vgpr 1
		.amdhsa_next_free_sgpr 1
		.amdhsa_reserve_vcc 0
		.amdhsa_float_round_mode_32 0
		.amdhsa_float_round_mode_16_64 0
		.amdhsa_float_denorm_mode_32 3
		.amdhsa_float_denorm_mode_16_64 3
		.amdhsa_dx10_clamp 1
		.amdhsa_ieee_mode 1
		.amdhsa_fp16_overflow 0
		.amdhsa_workgroup_processor_mode 1
		.amdhsa_memory_ordered 1
		.amdhsa_forward_progress 0
		.amdhsa_shared_vgpr_count 0
		.amdhsa_exception_fp_ieee_invalid_op 0
		.amdhsa_exception_fp_denorm_src 0
		.amdhsa_exception_fp_ieee_div_zero 0
		.amdhsa_exception_fp_ieee_overflow 0
		.amdhsa_exception_fp_ieee_underflow 0
		.amdhsa_exception_fp_ieee_inexact 0
		.amdhsa_exception_int_div_zero 0
	.end_amdhsa_kernel
	.section	.text._ZN7rocprim17ROCPRIM_400000_NS6detail17trampoline_kernelINS0_14default_configENS1_25partition_config_selectorILNS1_17partition_subalgoE9ExxbEEZZNS1_14partition_implILS5_9ELb0ES3_jN6thrust23THRUST_200600_302600_NS6detail15normal_iteratorINS9_10device_ptrIxEEEESE_PNS0_10empty_typeENS0_5tupleIJSE_SF_EEENSH_IJSE_SG_EEENS0_18inequality_wrapperINS9_8equal_toIxEEEEPmJSF_EEE10hipError_tPvRmT3_T4_T5_T6_T7_T9_mT8_P12ihipStream_tbDpT10_ENKUlT_T0_E_clISt17integral_constantIbLb0EES18_EEDaS13_S14_EUlS13_E_NS1_11comp_targetILNS1_3genE8ELNS1_11target_archE1030ELNS1_3gpuE2ELNS1_3repE0EEENS1_30default_config_static_selectorELNS0_4arch9wavefront6targetE0EEEvT1_,"axG",@progbits,_ZN7rocprim17ROCPRIM_400000_NS6detail17trampoline_kernelINS0_14default_configENS1_25partition_config_selectorILNS1_17partition_subalgoE9ExxbEEZZNS1_14partition_implILS5_9ELb0ES3_jN6thrust23THRUST_200600_302600_NS6detail15normal_iteratorINS9_10device_ptrIxEEEESE_PNS0_10empty_typeENS0_5tupleIJSE_SF_EEENSH_IJSE_SG_EEENS0_18inequality_wrapperINS9_8equal_toIxEEEEPmJSF_EEE10hipError_tPvRmT3_T4_T5_T6_T7_T9_mT8_P12ihipStream_tbDpT10_ENKUlT_T0_E_clISt17integral_constantIbLb0EES18_EEDaS13_S14_EUlS13_E_NS1_11comp_targetILNS1_3genE8ELNS1_11target_archE1030ELNS1_3gpuE2ELNS1_3repE0EEENS1_30default_config_static_selectorELNS0_4arch9wavefront6targetE0EEEvT1_,comdat
.Lfunc_end347:
	.size	_ZN7rocprim17ROCPRIM_400000_NS6detail17trampoline_kernelINS0_14default_configENS1_25partition_config_selectorILNS1_17partition_subalgoE9ExxbEEZZNS1_14partition_implILS5_9ELb0ES3_jN6thrust23THRUST_200600_302600_NS6detail15normal_iteratorINS9_10device_ptrIxEEEESE_PNS0_10empty_typeENS0_5tupleIJSE_SF_EEENSH_IJSE_SG_EEENS0_18inequality_wrapperINS9_8equal_toIxEEEEPmJSF_EEE10hipError_tPvRmT3_T4_T5_T6_T7_T9_mT8_P12ihipStream_tbDpT10_ENKUlT_T0_E_clISt17integral_constantIbLb0EES18_EEDaS13_S14_EUlS13_E_NS1_11comp_targetILNS1_3genE8ELNS1_11target_archE1030ELNS1_3gpuE2ELNS1_3repE0EEENS1_30default_config_static_selectorELNS0_4arch9wavefront6targetE0EEEvT1_, .Lfunc_end347-_ZN7rocprim17ROCPRIM_400000_NS6detail17trampoline_kernelINS0_14default_configENS1_25partition_config_selectorILNS1_17partition_subalgoE9ExxbEEZZNS1_14partition_implILS5_9ELb0ES3_jN6thrust23THRUST_200600_302600_NS6detail15normal_iteratorINS9_10device_ptrIxEEEESE_PNS0_10empty_typeENS0_5tupleIJSE_SF_EEENSH_IJSE_SG_EEENS0_18inequality_wrapperINS9_8equal_toIxEEEEPmJSF_EEE10hipError_tPvRmT3_T4_T5_T6_T7_T9_mT8_P12ihipStream_tbDpT10_ENKUlT_T0_E_clISt17integral_constantIbLb0EES18_EEDaS13_S14_EUlS13_E_NS1_11comp_targetILNS1_3genE8ELNS1_11target_archE1030ELNS1_3gpuE2ELNS1_3repE0EEENS1_30default_config_static_selectorELNS0_4arch9wavefront6targetE0EEEvT1_
                                        ; -- End function
	.section	.AMDGPU.csdata,"",@progbits
; Kernel info:
; codeLenInByte = 0
; NumSgprs: 0
; NumVgprs: 0
; ScratchSize: 0
; MemoryBound: 0
; FloatMode: 240
; IeeeMode: 1
; LDSByteSize: 0 bytes/workgroup (compile time only)
; SGPRBlocks: 0
; VGPRBlocks: 0
; NumSGPRsForWavesPerEU: 1
; NumVGPRsForWavesPerEU: 1
; Occupancy: 16
; WaveLimiterHint : 0
; COMPUTE_PGM_RSRC2:SCRATCH_EN: 0
; COMPUTE_PGM_RSRC2:USER_SGPR: 15
; COMPUTE_PGM_RSRC2:TRAP_HANDLER: 0
; COMPUTE_PGM_RSRC2:TGID_X_EN: 1
; COMPUTE_PGM_RSRC2:TGID_Y_EN: 0
; COMPUTE_PGM_RSRC2:TGID_Z_EN: 0
; COMPUTE_PGM_RSRC2:TIDIG_COMP_CNT: 0
	.section	.text._ZN7rocprim17ROCPRIM_400000_NS6detail17trampoline_kernelINS0_14default_configENS1_25partition_config_selectorILNS1_17partition_subalgoE9ExxbEEZZNS1_14partition_implILS5_9ELb0ES3_jN6thrust23THRUST_200600_302600_NS6detail15normal_iteratorINS9_10device_ptrIxEEEESE_PNS0_10empty_typeENS0_5tupleIJSE_SF_EEENSH_IJSE_SG_EEENS0_18inequality_wrapperINS9_8equal_toIxEEEEPmJSF_EEE10hipError_tPvRmT3_T4_T5_T6_T7_T9_mT8_P12ihipStream_tbDpT10_ENKUlT_T0_E_clISt17integral_constantIbLb1EES18_EEDaS13_S14_EUlS13_E_NS1_11comp_targetILNS1_3genE0ELNS1_11target_archE4294967295ELNS1_3gpuE0ELNS1_3repE0EEENS1_30default_config_static_selectorELNS0_4arch9wavefront6targetE0EEEvT1_,"axG",@progbits,_ZN7rocprim17ROCPRIM_400000_NS6detail17trampoline_kernelINS0_14default_configENS1_25partition_config_selectorILNS1_17partition_subalgoE9ExxbEEZZNS1_14partition_implILS5_9ELb0ES3_jN6thrust23THRUST_200600_302600_NS6detail15normal_iteratorINS9_10device_ptrIxEEEESE_PNS0_10empty_typeENS0_5tupleIJSE_SF_EEENSH_IJSE_SG_EEENS0_18inequality_wrapperINS9_8equal_toIxEEEEPmJSF_EEE10hipError_tPvRmT3_T4_T5_T6_T7_T9_mT8_P12ihipStream_tbDpT10_ENKUlT_T0_E_clISt17integral_constantIbLb1EES18_EEDaS13_S14_EUlS13_E_NS1_11comp_targetILNS1_3genE0ELNS1_11target_archE4294967295ELNS1_3gpuE0ELNS1_3repE0EEENS1_30default_config_static_selectorELNS0_4arch9wavefront6targetE0EEEvT1_,comdat
	.protected	_ZN7rocprim17ROCPRIM_400000_NS6detail17trampoline_kernelINS0_14default_configENS1_25partition_config_selectorILNS1_17partition_subalgoE9ExxbEEZZNS1_14partition_implILS5_9ELb0ES3_jN6thrust23THRUST_200600_302600_NS6detail15normal_iteratorINS9_10device_ptrIxEEEESE_PNS0_10empty_typeENS0_5tupleIJSE_SF_EEENSH_IJSE_SG_EEENS0_18inequality_wrapperINS9_8equal_toIxEEEEPmJSF_EEE10hipError_tPvRmT3_T4_T5_T6_T7_T9_mT8_P12ihipStream_tbDpT10_ENKUlT_T0_E_clISt17integral_constantIbLb1EES18_EEDaS13_S14_EUlS13_E_NS1_11comp_targetILNS1_3genE0ELNS1_11target_archE4294967295ELNS1_3gpuE0ELNS1_3repE0EEENS1_30default_config_static_selectorELNS0_4arch9wavefront6targetE0EEEvT1_ ; -- Begin function _ZN7rocprim17ROCPRIM_400000_NS6detail17trampoline_kernelINS0_14default_configENS1_25partition_config_selectorILNS1_17partition_subalgoE9ExxbEEZZNS1_14partition_implILS5_9ELb0ES3_jN6thrust23THRUST_200600_302600_NS6detail15normal_iteratorINS9_10device_ptrIxEEEESE_PNS0_10empty_typeENS0_5tupleIJSE_SF_EEENSH_IJSE_SG_EEENS0_18inequality_wrapperINS9_8equal_toIxEEEEPmJSF_EEE10hipError_tPvRmT3_T4_T5_T6_T7_T9_mT8_P12ihipStream_tbDpT10_ENKUlT_T0_E_clISt17integral_constantIbLb1EES18_EEDaS13_S14_EUlS13_E_NS1_11comp_targetILNS1_3genE0ELNS1_11target_archE4294967295ELNS1_3gpuE0ELNS1_3repE0EEENS1_30default_config_static_selectorELNS0_4arch9wavefront6targetE0EEEvT1_
	.globl	_ZN7rocprim17ROCPRIM_400000_NS6detail17trampoline_kernelINS0_14default_configENS1_25partition_config_selectorILNS1_17partition_subalgoE9ExxbEEZZNS1_14partition_implILS5_9ELb0ES3_jN6thrust23THRUST_200600_302600_NS6detail15normal_iteratorINS9_10device_ptrIxEEEESE_PNS0_10empty_typeENS0_5tupleIJSE_SF_EEENSH_IJSE_SG_EEENS0_18inequality_wrapperINS9_8equal_toIxEEEEPmJSF_EEE10hipError_tPvRmT3_T4_T5_T6_T7_T9_mT8_P12ihipStream_tbDpT10_ENKUlT_T0_E_clISt17integral_constantIbLb1EES18_EEDaS13_S14_EUlS13_E_NS1_11comp_targetILNS1_3genE0ELNS1_11target_archE4294967295ELNS1_3gpuE0ELNS1_3repE0EEENS1_30default_config_static_selectorELNS0_4arch9wavefront6targetE0EEEvT1_
	.p2align	8
	.type	_ZN7rocprim17ROCPRIM_400000_NS6detail17trampoline_kernelINS0_14default_configENS1_25partition_config_selectorILNS1_17partition_subalgoE9ExxbEEZZNS1_14partition_implILS5_9ELb0ES3_jN6thrust23THRUST_200600_302600_NS6detail15normal_iteratorINS9_10device_ptrIxEEEESE_PNS0_10empty_typeENS0_5tupleIJSE_SF_EEENSH_IJSE_SG_EEENS0_18inequality_wrapperINS9_8equal_toIxEEEEPmJSF_EEE10hipError_tPvRmT3_T4_T5_T6_T7_T9_mT8_P12ihipStream_tbDpT10_ENKUlT_T0_E_clISt17integral_constantIbLb1EES18_EEDaS13_S14_EUlS13_E_NS1_11comp_targetILNS1_3genE0ELNS1_11target_archE4294967295ELNS1_3gpuE0ELNS1_3repE0EEENS1_30default_config_static_selectorELNS0_4arch9wavefront6targetE0EEEvT1_,@function
_ZN7rocprim17ROCPRIM_400000_NS6detail17trampoline_kernelINS0_14default_configENS1_25partition_config_selectorILNS1_17partition_subalgoE9ExxbEEZZNS1_14partition_implILS5_9ELb0ES3_jN6thrust23THRUST_200600_302600_NS6detail15normal_iteratorINS9_10device_ptrIxEEEESE_PNS0_10empty_typeENS0_5tupleIJSE_SF_EEENSH_IJSE_SG_EEENS0_18inequality_wrapperINS9_8equal_toIxEEEEPmJSF_EEE10hipError_tPvRmT3_T4_T5_T6_T7_T9_mT8_P12ihipStream_tbDpT10_ENKUlT_T0_E_clISt17integral_constantIbLb1EES18_EEDaS13_S14_EUlS13_E_NS1_11comp_targetILNS1_3genE0ELNS1_11target_archE4294967295ELNS1_3gpuE0ELNS1_3repE0EEENS1_30default_config_static_selectorELNS0_4arch9wavefront6targetE0EEEvT1_: ; @_ZN7rocprim17ROCPRIM_400000_NS6detail17trampoline_kernelINS0_14default_configENS1_25partition_config_selectorILNS1_17partition_subalgoE9ExxbEEZZNS1_14partition_implILS5_9ELb0ES3_jN6thrust23THRUST_200600_302600_NS6detail15normal_iteratorINS9_10device_ptrIxEEEESE_PNS0_10empty_typeENS0_5tupleIJSE_SF_EEENSH_IJSE_SG_EEENS0_18inequality_wrapperINS9_8equal_toIxEEEEPmJSF_EEE10hipError_tPvRmT3_T4_T5_T6_T7_T9_mT8_P12ihipStream_tbDpT10_ENKUlT_T0_E_clISt17integral_constantIbLb1EES18_EEDaS13_S14_EUlS13_E_NS1_11comp_targetILNS1_3genE0ELNS1_11target_archE4294967295ELNS1_3gpuE0ELNS1_3repE0EEENS1_30default_config_static_selectorELNS0_4arch9wavefront6targetE0EEEvT1_
; %bb.0:
	.section	.rodata,"a",@progbits
	.p2align	6, 0x0
	.amdhsa_kernel _ZN7rocprim17ROCPRIM_400000_NS6detail17trampoline_kernelINS0_14default_configENS1_25partition_config_selectorILNS1_17partition_subalgoE9ExxbEEZZNS1_14partition_implILS5_9ELb0ES3_jN6thrust23THRUST_200600_302600_NS6detail15normal_iteratorINS9_10device_ptrIxEEEESE_PNS0_10empty_typeENS0_5tupleIJSE_SF_EEENSH_IJSE_SG_EEENS0_18inequality_wrapperINS9_8equal_toIxEEEEPmJSF_EEE10hipError_tPvRmT3_T4_T5_T6_T7_T9_mT8_P12ihipStream_tbDpT10_ENKUlT_T0_E_clISt17integral_constantIbLb1EES18_EEDaS13_S14_EUlS13_E_NS1_11comp_targetILNS1_3genE0ELNS1_11target_archE4294967295ELNS1_3gpuE0ELNS1_3repE0EEENS1_30default_config_static_selectorELNS0_4arch9wavefront6targetE0EEEvT1_
		.amdhsa_group_segment_fixed_size 0
		.amdhsa_private_segment_fixed_size 0
		.amdhsa_kernarg_size 128
		.amdhsa_user_sgpr_count 15
		.amdhsa_user_sgpr_dispatch_ptr 0
		.amdhsa_user_sgpr_queue_ptr 0
		.amdhsa_user_sgpr_kernarg_segment_ptr 1
		.amdhsa_user_sgpr_dispatch_id 0
		.amdhsa_user_sgpr_private_segment_size 0
		.amdhsa_wavefront_size32 1
		.amdhsa_uses_dynamic_stack 0
		.amdhsa_enable_private_segment 0
		.amdhsa_system_sgpr_workgroup_id_x 1
		.amdhsa_system_sgpr_workgroup_id_y 0
		.amdhsa_system_sgpr_workgroup_id_z 0
		.amdhsa_system_sgpr_workgroup_info 0
		.amdhsa_system_vgpr_workitem_id 0
		.amdhsa_next_free_vgpr 1
		.amdhsa_next_free_sgpr 1
		.amdhsa_reserve_vcc 0
		.amdhsa_float_round_mode_32 0
		.amdhsa_float_round_mode_16_64 0
		.amdhsa_float_denorm_mode_32 3
		.amdhsa_float_denorm_mode_16_64 3
		.amdhsa_dx10_clamp 1
		.amdhsa_ieee_mode 1
		.amdhsa_fp16_overflow 0
		.amdhsa_workgroup_processor_mode 1
		.amdhsa_memory_ordered 1
		.amdhsa_forward_progress 0
		.amdhsa_shared_vgpr_count 0
		.amdhsa_exception_fp_ieee_invalid_op 0
		.amdhsa_exception_fp_denorm_src 0
		.amdhsa_exception_fp_ieee_div_zero 0
		.amdhsa_exception_fp_ieee_overflow 0
		.amdhsa_exception_fp_ieee_underflow 0
		.amdhsa_exception_fp_ieee_inexact 0
		.amdhsa_exception_int_div_zero 0
	.end_amdhsa_kernel
	.section	.text._ZN7rocprim17ROCPRIM_400000_NS6detail17trampoline_kernelINS0_14default_configENS1_25partition_config_selectorILNS1_17partition_subalgoE9ExxbEEZZNS1_14partition_implILS5_9ELb0ES3_jN6thrust23THRUST_200600_302600_NS6detail15normal_iteratorINS9_10device_ptrIxEEEESE_PNS0_10empty_typeENS0_5tupleIJSE_SF_EEENSH_IJSE_SG_EEENS0_18inequality_wrapperINS9_8equal_toIxEEEEPmJSF_EEE10hipError_tPvRmT3_T4_T5_T6_T7_T9_mT8_P12ihipStream_tbDpT10_ENKUlT_T0_E_clISt17integral_constantIbLb1EES18_EEDaS13_S14_EUlS13_E_NS1_11comp_targetILNS1_3genE0ELNS1_11target_archE4294967295ELNS1_3gpuE0ELNS1_3repE0EEENS1_30default_config_static_selectorELNS0_4arch9wavefront6targetE0EEEvT1_,"axG",@progbits,_ZN7rocprim17ROCPRIM_400000_NS6detail17trampoline_kernelINS0_14default_configENS1_25partition_config_selectorILNS1_17partition_subalgoE9ExxbEEZZNS1_14partition_implILS5_9ELb0ES3_jN6thrust23THRUST_200600_302600_NS6detail15normal_iteratorINS9_10device_ptrIxEEEESE_PNS0_10empty_typeENS0_5tupleIJSE_SF_EEENSH_IJSE_SG_EEENS0_18inequality_wrapperINS9_8equal_toIxEEEEPmJSF_EEE10hipError_tPvRmT3_T4_T5_T6_T7_T9_mT8_P12ihipStream_tbDpT10_ENKUlT_T0_E_clISt17integral_constantIbLb1EES18_EEDaS13_S14_EUlS13_E_NS1_11comp_targetILNS1_3genE0ELNS1_11target_archE4294967295ELNS1_3gpuE0ELNS1_3repE0EEENS1_30default_config_static_selectorELNS0_4arch9wavefront6targetE0EEEvT1_,comdat
.Lfunc_end348:
	.size	_ZN7rocprim17ROCPRIM_400000_NS6detail17trampoline_kernelINS0_14default_configENS1_25partition_config_selectorILNS1_17partition_subalgoE9ExxbEEZZNS1_14partition_implILS5_9ELb0ES3_jN6thrust23THRUST_200600_302600_NS6detail15normal_iteratorINS9_10device_ptrIxEEEESE_PNS0_10empty_typeENS0_5tupleIJSE_SF_EEENSH_IJSE_SG_EEENS0_18inequality_wrapperINS9_8equal_toIxEEEEPmJSF_EEE10hipError_tPvRmT3_T4_T5_T6_T7_T9_mT8_P12ihipStream_tbDpT10_ENKUlT_T0_E_clISt17integral_constantIbLb1EES18_EEDaS13_S14_EUlS13_E_NS1_11comp_targetILNS1_3genE0ELNS1_11target_archE4294967295ELNS1_3gpuE0ELNS1_3repE0EEENS1_30default_config_static_selectorELNS0_4arch9wavefront6targetE0EEEvT1_, .Lfunc_end348-_ZN7rocprim17ROCPRIM_400000_NS6detail17trampoline_kernelINS0_14default_configENS1_25partition_config_selectorILNS1_17partition_subalgoE9ExxbEEZZNS1_14partition_implILS5_9ELb0ES3_jN6thrust23THRUST_200600_302600_NS6detail15normal_iteratorINS9_10device_ptrIxEEEESE_PNS0_10empty_typeENS0_5tupleIJSE_SF_EEENSH_IJSE_SG_EEENS0_18inequality_wrapperINS9_8equal_toIxEEEEPmJSF_EEE10hipError_tPvRmT3_T4_T5_T6_T7_T9_mT8_P12ihipStream_tbDpT10_ENKUlT_T0_E_clISt17integral_constantIbLb1EES18_EEDaS13_S14_EUlS13_E_NS1_11comp_targetILNS1_3genE0ELNS1_11target_archE4294967295ELNS1_3gpuE0ELNS1_3repE0EEENS1_30default_config_static_selectorELNS0_4arch9wavefront6targetE0EEEvT1_
                                        ; -- End function
	.section	.AMDGPU.csdata,"",@progbits
; Kernel info:
; codeLenInByte = 0
; NumSgprs: 0
; NumVgprs: 0
; ScratchSize: 0
; MemoryBound: 0
; FloatMode: 240
; IeeeMode: 1
; LDSByteSize: 0 bytes/workgroup (compile time only)
; SGPRBlocks: 0
; VGPRBlocks: 0
; NumSGPRsForWavesPerEU: 1
; NumVGPRsForWavesPerEU: 1
; Occupancy: 16
; WaveLimiterHint : 0
; COMPUTE_PGM_RSRC2:SCRATCH_EN: 0
; COMPUTE_PGM_RSRC2:USER_SGPR: 15
; COMPUTE_PGM_RSRC2:TRAP_HANDLER: 0
; COMPUTE_PGM_RSRC2:TGID_X_EN: 1
; COMPUTE_PGM_RSRC2:TGID_Y_EN: 0
; COMPUTE_PGM_RSRC2:TGID_Z_EN: 0
; COMPUTE_PGM_RSRC2:TIDIG_COMP_CNT: 0
	.section	.text._ZN7rocprim17ROCPRIM_400000_NS6detail17trampoline_kernelINS0_14default_configENS1_25partition_config_selectorILNS1_17partition_subalgoE9ExxbEEZZNS1_14partition_implILS5_9ELb0ES3_jN6thrust23THRUST_200600_302600_NS6detail15normal_iteratorINS9_10device_ptrIxEEEESE_PNS0_10empty_typeENS0_5tupleIJSE_SF_EEENSH_IJSE_SG_EEENS0_18inequality_wrapperINS9_8equal_toIxEEEEPmJSF_EEE10hipError_tPvRmT3_T4_T5_T6_T7_T9_mT8_P12ihipStream_tbDpT10_ENKUlT_T0_E_clISt17integral_constantIbLb1EES18_EEDaS13_S14_EUlS13_E_NS1_11comp_targetILNS1_3genE5ELNS1_11target_archE942ELNS1_3gpuE9ELNS1_3repE0EEENS1_30default_config_static_selectorELNS0_4arch9wavefront6targetE0EEEvT1_,"axG",@progbits,_ZN7rocprim17ROCPRIM_400000_NS6detail17trampoline_kernelINS0_14default_configENS1_25partition_config_selectorILNS1_17partition_subalgoE9ExxbEEZZNS1_14partition_implILS5_9ELb0ES3_jN6thrust23THRUST_200600_302600_NS6detail15normal_iteratorINS9_10device_ptrIxEEEESE_PNS0_10empty_typeENS0_5tupleIJSE_SF_EEENSH_IJSE_SG_EEENS0_18inequality_wrapperINS9_8equal_toIxEEEEPmJSF_EEE10hipError_tPvRmT3_T4_T5_T6_T7_T9_mT8_P12ihipStream_tbDpT10_ENKUlT_T0_E_clISt17integral_constantIbLb1EES18_EEDaS13_S14_EUlS13_E_NS1_11comp_targetILNS1_3genE5ELNS1_11target_archE942ELNS1_3gpuE9ELNS1_3repE0EEENS1_30default_config_static_selectorELNS0_4arch9wavefront6targetE0EEEvT1_,comdat
	.protected	_ZN7rocprim17ROCPRIM_400000_NS6detail17trampoline_kernelINS0_14default_configENS1_25partition_config_selectorILNS1_17partition_subalgoE9ExxbEEZZNS1_14partition_implILS5_9ELb0ES3_jN6thrust23THRUST_200600_302600_NS6detail15normal_iteratorINS9_10device_ptrIxEEEESE_PNS0_10empty_typeENS0_5tupleIJSE_SF_EEENSH_IJSE_SG_EEENS0_18inequality_wrapperINS9_8equal_toIxEEEEPmJSF_EEE10hipError_tPvRmT3_T4_T5_T6_T7_T9_mT8_P12ihipStream_tbDpT10_ENKUlT_T0_E_clISt17integral_constantIbLb1EES18_EEDaS13_S14_EUlS13_E_NS1_11comp_targetILNS1_3genE5ELNS1_11target_archE942ELNS1_3gpuE9ELNS1_3repE0EEENS1_30default_config_static_selectorELNS0_4arch9wavefront6targetE0EEEvT1_ ; -- Begin function _ZN7rocprim17ROCPRIM_400000_NS6detail17trampoline_kernelINS0_14default_configENS1_25partition_config_selectorILNS1_17partition_subalgoE9ExxbEEZZNS1_14partition_implILS5_9ELb0ES3_jN6thrust23THRUST_200600_302600_NS6detail15normal_iteratorINS9_10device_ptrIxEEEESE_PNS0_10empty_typeENS0_5tupleIJSE_SF_EEENSH_IJSE_SG_EEENS0_18inequality_wrapperINS9_8equal_toIxEEEEPmJSF_EEE10hipError_tPvRmT3_T4_T5_T6_T7_T9_mT8_P12ihipStream_tbDpT10_ENKUlT_T0_E_clISt17integral_constantIbLb1EES18_EEDaS13_S14_EUlS13_E_NS1_11comp_targetILNS1_3genE5ELNS1_11target_archE942ELNS1_3gpuE9ELNS1_3repE0EEENS1_30default_config_static_selectorELNS0_4arch9wavefront6targetE0EEEvT1_
	.globl	_ZN7rocprim17ROCPRIM_400000_NS6detail17trampoline_kernelINS0_14default_configENS1_25partition_config_selectorILNS1_17partition_subalgoE9ExxbEEZZNS1_14partition_implILS5_9ELb0ES3_jN6thrust23THRUST_200600_302600_NS6detail15normal_iteratorINS9_10device_ptrIxEEEESE_PNS0_10empty_typeENS0_5tupleIJSE_SF_EEENSH_IJSE_SG_EEENS0_18inequality_wrapperINS9_8equal_toIxEEEEPmJSF_EEE10hipError_tPvRmT3_T4_T5_T6_T7_T9_mT8_P12ihipStream_tbDpT10_ENKUlT_T0_E_clISt17integral_constantIbLb1EES18_EEDaS13_S14_EUlS13_E_NS1_11comp_targetILNS1_3genE5ELNS1_11target_archE942ELNS1_3gpuE9ELNS1_3repE0EEENS1_30default_config_static_selectorELNS0_4arch9wavefront6targetE0EEEvT1_
	.p2align	8
	.type	_ZN7rocprim17ROCPRIM_400000_NS6detail17trampoline_kernelINS0_14default_configENS1_25partition_config_selectorILNS1_17partition_subalgoE9ExxbEEZZNS1_14partition_implILS5_9ELb0ES3_jN6thrust23THRUST_200600_302600_NS6detail15normal_iteratorINS9_10device_ptrIxEEEESE_PNS0_10empty_typeENS0_5tupleIJSE_SF_EEENSH_IJSE_SG_EEENS0_18inequality_wrapperINS9_8equal_toIxEEEEPmJSF_EEE10hipError_tPvRmT3_T4_T5_T6_T7_T9_mT8_P12ihipStream_tbDpT10_ENKUlT_T0_E_clISt17integral_constantIbLb1EES18_EEDaS13_S14_EUlS13_E_NS1_11comp_targetILNS1_3genE5ELNS1_11target_archE942ELNS1_3gpuE9ELNS1_3repE0EEENS1_30default_config_static_selectorELNS0_4arch9wavefront6targetE0EEEvT1_,@function
_ZN7rocprim17ROCPRIM_400000_NS6detail17trampoline_kernelINS0_14default_configENS1_25partition_config_selectorILNS1_17partition_subalgoE9ExxbEEZZNS1_14partition_implILS5_9ELb0ES3_jN6thrust23THRUST_200600_302600_NS6detail15normal_iteratorINS9_10device_ptrIxEEEESE_PNS0_10empty_typeENS0_5tupleIJSE_SF_EEENSH_IJSE_SG_EEENS0_18inequality_wrapperINS9_8equal_toIxEEEEPmJSF_EEE10hipError_tPvRmT3_T4_T5_T6_T7_T9_mT8_P12ihipStream_tbDpT10_ENKUlT_T0_E_clISt17integral_constantIbLb1EES18_EEDaS13_S14_EUlS13_E_NS1_11comp_targetILNS1_3genE5ELNS1_11target_archE942ELNS1_3gpuE9ELNS1_3repE0EEENS1_30default_config_static_selectorELNS0_4arch9wavefront6targetE0EEEvT1_: ; @_ZN7rocprim17ROCPRIM_400000_NS6detail17trampoline_kernelINS0_14default_configENS1_25partition_config_selectorILNS1_17partition_subalgoE9ExxbEEZZNS1_14partition_implILS5_9ELb0ES3_jN6thrust23THRUST_200600_302600_NS6detail15normal_iteratorINS9_10device_ptrIxEEEESE_PNS0_10empty_typeENS0_5tupleIJSE_SF_EEENSH_IJSE_SG_EEENS0_18inequality_wrapperINS9_8equal_toIxEEEEPmJSF_EEE10hipError_tPvRmT3_T4_T5_T6_T7_T9_mT8_P12ihipStream_tbDpT10_ENKUlT_T0_E_clISt17integral_constantIbLb1EES18_EEDaS13_S14_EUlS13_E_NS1_11comp_targetILNS1_3genE5ELNS1_11target_archE942ELNS1_3gpuE9ELNS1_3repE0EEENS1_30default_config_static_selectorELNS0_4arch9wavefront6targetE0EEEvT1_
; %bb.0:
	.section	.rodata,"a",@progbits
	.p2align	6, 0x0
	.amdhsa_kernel _ZN7rocprim17ROCPRIM_400000_NS6detail17trampoline_kernelINS0_14default_configENS1_25partition_config_selectorILNS1_17partition_subalgoE9ExxbEEZZNS1_14partition_implILS5_9ELb0ES3_jN6thrust23THRUST_200600_302600_NS6detail15normal_iteratorINS9_10device_ptrIxEEEESE_PNS0_10empty_typeENS0_5tupleIJSE_SF_EEENSH_IJSE_SG_EEENS0_18inequality_wrapperINS9_8equal_toIxEEEEPmJSF_EEE10hipError_tPvRmT3_T4_T5_T6_T7_T9_mT8_P12ihipStream_tbDpT10_ENKUlT_T0_E_clISt17integral_constantIbLb1EES18_EEDaS13_S14_EUlS13_E_NS1_11comp_targetILNS1_3genE5ELNS1_11target_archE942ELNS1_3gpuE9ELNS1_3repE0EEENS1_30default_config_static_selectorELNS0_4arch9wavefront6targetE0EEEvT1_
		.amdhsa_group_segment_fixed_size 0
		.amdhsa_private_segment_fixed_size 0
		.amdhsa_kernarg_size 128
		.amdhsa_user_sgpr_count 15
		.amdhsa_user_sgpr_dispatch_ptr 0
		.amdhsa_user_sgpr_queue_ptr 0
		.amdhsa_user_sgpr_kernarg_segment_ptr 1
		.amdhsa_user_sgpr_dispatch_id 0
		.amdhsa_user_sgpr_private_segment_size 0
		.amdhsa_wavefront_size32 1
		.amdhsa_uses_dynamic_stack 0
		.amdhsa_enable_private_segment 0
		.amdhsa_system_sgpr_workgroup_id_x 1
		.amdhsa_system_sgpr_workgroup_id_y 0
		.amdhsa_system_sgpr_workgroup_id_z 0
		.amdhsa_system_sgpr_workgroup_info 0
		.amdhsa_system_vgpr_workitem_id 0
		.amdhsa_next_free_vgpr 1
		.amdhsa_next_free_sgpr 1
		.amdhsa_reserve_vcc 0
		.amdhsa_float_round_mode_32 0
		.amdhsa_float_round_mode_16_64 0
		.amdhsa_float_denorm_mode_32 3
		.amdhsa_float_denorm_mode_16_64 3
		.amdhsa_dx10_clamp 1
		.amdhsa_ieee_mode 1
		.amdhsa_fp16_overflow 0
		.amdhsa_workgroup_processor_mode 1
		.amdhsa_memory_ordered 1
		.amdhsa_forward_progress 0
		.amdhsa_shared_vgpr_count 0
		.amdhsa_exception_fp_ieee_invalid_op 0
		.amdhsa_exception_fp_denorm_src 0
		.amdhsa_exception_fp_ieee_div_zero 0
		.amdhsa_exception_fp_ieee_overflow 0
		.amdhsa_exception_fp_ieee_underflow 0
		.amdhsa_exception_fp_ieee_inexact 0
		.amdhsa_exception_int_div_zero 0
	.end_amdhsa_kernel
	.section	.text._ZN7rocprim17ROCPRIM_400000_NS6detail17trampoline_kernelINS0_14default_configENS1_25partition_config_selectorILNS1_17partition_subalgoE9ExxbEEZZNS1_14partition_implILS5_9ELb0ES3_jN6thrust23THRUST_200600_302600_NS6detail15normal_iteratorINS9_10device_ptrIxEEEESE_PNS0_10empty_typeENS0_5tupleIJSE_SF_EEENSH_IJSE_SG_EEENS0_18inequality_wrapperINS9_8equal_toIxEEEEPmJSF_EEE10hipError_tPvRmT3_T4_T5_T6_T7_T9_mT8_P12ihipStream_tbDpT10_ENKUlT_T0_E_clISt17integral_constantIbLb1EES18_EEDaS13_S14_EUlS13_E_NS1_11comp_targetILNS1_3genE5ELNS1_11target_archE942ELNS1_3gpuE9ELNS1_3repE0EEENS1_30default_config_static_selectorELNS0_4arch9wavefront6targetE0EEEvT1_,"axG",@progbits,_ZN7rocprim17ROCPRIM_400000_NS6detail17trampoline_kernelINS0_14default_configENS1_25partition_config_selectorILNS1_17partition_subalgoE9ExxbEEZZNS1_14partition_implILS5_9ELb0ES3_jN6thrust23THRUST_200600_302600_NS6detail15normal_iteratorINS9_10device_ptrIxEEEESE_PNS0_10empty_typeENS0_5tupleIJSE_SF_EEENSH_IJSE_SG_EEENS0_18inequality_wrapperINS9_8equal_toIxEEEEPmJSF_EEE10hipError_tPvRmT3_T4_T5_T6_T7_T9_mT8_P12ihipStream_tbDpT10_ENKUlT_T0_E_clISt17integral_constantIbLb1EES18_EEDaS13_S14_EUlS13_E_NS1_11comp_targetILNS1_3genE5ELNS1_11target_archE942ELNS1_3gpuE9ELNS1_3repE0EEENS1_30default_config_static_selectorELNS0_4arch9wavefront6targetE0EEEvT1_,comdat
.Lfunc_end349:
	.size	_ZN7rocprim17ROCPRIM_400000_NS6detail17trampoline_kernelINS0_14default_configENS1_25partition_config_selectorILNS1_17partition_subalgoE9ExxbEEZZNS1_14partition_implILS5_9ELb0ES3_jN6thrust23THRUST_200600_302600_NS6detail15normal_iteratorINS9_10device_ptrIxEEEESE_PNS0_10empty_typeENS0_5tupleIJSE_SF_EEENSH_IJSE_SG_EEENS0_18inequality_wrapperINS9_8equal_toIxEEEEPmJSF_EEE10hipError_tPvRmT3_T4_T5_T6_T7_T9_mT8_P12ihipStream_tbDpT10_ENKUlT_T0_E_clISt17integral_constantIbLb1EES18_EEDaS13_S14_EUlS13_E_NS1_11comp_targetILNS1_3genE5ELNS1_11target_archE942ELNS1_3gpuE9ELNS1_3repE0EEENS1_30default_config_static_selectorELNS0_4arch9wavefront6targetE0EEEvT1_, .Lfunc_end349-_ZN7rocprim17ROCPRIM_400000_NS6detail17trampoline_kernelINS0_14default_configENS1_25partition_config_selectorILNS1_17partition_subalgoE9ExxbEEZZNS1_14partition_implILS5_9ELb0ES3_jN6thrust23THRUST_200600_302600_NS6detail15normal_iteratorINS9_10device_ptrIxEEEESE_PNS0_10empty_typeENS0_5tupleIJSE_SF_EEENSH_IJSE_SG_EEENS0_18inequality_wrapperINS9_8equal_toIxEEEEPmJSF_EEE10hipError_tPvRmT3_T4_T5_T6_T7_T9_mT8_P12ihipStream_tbDpT10_ENKUlT_T0_E_clISt17integral_constantIbLb1EES18_EEDaS13_S14_EUlS13_E_NS1_11comp_targetILNS1_3genE5ELNS1_11target_archE942ELNS1_3gpuE9ELNS1_3repE0EEENS1_30default_config_static_selectorELNS0_4arch9wavefront6targetE0EEEvT1_
                                        ; -- End function
	.section	.AMDGPU.csdata,"",@progbits
; Kernel info:
; codeLenInByte = 0
; NumSgprs: 0
; NumVgprs: 0
; ScratchSize: 0
; MemoryBound: 0
; FloatMode: 240
; IeeeMode: 1
; LDSByteSize: 0 bytes/workgroup (compile time only)
; SGPRBlocks: 0
; VGPRBlocks: 0
; NumSGPRsForWavesPerEU: 1
; NumVGPRsForWavesPerEU: 1
; Occupancy: 16
; WaveLimiterHint : 0
; COMPUTE_PGM_RSRC2:SCRATCH_EN: 0
; COMPUTE_PGM_RSRC2:USER_SGPR: 15
; COMPUTE_PGM_RSRC2:TRAP_HANDLER: 0
; COMPUTE_PGM_RSRC2:TGID_X_EN: 1
; COMPUTE_PGM_RSRC2:TGID_Y_EN: 0
; COMPUTE_PGM_RSRC2:TGID_Z_EN: 0
; COMPUTE_PGM_RSRC2:TIDIG_COMP_CNT: 0
	.section	.text._ZN7rocprim17ROCPRIM_400000_NS6detail17trampoline_kernelINS0_14default_configENS1_25partition_config_selectorILNS1_17partition_subalgoE9ExxbEEZZNS1_14partition_implILS5_9ELb0ES3_jN6thrust23THRUST_200600_302600_NS6detail15normal_iteratorINS9_10device_ptrIxEEEESE_PNS0_10empty_typeENS0_5tupleIJSE_SF_EEENSH_IJSE_SG_EEENS0_18inequality_wrapperINS9_8equal_toIxEEEEPmJSF_EEE10hipError_tPvRmT3_T4_T5_T6_T7_T9_mT8_P12ihipStream_tbDpT10_ENKUlT_T0_E_clISt17integral_constantIbLb1EES18_EEDaS13_S14_EUlS13_E_NS1_11comp_targetILNS1_3genE4ELNS1_11target_archE910ELNS1_3gpuE8ELNS1_3repE0EEENS1_30default_config_static_selectorELNS0_4arch9wavefront6targetE0EEEvT1_,"axG",@progbits,_ZN7rocprim17ROCPRIM_400000_NS6detail17trampoline_kernelINS0_14default_configENS1_25partition_config_selectorILNS1_17partition_subalgoE9ExxbEEZZNS1_14partition_implILS5_9ELb0ES3_jN6thrust23THRUST_200600_302600_NS6detail15normal_iteratorINS9_10device_ptrIxEEEESE_PNS0_10empty_typeENS0_5tupleIJSE_SF_EEENSH_IJSE_SG_EEENS0_18inequality_wrapperINS9_8equal_toIxEEEEPmJSF_EEE10hipError_tPvRmT3_T4_T5_T6_T7_T9_mT8_P12ihipStream_tbDpT10_ENKUlT_T0_E_clISt17integral_constantIbLb1EES18_EEDaS13_S14_EUlS13_E_NS1_11comp_targetILNS1_3genE4ELNS1_11target_archE910ELNS1_3gpuE8ELNS1_3repE0EEENS1_30default_config_static_selectorELNS0_4arch9wavefront6targetE0EEEvT1_,comdat
	.protected	_ZN7rocprim17ROCPRIM_400000_NS6detail17trampoline_kernelINS0_14default_configENS1_25partition_config_selectorILNS1_17partition_subalgoE9ExxbEEZZNS1_14partition_implILS5_9ELb0ES3_jN6thrust23THRUST_200600_302600_NS6detail15normal_iteratorINS9_10device_ptrIxEEEESE_PNS0_10empty_typeENS0_5tupleIJSE_SF_EEENSH_IJSE_SG_EEENS0_18inequality_wrapperINS9_8equal_toIxEEEEPmJSF_EEE10hipError_tPvRmT3_T4_T5_T6_T7_T9_mT8_P12ihipStream_tbDpT10_ENKUlT_T0_E_clISt17integral_constantIbLb1EES18_EEDaS13_S14_EUlS13_E_NS1_11comp_targetILNS1_3genE4ELNS1_11target_archE910ELNS1_3gpuE8ELNS1_3repE0EEENS1_30default_config_static_selectorELNS0_4arch9wavefront6targetE0EEEvT1_ ; -- Begin function _ZN7rocprim17ROCPRIM_400000_NS6detail17trampoline_kernelINS0_14default_configENS1_25partition_config_selectorILNS1_17partition_subalgoE9ExxbEEZZNS1_14partition_implILS5_9ELb0ES3_jN6thrust23THRUST_200600_302600_NS6detail15normal_iteratorINS9_10device_ptrIxEEEESE_PNS0_10empty_typeENS0_5tupleIJSE_SF_EEENSH_IJSE_SG_EEENS0_18inequality_wrapperINS9_8equal_toIxEEEEPmJSF_EEE10hipError_tPvRmT3_T4_T5_T6_T7_T9_mT8_P12ihipStream_tbDpT10_ENKUlT_T0_E_clISt17integral_constantIbLb1EES18_EEDaS13_S14_EUlS13_E_NS1_11comp_targetILNS1_3genE4ELNS1_11target_archE910ELNS1_3gpuE8ELNS1_3repE0EEENS1_30default_config_static_selectorELNS0_4arch9wavefront6targetE0EEEvT1_
	.globl	_ZN7rocprim17ROCPRIM_400000_NS6detail17trampoline_kernelINS0_14default_configENS1_25partition_config_selectorILNS1_17partition_subalgoE9ExxbEEZZNS1_14partition_implILS5_9ELb0ES3_jN6thrust23THRUST_200600_302600_NS6detail15normal_iteratorINS9_10device_ptrIxEEEESE_PNS0_10empty_typeENS0_5tupleIJSE_SF_EEENSH_IJSE_SG_EEENS0_18inequality_wrapperINS9_8equal_toIxEEEEPmJSF_EEE10hipError_tPvRmT3_T4_T5_T6_T7_T9_mT8_P12ihipStream_tbDpT10_ENKUlT_T0_E_clISt17integral_constantIbLb1EES18_EEDaS13_S14_EUlS13_E_NS1_11comp_targetILNS1_3genE4ELNS1_11target_archE910ELNS1_3gpuE8ELNS1_3repE0EEENS1_30default_config_static_selectorELNS0_4arch9wavefront6targetE0EEEvT1_
	.p2align	8
	.type	_ZN7rocprim17ROCPRIM_400000_NS6detail17trampoline_kernelINS0_14default_configENS1_25partition_config_selectorILNS1_17partition_subalgoE9ExxbEEZZNS1_14partition_implILS5_9ELb0ES3_jN6thrust23THRUST_200600_302600_NS6detail15normal_iteratorINS9_10device_ptrIxEEEESE_PNS0_10empty_typeENS0_5tupleIJSE_SF_EEENSH_IJSE_SG_EEENS0_18inequality_wrapperINS9_8equal_toIxEEEEPmJSF_EEE10hipError_tPvRmT3_T4_T5_T6_T7_T9_mT8_P12ihipStream_tbDpT10_ENKUlT_T0_E_clISt17integral_constantIbLb1EES18_EEDaS13_S14_EUlS13_E_NS1_11comp_targetILNS1_3genE4ELNS1_11target_archE910ELNS1_3gpuE8ELNS1_3repE0EEENS1_30default_config_static_selectorELNS0_4arch9wavefront6targetE0EEEvT1_,@function
_ZN7rocprim17ROCPRIM_400000_NS6detail17trampoline_kernelINS0_14default_configENS1_25partition_config_selectorILNS1_17partition_subalgoE9ExxbEEZZNS1_14partition_implILS5_9ELb0ES3_jN6thrust23THRUST_200600_302600_NS6detail15normal_iteratorINS9_10device_ptrIxEEEESE_PNS0_10empty_typeENS0_5tupleIJSE_SF_EEENSH_IJSE_SG_EEENS0_18inequality_wrapperINS9_8equal_toIxEEEEPmJSF_EEE10hipError_tPvRmT3_T4_T5_T6_T7_T9_mT8_P12ihipStream_tbDpT10_ENKUlT_T0_E_clISt17integral_constantIbLb1EES18_EEDaS13_S14_EUlS13_E_NS1_11comp_targetILNS1_3genE4ELNS1_11target_archE910ELNS1_3gpuE8ELNS1_3repE0EEENS1_30default_config_static_selectorELNS0_4arch9wavefront6targetE0EEEvT1_: ; @_ZN7rocprim17ROCPRIM_400000_NS6detail17trampoline_kernelINS0_14default_configENS1_25partition_config_selectorILNS1_17partition_subalgoE9ExxbEEZZNS1_14partition_implILS5_9ELb0ES3_jN6thrust23THRUST_200600_302600_NS6detail15normal_iteratorINS9_10device_ptrIxEEEESE_PNS0_10empty_typeENS0_5tupleIJSE_SF_EEENSH_IJSE_SG_EEENS0_18inequality_wrapperINS9_8equal_toIxEEEEPmJSF_EEE10hipError_tPvRmT3_T4_T5_T6_T7_T9_mT8_P12ihipStream_tbDpT10_ENKUlT_T0_E_clISt17integral_constantIbLb1EES18_EEDaS13_S14_EUlS13_E_NS1_11comp_targetILNS1_3genE4ELNS1_11target_archE910ELNS1_3gpuE8ELNS1_3repE0EEENS1_30default_config_static_selectorELNS0_4arch9wavefront6targetE0EEEvT1_
; %bb.0:
	.section	.rodata,"a",@progbits
	.p2align	6, 0x0
	.amdhsa_kernel _ZN7rocprim17ROCPRIM_400000_NS6detail17trampoline_kernelINS0_14default_configENS1_25partition_config_selectorILNS1_17partition_subalgoE9ExxbEEZZNS1_14partition_implILS5_9ELb0ES3_jN6thrust23THRUST_200600_302600_NS6detail15normal_iteratorINS9_10device_ptrIxEEEESE_PNS0_10empty_typeENS0_5tupleIJSE_SF_EEENSH_IJSE_SG_EEENS0_18inequality_wrapperINS9_8equal_toIxEEEEPmJSF_EEE10hipError_tPvRmT3_T4_T5_T6_T7_T9_mT8_P12ihipStream_tbDpT10_ENKUlT_T0_E_clISt17integral_constantIbLb1EES18_EEDaS13_S14_EUlS13_E_NS1_11comp_targetILNS1_3genE4ELNS1_11target_archE910ELNS1_3gpuE8ELNS1_3repE0EEENS1_30default_config_static_selectorELNS0_4arch9wavefront6targetE0EEEvT1_
		.amdhsa_group_segment_fixed_size 0
		.amdhsa_private_segment_fixed_size 0
		.amdhsa_kernarg_size 128
		.amdhsa_user_sgpr_count 15
		.amdhsa_user_sgpr_dispatch_ptr 0
		.amdhsa_user_sgpr_queue_ptr 0
		.amdhsa_user_sgpr_kernarg_segment_ptr 1
		.amdhsa_user_sgpr_dispatch_id 0
		.amdhsa_user_sgpr_private_segment_size 0
		.amdhsa_wavefront_size32 1
		.amdhsa_uses_dynamic_stack 0
		.amdhsa_enable_private_segment 0
		.amdhsa_system_sgpr_workgroup_id_x 1
		.amdhsa_system_sgpr_workgroup_id_y 0
		.amdhsa_system_sgpr_workgroup_id_z 0
		.amdhsa_system_sgpr_workgroup_info 0
		.amdhsa_system_vgpr_workitem_id 0
		.amdhsa_next_free_vgpr 1
		.amdhsa_next_free_sgpr 1
		.amdhsa_reserve_vcc 0
		.amdhsa_float_round_mode_32 0
		.amdhsa_float_round_mode_16_64 0
		.amdhsa_float_denorm_mode_32 3
		.amdhsa_float_denorm_mode_16_64 3
		.amdhsa_dx10_clamp 1
		.amdhsa_ieee_mode 1
		.amdhsa_fp16_overflow 0
		.amdhsa_workgroup_processor_mode 1
		.amdhsa_memory_ordered 1
		.amdhsa_forward_progress 0
		.amdhsa_shared_vgpr_count 0
		.amdhsa_exception_fp_ieee_invalid_op 0
		.amdhsa_exception_fp_denorm_src 0
		.amdhsa_exception_fp_ieee_div_zero 0
		.amdhsa_exception_fp_ieee_overflow 0
		.amdhsa_exception_fp_ieee_underflow 0
		.amdhsa_exception_fp_ieee_inexact 0
		.amdhsa_exception_int_div_zero 0
	.end_amdhsa_kernel
	.section	.text._ZN7rocprim17ROCPRIM_400000_NS6detail17trampoline_kernelINS0_14default_configENS1_25partition_config_selectorILNS1_17partition_subalgoE9ExxbEEZZNS1_14partition_implILS5_9ELb0ES3_jN6thrust23THRUST_200600_302600_NS6detail15normal_iteratorINS9_10device_ptrIxEEEESE_PNS0_10empty_typeENS0_5tupleIJSE_SF_EEENSH_IJSE_SG_EEENS0_18inequality_wrapperINS9_8equal_toIxEEEEPmJSF_EEE10hipError_tPvRmT3_T4_T5_T6_T7_T9_mT8_P12ihipStream_tbDpT10_ENKUlT_T0_E_clISt17integral_constantIbLb1EES18_EEDaS13_S14_EUlS13_E_NS1_11comp_targetILNS1_3genE4ELNS1_11target_archE910ELNS1_3gpuE8ELNS1_3repE0EEENS1_30default_config_static_selectorELNS0_4arch9wavefront6targetE0EEEvT1_,"axG",@progbits,_ZN7rocprim17ROCPRIM_400000_NS6detail17trampoline_kernelINS0_14default_configENS1_25partition_config_selectorILNS1_17partition_subalgoE9ExxbEEZZNS1_14partition_implILS5_9ELb0ES3_jN6thrust23THRUST_200600_302600_NS6detail15normal_iteratorINS9_10device_ptrIxEEEESE_PNS0_10empty_typeENS0_5tupleIJSE_SF_EEENSH_IJSE_SG_EEENS0_18inequality_wrapperINS9_8equal_toIxEEEEPmJSF_EEE10hipError_tPvRmT3_T4_T5_T6_T7_T9_mT8_P12ihipStream_tbDpT10_ENKUlT_T0_E_clISt17integral_constantIbLb1EES18_EEDaS13_S14_EUlS13_E_NS1_11comp_targetILNS1_3genE4ELNS1_11target_archE910ELNS1_3gpuE8ELNS1_3repE0EEENS1_30default_config_static_selectorELNS0_4arch9wavefront6targetE0EEEvT1_,comdat
.Lfunc_end350:
	.size	_ZN7rocprim17ROCPRIM_400000_NS6detail17trampoline_kernelINS0_14default_configENS1_25partition_config_selectorILNS1_17partition_subalgoE9ExxbEEZZNS1_14partition_implILS5_9ELb0ES3_jN6thrust23THRUST_200600_302600_NS6detail15normal_iteratorINS9_10device_ptrIxEEEESE_PNS0_10empty_typeENS0_5tupleIJSE_SF_EEENSH_IJSE_SG_EEENS0_18inequality_wrapperINS9_8equal_toIxEEEEPmJSF_EEE10hipError_tPvRmT3_T4_T5_T6_T7_T9_mT8_P12ihipStream_tbDpT10_ENKUlT_T0_E_clISt17integral_constantIbLb1EES18_EEDaS13_S14_EUlS13_E_NS1_11comp_targetILNS1_3genE4ELNS1_11target_archE910ELNS1_3gpuE8ELNS1_3repE0EEENS1_30default_config_static_selectorELNS0_4arch9wavefront6targetE0EEEvT1_, .Lfunc_end350-_ZN7rocprim17ROCPRIM_400000_NS6detail17trampoline_kernelINS0_14default_configENS1_25partition_config_selectorILNS1_17partition_subalgoE9ExxbEEZZNS1_14partition_implILS5_9ELb0ES3_jN6thrust23THRUST_200600_302600_NS6detail15normal_iteratorINS9_10device_ptrIxEEEESE_PNS0_10empty_typeENS0_5tupleIJSE_SF_EEENSH_IJSE_SG_EEENS0_18inequality_wrapperINS9_8equal_toIxEEEEPmJSF_EEE10hipError_tPvRmT3_T4_T5_T6_T7_T9_mT8_P12ihipStream_tbDpT10_ENKUlT_T0_E_clISt17integral_constantIbLb1EES18_EEDaS13_S14_EUlS13_E_NS1_11comp_targetILNS1_3genE4ELNS1_11target_archE910ELNS1_3gpuE8ELNS1_3repE0EEENS1_30default_config_static_selectorELNS0_4arch9wavefront6targetE0EEEvT1_
                                        ; -- End function
	.section	.AMDGPU.csdata,"",@progbits
; Kernel info:
; codeLenInByte = 0
; NumSgprs: 0
; NumVgprs: 0
; ScratchSize: 0
; MemoryBound: 0
; FloatMode: 240
; IeeeMode: 1
; LDSByteSize: 0 bytes/workgroup (compile time only)
; SGPRBlocks: 0
; VGPRBlocks: 0
; NumSGPRsForWavesPerEU: 1
; NumVGPRsForWavesPerEU: 1
; Occupancy: 16
; WaveLimiterHint : 0
; COMPUTE_PGM_RSRC2:SCRATCH_EN: 0
; COMPUTE_PGM_RSRC2:USER_SGPR: 15
; COMPUTE_PGM_RSRC2:TRAP_HANDLER: 0
; COMPUTE_PGM_RSRC2:TGID_X_EN: 1
; COMPUTE_PGM_RSRC2:TGID_Y_EN: 0
; COMPUTE_PGM_RSRC2:TGID_Z_EN: 0
; COMPUTE_PGM_RSRC2:TIDIG_COMP_CNT: 0
	.section	.text._ZN7rocprim17ROCPRIM_400000_NS6detail17trampoline_kernelINS0_14default_configENS1_25partition_config_selectorILNS1_17partition_subalgoE9ExxbEEZZNS1_14partition_implILS5_9ELb0ES3_jN6thrust23THRUST_200600_302600_NS6detail15normal_iteratorINS9_10device_ptrIxEEEESE_PNS0_10empty_typeENS0_5tupleIJSE_SF_EEENSH_IJSE_SG_EEENS0_18inequality_wrapperINS9_8equal_toIxEEEEPmJSF_EEE10hipError_tPvRmT3_T4_T5_T6_T7_T9_mT8_P12ihipStream_tbDpT10_ENKUlT_T0_E_clISt17integral_constantIbLb1EES18_EEDaS13_S14_EUlS13_E_NS1_11comp_targetILNS1_3genE3ELNS1_11target_archE908ELNS1_3gpuE7ELNS1_3repE0EEENS1_30default_config_static_selectorELNS0_4arch9wavefront6targetE0EEEvT1_,"axG",@progbits,_ZN7rocprim17ROCPRIM_400000_NS6detail17trampoline_kernelINS0_14default_configENS1_25partition_config_selectorILNS1_17partition_subalgoE9ExxbEEZZNS1_14partition_implILS5_9ELb0ES3_jN6thrust23THRUST_200600_302600_NS6detail15normal_iteratorINS9_10device_ptrIxEEEESE_PNS0_10empty_typeENS0_5tupleIJSE_SF_EEENSH_IJSE_SG_EEENS0_18inequality_wrapperINS9_8equal_toIxEEEEPmJSF_EEE10hipError_tPvRmT3_T4_T5_T6_T7_T9_mT8_P12ihipStream_tbDpT10_ENKUlT_T0_E_clISt17integral_constantIbLb1EES18_EEDaS13_S14_EUlS13_E_NS1_11comp_targetILNS1_3genE3ELNS1_11target_archE908ELNS1_3gpuE7ELNS1_3repE0EEENS1_30default_config_static_selectorELNS0_4arch9wavefront6targetE0EEEvT1_,comdat
	.protected	_ZN7rocprim17ROCPRIM_400000_NS6detail17trampoline_kernelINS0_14default_configENS1_25partition_config_selectorILNS1_17partition_subalgoE9ExxbEEZZNS1_14partition_implILS5_9ELb0ES3_jN6thrust23THRUST_200600_302600_NS6detail15normal_iteratorINS9_10device_ptrIxEEEESE_PNS0_10empty_typeENS0_5tupleIJSE_SF_EEENSH_IJSE_SG_EEENS0_18inequality_wrapperINS9_8equal_toIxEEEEPmJSF_EEE10hipError_tPvRmT3_T4_T5_T6_T7_T9_mT8_P12ihipStream_tbDpT10_ENKUlT_T0_E_clISt17integral_constantIbLb1EES18_EEDaS13_S14_EUlS13_E_NS1_11comp_targetILNS1_3genE3ELNS1_11target_archE908ELNS1_3gpuE7ELNS1_3repE0EEENS1_30default_config_static_selectorELNS0_4arch9wavefront6targetE0EEEvT1_ ; -- Begin function _ZN7rocprim17ROCPRIM_400000_NS6detail17trampoline_kernelINS0_14default_configENS1_25partition_config_selectorILNS1_17partition_subalgoE9ExxbEEZZNS1_14partition_implILS5_9ELb0ES3_jN6thrust23THRUST_200600_302600_NS6detail15normal_iteratorINS9_10device_ptrIxEEEESE_PNS0_10empty_typeENS0_5tupleIJSE_SF_EEENSH_IJSE_SG_EEENS0_18inequality_wrapperINS9_8equal_toIxEEEEPmJSF_EEE10hipError_tPvRmT3_T4_T5_T6_T7_T9_mT8_P12ihipStream_tbDpT10_ENKUlT_T0_E_clISt17integral_constantIbLb1EES18_EEDaS13_S14_EUlS13_E_NS1_11comp_targetILNS1_3genE3ELNS1_11target_archE908ELNS1_3gpuE7ELNS1_3repE0EEENS1_30default_config_static_selectorELNS0_4arch9wavefront6targetE0EEEvT1_
	.globl	_ZN7rocprim17ROCPRIM_400000_NS6detail17trampoline_kernelINS0_14default_configENS1_25partition_config_selectorILNS1_17partition_subalgoE9ExxbEEZZNS1_14partition_implILS5_9ELb0ES3_jN6thrust23THRUST_200600_302600_NS6detail15normal_iteratorINS9_10device_ptrIxEEEESE_PNS0_10empty_typeENS0_5tupleIJSE_SF_EEENSH_IJSE_SG_EEENS0_18inequality_wrapperINS9_8equal_toIxEEEEPmJSF_EEE10hipError_tPvRmT3_T4_T5_T6_T7_T9_mT8_P12ihipStream_tbDpT10_ENKUlT_T0_E_clISt17integral_constantIbLb1EES18_EEDaS13_S14_EUlS13_E_NS1_11comp_targetILNS1_3genE3ELNS1_11target_archE908ELNS1_3gpuE7ELNS1_3repE0EEENS1_30default_config_static_selectorELNS0_4arch9wavefront6targetE0EEEvT1_
	.p2align	8
	.type	_ZN7rocprim17ROCPRIM_400000_NS6detail17trampoline_kernelINS0_14default_configENS1_25partition_config_selectorILNS1_17partition_subalgoE9ExxbEEZZNS1_14partition_implILS5_9ELb0ES3_jN6thrust23THRUST_200600_302600_NS6detail15normal_iteratorINS9_10device_ptrIxEEEESE_PNS0_10empty_typeENS0_5tupleIJSE_SF_EEENSH_IJSE_SG_EEENS0_18inequality_wrapperINS9_8equal_toIxEEEEPmJSF_EEE10hipError_tPvRmT3_T4_T5_T6_T7_T9_mT8_P12ihipStream_tbDpT10_ENKUlT_T0_E_clISt17integral_constantIbLb1EES18_EEDaS13_S14_EUlS13_E_NS1_11comp_targetILNS1_3genE3ELNS1_11target_archE908ELNS1_3gpuE7ELNS1_3repE0EEENS1_30default_config_static_selectorELNS0_4arch9wavefront6targetE0EEEvT1_,@function
_ZN7rocprim17ROCPRIM_400000_NS6detail17trampoline_kernelINS0_14default_configENS1_25partition_config_selectorILNS1_17partition_subalgoE9ExxbEEZZNS1_14partition_implILS5_9ELb0ES3_jN6thrust23THRUST_200600_302600_NS6detail15normal_iteratorINS9_10device_ptrIxEEEESE_PNS0_10empty_typeENS0_5tupleIJSE_SF_EEENSH_IJSE_SG_EEENS0_18inequality_wrapperINS9_8equal_toIxEEEEPmJSF_EEE10hipError_tPvRmT3_T4_T5_T6_T7_T9_mT8_P12ihipStream_tbDpT10_ENKUlT_T0_E_clISt17integral_constantIbLb1EES18_EEDaS13_S14_EUlS13_E_NS1_11comp_targetILNS1_3genE3ELNS1_11target_archE908ELNS1_3gpuE7ELNS1_3repE0EEENS1_30default_config_static_selectorELNS0_4arch9wavefront6targetE0EEEvT1_: ; @_ZN7rocprim17ROCPRIM_400000_NS6detail17trampoline_kernelINS0_14default_configENS1_25partition_config_selectorILNS1_17partition_subalgoE9ExxbEEZZNS1_14partition_implILS5_9ELb0ES3_jN6thrust23THRUST_200600_302600_NS6detail15normal_iteratorINS9_10device_ptrIxEEEESE_PNS0_10empty_typeENS0_5tupleIJSE_SF_EEENSH_IJSE_SG_EEENS0_18inequality_wrapperINS9_8equal_toIxEEEEPmJSF_EEE10hipError_tPvRmT3_T4_T5_T6_T7_T9_mT8_P12ihipStream_tbDpT10_ENKUlT_T0_E_clISt17integral_constantIbLb1EES18_EEDaS13_S14_EUlS13_E_NS1_11comp_targetILNS1_3genE3ELNS1_11target_archE908ELNS1_3gpuE7ELNS1_3repE0EEENS1_30default_config_static_selectorELNS0_4arch9wavefront6targetE0EEEvT1_
; %bb.0:
	.section	.rodata,"a",@progbits
	.p2align	6, 0x0
	.amdhsa_kernel _ZN7rocprim17ROCPRIM_400000_NS6detail17trampoline_kernelINS0_14default_configENS1_25partition_config_selectorILNS1_17partition_subalgoE9ExxbEEZZNS1_14partition_implILS5_9ELb0ES3_jN6thrust23THRUST_200600_302600_NS6detail15normal_iteratorINS9_10device_ptrIxEEEESE_PNS0_10empty_typeENS0_5tupleIJSE_SF_EEENSH_IJSE_SG_EEENS0_18inequality_wrapperINS9_8equal_toIxEEEEPmJSF_EEE10hipError_tPvRmT3_T4_T5_T6_T7_T9_mT8_P12ihipStream_tbDpT10_ENKUlT_T0_E_clISt17integral_constantIbLb1EES18_EEDaS13_S14_EUlS13_E_NS1_11comp_targetILNS1_3genE3ELNS1_11target_archE908ELNS1_3gpuE7ELNS1_3repE0EEENS1_30default_config_static_selectorELNS0_4arch9wavefront6targetE0EEEvT1_
		.amdhsa_group_segment_fixed_size 0
		.amdhsa_private_segment_fixed_size 0
		.amdhsa_kernarg_size 128
		.amdhsa_user_sgpr_count 15
		.amdhsa_user_sgpr_dispatch_ptr 0
		.amdhsa_user_sgpr_queue_ptr 0
		.amdhsa_user_sgpr_kernarg_segment_ptr 1
		.amdhsa_user_sgpr_dispatch_id 0
		.amdhsa_user_sgpr_private_segment_size 0
		.amdhsa_wavefront_size32 1
		.amdhsa_uses_dynamic_stack 0
		.amdhsa_enable_private_segment 0
		.amdhsa_system_sgpr_workgroup_id_x 1
		.amdhsa_system_sgpr_workgroup_id_y 0
		.amdhsa_system_sgpr_workgroup_id_z 0
		.amdhsa_system_sgpr_workgroup_info 0
		.amdhsa_system_vgpr_workitem_id 0
		.amdhsa_next_free_vgpr 1
		.amdhsa_next_free_sgpr 1
		.amdhsa_reserve_vcc 0
		.amdhsa_float_round_mode_32 0
		.amdhsa_float_round_mode_16_64 0
		.amdhsa_float_denorm_mode_32 3
		.amdhsa_float_denorm_mode_16_64 3
		.amdhsa_dx10_clamp 1
		.amdhsa_ieee_mode 1
		.amdhsa_fp16_overflow 0
		.amdhsa_workgroup_processor_mode 1
		.amdhsa_memory_ordered 1
		.amdhsa_forward_progress 0
		.amdhsa_shared_vgpr_count 0
		.amdhsa_exception_fp_ieee_invalid_op 0
		.amdhsa_exception_fp_denorm_src 0
		.amdhsa_exception_fp_ieee_div_zero 0
		.amdhsa_exception_fp_ieee_overflow 0
		.amdhsa_exception_fp_ieee_underflow 0
		.amdhsa_exception_fp_ieee_inexact 0
		.amdhsa_exception_int_div_zero 0
	.end_amdhsa_kernel
	.section	.text._ZN7rocprim17ROCPRIM_400000_NS6detail17trampoline_kernelINS0_14default_configENS1_25partition_config_selectorILNS1_17partition_subalgoE9ExxbEEZZNS1_14partition_implILS5_9ELb0ES3_jN6thrust23THRUST_200600_302600_NS6detail15normal_iteratorINS9_10device_ptrIxEEEESE_PNS0_10empty_typeENS0_5tupleIJSE_SF_EEENSH_IJSE_SG_EEENS0_18inequality_wrapperINS9_8equal_toIxEEEEPmJSF_EEE10hipError_tPvRmT3_T4_T5_T6_T7_T9_mT8_P12ihipStream_tbDpT10_ENKUlT_T0_E_clISt17integral_constantIbLb1EES18_EEDaS13_S14_EUlS13_E_NS1_11comp_targetILNS1_3genE3ELNS1_11target_archE908ELNS1_3gpuE7ELNS1_3repE0EEENS1_30default_config_static_selectorELNS0_4arch9wavefront6targetE0EEEvT1_,"axG",@progbits,_ZN7rocprim17ROCPRIM_400000_NS6detail17trampoline_kernelINS0_14default_configENS1_25partition_config_selectorILNS1_17partition_subalgoE9ExxbEEZZNS1_14partition_implILS5_9ELb0ES3_jN6thrust23THRUST_200600_302600_NS6detail15normal_iteratorINS9_10device_ptrIxEEEESE_PNS0_10empty_typeENS0_5tupleIJSE_SF_EEENSH_IJSE_SG_EEENS0_18inequality_wrapperINS9_8equal_toIxEEEEPmJSF_EEE10hipError_tPvRmT3_T4_T5_T6_T7_T9_mT8_P12ihipStream_tbDpT10_ENKUlT_T0_E_clISt17integral_constantIbLb1EES18_EEDaS13_S14_EUlS13_E_NS1_11comp_targetILNS1_3genE3ELNS1_11target_archE908ELNS1_3gpuE7ELNS1_3repE0EEENS1_30default_config_static_selectorELNS0_4arch9wavefront6targetE0EEEvT1_,comdat
.Lfunc_end351:
	.size	_ZN7rocprim17ROCPRIM_400000_NS6detail17trampoline_kernelINS0_14default_configENS1_25partition_config_selectorILNS1_17partition_subalgoE9ExxbEEZZNS1_14partition_implILS5_9ELb0ES3_jN6thrust23THRUST_200600_302600_NS6detail15normal_iteratorINS9_10device_ptrIxEEEESE_PNS0_10empty_typeENS0_5tupleIJSE_SF_EEENSH_IJSE_SG_EEENS0_18inequality_wrapperINS9_8equal_toIxEEEEPmJSF_EEE10hipError_tPvRmT3_T4_T5_T6_T7_T9_mT8_P12ihipStream_tbDpT10_ENKUlT_T0_E_clISt17integral_constantIbLb1EES18_EEDaS13_S14_EUlS13_E_NS1_11comp_targetILNS1_3genE3ELNS1_11target_archE908ELNS1_3gpuE7ELNS1_3repE0EEENS1_30default_config_static_selectorELNS0_4arch9wavefront6targetE0EEEvT1_, .Lfunc_end351-_ZN7rocprim17ROCPRIM_400000_NS6detail17trampoline_kernelINS0_14default_configENS1_25partition_config_selectorILNS1_17partition_subalgoE9ExxbEEZZNS1_14partition_implILS5_9ELb0ES3_jN6thrust23THRUST_200600_302600_NS6detail15normal_iteratorINS9_10device_ptrIxEEEESE_PNS0_10empty_typeENS0_5tupleIJSE_SF_EEENSH_IJSE_SG_EEENS0_18inequality_wrapperINS9_8equal_toIxEEEEPmJSF_EEE10hipError_tPvRmT3_T4_T5_T6_T7_T9_mT8_P12ihipStream_tbDpT10_ENKUlT_T0_E_clISt17integral_constantIbLb1EES18_EEDaS13_S14_EUlS13_E_NS1_11comp_targetILNS1_3genE3ELNS1_11target_archE908ELNS1_3gpuE7ELNS1_3repE0EEENS1_30default_config_static_selectorELNS0_4arch9wavefront6targetE0EEEvT1_
                                        ; -- End function
	.section	.AMDGPU.csdata,"",@progbits
; Kernel info:
; codeLenInByte = 0
; NumSgprs: 0
; NumVgprs: 0
; ScratchSize: 0
; MemoryBound: 0
; FloatMode: 240
; IeeeMode: 1
; LDSByteSize: 0 bytes/workgroup (compile time only)
; SGPRBlocks: 0
; VGPRBlocks: 0
; NumSGPRsForWavesPerEU: 1
; NumVGPRsForWavesPerEU: 1
; Occupancy: 16
; WaveLimiterHint : 0
; COMPUTE_PGM_RSRC2:SCRATCH_EN: 0
; COMPUTE_PGM_RSRC2:USER_SGPR: 15
; COMPUTE_PGM_RSRC2:TRAP_HANDLER: 0
; COMPUTE_PGM_RSRC2:TGID_X_EN: 1
; COMPUTE_PGM_RSRC2:TGID_Y_EN: 0
; COMPUTE_PGM_RSRC2:TGID_Z_EN: 0
; COMPUTE_PGM_RSRC2:TIDIG_COMP_CNT: 0
	.section	.text._ZN7rocprim17ROCPRIM_400000_NS6detail17trampoline_kernelINS0_14default_configENS1_25partition_config_selectorILNS1_17partition_subalgoE9ExxbEEZZNS1_14partition_implILS5_9ELb0ES3_jN6thrust23THRUST_200600_302600_NS6detail15normal_iteratorINS9_10device_ptrIxEEEESE_PNS0_10empty_typeENS0_5tupleIJSE_SF_EEENSH_IJSE_SG_EEENS0_18inequality_wrapperINS9_8equal_toIxEEEEPmJSF_EEE10hipError_tPvRmT3_T4_T5_T6_T7_T9_mT8_P12ihipStream_tbDpT10_ENKUlT_T0_E_clISt17integral_constantIbLb1EES18_EEDaS13_S14_EUlS13_E_NS1_11comp_targetILNS1_3genE2ELNS1_11target_archE906ELNS1_3gpuE6ELNS1_3repE0EEENS1_30default_config_static_selectorELNS0_4arch9wavefront6targetE0EEEvT1_,"axG",@progbits,_ZN7rocprim17ROCPRIM_400000_NS6detail17trampoline_kernelINS0_14default_configENS1_25partition_config_selectorILNS1_17partition_subalgoE9ExxbEEZZNS1_14partition_implILS5_9ELb0ES3_jN6thrust23THRUST_200600_302600_NS6detail15normal_iteratorINS9_10device_ptrIxEEEESE_PNS0_10empty_typeENS0_5tupleIJSE_SF_EEENSH_IJSE_SG_EEENS0_18inequality_wrapperINS9_8equal_toIxEEEEPmJSF_EEE10hipError_tPvRmT3_T4_T5_T6_T7_T9_mT8_P12ihipStream_tbDpT10_ENKUlT_T0_E_clISt17integral_constantIbLb1EES18_EEDaS13_S14_EUlS13_E_NS1_11comp_targetILNS1_3genE2ELNS1_11target_archE906ELNS1_3gpuE6ELNS1_3repE0EEENS1_30default_config_static_selectorELNS0_4arch9wavefront6targetE0EEEvT1_,comdat
	.protected	_ZN7rocprim17ROCPRIM_400000_NS6detail17trampoline_kernelINS0_14default_configENS1_25partition_config_selectorILNS1_17partition_subalgoE9ExxbEEZZNS1_14partition_implILS5_9ELb0ES3_jN6thrust23THRUST_200600_302600_NS6detail15normal_iteratorINS9_10device_ptrIxEEEESE_PNS0_10empty_typeENS0_5tupleIJSE_SF_EEENSH_IJSE_SG_EEENS0_18inequality_wrapperINS9_8equal_toIxEEEEPmJSF_EEE10hipError_tPvRmT3_T4_T5_T6_T7_T9_mT8_P12ihipStream_tbDpT10_ENKUlT_T0_E_clISt17integral_constantIbLb1EES18_EEDaS13_S14_EUlS13_E_NS1_11comp_targetILNS1_3genE2ELNS1_11target_archE906ELNS1_3gpuE6ELNS1_3repE0EEENS1_30default_config_static_selectorELNS0_4arch9wavefront6targetE0EEEvT1_ ; -- Begin function _ZN7rocprim17ROCPRIM_400000_NS6detail17trampoline_kernelINS0_14default_configENS1_25partition_config_selectorILNS1_17partition_subalgoE9ExxbEEZZNS1_14partition_implILS5_9ELb0ES3_jN6thrust23THRUST_200600_302600_NS6detail15normal_iteratorINS9_10device_ptrIxEEEESE_PNS0_10empty_typeENS0_5tupleIJSE_SF_EEENSH_IJSE_SG_EEENS0_18inequality_wrapperINS9_8equal_toIxEEEEPmJSF_EEE10hipError_tPvRmT3_T4_T5_T6_T7_T9_mT8_P12ihipStream_tbDpT10_ENKUlT_T0_E_clISt17integral_constantIbLb1EES18_EEDaS13_S14_EUlS13_E_NS1_11comp_targetILNS1_3genE2ELNS1_11target_archE906ELNS1_3gpuE6ELNS1_3repE0EEENS1_30default_config_static_selectorELNS0_4arch9wavefront6targetE0EEEvT1_
	.globl	_ZN7rocprim17ROCPRIM_400000_NS6detail17trampoline_kernelINS0_14default_configENS1_25partition_config_selectorILNS1_17partition_subalgoE9ExxbEEZZNS1_14partition_implILS5_9ELb0ES3_jN6thrust23THRUST_200600_302600_NS6detail15normal_iteratorINS9_10device_ptrIxEEEESE_PNS0_10empty_typeENS0_5tupleIJSE_SF_EEENSH_IJSE_SG_EEENS0_18inequality_wrapperINS9_8equal_toIxEEEEPmJSF_EEE10hipError_tPvRmT3_T4_T5_T6_T7_T9_mT8_P12ihipStream_tbDpT10_ENKUlT_T0_E_clISt17integral_constantIbLb1EES18_EEDaS13_S14_EUlS13_E_NS1_11comp_targetILNS1_3genE2ELNS1_11target_archE906ELNS1_3gpuE6ELNS1_3repE0EEENS1_30default_config_static_selectorELNS0_4arch9wavefront6targetE0EEEvT1_
	.p2align	8
	.type	_ZN7rocprim17ROCPRIM_400000_NS6detail17trampoline_kernelINS0_14default_configENS1_25partition_config_selectorILNS1_17partition_subalgoE9ExxbEEZZNS1_14partition_implILS5_9ELb0ES3_jN6thrust23THRUST_200600_302600_NS6detail15normal_iteratorINS9_10device_ptrIxEEEESE_PNS0_10empty_typeENS0_5tupleIJSE_SF_EEENSH_IJSE_SG_EEENS0_18inequality_wrapperINS9_8equal_toIxEEEEPmJSF_EEE10hipError_tPvRmT3_T4_T5_T6_T7_T9_mT8_P12ihipStream_tbDpT10_ENKUlT_T0_E_clISt17integral_constantIbLb1EES18_EEDaS13_S14_EUlS13_E_NS1_11comp_targetILNS1_3genE2ELNS1_11target_archE906ELNS1_3gpuE6ELNS1_3repE0EEENS1_30default_config_static_selectorELNS0_4arch9wavefront6targetE0EEEvT1_,@function
_ZN7rocprim17ROCPRIM_400000_NS6detail17trampoline_kernelINS0_14default_configENS1_25partition_config_selectorILNS1_17partition_subalgoE9ExxbEEZZNS1_14partition_implILS5_9ELb0ES3_jN6thrust23THRUST_200600_302600_NS6detail15normal_iteratorINS9_10device_ptrIxEEEESE_PNS0_10empty_typeENS0_5tupleIJSE_SF_EEENSH_IJSE_SG_EEENS0_18inequality_wrapperINS9_8equal_toIxEEEEPmJSF_EEE10hipError_tPvRmT3_T4_T5_T6_T7_T9_mT8_P12ihipStream_tbDpT10_ENKUlT_T0_E_clISt17integral_constantIbLb1EES18_EEDaS13_S14_EUlS13_E_NS1_11comp_targetILNS1_3genE2ELNS1_11target_archE906ELNS1_3gpuE6ELNS1_3repE0EEENS1_30default_config_static_selectorELNS0_4arch9wavefront6targetE0EEEvT1_: ; @_ZN7rocprim17ROCPRIM_400000_NS6detail17trampoline_kernelINS0_14default_configENS1_25partition_config_selectorILNS1_17partition_subalgoE9ExxbEEZZNS1_14partition_implILS5_9ELb0ES3_jN6thrust23THRUST_200600_302600_NS6detail15normal_iteratorINS9_10device_ptrIxEEEESE_PNS0_10empty_typeENS0_5tupleIJSE_SF_EEENSH_IJSE_SG_EEENS0_18inequality_wrapperINS9_8equal_toIxEEEEPmJSF_EEE10hipError_tPvRmT3_T4_T5_T6_T7_T9_mT8_P12ihipStream_tbDpT10_ENKUlT_T0_E_clISt17integral_constantIbLb1EES18_EEDaS13_S14_EUlS13_E_NS1_11comp_targetILNS1_3genE2ELNS1_11target_archE906ELNS1_3gpuE6ELNS1_3repE0EEENS1_30default_config_static_selectorELNS0_4arch9wavefront6targetE0EEEvT1_
; %bb.0:
	.section	.rodata,"a",@progbits
	.p2align	6, 0x0
	.amdhsa_kernel _ZN7rocprim17ROCPRIM_400000_NS6detail17trampoline_kernelINS0_14default_configENS1_25partition_config_selectorILNS1_17partition_subalgoE9ExxbEEZZNS1_14partition_implILS5_9ELb0ES3_jN6thrust23THRUST_200600_302600_NS6detail15normal_iteratorINS9_10device_ptrIxEEEESE_PNS0_10empty_typeENS0_5tupleIJSE_SF_EEENSH_IJSE_SG_EEENS0_18inequality_wrapperINS9_8equal_toIxEEEEPmJSF_EEE10hipError_tPvRmT3_T4_T5_T6_T7_T9_mT8_P12ihipStream_tbDpT10_ENKUlT_T0_E_clISt17integral_constantIbLb1EES18_EEDaS13_S14_EUlS13_E_NS1_11comp_targetILNS1_3genE2ELNS1_11target_archE906ELNS1_3gpuE6ELNS1_3repE0EEENS1_30default_config_static_selectorELNS0_4arch9wavefront6targetE0EEEvT1_
		.amdhsa_group_segment_fixed_size 0
		.amdhsa_private_segment_fixed_size 0
		.amdhsa_kernarg_size 128
		.amdhsa_user_sgpr_count 15
		.amdhsa_user_sgpr_dispatch_ptr 0
		.amdhsa_user_sgpr_queue_ptr 0
		.amdhsa_user_sgpr_kernarg_segment_ptr 1
		.amdhsa_user_sgpr_dispatch_id 0
		.amdhsa_user_sgpr_private_segment_size 0
		.amdhsa_wavefront_size32 1
		.amdhsa_uses_dynamic_stack 0
		.amdhsa_enable_private_segment 0
		.amdhsa_system_sgpr_workgroup_id_x 1
		.amdhsa_system_sgpr_workgroup_id_y 0
		.amdhsa_system_sgpr_workgroup_id_z 0
		.amdhsa_system_sgpr_workgroup_info 0
		.amdhsa_system_vgpr_workitem_id 0
		.amdhsa_next_free_vgpr 1
		.amdhsa_next_free_sgpr 1
		.amdhsa_reserve_vcc 0
		.amdhsa_float_round_mode_32 0
		.amdhsa_float_round_mode_16_64 0
		.amdhsa_float_denorm_mode_32 3
		.amdhsa_float_denorm_mode_16_64 3
		.amdhsa_dx10_clamp 1
		.amdhsa_ieee_mode 1
		.amdhsa_fp16_overflow 0
		.amdhsa_workgroup_processor_mode 1
		.amdhsa_memory_ordered 1
		.amdhsa_forward_progress 0
		.amdhsa_shared_vgpr_count 0
		.amdhsa_exception_fp_ieee_invalid_op 0
		.amdhsa_exception_fp_denorm_src 0
		.amdhsa_exception_fp_ieee_div_zero 0
		.amdhsa_exception_fp_ieee_overflow 0
		.amdhsa_exception_fp_ieee_underflow 0
		.amdhsa_exception_fp_ieee_inexact 0
		.amdhsa_exception_int_div_zero 0
	.end_amdhsa_kernel
	.section	.text._ZN7rocprim17ROCPRIM_400000_NS6detail17trampoline_kernelINS0_14default_configENS1_25partition_config_selectorILNS1_17partition_subalgoE9ExxbEEZZNS1_14partition_implILS5_9ELb0ES3_jN6thrust23THRUST_200600_302600_NS6detail15normal_iteratorINS9_10device_ptrIxEEEESE_PNS0_10empty_typeENS0_5tupleIJSE_SF_EEENSH_IJSE_SG_EEENS0_18inequality_wrapperINS9_8equal_toIxEEEEPmJSF_EEE10hipError_tPvRmT3_T4_T5_T6_T7_T9_mT8_P12ihipStream_tbDpT10_ENKUlT_T0_E_clISt17integral_constantIbLb1EES18_EEDaS13_S14_EUlS13_E_NS1_11comp_targetILNS1_3genE2ELNS1_11target_archE906ELNS1_3gpuE6ELNS1_3repE0EEENS1_30default_config_static_selectorELNS0_4arch9wavefront6targetE0EEEvT1_,"axG",@progbits,_ZN7rocprim17ROCPRIM_400000_NS6detail17trampoline_kernelINS0_14default_configENS1_25partition_config_selectorILNS1_17partition_subalgoE9ExxbEEZZNS1_14partition_implILS5_9ELb0ES3_jN6thrust23THRUST_200600_302600_NS6detail15normal_iteratorINS9_10device_ptrIxEEEESE_PNS0_10empty_typeENS0_5tupleIJSE_SF_EEENSH_IJSE_SG_EEENS0_18inequality_wrapperINS9_8equal_toIxEEEEPmJSF_EEE10hipError_tPvRmT3_T4_T5_T6_T7_T9_mT8_P12ihipStream_tbDpT10_ENKUlT_T0_E_clISt17integral_constantIbLb1EES18_EEDaS13_S14_EUlS13_E_NS1_11comp_targetILNS1_3genE2ELNS1_11target_archE906ELNS1_3gpuE6ELNS1_3repE0EEENS1_30default_config_static_selectorELNS0_4arch9wavefront6targetE0EEEvT1_,comdat
.Lfunc_end352:
	.size	_ZN7rocprim17ROCPRIM_400000_NS6detail17trampoline_kernelINS0_14default_configENS1_25partition_config_selectorILNS1_17partition_subalgoE9ExxbEEZZNS1_14partition_implILS5_9ELb0ES3_jN6thrust23THRUST_200600_302600_NS6detail15normal_iteratorINS9_10device_ptrIxEEEESE_PNS0_10empty_typeENS0_5tupleIJSE_SF_EEENSH_IJSE_SG_EEENS0_18inequality_wrapperINS9_8equal_toIxEEEEPmJSF_EEE10hipError_tPvRmT3_T4_T5_T6_T7_T9_mT8_P12ihipStream_tbDpT10_ENKUlT_T0_E_clISt17integral_constantIbLb1EES18_EEDaS13_S14_EUlS13_E_NS1_11comp_targetILNS1_3genE2ELNS1_11target_archE906ELNS1_3gpuE6ELNS1_3repE0EEENS1_30default_config_static_selectorELNS0_4arch9wavefront6targetE0EEEvT1_, .Lfunc_end352-_ZN7rocprim17ROCPRIM_400000_NS6detail17trampoline_kernelINS0_14default_configENS1_25partition_config_selectorILNS1_17partition_subalgoE9ExxbEEZZNS1_14partition_implILS5_9ELb0ES3_jN6thrust23THRUST_200600_302600_NS6detail15normal_iteratorINS9_10device_ptrIxEEEESE_PNS0_10empty_typeENS0_5tupleIJSE_SF_EEENSH_IJSE_SG_EEENS0_18inequality_wrapperINS9_8equal_toIxEEEEPmJSF_EEE10hipError_tPvRmT3_T4_T5_T6_T7_T9_mT8_P12ihipStream_tbDpT10_ENKUlT_T0_E_clISt17integral_constantIbLb1EES18_EEDaS13_S14_EUlS13_E_NS1_11comp_targetILNS1_3genE2ELNS1_11target_archE906ELNS1_3gpuE6ELNS1_3repE0EEENS1_30default_config_static_selectorELNS0_4arch9wavefront6targetE0EEEvT1_
                                        ; -- End function
	.section	.AMDGPU.csdata,"",@progbits
; Kernel info:
; codeLenInByte = 0
; NumSgprs: 0
; NumVgprs: 0
; ScratchSize: 0
; MemoryBound: 0
; FloatMode: 240
; IeeeMode: 1
; LDSByteSize: 0 bytes/workgroup (compile time only)
; SGPRBlocks: 0
; VGPRBlocks: 0
; NumSGPRsForWavesPerEU: 1
; NumVGPRsForWavesPerEU: 1
; Occupancy: 15
; WaveLimiterHint : 0
; COMPUTE_PGM_RSRC2:SCRATCH_EN: 0
; COMPUTE_PGM_RSRC2:USER_SGPR: 15
; COMPUTE_PGM_RSRC2:TRAP_HANDLER: 0
; COMPUTE_PGM_RSRC2:TGID_X_EN: 1
; COMPUTE_PGM_RSRC2:TGID_Y_EN: 0
; COMPUTE_PGM_RSRC2:TGID_Z_EN: 0
; COMPUTE_PGM_RSRC2:TIDIG_COMP_CNT: 0
	.section	.text._ZN7rocprim17ROCPRIM_400000_NS6detail17trampoline_kernelINS0_14default_configENS1_25partition_config_selectorILNS1_17partition_subalgoE9ExxbEEZZNS1_14partition_implILS5_9ELb0ES3_jN6thrust23THRUST_200600_302600_NS6detail15normal_iteratorINS9_10device_ptrIxEEEESE_PNS0_10empty_typeENS0_5tupleIJSE_SF_EEENSH_IJSE_SG_EEENS0_18inequality_wrapperINS9_8equal_toIxEEEEPmJSF_EEE10hipError_tPvRmT3_T4_T5_T6_T7_T9_mT8_P12ihipStream_tbDpT10_ENKUlT_T0_E_clISt17integral_constantIbLb1EES18_EEDaS13_S14_EUlS13_E_NS1_11comp_targetILNS1_3genE10ELNS1_11target_archE1200ELNS1_3gpuE4ELNS1_3repE0EEENS1_30default_config_static_selectorELNS0_4arch9wavefront6targetE0EEEvT1_,"axG",@progbits,_ZN7rocprim17ROCPRIM_400000_NS6detail17trampoline_kernelINS0_14default_configENS1_25partition_config_selectorILNS1_17partition_subalgoE9ExxbEEZZNS1_14partition_implILS5_9ELb0ES3_jN6thrust23THRUST_200600_302600_NS6detail15normal_iteratorINS9_10device_ptrIxEEEESE_PNS0_10empty_typeENS0_5tupleIJSE_SF_EEENSH_IJSE_SG_EEENS0_18inequality_wrapperINS9_8equal_toIxEEEEPmJSF_EEE10hipError_tPvRmT3_T4_T5_T6_T7_T9_mT8_P12ihipStream_tbDpT10_ENKUlT_T0_E_clISt17integral_constantIbLb1EES18_EEDaS13_S14_EUlS13_E_NS1_11comp_targetILNS1_3genE10ELNS1_11target_archE1200ELNS1_3gpuE4ELNS1_3repE0EEENS1_30default_config_static_selectorELNS0_4arch9wavefront6targetE0EEEvT1_,comdat
	.protected	_ZN7rocprim17ROCPRIM_400000_NS6detail17trampoline_kernelINS0_14default_configENS1_25partition_config_selectorILNS1_17partition_subalgoE9ExxbEEZZNS1_14partition_implILS5_9ELb0ES3_jN6thrust23THRUST_200600_302600_NS6detail15normal_iteratorINS9_10device_ptrIxEEEESE_PNS0_10empty_typeENS0_5tupleIJSE_SF_EEENSH_IJSE_SG_EEENS0_18inequality_wrapperINS9_8equal_toIxEEEEPmJSF_EEE10hipError_tPvRmT3_T4_T5_T6_T7_T9_mT8_P12ihipStream_tbDpT10_ENKUlT_T0_E_clISt17integral_constantIbLb1EES18_EEDaS13_S14_EUlS13_E_NS1_11comp_targetILNS1_3genE10ELNS1_11target_archE1200ELNS1_3gpuE4ELNS1_3repE0EEENS1_30default_config_static_selectorELNS0_4arch9wavefront6targetE0EEEvT1_ ; -- Begin function _ZN7rocprim17ROCPRIM_400000_NS6detail17trampoline_kernelINS0_14default_configENS1_25partition_config_selectorILNS1_17partition_subalgoE9ExxbEEZZNS1_14partition_implILS5_9ELb0ES3_jN6thrust23THRUST_200600_302600_NS6detail15normal_iteratorINS9_10device_ptrIxEEEESE_PNS0_10empty_typeENS0_5tupleIJSE_SF_EEENSH_IJSE_SG_EEENS0_18inequality_wrapperINS9_8equal_toIxEEEEPmJSF_EEE10hipError_tPvRmT3_T4_T5_T6_T7_T9_mT8_P12ihipStream_tbDpT10_ENKUlT_T0_E_clISt17integral_constantIbLb1EES18_EEDaS13_S14_EUlS13_E_NS1_11comp_targetILNS1_3genE10ELNS1_11target_archE1200ELNS1_3gpuE4ELNS1_3repE0EEENS1_30default_config_static_selectorELNS0_4arch9wavefront6targetE0EEEvT1_
	.globl	_ZN7rocprim17ROCPRIM_400000_NS6detail17trampoline_kernelINS0_14default_configENS1_25partition_config_selectorILNS1_17partition_subalgoE9ExxbEEZZNS1_14partition_implILS5_9ELb0ES3_jN6thrust23THRUST_200600_302600_NS6detail15normal_iteratorINS9_10device_ptrIxEEEESE_PNS0_10empty_typeENS0_5tupleIJSE_SF_EEENSH_IJSE_SG_EEENS0_18inequality_wrapperINS9_8equal_toIxEEEEPmJSF_EEE10hipError_tPvRmT3_T4_T5_T6_T7_T9_mT8_P12ihipStream_tbDpT10_ENKUlT_T0_E_clISt17integral_constantIbLb1EES18_EEDaS13_S14_EUlS13_E_NS1_11comp_targetILNS1_3genE10ELNS1_11target_archE1200ELNS1_3gpuE4ELNS1_3repE0EEENS1_30default_config_static_selectorELNS0_4arch9wavefront6targetE0EEEvT1_
	.p2align	8
	.type	_ZN7rocprim17ROCPRIM_400000_NS6detail17trampoline_kernelINS0_14default_configENS1_25partition_config_selectorILNS1_17partition_subalgoE9ExxbEEZZNS1_14partition_implILS5_9ELb0ES3_jN6thrust23THRUST_200600_302600_NS6detail15normal_iteratorINS9_10device_ptrIxEEEESE_PNS0_10empty_typeENS0_5tupleIJSE_SF_EEENSH_IJSE_SG_EEENS0_18inequality_wrapperINS9_8equal_toIxEEEEPmJSF_EEE10hipError_tPvRmT3_T4_T5_T6_T7_T9_mT8_P12ihipStream_tbDpT10_ENKUlT_T0_E_clISt17integral_constantIbLb1EES18_EEDaS13_S14_EUlS13_E_NS1_11comp_targetILNS1_3genE10ELNS1_11target_archE1200ELNS1_3gpuE4ELNS1_3repE0EEENS1_30default_config_static_selectorELNS0_4arch9wavefront6targetE0EEEvT1_,@function
_ZN7rocprim17ROCPRIM_400000_NS6detail17trampoline_kernelINS0_14default_configENS1_25partition_config_selectorILNS1_17partition_subalgoE9ExxbEEZZNS1_14partition_implILS5_9ELb0ES3_jN6thrust23THRUST_200600_302600_NS6detail15normal_iteratorINS9_10device_ptrIxEEEESE_PNS0_10empty_typeENS0_5tupleIJSE_SF_EEENSH_IJSE_SG_EEENS0_18inequality_wrapperINS9_8equal_toIxEEEEPmJSF_EEE10hipError_tPvRmT3_T4_T5_T6_T7_T9_mT8_P12ihipStream_tbDpT10_ENKUlT_T0_E_clISt17integral_constantIbLb1EES18_EEDaS13_S14_EUlS13_E_NS1_11comp_targetILNS1_3genE10ELNS1_11target_archE1200ELNS1_3gpuE4ELNS1_3repE0EEENS1_30default_config_static_selectorELNS0_4arch9wavefront6targetE0EEEvT1_: ; @_ZN7rocprim17ROCPRIM_400000_NS6detail17trampoline_kernelINS0_14default_configENS1_25partition_config_selectorILNS1_17partition_subalgoE9ExxbEEZZNS1_14partition_implILS5_9ELb0ES3_jN6thrust23THRUST_200600_302600_NS6detail15normal_iteratorINS9_10device_ptrIxEEEESE_PNS0_10empty_typeENS0_5tupleIJSE_SF_EEENSH_IJSE_SG_EEENS0_18inequality_wrapperINS9_8equal_toIxEEEEPmJSF_EEE10hipError_tPvRmT3_T4_T5_T6_T7_T9_mT8_P12ihipStream_tbDpT10_ENKUlT_T0_E_clISt17integral_constantIbLb1EES18_EEDaS13_S14_EUlS13_E_NS1_11comp_targetILNS1_3genE10ELNS1_11target_archE1200ELNS1_3gpuE4ELNS1_3repE0EEENS1_30default_config_static_selectorELNS0_4arch9wavefront6targetE0EEEvT1_
; %bb.0:
	.section	.rodata,"a",@progbits
	.p2align	6, 0x0
	.amdhsa_kernel _ZN7rocprim17ROCPRIM_400000_NS6detail17trampoline_kernelINS0_14default_configENS1_25partition_config_selectorILNS1_17partition_subalgoE9ExxbEEZZNS1_14partition_implILS5_9ELb0ES3_jN6thrust23THRUST_200600_302600_NS6detail15normal_iteratorINS9_10device_ptrIxEEEESE_PNS0_10empty_typeENS0_5tupleIJSE_SF_EEENSH_IJSE_SG_EEENS0_18inequality_wrapperINS9_8equal_toIxEEEEPmJSF_EEE10hipError_tPvRmT3_T4_T5_T6_T7_T9_mT8_P12ihipStream_tbDpT10_ENKUlT_T0_E_clISt17integral_constantIbLb1EES18_EEDaS13_S14_EUlS13_E_NS1_11comp_targetILNS1_3genE10ELNS1_11target_archE1200ELNS1_3gpuE4ELNS1_3repE0EEENS1_30default_config_static_selectorELNS0_4arch9wavefront6targetE0EEEvT1_
		.amdhsa_group_segment_fixed_size 0
		.amdhsa_private_segment_fixed_size 0
		.amdhsa_kernarg_size 128
		.amdhsa_user_sgpr_count 15
		.amdhsa_user_sgpr_dispatch_ptr 0
		.amdhsa_user_sgpr_queue_ptr 0
		.amdhsa_user_sgpr_kernarg_segment_ptr 1
		.amdhsa_user_sgpr_dispatch_id 0
		.amdhsa_user_sgpr_private_segment_size 0
		.amdhsa_wavefront_size32 1
		.amdhsa_uses_dynamic_stack 0
		.amdhsa_enable_private_segment 0
		.amdhsa_system_sgpr_workgroup_id_x 1
		.amdhsa_system_sgpr_workgroup_id_y 0
		.amdhsa_system_sgpr_workgroup_id_z 0
		.amdhsa_system_sgpr_workgroup_info 0
		.amdhsa_system_vgpr_workitem_id 0
		.amdhsa_next_free_vgpr 1
		.amdhsa_next_free_sgpr 1
		.amdhsa_reserve_vcc 0
		.amdhsa_float_round_mode_32 0
		.amdhsa_float_round_mode_16_64 0
		.amdhsa_float_denorm_mode_32 3
		.amdhsa_float_denorm_mode_16_64 3
		.amdhsa_dx10_clamp 1
		.amdhsa_ieee_mode 1
		.amdhsa_fp16_overflow 0
		.amdhsa_workgroup_processor_mode 1
		.amdhsa_memory_ordered 1
		.amdhsa_forward_progress 0
		.amdhsa_shared_vgpr_count 0
		.amdhsa_exception_fp_ieee_invalid_op 0
		.amdhsa_exception_fp_denorm_src 0
		.amdhsa_exception_fp_ieee_div_zero 0
		.amdhsa_exception_fp_ieee_overflow 0
		.amdhsa_exception_fp_ieee_underflow 0
		.amdhsa_exception_fp_ieee_inexact 0
		.amdhsa_exception_int_div_zero 0
	.end_amdhsa_kernel
	.section	.text._ZN7rocprim17ROCPRIM_400000_NS6detail17trampoline_kernelINS0_14default_configENS1_25partition_config_selectorILNS1_17partition_subalgoE9ExxbEEZZNS1_14partition_implILS5_9ELb0ES3_jN6thrust23THRUST_200600_302600_NS6detail15normal_iteratorINS9_10device_ptrIxEEEESE_PNS0_10empty_typeENS0_5tupleIJSE_SF_EEENSH_IJSE_SG_EEENS0_18inequality_wrapperINS9_8equal_toIxEEEEPmJSF_EEE10hipError_tPvRmT3_T4_T5_T6_T7_T9_mT8_P12ihipStream_tbDpT10_ENKUlT_T0_E_clISt17integral_constantIbLb1EES18_EEDaS13_S14_EUlS13_E_NS1_11comp_targetILNS1_3genE10ELNS1_11target_archE1200ELNS1_3gpuE4ELNS1_3repE0EEENS1_30default_config_static_selectorELNS0_4arch9wavefront6targetE0EEEvT1_,"axG",@progbits,_ZN7rocprim17ROCPRIM_400000_NS6detail17trampoline_kernelINS0_14default_configENS1_25partition_config_selectorILNS1_17partition_subalgoE9ExxbEEZZNS1_14partition_implILS5_9ELb0ES3_jN6thrust23THRUST_200600_302600_NS6detail15normal_iteratorINS9_10device_ptrIxEEEESE_PNS0_10empty_typeENS0_5tupleIJSE_SF_EEENSH_IJSE_SG_EEENS0_18inequality_wrapperINS9_8equal_toIxEEEEPmJSF_EEE10hipError_tPvRmT3_T4_T5_T6_T7_T9_mT8_P12ihipStream_tbDpT10_ENKUlT_T0_E_clISt17integral_constantIbLb1EES18_EEDaS13_S14_EUlS13_E_NS1_11comp_targetILNS1_3genE10ELNS1_11target_archE1200ELNS1_3gpuE4ELNS1_3repE0EEENS1_30default_config_static_selectorELNS0_4arch9wavefront6targetE0EEEvT1_,comdat
.Lfunc_end353:
	.size	_ZN7rocprim17ROCPRIM_400000_NS6detail17trampoline_kernelINS0_14default_configENS1_25partition_config_selectorILNS1_17partition_subalgoE9ExxbEEZZNS1_14partition_implILS5_9ELb0ES3_jN6thrust23THRUST_200600_302600_NS6detail15normal_iteratorINS9_10device_ptrIxEEEESE_PNS0_10empty_typeENS0_5tupleIJSE_SF_EEENSH_IJSE_SG_EEENS0_18inequality_wrapperINS9_8equal_toIxEEEEPmJSF_EEE10hipError_tPvRmT3_T4_T5_T6_T7_T9_mT8_P12ihipStream_tbDpT10_ENKUlT_T0_E_clISt17integral_constantIbLb1EES18_EEDaS13_S14_EUlS13_E_NS1_11comp_targetILNS1_3genE10ELNS1_11target_archE1200ELNS1_3gpuE4ELNS1_3repE0EEENS1_30default_config_static_selectorELNS0_4arch9wavefront6targetE0EEEvT1_, .Lfunc_end353-_ZN7rocprim17ROCPRIM_400000_NS6detail17trampoline_kernelINS0_14default_configENS1_25partition_config_selectorILNS1_17partition_subalgoE9ExxbEEZZNS1_14partition_implILS5_9ELb0ES3_jN6thrust23THRUST_200600_302600_NS6detail15normal_iteratorINS9_10device_ptrIxEEEESE_PNS0_10empty_typeENS0_5tupleIJSE_SF_EEENSH_IJSE_SG_EEENS0_18inequality_wrapperINS9_8equal_toIxEEEEPmJSF_EEE10hipError_tPvRmT3_T4_T5_T6_T7_T9_mT8_P12ihipStream_tbDpT10_ENKUlT_T0_E_clISt17integral_constantIbLb1EES18_EEDaS13_S14_EUlS13_E_NS1_11comp_targetILNS1_3genE10ELNS1_11target_archE1200ELNS1_3gpuE4ELNS1_3repE0EEENS1_30default_config_static_selectorELNS0_4arch9wavefront6targetE0EEEvT1_
                                        ; -- End function
	.section	.AMDGPU.csdata,"",@progbits
; Kernel info:
; codeLenInByte = 0
; NumSgprs: 0
; NumVgprs: 0
; ScratchSize: 0
; MemoryBound: 0
; FloatMode: 240
; IeeeMode: 1
; LDSByteSize: 0 bytes/workgroup (compile time only)
; SGPRBlocks: 0
; VGPRBlocks: 0
; NumSGPRsForWavesPerEU: 1
; NumVGPRsForWavesPerEU: 1
; Occupancy: 15
; WaveLimiterHint : 0
; COMPUTE_PGM_RSRC2:SCRATCH_EN: 0
; COMPUTE_PGM_RSRC2:USER_SGPR: 15
; COMPUTE_PGM_RSRC2:TRAP_HANDLER: 0
; COMPUTE_PGM_RSRC2:TGID_X_EN: 1
; COMPUTE_PGM_RSRC2:TGID_Y_EN: 0
; COMPUTE_PGM_RSRC2:TGID_Z_EN: 0
; COMPUTE_PGM_RSRC2:TIDIG_COMP_CNT: 0
	.section	.text._ZN7rocprim17ROCPRIM_400000_NS6detail17trampoline_kernelINS0_14default_configENS1_25partition_config_selectorILNS1_17partition_subalgoE9ExxbEEZZNS1_14partition_implILS5_9ELb0ES3_jN6thrust23THRUST_200600_302600_NS6detail15normal_iteratorINS9_10device_ptrIxEEEESE_PNS0_10empty_typeENS0_5tupleIJSE_SF_EEENSH_IJSE_SG_EEENS0_18inequality_wrapperINS9_8equal_toIxEEEEPmJSF_EEE10hipError_tPvRmT3_T4_T5_T6_T7_T9_mT8_P12ihipStream_tbDpT10_ENKUlT_T0_E_clISt17integral_constantIbLb1EES18_EEDaS13_S14_EUlS13_E_NS1_11comp_targetILNS1_3genE9ELNS1_11target_archE1100ELNS1_3gpuE3ELNS1_3repE0EEENS1_30default_config_static_selectorELNS0_4arch9wavefront6targetE0EEEvT1_,"axG",@progbits,_ZN7rocprim17ROCPRIM_400000_NS6detail17trampoline_kernelINS0_14default_configENS1_25partition_config_selectorILNS1_17partition_subalgoE9ExxbEEZZNS1_14partition_implILS5_9ELb0ES3_jN6thrust23THRUST_200600_302600_NS6detail15normal_iteratorINS9_10device_ptrIxEEEESE_PNS0_10empty_typeENS0_5tupleIJSE_SF_EEENSH_IJSE_SG_EEENS0_18inequality_wrapperINS9_8equal_toIxEEEEPmJSF_EEE10hipError_tPvRmT3_T4_T5_T6_T7_T9_mT8_P12ihipStream_tbDpT10_ENKUlT_T0_E_clISt17integral_constantIbLb1EES18_EEDaS13_S14_EUlS13_E_NS1_11comp_targetILNS1_3genE9ELNS1_11target_archE1100ELNS1_3gpuE3ELNS1_3repE0EEENS1_30default_config_static_selectorELNS0_4arch9wavefront6targetE0EEEvT1_,comdat
	.protected	_ZN7rocprim17ROCPRIM_400000_NS6detail17trampoline_kernelINS0_14default_configENS1_25partition_config_selectorILNS1_17partition_subalgoE9ExxbEEZZNS1_14partition_implILS5_9ELb0ES3_jN6thrust23THRUST_200600_302600_NS6detail15normal_iteratorINS9_10device_ptrIxEEEESE_PNS0_10empty_typeENS0_5tupleIJSE_SF_EEENSH_IJSE_SG_EEENS0_18inequality_wrapperINS9_8equal_toIxEEEEPmJSF_EEE10hipError_tPvRmT3_T4_T5_T6_T7_T9_mT8_P12ihipStream_tbDpT10_ENKUlT_T0_E_clISt17integral_constantIbLb1EES18_EEDaS13_S14_EUlS13_E_NS1_11comp_targetILNS1_3genE9ELNS1_11target_archE1100ELNS1_3gpuE3ELNS1_3repE0EEENS1_30default_config_static_selectorELNS0_4arch9wavefront6targetE0EEEvT1_ ; -- Begin function _ZN7rocprim17ROCPRIM_400000_NS6detail17trampoline_kernelINS0_14default_configENS1_25partition_config_selectorILNS1_17partition_subalgoE9ExxbEEZZNS1_14partition_implILS5_9ELb0ES3_jN6thrust23THRUST_200600_302600_NS6detail15normal_iteratorINS9_10device_ptrIxEEEESE_PNS0_10empty_typeENS0_5tupleIJSE_SF_EEENSH_IJSE_SG_EEENS0_18inequality_wrapperINS9_8equal_toIxEEEEPmJSF_EEE10hipError_tPvRmT3_T4_T5_T6_T7_T9_mT8_P12ihipStream_tbDpT10_ENKUlT_T0_E_clISt17integral_constantIbLb1EES18_EEDaS13_S14_EUlS13_E_NS1_11comp_targetILNS1_3genE9ELNS1_11target_archE1100ELNS1_3gpuE3ELNS1_3repE0EEENS1_30default_config_static_selectorELNS0_4arch9wavefront6targetE0EEEvT1_
	.globl	_ZN7rocprim17ROCPRIM_400000_NS6detail17trampoline_kernelINS0_14default_configENS1_25partition_config_selectorILNS1_17partition_subalgoE9ExxbEEZZNS1_14partition_implILS5_9ELb0ES3_jN6thrust23THRUST_200600_302600_NS6detail15normal_iteratorINS9_10device_ptrIxEEEESE_PNS0_10empty_typeENS0_5tupleIJSE_SF_EEENSH_IJSE_SG_EEENS0_18inequality_wrapperINS9_8equal_toIxEEEEPmJSF_EEE10hipError_tPvRmT3_T4_T5_T6_T7_T9_mT8_P12ihipStream_tbDpT10_ENKUlT_T0_E_clISt17integral_constantIbLb1EES18_EEDaS13_S14_EUlS13_E_NS1_11comp_targetILNS1_3genE9ELNS1_11target_archE1100ELNS1_3gpuE3ELNS1_3repE0EEENS1_30default_config_static_selectorELNS0_4arch9wavefront6targetE0EEEvT1_
	.p2align	8
	.type	_ZN7rocprim17ROCPRIM_400000_NS6detail17trampoline_kernelINS0_14default_configENS1_25partition_config_selectorILNS1_17partition_subalgoE9ExxbEEZZNS1_14partition_implILS5_9ELb0ES3_jN6thrust23THRUST_200600_302600_NS6detail15normal_iteratorINS9_10device_ptrIxEEEESE_PNS0_10empty_typeENS0_5tupleIJSE_SF_EEENSH_IJSE_SG_EEENS0_18inequality_wrapperINS9_8equal_toIxEEEEPmJSF_EEE10hipError_tPvRmT3_T4_T5_T6_T7_T9_mT8_P12ihipStream_tbDpT10_ENKUlT_T0_E_clISt17integral_constantIbLb1EES18_EEDaS13_S14_EUlS13_E_NS1_11comp_targetILNS1_3genE9ELNS1_11target_archE1100ELNS1_3gpuE3ELNS1_3repE0EEENS1_30default_config_static_selectorELNS0_4arch9wavefront6targetE0EEEvT1_,@function
_ZN7rocprim17ROCPRIM_400000_NS6detail17trampoline_kernelINS0_14default_configENS1_25partition_config_selectorILNS1_17partition_subalgoE9ExxbEEZZNS1_14partition_implILS5_9ELb0ES3_jN6thrust23THRUST_200600_302600_NS6detail15normal_iteratorINS9_10device_ptrIxEEEESE_PNS0_10empty_typeENS0_5tupleIJSE_SF_EEENSH_IJSE_SG_EEENS0_18inequality_wrapperINS9_8equal_toIxEEEEPmJSF_EEE10hipError_tPvRmT3_T4_T5_T6_T7_T9_mT8_P12ihipStream_tbDpT10_ENKUlT_T0_E_clISt17integral_constantIbLb1EES18_EEDaS13_S14_EUlS13_E_NS1_11comp_targetILNS1_3genE9ELNS1_11target_archE1100ELNS1_3gpuE3ELNS1_3repE0EEENS1_30default_config_static_selectorELNS0_4arch9wavefront6targetE0EEEvT1_: ; @_ZN7rocprim17ROCPRIM_400000_NS6detail17trampoline_kernelINS0_14default_configENS1_25partition_config_selectorILNS1_17partition_subalgoE9ExxbEEZZNS1_14partition_implILS5_9ELb0ES3_jN6thrust23THRUST_200600_302600_NS6detail15normal_iteratorINS9_10device_ptrIxEEEESE_PNS0_10empty_typeENS0_5tupleIJSE_SF_EEENSH_IJSE_SG_EEENS0_18inequality_wrapperINS9_8equal_toIxEEEEPmJSF_EEE10hipError_tPvRmT3_T4_T5_T6_T7_T9_mT8_P12ihipStream_tbDpT10_ENKUlT_T0_E_clISt17integral_constantIbLb1EES18_EEDaS13_S14_EUlS13_E_NS1_11comp_targetILNS1_3genE9ELNS1_11target_archE1100ELNS1_3gpuE3ELNS1_3repE0EEENS1_30default_config_static_selectorELNS0_4arch9wavefront6targetE0EEEvT1_
; %bb.0:
	s_clause 0x4
	s_load_b128 s[4:7], s[0:1], 0x8
	s_load_b64 s[8:9], s[0:1], 0x18
	s_load_b128 s[12:15], s[0:1], 0x40
	s_load_b64 s[10:11], s[0:1], 0x50
	s_load_b64 s[20:21], s[0:1], 0x60
	v_cmp_ne_u32_e64 s3, 0, v0
	v_cmp_eq_u32_e64 s2, 0, v0
	s_delay_alu instid0(VALU_DEP_1)
	s_and_saveexec_b32 s16, s2
	s_cbranch_execz .LBB354_4
; %bb.1:
	s_mov_b32 s18, exec_lo
	s_mov_b32 s17, exec_lo
	v_mbcnt_lo_u32_b32 v1, s18, 0
                                        ; implicit-def: $vgpr2
	s_delay_alu instid0(VALU_DEP_1)
	v_cmpx_eq_u32_e32 0, v1
	s_cbranch_execz .LBB354_3
; %bb.2:
	s_load_b64 s[22:23], s[0:1], 0x70
	s_bcnt1_i32_b32 s18, s18
	s_delay_alu instid0(SALU_CYCLE_1)
	v_dual_mov_b32 v2, 0 :: v_dual_mov_b32 v3, s18
	s_waitcnt lgkmcnt(0)
	global_atomic_add_u32 v2, v2, v3, s[22:23] glc
.LBB354_3:
	s_or_b32 exec_lo, exec_lo, s17
	s_waitcnt vmcnt(0)
	v_readfirstlane_b32 s17, v2
	s_delay_alu instid0(VALU_DEP_1)
	v_dual_mov_b32 v2, 0 :: v_dual_add_nc_u32 v1, s17, v1
	ds_store_b32 v2, v1
.LBB354_4:
	s_or_b32 exec_lo, exec_lo, s16
	v_mov_b32_e32 v1, 0
	s_clause 0x1
	s_load_b128 s[16:19], s[0:1], 0x28
	s_load_b32 s0, s[0:1], 0x68
	s_waitcnt lgkmcnt(0)
	s_barrier
	buffer_gl0_inv
	ds_load_b32 v3, v1
	s_waitcnt lgkmcnt(0)
	s_barrier
	buffer_gl0_inv
	global_load_b64 v[1:2], v1, s[14:15]
	s_lshl_b64 s[14:15], s[6:7], 3
	s_mov_b32 s1, 0
	s_add_u32 s27, s4, s14
	s_addc_u32 s28, s5, s15
	v_lshlrev_b32_e32 v55, 3, v0
	v_lshrrev_b32_e32 v34, 2, v0
	v_or_b32_e32 v39, 0x200, v0
	v_or_b32_e32 v38, 0x400, v0
	;; [unrolled: 1-line block ×5, first 2 shown]
	s_add_i32 s22, s0, -1
	s_lshl_b32 s5, s0, 12
	s_lshl_b32 s4, s22, 12
	v_or_b32_e32 v33, 0xc00, v0
	v_readfirstlane_b32 s24, v3
	s_add_i32 s4, s6, s4
	v_or_b32_e32 v36, 0xe00, v0
	s_sub_i32 s25, s10, s4
	s_delay_alu instid0(VALU_DEP_2)
	s_lshl_b32 s0, s24, 12
	s_add_u32 s4, s6, s5
	s_addc_u32 s5, s7, 0
	s_cmp_eq_u32 s24, s22
	v_cmp_ge_u64_e64 s4, s[4:5], s[10:11]
	s_cselect_b32 s22, -1, 0
	s_delay_alu instid0(VALU_DEP_1) | instid1(SALU_CYCLE_1)
	s_and_b32 s26, s4, s22
	s_lshl_b64 s[4:5], s[0:1], 3
	s_xor_b32 s23, s26, -1
	s_add_u32 s27, s27, s4
	s_addc_u32 s1, s28, s5
	s_and_b32 vcc_lo, exec_lo, s23
	s_mov_b32 s28, -1
	s_waitcnt vmcnt(0)
	v_readfirstlane_b32 s10, v1
	v_readfirstlane_b32 s11, v2
	s_cbranch_vccz .LBB354_6
; %bb.5:
	v_add_co_u32 v1, s0, s27, v55
	s_delay_alu instid0(VALU_DEP_1) | instskip(SKIP_1) | instid1(VALU_DEP_3)
	v_add_co_ci_u32_e64 v2, null, s1, 0, s0
	v_lshrrev_b32_e32 v18, 2, v39
	v_add_co_u32 v3, vcc_lo, 0x1000, v1
	s_delay_alu instid0(VALU_DEP_3)
	v_add_co_ci_u32_e32 v4, vcc_lo, 0, v2, vcc_lo
	v_add_co_u32 v5, vcc_lo, 0x2000, v1
	v_add_co_ci_u32_e32 v6, vcc_lo, 0, v2, vcc_lo
	v_add_co_u32 v7, vcc_lo, 0x3000, v1
	;; [unrolled: 2-line block ×6, first 2 shown]
	v_add_co_ci_u32_e32 v16, vcc_lo, 0, v2, vcc_lo
	s_clause 0x7
	flat_load_b64 v[1:2], v[1:2]
	flat_load_b64 v[3:4], v[3:4]
	;; [unrolled: 1-line block ×8, first 2 shown]
	v_lshrrev_b32_e32 v19, 2, v38
	v_lshrrev_b32_e32 v20, 2, v40
	;; [unrolled: 1-line block ×3, first 2 shown]
	v_and_b32_e32 v17, 0x78, v34
	v_lshrrev_b32_e32 v22, 2, v35
	v_lshrrev_b32_e32 v23, 2, v33
	;; [unrolled: 1-line block ×3, first 2 shown]
	v_and_b32_e32 v18, 0xf8, v18
	v_and_b32_e32 v19, 0x178, v19
	;; [unrolled: 1-line block ×4, first 2 shown]
	v_add_nc_u32_e32 v17, v17, v55
	v_and_b32_e32 v22, 0x2f8, v22
	v_and_b32_e32 v23, 0x378, v23
	;; [unrolled: 1-line block ×3, first 2 shown]
	v_add_nc_u32_e32 v18, v18, v55
	v_add_nc_u32_e32 v19, v19, v55
	;; [unrolled: 1-line block ×4, first 2 shown]
	s_mov_b32 s28, 0
	v_add_nc_u32_e32 v22, v22, v55
	v_add_nc_u32_e32 v23, v23, v55
	v_add_nc_u32_e32 v24, v24, v55
	s_waitcnt vmcnt(7) lgkmcnt(7)
	ds_store_b64 v17, v[1:2]
	s_waitcnt vmcnt(6) lgkmcnt(7)
	ds_store_b64 v18, v[3:4] offset:4096
	s_waitcnt vmcnt(5) lgkmcnt(7)
	ds_store_b64 v19, v[5:6] offset:8192
	;; [unrolled: 2-line block ×7, first 2 shown]
	s_waitcnt lgkmcnt(0)
	s_barrier
.LBB354_6:
	v_cmp_gt_u32_e64 s0, s25, v0
	s_and_not1_b32 vcc_lo, exec_lo, s28
	s_cbranch_vccnz .LBB354_24
; %bb.7:
                                        ; implicit-def: $vgpr1_vgpr2_vgpr3_vgpr4_vgpr5_vgpr6_vgpr7_vgpr8_vgpr9_vgpr10_vgpr11_vgpr12_vgpr13_vgpr14_vgpr15_vgpr16
	s_delay_alu instid0(VALU_DEP_1)
	s_and_saveexec_b32 s28, s0
	s_cbranch_execz .LBB354_15
; %bb.8:
	v_add_co_u32 v1, s0, s27, v55
	s_delay_alu instid0(VALU_DEP_1) | instskip(SKIP_2) | instid1(SALU_CYCLE_1)
	v_add_co_ci_u32_e64 v2, null, s1, 0, s0
	flat_load_b64 v[1:2], v[1:2]
	s_or_b32 exec_lo, exec_lo, s28
	s_mov_b32 s0, exec_lo
	v_cmpx_gt_u32_e64 s25, v39
	s_cbranch_execnz .LBB354_16
.LBB354_9:
	s_or_b32 exec_lo, exec_lo, s0
	s_delay_alu instid0(SALU_CYCLE_1)
	s_mov_b32 s0, exec_lo
	v_cmpx_gt_u32_e64 s25, v38
	s_cbranch_execz .LBB354_17
.LBB354_10:
	v_lshlrev_b32_e32 v5, 3, v38
	s_delay_alu instid0(VALU_DEP_1) | instskip(NEXT) | instid1(VALU_DEP_1)
	v_add_co_u32 v5, s28, s27, v5
	v_add_co_ci_u32_e64 v6, null, s1, 0, s28
	flat_load_b64 v[5:6], v[5:6]
	s_or_b32 exec_lo, exec_lo, s0
	s_delay_alu instid0(SALU_CYCLE_1)
	s_mov_b32 s0, exec_lo
	v_cmpx_gt_u32_e64 s25, v40
	s_cbranch_execnz .LBB354_18
.LBB354_11:
	s_or_b32 exec_lo, exec_lo, s0
	s_delay_alu instid0(SALU_CYCLE_1)
	s_mov_b32 s0, exec_lo
	v_cmpx_gt_u32_e64 s25, v37
	s_cbranch_execz .LBB354_19
.LBB354_12:
	v_lshlrev_b32_e32 v9, 3, v37
	s_delay_alu instid0(VALU_DEP_1) | instskip(NEXT) | instid1(VALU_DEP_1)
	v_add_co_u32 v9, s28, s27, v9
	v_add_co_ci_u32_e64 v10, null, s1, 0, s28
	flat_load_b64 v[9:10], v[9:10]
	s_or_b32 exec_lo, exec_lo, s0
	s_delay_alu instid0(SALU_CYCLE_1)
	s_mov_b32 s0, exec_lo
	v_cmpx_gt_u32_e64 s25, v35
	s_cbranch_execnz .LBB354_20
.LBB354_13:
	s_or_b32 exec_lo, exec_lo, s0
	s_delay_alu instid0(SALU_CYCLE_1)
	s_mov_b32 s0, exec_lo
	v_cmpx_gt_u32_e64 s25, v33
	s_cbranch_execz .LBB354_21
.LBB354_14:
	v_lshlrev_b32_e32 v13, 3, v33
	s_delay_alu instid0(VALU_DEP_1) | instskip(NEXT) | instid1(VALU_DEP_1)
	v_add_co_u32 v13, s28, s27, v13
	v_add_co_ci_u32_e64 v14, null, s1, 0, s28
	flat_load_b64 v[13:14], v[13:14]
	s_or_b32 exec_lo, exec_lo, s0
	s_delay_alu instid0(SALU_CYCLE_1)
	s_mov_b32 s0, exec_lo
	v_cmpx_gt_u32_e64 s25, v36
	s_cbranch_execnz .LBB354_22
	s_branch .LBB354_23
.LBB354_15:
	s_or_b32 exec_lo, exec_lo, s28
	s_delay_alu instid0(SALU_CYCLE_1)
	s_mov_b32 s0, exec_lo
	v_cmpx_gt_u32_e64 s25, v39
	s_cbranch_execz .LBB354_9
.LBB354_16:
	v_lshlrev_b32_e32 v3, 3, v39
	s_delay_alu instid0(VALU_DEP_1) | instskip(NEXT) | instid1(VALU_DEP_1)
	v_add_co_u32 v3, s28, s27, v3
	v_add_co_ci_u32_e64 v4, null, s1, 0, s28
	flat_load_b64 v[3:4], v[3:4]
	s_or_b32 exec_lo, exec_lo, s0
	s_delay_alu instid0(SALU_CYCLE_1)
	s_mov_b32 s0, exec_lo
	v_cmpx_gt_u32_e64 s25, v38
	s_cbranch_execnz .LBB354_10
.LBB354_17:
	s_or_b32 exec_lo, exec_lo, s0
	s_delay_alu instid0(SALU_CYCLE_1)
	s_mov_b32 s0, exec_lo
	v_cmpx_gt_u32_e64 s25, v40
	s_cbranch_execz .LBB354_11
.LBB354_18:
	v_lshlrev_b32_e32 v7, 3, v40
	s_delay_alu instid0(VALU_DEP_1) | instskip(NEXT) | instid1(VALU_DEP_1)
	v_add_co_u32 v7, s28, s27, v7
	v_add_co_ci_u32_e64 v8, null, s1, 0, s28
	flat_load_b64 v[7:8], v[7:8]
	s_or_b32 exec_lo, exec_lo, s0
	s_delay_alu instid0(SALU_CYCLE_1)
	s_mov_b32 s0, exec_lo
	v_cmpx_gt_u32_e64 s25, v37
	s_cbranch_execnz .LBB354_12
.LBB354_19:
	s_or_b32 exec_lo, exec_lo, s0
	s_delay_alu instid0(SALU_CYCLE_1)
	s_mov_b32 s0, exec_lo
	v_cmpx_gt_u32_e64 s25, v35
	s_cbranch_execz .LBB354_13
.LBB354_20:
	v_lshlrev_b32_e32 v11, 3, v35
	s_delay_alu instid0(VALU_DEP_1) | instskip(NEXT) | instid1(VALU_DEP_1)
	v_add_co_u32 v11, s28, s27, v11
	v_add_co_ci_u32_e64 v12, null, s1, 0, s28
	flat_load_b64 v[11:12], v[11:12]
	s_or_b32 exec_lo, exec_lo, s0
	s_delay_alu instid0(SALU_CYCLE_1)
	s_mov_b32 s0, exec_lo
	v_cmpx_gt_u32_e64 s25, v33
	s_cbranch_execnz .LBB354_14
.LBB354_21:
	s_or_b32 exec_lo, exec_lo, s0
	s_delay_alu instid0(SALU_CYCLE_1)
	s_mov_b32 s0, exec_lo
	v_cmpx_gt_u32_e64 s25, v36
	s_cbranch_execz .LBB354_23
.LBB354_22:
	v_lshlrev_b32_e32 v15, 3, v36
	s_delay_alu instid0(VALU_DEP_1) | instskip(NEXT) | instid1(VALU_DEP_1)
	v_add_co_u32 v15, s28, s27, v15
	v_add_co_ci_u32_e64 v16, null, s1, 0, s28
	flat_load_b64 v[15:16], v[15:16]
.LBB354_23:
	s_or_b32 exec_lo, exec_lo, s0
	v_lshrrev_b32_e32 v17, 2, v39
	v_lshrrev_b32_e32 v18, 2, v38
	;; [unrolled: 1-line block ×4, first 2 shown]
	v_and_b32_e32 v19, 0x78, v34
	v_lshrrev_b32_e32 v22, 2, v35
	v_lshrrev_b32_e32 v23, 2, v33
	;; [unrolled: 1-line block ×3, first 2 shown]
	v_and_b32_e32 v17, 0xf8, v17
	v_and_b32_e32 v18, 0x1f8, v18
	v_and_b32_e32 v20, 0x1f8, v20
	v_and_b32_e32 v21, 0x3f8, v21
	v_add_nc_u32_e32 v19, v19, v55
	v_and_b32_e32 v22, 0x3f8, v22
	v_and_b32_e32 v23, 0x3f8, v23
	;; [unrolled: 1-line block ×3, first 2 shown]
	v_add_nc_u32_e32 v17, v17, v55
	v_add_nc_u32_e32 v18, v18, v55
	;; [unrolled: 1-line block ×7, first 2 shown]
	s_waitcnt vmcnt(0) lgkmcnt(0)
	ds_store_b64 v19, v[1:2]
	ds_store_b64 v17, v[3:4] offset:4096
	ds_store_b64 v18, v[5:6] offset:8192
	;; [unrolled: 1-line block ×7, first 2 shown]
	s_waitcnt lgkmcnt(0)
	s_barrier
.LBB354_24:
	v_add_lshl_u32 v41, v34, v55, 3
	buffer_gl0_inv
	s_add_u32 s0, s8, s14
	s_addc_u32 s8, s9, s15
	s_add_u32 s0, s0, s4
	ds_load_2addr_b64 v[29:32], v41 offset1:1
	ds_load_2addr_b64 v[25:28], v41 offset0:2 offset1:3
	ds_load_2addr_b64 v[21:24], v41 offset0:4 offset1:5
	;; [unrolled: 1-line block ×3, first 2 shown]
	s_addc_u32 s4, s8, s5
	s_and_b32 vcc_lo, exec_lo, s23
	s_mov_b32 s5, -1
	s_waitcnt lgkmcnt(0)
	s_barrier
	buffer_gl0_inv
	s_cbranch_vccz .LBB354_26
; %bb.25:
	v_add_co_u32 v1, s5, s0, v55
	s_delay_alu instid0(VALU_DEP_1) | instskip(SKIP_1) | instid1(VALU_DEP_3)
	v_add_co_ci_u32_e64 v2, null, s4, 0, s5
	v_lshrrev_b32_e32 v43, 2, v39
	v_add_co_u32 v3, vcc_lo, 0x1000, v1
	s_delay_alu instid0(VALU_DEP_3)
	v_add_co_ci_u32_e32 v4, vcc_lo, 0, v2, vcc_lo
	v_add_co_u32 v5, vcc_lo, 0x2000, v1
	v_add_co_ci_u32_e32 v6, vcc_lo, 0, v2, vcc_lo
	v_add_co_u32 v7, vcc_lo, 0x3000, v1
	;; [unrolled: 2-line block ×6, first 2 shown]
	v_add_co_ci_u32_e32 v16, vcc_lo, 0, v2, vcc_lo
	s_clause 0x7
	flat_load_b64 v[1:2], v[1:2]
	flat_load_b64 v[3:4], v[3:4]
	;; [unrolled: 1-line block ×8, first 2 shown]
	v_lshrrev_b32_e32 v44, 2, v38
	v_lshrrev_b32_e32 v45, 2, v40
	;; [unrolled: 1-line block ×3, first 2 shown]
	v_and_b32_e32 v42, 0x78, v34
	v_lshrrev_b32_e32 v47, 2, v35
	v_lshrrev_b32_e32 v48, 2, v33
	;; [unrolled: 1-line block ×3, first 2 shown]
	v_and_b32_e32 v43, 0xf8, v43
	v_and_b32_e32 v44, 0x178, v44
	;; [unrolled: 1-line block ×4, first 2 shown]
	v_add_nc_u32_e32 v42, v42, v55
	v_and_b32_e32 v47, 0x2f8, v47
	v_and_b32_e32 v48, 0x378, v48
	;; [unrolled: 1-line block ×3, first 2 shown]
	v_add_nc_u32_e32 v43, v43, v55
	v_add_nc_u32_e32 v44, v44, v55
	;; [unrolled: 1-line block ×4, first 2 shown]
	s_mov_b32 s5, 0
	v_add_nc_u32_e32 v47, v47, v55
	v_add_nc_u32_e32 v48, v48, v55
	;; [unrolled: 1-line block ×3, first 2 shown]
	s_waitcnt vmcnt(7) lgkmcnt(7)
	ds_store_b64 v42, v[1:2]
	s_waitcnt vmcnt(6) lgkmcnt(7)
	ds_store_b64 v43, v[3:4] offset:4096
	s_waitcnt vmcnt(5) lgkmcnt(7)
	ds_store_b64 v44, v[5:6] offset:8192
	;; [unrolled: 2-line block ×7, first 2 shown]
	s_waitcnt lgkmcnt(0)
	s_barrier
.LBB354_26:
	s_and_not1_b32 vcc_lo, exec_lo, s5
	s_cbranch_vccnz .LBB354_44
; %bb.27:
	s_mov_b32 s5, exec_lo
                                        ; implicit-def: $vgpr1_vgpr2
	v_cmpx_gt_u32_e64 s25, v0
	s_cbranch_execz .LBB354_29
; %bb.28:
	v_add_co_u32 v1, s8, s0, v55
	s_delay_alu instid0(VALU_DEP_1)
	v_add_co_ci_u32_e64 v2, null, s4, 0, s8
	flat_load_b64 v[1:2], v[1:2]
.LBB354_29:
	s_or_b32 exec_lo, exec_lo, s5
	s_delay_alu instid0(SALU_CYCLE_1)
	s_mov_b32 s5, exec_lo
                                        ; implicit-def: $vgpr3_vgpr4
	v_cmpx_gt_u32_e64 s25, v39
	s_cbranch_execz .LBB354_31
; %bb.30:
	v_lshlrev_b32_e32 v3, 3, v39
	s_delay_alu instid0(VALU_DEP_1) | instskip(NEXT) | instid1(VALU_DEP_1)
	v_add_co_u32 v3, s8, s0, v3
	v_add_co_ci_u32_e64 v4, null, s4, 0, s8
	flat_load_b64 v[3:4], v[3:4]
.LBB354_31:
	s_or_b32 exec_lo, exec_lo, s5
	s_delay_alu instid0(SALU_CYCLE_1)
	s_mov_b32 s5, exec_lo
                                        ; implicit-def: $vgpr5_vgpr6
	v_cmpx_gt_u32_e64 s25, v38
	s_cbranch_execz .LBB354_33
; %bb.32:
	v_lshlrev_b32_e32 v5, 3, v38
	s_delay_alu instid0(VALU_DEP_1) | instskip(NEXT) | instid1(VALU_DEP_1)
	v_add_co_u32 v5, s8, s0, v5
	v_add_co_ci_u32_e64 v6, null, s4, 0, s8
	flat_load_b64 v[5:6], v[5:6]
.LBB354_33:
	s_or_b32 exec_lo, exec_lo, s5
	s_delay_alu instid0(SALU_CYCLE_1)
	s_mov_b32 s5, exec_lo
                                        ; implicit-def: $vgpr7_vgpr8
	v_cmpx_gt_u32_e64 s25, v40
	s_cbranch_execz .LBB354_35
; %bb.34:
	v_lshlrev_b32_e32 v7, 3, v40
	s_delay_alu instid0(VALU_DEP_1) | instskip(NEXT) | instid1(VALU_DEP_1)
	v_add_co_u32 v7, s8, s0, v7
	v_add_co_ci_u32_e64 v8, null, s4, 0, s8
	flat_load_b64 v[7:8], v[7:8]
.LBB354_35:
	s_or_b32 exec_lo, exec_lo, s5
	s_delay_alu instid0(SALU_CYCLE_1)
	s_mov_b32 s5, exec_lo
                                        ; implicit-def: $vgpr9_vgpr10
	v_cmpx_gt_u32_e64 s25, v37
	s_cbranch_execz .LBB354_37
; %bb.36:
	v_lshlrev_b32_e32 v9, 3, v37
	s_delay_alu instid0(VALU_DEP_1) | instskip(NEXT) | instid1(VALU_DEP_1)
	v_add_co_u32 v9, s8, s0, v9
	v_add_co_ci_u32_e64 v10, null, s4, 0, s8
	flat_load_b64 v[9:10], v[9:10]
.LBB354_37:
	s_or_b32 exec_lo, exec_lo, s5
	s_delay_alu instid0(SALU_CYCLE_1)
	s_mov_b32 s5, exec_lo
                                        ; implicit-def: $vgpr11_vgpr12
	v_cmpx_gt_u32_e64 s25, v35
	s_cbranch_execz .LBB354_39
; %bb.38:
	v_lshlrev_b32_e32 v11, 3, v35
	s_delay_alu instid0(VALU_DEP_1) | instskip(NEXT) | instid1(VALU_DEP_1)
	v_add_co_u32 v11, s8, s0, v11
	v_add_co_ci_u32_e64 v12, null, s4, 0, s8
	flat_load_b64 v[11:12], v[11:12]
.LBB354_39:
	s_or_b32 exec_lo, exec_lo, s5
	s_delay_alu instid0(SALU_CYCLE_1)
	s_mov_b32 s5, exec_lo
                                        ; implicit-def: $vgpr13_vgpr14
	v_cmpx_gt_u32_e64 s25, v33
	s_cbranch_execz .LBB354_41
; %bb.40:
	v_lshlrev_b32_e32 v13, 3, v33
	s_delay_alu instid0(VALU_DEP_1) | instskip(NEXT) | instid1(VALU_DEP_1)
	v_add_co_u32 v13, s8, s0, v13
	v_add_co_ci_u32_e64 v14, null, s4, 0, s8
	flat_load_b64 v[13:14], v[13:14]
.LBB354_41:
	s_or_b32 exec_lo, exec_lo, s5
	s_delay_alu instid0(SALU_CYCLE_1)
	s_mov_b32 s5, exec_lo
                                        ; implicit-def: $vgpr15_vgpr16
	v_cmpx_gt_u32_e64 s25, v36
	s_cbranch_execz .LBB354_43
; %bb.42:
	v_lshlrev_b32_e32 v15, 3, v36
	s_delay_alu instid0(VALU_DEP_1) | instskip(NEXT) | instid1(VALU_DEP_1)
	v_add_co_u32 v15, s0, s0, v15
	v_add_co_ci_u32_e64 v16, null, s4, 0, s0
	flat_load_b64 v[15:16], v[15:16]
.LBB354_43:
	s_or_b32 exec_lo, exec_lo, s5
	v_lshrrev_b32_e32 v39, 2, v39
	v_lshrrev_b32_e32 v38, 2, v38
	;; [unrolled: 1-line block ×4, first 2 shown]
	v_and_b32_e32 v34, 0x78, v34
	v_lshrrev_b32_e32 v35, 2, v35
	v_lshrrev_b32_e32 v33, 2, v33
	;; [unrolled: 1-line block ×3, first 2 shown]
	v_and_b32_e32 v39, 0xf8, v39
	v_and_b32_e32 v38, 0x1f8, v38
	;; [unrolled: 1-line block ×4, first 2 shown]
	v_add_nc_u32_e32 v34, v34, v55
	v_and_b32_e32 v35, 0x3f8, v35
	v_and_b32_e32 v33, 0x3f8, v33
	;; [unrolled: 1-line block ×3, first 2 shown]
	v_add_nc_u32_e32 v39, v39, v55
	v_add_nc_u32_e32 v38, v38, v55
	;; [unrolled: 1-line block ×7, first 2 shown]
	s_waitcnt vmcnt(0) lgkmcnt(0)
	ds_store_b64 v34, v[1:2]
	ds_store_b64 v39, v[3:4] offset:4096
	ds_store_b64 v38, v[5:6] offset:8192
	;; [unrolled: 1-line block ×7, first 2 shown]
	s_waitcnt lgkmcnt(0)
	s_barrier
.LBB354_44:
	buffer_gl0_inv
	ds_load_2addr_b64 v[13:16], v41 offset1:1
	ds_load_2addr_b64 v[9:12], v41 offset0:2 offset1:3
	ds_load_2addr_b64 v[5:8], v41 offset0:4 offset1:5
	;; [unrolled: 1-line block ×3, first 2 shown]
	s_cmp_lg_u32 s24, 0
	s_mov_b32 s14, 0
	s_cselect_b32 s9, -1, 0
	s_cmp_lg_u64 s[6:7], 0
	s_waitcnt lgkmcnt(0)
	s_cselect_b32 s0, -1, 0
	s_barrier
	s_or_b32 s0, s0, s9
	buffer_gl0_inv
	s_and_b32 vcc_lo, exec_lo, s0
	s_cbranch_vccz .LBB354_49
; %bb.45:
	v_add_co_u32 v33, s0, -8, s27
	s_delay_alu instid0(VALU_DEP_1)
	v_add_co_ci_u32_e64 v34, null, -1, s1, s0
	s_mov_b32 s1, -1
	s_and_b32 vcc_lo, exec_lo, s23
	flat_load_b64 v[35:36], v[33:34]
	ds_store_b64 v55, v[19:20]
	s_cbranch_vccz .LBB354_50
; %bb.46:
	s_waitcnt vmcnt(0) lgkmcnt(1)
	v_dual_mov_b32 v33, v35 :: v_dual_mov_b32 v34, v36
	s_waitcnt lgkmcnt(0)
	s_barrier
	buffer_gl0_inv
	s_and_saveexec_b32 s0, s3
	s_cbranch_execz .LBB354_48
; %bb.47:
	v_add_nc_u32_e32 v33, -8, v55
	ds_load_b64 v[33:34], v33
.LBB354_48:
	s_or_b32 exec_lo, exec_lo, s0
	v_cmp_ne_u64_e32 vcc_lo, v[17:18], v[19:20]
	s_waitcnt lgkmcnt(0)
	v_cmp_ne_u64_e64 s0, v[33:34], v[29:30]
	v_cndmask_b32_e64 v37, 0, 1, vcc_lo
	v_cmp_ne_u64_e32 vcc_lo, v[23:24], v[17:18]
	s_delay_alu instid0(VALU_DEP_2) | instskip(SKIP_2) | instid1(VALU_DEP_2)
	v_lshlrev_b16 v37, 8, v37
	v_cndmask_b32_e64 v38, 0, 1, vcc_lo
	v_cmp_ne_u64_e32 vcc_lo, v[21:22], v[23:24]
	v_or_b32_e32 v37, v38, v37
	v_cndmask_b32_e64 v39, 0, 1, vcc_lo
	v_cmp_ne_u64_e32 vcc_lo, v[25:26], v[27:28]
	s_delay_alu instid0(VALU_DEP_3) | instskip(NEXT) | instid1(VALU_DEP_3)
	v_lshlrev_b32_e32 v37, 16, v37
	v_lshlrev_b16 v39, 8, v39
	v_cndmask_b32_e64 v40, 0, 1, vcc_lo
	v_cmp_ne_u64_e32 vcc_lo, v[27:28], v[21:22]
	s_delay_alu instid0(VALU_DEP_2) | instskip(SKIP_2) | instid1(VALU_DEP_2)
	v_lshlrev_b16 v40, 8, v40
	v_cndmask_b32_e64 v41, 0, 1, vcc_lo
	v_cmp_ne_u64_e32 vcc_lo, v[31:32], v[25:26]
	v_or_b32_e32 v39, v41, v39
	v_cndmask_b32_e64 v42, 0, 1, vcc_lo
	v_cmp_ne_u64_e32 vcc_lo, v[29:30], v[31:32]
	s_delay_alu instid0(VALU_DEP_3) | instskip(NEXT) | instid1(VALU_DEP_3)
	v_and_b32_e32 v39, 0xffff, v39
	v_or_b32_e32 v40, v42, v40
	v_cndmask_b32_e64 v43, 0, 1, vcc_lo
	s_delay_alu instid0(VALU_DEP_3) | instskip(NEXT) | instid1(VALU_DEP_3)
	v_or_b32_e32 v34, v39, v37
	v_lshlrev_b32_e32 v38, 16, v40
	s_delay_alu instid0(VALU_DEP_3) | instskip(NEXT) | instid1(VALU_DEP_1)
	v_lshlrev_b16 v42, 8, v43
	v_and_b32_e32 v40, 0xffff, v42
	s_delay_alu instid0(VALU_DEP_1)
	v_or_b32_e32 v33, v40, v38
	s_branch .LBB354_54
.LBB354_49:
                                        ; implicit-def: $sgpr0
                                        ; implicit-def: $vgpr34
	s_branch .LBB354_55
.LBB354_50:
                                        ; implicit-def: $sgpr0
                                        ; implicit-def: $vgpr34
	s_and_b32 vcc_lo, exec_lo, s1
	s_cbranch_vccz .LBB354_54
; %bb.51:
	s_waitcnt vmcnt(0) lgkmcnt(0)
	s_barrier
	buffer_gl0_inv
	s_and_saveexec_b32 s0, s3
	s_cbranch_execz .LBB354_53
; %bb.52:
	v_add_nc_u32_e32 v33, -8, v55
	ds_load_b64 v[35:36], v33
.LBB354_53:
	s_or_b32 exec_lo, exec_lo, s0
	v_or_b32_e32 v33, 7, v55
	v_or_b32_e32 v34, 6, v55
	v_cmp_ne_u64_e32 vcc_lo, v[17:18], v[19:20]
	v_or_b32_e32 v37, 5, v55
	v_cmp_ne_u64_e64 s1, v[23:24], v[17:18]
	v_cmp_gt_u32_e64 s0, s25, v33
	v_cmp_gt_u32_e64 s4, s25, v34
	v_cmp_ne_u64_e64 s5, v[21:22], v[23:24]
	v_cmp_gt_u32_e64 s6, s25, v37
	v_or_b32_e32 v37, 3, v55
	s_and_b32 s0, s0, vcc_lo
	v_or_b32_e32 v38, 4, v55
	v_cndmask_b32_e64 v33, 0, 1, s0
	s_and_b32 s0, s4, s1
	v_cmp_ne_u64_e32 vcc_lo, v[25:26], v[27:28]
	v_cndmask_b32_e64 v34, 0, 1, s0
	s_and_b32 s0, s6, s5
	v_cmp_gt_u32_e64 s1, s25, v38
	v_cndmask_b32_e64 v39, 0, 1, s0
	v_cmp_gt_u32_e64 s0, s25, v37
	v_or_b32_e32 v37, 2, v55
	v_or_b32_e32 v38, 1, v55
	v_cmp_ne_u64_e64 s4, v[27:28], v[21:22]
	v_cmp_ne_u64_e64 s6, v[29:30], v[31:32]
	s_and_b32 s0, s0, vcc_lo
	v_cmp_ne_u64_e32 vcc_lo, v[31:32], v[25:26]
	v_cndmask_b32_e64 v40, 0, 1, s0
	v_cmp_gt_u32_e64 s0, s25, v37
	v_cmp_gt_u32_e64 s5, s25, v38
	s_and_b32 s1, s1, s4
	v_lshlrev_b16 v39, 8, v39
	v_cndmask_b32_e64 v37, 0, 1, s1
	s_and_b32 s0, s0, vcc_lo
	v_lshlrev_b16 v40, 8, v40
	v_cndmask_b32_e64 v38, 0, 1, s0
	s_and_b32 s0, s5, s6
	v_lshlrev_b16 v33, 8, v33
	v_cndmask_b32_e64 v41, 0, 1, s0
	v_or_b32_e32 v37, v37, v39
	v_or_b32_e32 v38, v38, v40
	s_waitcnt lgkmcnt(0)
	v_cmp_ne_u64_e32 vcc_lo, v[35:36], v[29:30]
	v_or_b32_e32 v33, v34, v33
	v_lshlrev_b16 v40, 8, v41
	v_and_b32_e32 v37, 0xffff, v37
	v_lshlrev_b32_e32 v34, 16, v38
	v_cmp_gt_u32_e64 s0, s25, v55
	v_lshlrev_b32_e32 v39, 16, v33
	v_and_b32_e32 v38, 0xffff, v40
	s_delay_alu instid0(VALU_DEP_3) | instskip(NEXT) | instid1(VALU_DEP_1)
	s_and_b32 s0, s0, vcc_lo
	v_or_b32_e32 v33, v38, v34
	s_delay_alu instid0(VALU_DEP_3)
	v_or_b32_e32 v34, v37, v39
.LBB354_54:
	s_mov_b32 s14, -1
	s_cbranch_execnz .LBB354_63
.LBB354_55:
	v_cmp_ne_u64_e64 s1, v[17:18], v[19:20]
	v_cmp_ne_u64_e64 s4, v[23:24], v[17:18]
	;; [unrolled: 1-line block ×7, first 2 shown]
	s_and_b32 vcc_lo, exec_lo, s23
	ds_store_b64 v55, v[19:20]
	s_cbranch_vccz .LBB354_59
; %bb.56:
	v_cndmask_b32_e64 v33, 0, 1, s1
	s_waitcnt vmcnt(0) lgkmcnt(2)
	v_cndmask_b32_e64 v35, 0, 1, s5
	v_cndmask_b32_e64 v37, 0, 1, s7
	;; [unrolled: 1-line block ×6, first 2 shown]
	v_lshlrev_b16 v35, 8, v35
	v_lshlrev_b16 v33, 8, v33
	v_lshlrev_b16 v37, 8, v37
	v_lshlrev_b16 v38, 8, v38
	s_waitcnt lgkmcnt(0)
	v_or_b32_e32 v35, v36, v35
	v_or_b32_e32 v33, v34, v33
	;; [unrolled: 1-line block ×4, first 2 shown]
	s_barrier
	v_and_b32_e32 v35, 0xffff, v35
	v_lshlrev_b32_e32 v33, 16, v33
	v_lshlrev_b32_e32 v37, 16, v34
	v_and_b32_e32 v36, 0xffff, v36
	buffer_gl0_inv
                                        ; implicit-def: $sgpr0
	v_or_b32_e32 v34, v35, v33
	v_or_b32_e32 v33, v36, v37
	s_and_saveexec_b32 s1, s3
	s_delay_alu instid0(SALU_CYCLE_1)
	s_xor_b32 s1, exec_lo, s1
	s_cbranch_execz .LBB354_58
; %bb.57:
	v_add_nc_u32_e32 v35, -8, v55
	s_or_b32 s14, s14, exec_lo
	ds_load_b64 v[35:36], v35
	s_waitcnt lgkmcnt(0)
	v_cmp_ne_u64_e32 vcc_lo, v[35:36], v[29:30]
	s_and_b32 s0, vcc_lo, exec_lo
.LBB354_58:
	s_or_b32 exec_lo, exec_lo, s1
	s_branch .LBB354_63
.LBB354_59:
                                        ; implicit-def: $sgpr0
                                        ; implicit-def: $vgpr34
	s_cbranch_execz .LBB354_63
; %bb.60:
	v_or_b32_e32 v33, 7, v55
	v_or_b32_e32 v34, 6, v55
	v_cmp_ne_u64_e32 vcc_lo, v[17:18], v[19:20]
	v_cmp_ne_u64_e64 s0, v[23:24], v[17:18]
	s_waitcnt vmcnt(0) lgkmcnt(2)
	v_or_b32_e32 v35, 4, v55
	v_cmp_gt_u32_e64 s1, s25, v33
	v_or_b32_e32 v33, 5, v55
	v_cmp_gt_u32_e64 s5, s25, v34
	v_cmp_ne_u64_e64 s4, v[21:22], v[23:24]
	v_cmp_ne_u64_e64 s6, v[27:28], v[21:22]
	s_and_b32 s1, s1, vcc_lo
	v_cmp_gt_u32_e32 vcc_lo, s25, v33
	v_cndmask_b32_e64 v34, 0, 1, s1
	v_cmp_gt_u32_e64 s1, s25, v35
	s_and_b32 s0, s5, s0
	v_or_b32_e32 v36, 3, v55
	v_cndmask_b32_e64 v33, 0, 1, s0
	s_and_b32 s0, vcc_lo, s4
	v_or_b32_e32 v38, 1, v55
	v_cndmask_b32_e64 v35, 0, 1, s0
	s_and_b32 s0, s1, s6
	v_cmp_ne_u64_e32 vcc_lo, v[25:26], v[27:28]
	v_cndmask_b32_e64 v37, 0, 1, s0
	v_cmp_gt_u32_e64 s0, s25, v36
	v_cmp_ne_u64_e64 s1, v[29:30], v[31:32]
	v_or_b32_e32 v39, 2, v55
	v_cmp_gt_u32_e64 s4, s25, v38
	v_cmp_ne_u64_e64 s5, v[31:32], v[25:26]
	s_and_b32 s0, s0, vcc_lo
	v_lshlrev_b16 v35, 8, v35
	v_cmp_gt_u32_e64 s6, s25, v39
	v_cndmask_b32_e64 v36, 0, 1, s0
	s_and_b32 s0, s4, s1
	v_lshlrev_b16 v34, 8, v34
	v_cndmask_b32_e64 v38, 0, 1, s0
	s_and_b32 s0, s6, s5
	v_lshlrev_b16 v36, 8, v36
	v_cndmask_b32_e64 v39, 0, 1, s0
	v_or_b32_e32 v35, v37, v35
	v_lshlrev_b16 v38, 8, v38
	v_or_b32_e32 v33, v33, v34
	s_waitcnt lgkmcnt(0)
	v_or_b32_e32 v34, v39, v36
	v_and_b32_e32 v35, 0xffff, v35
	v_or_b32_e32 v36, 1, v38
	v_lshlrev_b32_e32 v33, 16, v33
	s_barrier
	v_lshlrev_b32_e32 v37, 16, v34
	buffer_gl0_inv
	v_and_b32_e32 v36, 0xffff, v36
	v_or_b32_e32 v34, v35, v33
                                        ; implicit-def: $sgpr0
	s_delay_alu instid0(VALU_DEP_2)
	v_or_b32_e32 v33, v36, v37
	s_and_saveexec_b32 s1, s3
	s_cbranch_execz .LBB354_62
; %bb.61:
	v_add_nc_u32_e32 v35, -8, v55
	v_cmp_gt_u32_e64 s0, s25, v55
	s_or_b32 s14, s14, exec_lo
	ds_load_b64 v[35:36], v35
	s_waitcnt lgkmcnt(0)
	v_cmp_ne_u64_e32 vcc_lo, v[35:36], v[29:30]
	s_and_b32 s0, s0, vcc_lo
	s_delay_alu instid0(SALU_CYCLE_1)
	s_and_b32 s0, s0, exec_lo
.LBB354_62:
	s_or_b32 exec_lo, exec_lo, s1
.LBB354_63:
	s_and_saveexec_b32 s1, s14
	s_cbranch_execz .LBB354_65
; %bb.64:
	s_waitcnt vmcnt(0) lgkmcnt(1)
	v_and_b32_e32 v35, 0xffffff00, v33
	v_cndmask_b32_e64 v36, 0, 1, s0
	s_delay_alu instid0(VALU_DEP_1) | instskip(NEXT) | instid1(VALU_DEP_1)
	v_or_b32_e32 v35, v36, v35
	v_and_b32_e32 v35, 0xffff, v35
	s_delay_alu instid0(VALU_DEP_1)
	v_and_or_b32 v33, 0xffff0000, v33, v35
.LBB354_65:
	s_or_b32 exec_lo, exec_lo, s1
	s_delay_alu instid0(SALU_CYCLE_1)
	s_and_not1_b32 vcc_lo, exec_lo, s26
	s_cbranch_vccnz .LBB354_67
; %bb.66:
	v_cmp_gt_u32_e32 vcc_lo, s25, v55
	s_waitcnt vmcnt(0) lgkmcnt(1)
	v_or_b32_e32 v36, 1, v55
	v_and_b32_e32 v37, 0xffffff00, v34
	v_or_b32_e32 v38, 2, v55
	v_cndmask_b32_e32 v35, 0, v33, vcc_lo
	s_delay_alu instid0(VALU_DEP_4) | instskip(SKIP_1) | instid1(VALU_DEP_4)
	v_cmp_gt_u32_e32 vcc_lo, s25, v36
	v_or_b32_e32 v36, 4, v55
	v_cmp_gt_u32_e64 s0, s25, v38
	v_or_b32_e32 v38, 3, v55
	v_and_b32_e32 v35, 0xff, v35
	s_delay_alu instid0(VALU_DEP_2) | instskip(NEXT) | instid1(VALU_DEP_2)
	v_cmp_gt_u32_e64 s1, s25, v38
	v_cndmask_b32_e32 v35, v35, v33, vcc_lo
	v_cmp_gt_u32_e32 vcc_lo, s25, v36
	v_cndmask_b32_e32 v36, v37, v34, vcc_lo
	v_or_b32_e32 v37, 5, v55
	s_delay_alu instid0(VALU_DEP_2) | instskip(SKIP_1) | instid1(VALU_DEP_1)
	v_and_b32_e32 v36, 0xffff00ff, v36
	v_and_b32_e32 v35, 0xffff, v35
	v_cndmask_b32_e64 v35, v35, v33, s0
	s_delay_alu instid0(VALU_DEP_4) | instskip(SKIP_1) | instid1(VALU_DEP_3)
	v_cmp_gt_u32_e64 s0, s25, v37
	v_or_b32_e32 v37, 6, v55
	v_and_b32_e32 v35, 0xffffff, v35
	s_delay_alu instid0(VALU_DEP_3) | instskip(NEXT) | instid1(VALU_DEP_2)
	v_cndmask_b32_e64 v36, v36, v34, s0
	v_cndmask_b32_e64 v35, v35, v33, s1
	s_delay_alu instid0(VALU_DEP_1) | instskip(SKIP_2) | instid1(VALU_DEP_3)
	v_dual_cndmask_b32 v35, v35, v33 :: v_dual_and_b32 v36, 0xff00ffff, v36
	v_cmp_gt_u32_e32 vcc_lo, s25, v37
	v_or_b32_e32 v37, 7, v55
	v_cndmask_b32_e64 v35, v35, v33, s0
	s_delay_alu instid0(VALU_DEP_1) | instskip(NEXT) | instid1(VALU_DEP_1)
	v_dual_cndmask_b32 v36, v36, v34 :: v_dual_cndmask_b32 v35, v35, v33
	v_and_b32_e32 v36, 0xffffff, v36
	s_delay_alu instid0(VALU_DEP_4) | instskip(NEXT) | instid1(VALU_DEP_2)
	v_cmp_gt_u32_e32 vcc_lo, s25, v37
	v_dual_cndmask_b32 v34, v36, v34 :: v_dual_cndmask_b32 v33, v35, v33
.LBB354_67:
	s_delay_alu instid0(VALU_DEP_1) | instskip(SKIP_1) | instid1(VALU_DEP_2)
	v_and_b32_e32 v44, 0xff, v33
	s_waitcnt vmcnt(0) lgkmcnt(1)
	v_alignbit_b32 v35, v34, v33, 24
	v_bfe_u32 v46, v33, 8, 8
	v_bfe_u32 v48, v33, 16, 8
	v_and_b32_e32 v52, 0xff, v34
	v_bfe_u32 v54, v34, 8, 8
	v_and_b32_e32 v50, 0xff, v35
	v_add_nc_u32_e32 v35, v46, v44
	v_mbcnt_lo_u32_b32 v58, -1, 0
	v_bfe_u32 v57, v34, 16, 8
	v_lshrrev_b32_e32 v56, 24, v34
	v_lshrrev_b32_e32 v59, 5, v0
	v_add3_u32 v35, v35, v48, v50
	v_and_b32_e32 v36, 15, v58
	v_and_b32_e32 v37, 16, v58
	s_and_b32 vcc_lo, exec_lo, s9
	s_mov_b32 s7, -1
	v_add3_u32 v35, v35, v52, v54
	v_cmp_eq_u32_e64 s3, 0, v36
	v_cmp_lt_u32_e64 s0, 1, v36
	v_cmp_lt_u32_e64 s4, 3, v36
	;; [unrolled: 1-line block ×3, first 2 shown]
	v_add3_u32 v60, v35, v57, v56
	v_or_b32_e32 v35, 31, v0
	v_cmp_eq_u32_e64 s6, 0, v37
	s_waitcnt lgkmcnt(0)
	s_barrier
	buffer_gl0_inv
	v_cmp_eq_u32_e64 s5, v35, v0
	s_cbranch_vccz .LBB354_98
; %bb.68:
	v_mov_b32_dpp v35, v60 row_shr:1 row_mask:0xf bank_mask:0xf
	s_delay_alu instid0(VALU_DEP_1) | instskip(NEXT) | instid1(VALU_DEP_1)
	v_cndmask_b32_e64 v35, v35, 0, s3
	v_add_nc_u32_e32 v35, v35, v60
	s_delay_alu instid0(VALU_DEP_1) | instskip(NEXT) | instid1(VALU_DEP_1)
	v_mov_b32_dpp v36, v35 row_shr:2 row_mask:0xf bank_mask:0xf
	v_cndmask_b32_e64 v36, 0, v36, s0
	s_delay_alu instid0(VALU_DEP_1) | instskip(NEXT) | instid1(VALU_DEP_1)
	v_add_nc_u32_e32 v35, v35, v36
	v_mov_b32_dpp v36, v35 row_shr:4 row_mask:0xf bank_mask:0xf
	s_delay_alu instid0(VALU_DEP_1) | instskip(NEXT) | instid1(VALU_DEP_1)
	v_cndmask_b32_e64 v36, 0, v36, s4
	v_add_nc_u32_e32 v35, v35, v36
	s_delay_alu instid0(VALU_DEP_1) | instskip(NEXT) | instid1(VALU_DEP_1)
	v_mov_b32_dpp v36, v35 row_shr:8 row_mask:0xf bank_mask:0xf
	v_cndmask_b32_e64 v36, 0, v36, s1
	s_delay_alu instid0(VALU_DEP_1) | instskip(SKIP_3) | instid1(VALU_DEP_1)
	v_add_nc_u32_e32 v35, v35, v36
	ds_swizzle_b32 v36, v35 offset:swizzle(BROADCAST,32,15)
	s_waitcnt lgkmcnt(0)
	v_cndmask_b32_e64 v36, v36, 0, s6
	v_add_nc_u32_e32 v35, v35, v36
	s_and_saveexec_b32 s7, s5
	s_cbranch_execz .LBB354_70
; %bb.69:
	v_lshlrev_b32_e32 v36, 2, v59
	ds_store_b32 v36, v35
.LBB354_70:
	s_or_b32 exec_lo, exec_lo, s7
	s_delay_alu instid0(SALU_CYCLE_1)
	s_mov_b32 s7, exec_lo
	s_waitcnt lgkmcnt(0)
	s_barrier
	buffer_gl0_inv
	v_cmpx_gt_u32_e32 16, v0
	s_cbranch_execz .LBB354_72
; %bb.71:
	v_lshlrev_b32_e32 v36, 2, v0
	ds_load_b32 v37, v36
	s_waitcnt lgkmcnt(0)
	v_mov_b32_dpp v38, v37 row_shr:1 row_mask:0xf bank_mask:0xf
	s_delay_alu instid0(VALU_DEP_1) | instskip(NEXT) | instid1(VALU_DEP_1)
	v_cndmask_b32_e64 v38, v38, 0, s3
	v_add_nc_u32_e32 v37, v38, v37
	s_delay_alu instid0(VALU_DEP_1) | instskip(NEXT) | instid1(VALU_DEP_1)
	v_mov_b32_dpp v38, v37 row_shr:2 row_mask:0xf bank_mask:0xf
	v_cndmask_b32_e64 v38, 0, v38, s0
	s_delay_alu instid0(VALU_DEP_1) | instskip(NEXT) | instid1(VALU_DEP_1)
	v_add_nc_u32_e32 v37, v37, v38
	v_mov_b32_dpp v38, v37 row_shr:4 row_mask:0xf bank_mask:0xf
	s_delay_alu instid0(VALU_DEP_1) | instskip(NEXT) | instid1(VALU_DEP_1)
	v_cndmask_b32_e64 v38, 0, v38, s4
	v_add_nc_u32_e32 v37, v37, v38
	s_delay_alu instid0(VALU_DEP_1) | instskip(NEXT) | instid1(VALU_DEP_1)
	v_mov_b32_dpp v38, v37 row_shr:8 row_mask:0xf bank_mask:0xf
	v_cndmask_b32_e64 v38, 0, v38, s1
	s_delay_alu instid0(VALU_DEP_1)
	v_add_nc_u32_e32 v37, v37, v38
	ds_store_b32 v36, v37
.LBB354_72:
	s_or_b32 exec_lo, exec_lo, s7
	v_cmp_gt_u32_e32 vcc_lo, 32, v0
	s_mov_b32 s8, exec_lo
	s_waitcnt lgkmcnt(0)
	s_barrier
	buffer_gl0_inv
                                        ; implicit-def: $vgpr43
	v_cmpx_lt_u32_e32 31, v0
	s_cbranch_execz .LBB354_74
; %bb.73:
	v_lshl_add_u32 v36, v59, 2, -4
	ds_load_b32 v43, v36
	s_waitcnt lgkmcnt(0)
	v_add_nc_u32_e32 v35, v43, v35
.LBB354_74:
	s_or_b32 exec_lo, exec_lo, s8
	v_add_nc_u32_e32 v36, -1, v58
	s_delay_alu instid0(VALU_DEP_1) | instskip(NEXT) | instid1(VALU_DEP_1)
	v_cmp_gt_i32_e64 s7, 0, v36
	v_cndmask_b32_e64 v36, v36, v58, s7
	v_cmp_eq_u32_e64 s7, 0, v58
	s_delay_alu instid0(VALU_DEP_2)
	v_lshlrev_b32_e32 v36, 2, v36
	ds_bpermute_b32 v45, v36, v35
	s_and_saveexec_b32 s8, vcc_lo
	s_cbranch_execz .LBB354_97
; %bb.75:
	v_mov_b32_e32 v39, 0
	ds_load_b32 v35, v39 offset:60
	s_and_saveexec_b32 s9, s7
	s_cbranch_execz .LBB354_77
; %bb.76:
	s_add_i32 s14, s24, 32
	s_mov_b32 s15, 0
	v_mov_b32_e32 v36, 1
	s_lshl_b64 s[14:15], s[14:15], 3
	s_delay_alu instid0(SALU_CYCLE_1)
	s_add_u32 s14, s20, s14
	s_addc_u32 s15, s21, s15
	s_waitcnt lgkmcnt(0)
	global_store_b64 v39, v[35:36], s[14:15]
.LBB354_77:
	s_or_b32 exec_lo, exec_lo, s9
	v_xad_u32 v37, v58, -1, s24
	s_mov_b32 s14, 0
	s_mov_b32 s9, exec_lo
	s_delay_alu instid0(VALU_DEP_1) | instskip(NEXT) | instid1(VALU_DEP_1)
	v_add_nc_u32_e32 v38, 32, v37
	v_lshlrev_b64 v[38:39], 3, v[38:39]
	s_delay_alu instid0(VALU_DEP_1) | instskip(NEXT) | instid1(VALU_DEP_2)
	v_add_co_u32 v41, vcc_lo, s20, v38
	v_add_co_ci_u32_e32 v42, vcc_lo, s21, v39, vcc_lo
	global_load_b64 v[39:40], v[41:42], off glc
	s_waitcnt vmcnt(0)
	v_and_b32_e32 v36, 0xff, v40
	s_delay_alu instid0(VALU_DEP_1)
	v_cmpx_eq_u16_e32 0, v36
	s_cbranch_execz .LBB354_83
; %bb.78:
	s_mov_b32 s15, 1
	.p2align	6
.LBB354_79:                             ; =>This Loop Header: Depth=1
                                        ;     Child Loop BB354_80 Depth 2
	s_delay_alu instid0(SALU_CYCLE_1)
	s_max_u32 s25, s15, 1
.LBB354_80:                             ;   Parent Loop BB354_79 Depth=1
                                        ; =>  This Inner Loop Header: Depth=2
	s_delay_alu instid0(SALU_CYCLE_1)
	s_add_i32 s25, s25, -1
	s_sleep 1
	s_cmp_eq_u32 s25, 0
	s_cbranch_scc0 .LBB354_80
; %bb.81:                               ;   in Loop: Header=BB354_79 Depth=1
	global_load_b64 v[39:40], v[41:42], off glc
	s_cmp_lt_u32 s15, 32
	s_cselect_b32 s25, -1, 0
	s_delay_alu instid0(SALU_CYCLE_1) | instskip(SKIP_3) | instid1(VALU_DEP_1)
	s_cmp_lg_u32 s25, 0
	s_addc_u32 s15, s15, 0
	s_waitcnt vmcnt(0)
	v_and_b32_e32 v36, 0xff, v40
	v_cmp_ne_u16_e32 vcc_lo, 0, v36
	s_or_b32 s14, vcc_lo, s14
	s_delay_alu instid0(SALU_CYCLE_1)
	s_and_not1_b32 exec_lo, exec_lo, s14
	s_cbranch_execnz .LBB354_79
; %bb.82:
	s_or_b32 exec_lo, exec_lo, s14
.LBB354_83:
	s_delay_alu instid0(SALU_CYCLE_1)
	s_or_b32 exec_lo, exec_lo, s9
	v_cmp_ne_u32_e32 vcc_lo, 31, v58
	v_lshlrev_b32_e64 v49, v58, -1
	v_add_nc_u32_e32 v53, 2, v58
	v_add_nc_u32_e32 v66, 16, v58
	v_add_co_ci_u32_e32 v36, vcc_lo, 0, v58, vcc_lo
	s_delay_alu instid0(VALU_DEP_1)
	v_lshlrev_b32_e32 v47, 2, v36
	v_and_b32_e32 v36, 0xff, v40
	ds_bpermute_b32 v38, v47, v39
	v_cmp_eq_u16_e32 vcc_lo, 2, v36
	v_and_or_b32 v36, vcc_lo, v49, 0x80000000
	v_cmp_gt_u32_e32 vcc_lo, 30, v58
	s_delay_alu instid0(VALU_DEP_2) | instskip(SKIP_1) | instid1(VALU_DEP_2)
	v_ctz_i32_b32_e32 v36, v36
	v_cndmask_b32_e64 v41, 0, 1, vcc_lo
	v_cmp_lt_u32_e32 vcc_lo, v58, v36
	s_waitcnt lgkmcnt(0)
	s_delay_alu instid0(VALU_DEP_2) | instskip(NEXT) | instid1(VALU_DEP_1)
	v_dual_cndmask_b32 v38, 0, v38 :: v_dual_lshlrev_b32 v41, 1, v41
	v_add_lshl_u32 v51, v41, v58, 2
	v_cmp_gt_u32_e32 vcc_lo, 28, v58
	s_delay_alu instid0(VALU_DEP_3) | instskip(SKIP_4) | instid1(VALU_DEP_1)
	v_add_nc_u32_e32 v38, v38, v39
	v_cndmask_b32_e64 v41, 0, 1, vcc_lo
	v_cmp_le_u32_e32 vcc_lo, v53, v36
	ds_bpermute_b32 v39, v51, v38
	v_lshlrev_b32_e32 v41, 2, v41
	v_add_lshl_u32 v61, v41, v58, 2
	s_waitcnt lgkmcnt(0)
	v_cndmask_b32_e32 v39, 0, v39, vcc_lo
	v_cmp_gt_u32_e32 vcc_lo, 24, v58
	s_delay_alu instid0(VALU_DEP_2) | instskip(SKIP_4) | instid1(VALU_DEP_2)
	v_add_nc_u32_e32 v38, v38, v39
	v_cndmask_b32_e64 v41, 0, 1, vcc_lo
	ds_bpermute_b32 v39, v61, v38
	v_add_nc_u32_e32 v62, 4, v58
	v_lshlrev_b32_e32 v41, 3, v41
	v_cmp_le_u32_e32 vcc_lo, v62, v36
	s_delay_alu instid0(VALU_DEP_2) | instskip(SKIP_3) | instid1(VALU_DEP_2)
	v_add_lshl_u32 v63, v41, v58, 2
	s_waitcnt lgkmcnt(0)
	v_cndmask_b32_e32 v39, 0, v39, vcc_lo
	v_cmp_gt_u32_e32 vcc_lo, 16, v58
	v_add_nc_u32_e32 v38, v38, v39
	v_cndmask_b32_e64 v41, 0, 1, vcc_lo
	ds_bpermute_b32 v39, v63, v38
	v_add_nc_u32_e32 v64, 8, v58
	v_lshlrev_b32_e32 v41, 4, v41
	s_delay_alu instid0(VALU_DEP_2) | instskip(NEXT) | instid1(VALU_DEP_2)
	v_cmp_le_u32_e32 vcc_lo, v64, v36
	v_add_lshl_u32 v65, v41, v58, 2
	s_waitcnt lgkmcnt(0)
	v_cndmask_b32_e32 v39, 0, v39, vcc_lo
	v_cmp_le_u32_e32 vcc_lo, v66, v36
	s_delay_alu instid0(VALU_DEP_2) | instskip(SKIP_3) | instid1(VALU_DEP_1)
	v_add_nc_u32_e32 v38, v38, v39
	ds_bpermute_b32 v39, v65, v38
	s_waitcnt lgkmcnt(0)
	v_cndmask_b32_e32 v36, 0, v39, vcc_lo
	v_dual_mov_b32 v38, 0 :: v_dual_add_nc_u32 v39, v38, v36
	s_branch .LBB354_85
.LBB354_84:                             ;   in Loop: Header=BB354_85 Depth=1
	s_or_b32 exec_lo, exec_lo, s9
	ds_bpermute_b32 v42, v47, v39
	v_and_b32_e32 v41, 0xff, v40
	v_subrev_nc_u32_e32 v37, 32, v37
	s_delay_alu instid0(VALU_DEP_2) | instskip(SKIP_1) | instid1(VALU_DEP_1)
	v_cmp_eq_u16_e32 vcc_lo, 2, v41
	v_and_or_b32 v41, vcc_lo, v49, 0x80000000
	v_ctz_i32_b32_e32 v41, v41
	s_delay_alu instid0(VALU_DEP_1) | instskip(SKIP_3) | instid1(VALU_DEP_2)
	v_cmp_lt_u32_e32 vcc_lo, v58, v41
	s_waitcnt lgkmcnt(0)
	v_cndmask_b32_e32 v42, 0, v42, vcc_lo
	v_cmp_le_u32_e32 vcc_lo, v53, v41
	v_add_nc_u32_e32 v39, v42, v39
	ds_bpermute_b32 v42, v51, v39
	s_waitcnt lgkmcnt(0)
	v_cndmask_b32_e32 v42, 0, v42, vcc_lo
	v_cmp_le_u32_e32 vcc_lo, v62, v41
	s_delay_alu instid0(VALU_DEP_2) | instskip(SKIP_4) | instid1(VALU_DEP_2)
	v_add_nc_u32_e32 v39, v39, v42
	ds_bpermute_b32 v42, v61, v39
	s_waitcnt lgkmcnt(0)
	v_cndmask_b32_e32 v42, 0, v42, vcc_lo
	v_cmp_le_u32_e32 vcc_lo, v64, v41
	v_add_nc_u32_e32 v39, v39, v42
	ds_bpermute_b32 v42, v63, v39
	s_waitcnt lgkmcnt(0)
	v_cndmask_b32_e32 v42, 0, v42, vcc_lo
	v_cmp_le_u32_e32 vcc_lo, v66, v41
	s_delay_alu instid0(VALU_DEP_2) | instskip(SKIP_3) | instid1(VALU_DEP_1)
	v_add_nc_u32_e32 v39, v39, v42
	ds_bpermute_b32 v42, v65, v39
	s_waitcnt lgkmcnt(0)
	v_cndmask_b32_e32 v41, 0, v42, vcc_lo
	v_add3_u32 v39, v41, v36, v39
.LBB354_85:                             ; =>This Loop Header: Depth=1
                                        ;     Child Loop BB354_88 Depth 2
                                        ;       Child Loop BB354_89 Depth 3
	v_and_b32_e32 v36, 0xff, v40
	s_delay_alu instid0(VALU_DEP_1) | instskip(SKIP_2) | instid1(VALU_DEP_1)
	v_cmp_ne_u16_e32 vcc_lo, 2, v36
	v_cndmask_b32_e64 v36, 0, 1, vcc_lo
	;;#ASMSTART
	;;#ASMEND
	v_cmp_ne_u32_e32 vcc_lo, 0, v36
	v_mov_b32_e32 v36, v39
	s_cmp_lg_u32 vcc_lo, exec_lo
	s_cbranch_scc1 .LBB354_92
; %bb.86:                               ;   in Loop: Header=BB354_85 Depth=1
	v_lshlrev_b64 v[39:40], 3, v[37:38]
	s_mov_b32 s9, exec_lo
	s_delay_alu instid0(VALU_DEP_1) | instskip(NEXT) | instid1(VALU_DEP_2)
	v_add_co_u32 v41, vcc_lo, s20, v39
	v_add_co_ci_u32_e32 v42, vcc_lo, s21, v40, vcc_lo
	global_load_b64 v[39:40], v[41:42], off glc
	s_waitcnt vmcnt(0)
	v_and_b32_e32 v67, 0xff, v40
	s_delay_alu instid0(VALU_DEP_1)
	v_cmpx_eq_u16_e32 0, v67
	s_cbranch_execz .LBB354_84
; %bb.87:                               ;   in Loop: Header=BB354_85 Depth=1
	s_mov_b32 s15, 1
	s_mov_b32 s14, 0
	.p2align	6
.LBB354_88:                             ;   Parent Loop BB354_85 Depth=1
                                        ; =>  This Loop Header: Depth=2
                                        ;       Child Loop BB354_89 Depth 3
	s_max_u32 s25, s15, 1
.LBB354_89:                             ;   Parent Loop BB354_85 Depth=1
                                        ;     Parent Loop BB354_88 Depth=2
                                        ; =>    This Inner Loop Header: Depth=3
	s_delay_alu instid0(SALU_CYCLE_1)
	s_add_i32 s25, s25, -1
	s_sleep 1
	s_cmp_eq_u32 s25, 0
	s_cbranch_scc0 .LBB354_89
; %bb.90:                               ;   in Loop: Header=BB354_88 Depth=2
	global_load_b64 v[39:40], v[41:42], off glc
	s_cmp_lt_u32 s15, 32
	s_cselect_b32 s25, -1, 0
	s_delay_alu instid0(SALU_CYCLE_1) | instskip(SKIP_3) | instid1(VALU_DEP_1)
	s_cmp_lg_u32 s25, 0
	s_addc_u32 s15, s15, 0
	s_waitcnt vmcnt(0)
	v_and_b32_e32 v67, 0xff, v40
	v_cmp_ne_u16_e32 vcc_lo, 0, v67
	s_or_b32 s14, vcc_lo, s14
	s_delay_alu instid0(SALU_CYCLE_1)
	s_and_not1_b32 exec_lo, exec_lo, s14
	s_cbranch_execnz .LBB354_88
; %bb.91:                               ;   in Loop: Header=BB354_85 Depth=1
	s_or_b32 exec_lo, exec_lo, s14
	s_branch .LBB354_84
.LBB354_92:                             ;   in Loop: Header=BB354_85 Depth=1
                                        ; implicit-def: $vgpr39
                                        ; implicit-def: $vgpr40
	s_cbranch_execz .LBB354_85
; %bb.93:
	s_and_saveexec_b32 s9, s7
	s_cbranch_execz .LBB354_95
; %bb.94:
	s_add_i32 s14, s24, 32
	s_mov_b32 s15, 0
	v_dual_mov_b32 v38, 2 :: v_dual_add_nc_u32 v37, v36, v35
	s_lshl_b64 s[14:15], s[14:15], 3
	v_mov_b32_e32 v39, 0
	s_add_u32 s14, s20, s14
	s_addc_u32 s15, s21, s15
	global_store_b64 v39, v[37:38], s[14:15]
	ds_store_b64 v39, v[35:36] offset:33792
.LBB354_95:
	s_or_b32 exec_lo, exec_lo, s9
	s_delay_alu instid0(SALU_CYCLE_1)
	s_and_b32 exec_lo, exec_lo, s2
	s_cbranch_execz .LBB354_97
; %bb.96:
	v_mov_b32_e32 v35, 0
	ds_store_b32 v35, v36 offset:60
.LBB354_97:
	s_or_b32 exec_lo, exec_lo, s8
	v_mov_b32_e32 v35, 0
	s_waitcnt lgkmcnt(0)
	s_waitcnt_vscnt null, 0x0
	s_barrier
	buffer_gl0_inv
	v_cndmask_b32_e64 v37, v45, v43, s7
	ds_load_b32 v36, v35 offset:60
	s_waitcnt lgkmcnt(0)
	s_barrier
	buffer_gl0_inv
	v_cndmask_b32_e64 v37, v37, 0, s2
	s_delay_alu instid0(VALU_DEP_1) | instskip(SKIP_2) | instid1(VALU_DEP_1)
	v_add_nc_u32_e32 v53, v36, v37
	ds_load_b64 v[35:36], v35 offset:33792
	v_add_nc_u32_e32 v51, v53, v44
	v_add_nc_u32_e32 v49, v51, v46
	s_delay_alu instid0(VALU_DEP_1) | instskip(NEXT) | instid1(VALU_DEP_1)
	v_add_nc_u32_e32 v47, v49, v48
	v_add_nc_u32_e32 v45, v47, v50
	s_waitcnt lgkmcnt(0)
	v_readfirstlane_b32 s8, v36
	s_delay_alu instid0(VALU_DEP_2) | instskip(NEXT) | instid1(VALU_DEP_1)
	v_add_nc_u32_e32 v43, v45, v52
	v_add_nc_u32_e32 v41, v43, v54
	s_delay_alu instid0(VALU_DEP_1)
	v_add_nc_u32_e32 v39, v41, v57
	v_lshrrev_b64 v[37:38], 24, v[33:34]
	s_branch .LBB354_108
.LBB354_98:
                                        ; implicit-def: $vgpr39
                                        ; implicit-def: $vgpr41
                                        ; implicit-def: $vgpr43
                                        ; implicit-def: $vgpr45
                                        ; implicit-def: $vgpr47
                                        ; implicit-def: $vgpr49
                                        ; implicit-def: $vgpr51
                                        ; implicit-def: $vgpr53
                                        ; implicit-def: $sgpr8
                                        ; implicit-def: $vgpr35
	v_lshrrev_b64 v[37:38], 24, v[33:34]
	s_and_b32 vcc_lo, exec_lo, s7
	s_cbranch_vccz .LBB354_108
; %bb.99:
	v_mov_b32_dpp v35, v60 row_shr:1 row_mask:0xf bank_mask:0xf
	s_delay_alu instid0(VALU_DEP_1) | instskip(NEXT) | instid1(VALU_DEP_1)
	v_cndmask_b32_e64 v35, v35, 0, s3
	v_add_nc_u32_e32 v35, v35, v60
	s_delay_alu instid0(VALU_DEP_1) | instskip(NEXT) | instid1(VALU_DEP_1)
	v_mov_b32_dpp v36, v35 row_shr:2 row_mask:0xf bank_mask:0xf
	v_cndmask_b32_e64 v36, 0, v36, s0
	s_delay_alu instid0(VALU_DEP_1) | instskip(NEXT) | instid1(VALU_DEP_1)
	v_add_nc_u32_e32 v35, v35, v36
	v_mov_b32_dpp v36, v35 row_shr:4 row_mask:0xf bank_mask:0xf
	s_delay_alu instid0(VALU_DEP_1) | instskip(NEXT) | instid1(VALU_DEP_1)
	v_cndmask_b32_e64 v36, 0, v36, s4
	v_add_nc_u32_e32 v35, v35, v36
	s_delay_alu instid0(VALU_DEP_1) | instskip(NEXT) | instid1(VALU_DEP_1)
	v_mov_b32_dpp v36, v35 row_shr:8 row_mask:0xf bank_mask:0xf
	v_cndmask_b32_e64 v36, 0, v36, s1
	s_delay_alu instid0(VALU_DEP_1) | instskip(SKIP_3) | instid1(VALU_DEP_1)
	v_add_nc_u32_e32 v35, v35, v36
	ds_swizzle_b32 v36, v35 offset:swizzle(BROADCAST,32,15)
	s_waitcnt lgkmcnt(0)
	v_cndmask_b32_e64 v36, v36, 0, s6
	v_add_nc_u32_e32 v35, v35, v36
	s_and_saveexec_b32 s6, s5
	s_cbranch_execz .LBB354_101
; %bb.100:
	v_lshlrev_b32_e32 v36, 2, v59
	ds_store_b32 v36, v35
.LBB354_101:
	s_or_b32 exec_lo, exec_lo, s6
	s_delay_alu instid0(SALU_CYCLE_1)
	s_mov_b32 s5, exec_lo
	s_waitcnt lgkmcnt(0)
	s_barrier
	buffer_gl0_inv
	v_cmpx_gt_u32_e32 16, v0
	s_cbranch_execz .LBB354_103
; %bb.102:
	v_lshlrev_b32_e32 v36, 2, v0
	ds_load_b32 v38, v36
	s_waitcnt lgkmcnt(0)
	v_mov_b32_dpp v39, v38 row_shr:1 row_mask:0xf bank_mask:0xf
	s_delay_alu instid0(VALU_DEP_1) | instskip(NEXT) | instid1(VALU_DEP_1)
	v_cndmask_b32_e64 v39, v39, 0, s3
	v_add_nc_u32_e32 v38, v39, v38
	s_delay_alu instid0(VALU_DEP_1) | instskip(NEXT) | instid1(VALU_DEP_1)
	v_mov_b32_dpp v39, v38 row_shr:2 row_mask:0xf bank_mask:0xf
	v_cndmask_b32_e64 v39, 0, v39, s0
	s_delay_alu instid0(VALU_DEP_1) | instskip(NEXT) | instid1(VALU_DEP_1)
	v_add_nc_u32_e32 v38, v38, v39
	v_mov_b32_dpp v39, v38 row_shr:4 row_mask:0xf bank_mask:0xf
	s_delay_alu instid0(VALU_DEP_1) | instskip(NEXT) | instid1(VALU_DEP_1)
	v_cndmask_b32_e64 v39, 0, v39, s4
	v_add_nc_u32_e32 v38, v38, v39
	s_delay_alu instid0(VALU_DEP_1) | instskip(NEXT) | instid1(VALU_DEP_1)
	v_mov_b32_dpp v39, v38 row_shr:8 row_mask:0xf bank_mask:0xf
	v_cndmask_b32_e64 v39, 0, v39, s1
	s_delay_alu instid0(VALU_DEP_1)
	v_add_nc_u32_e32 v38, v38, v39
	ds_store_b32 v36, v38
.LBB354_103:
	s_or_b32 exec_lo, exec_lo, s5
	v_mov_b32_e32 v36, 0
	v_mov_b32_e32 v38, 0
	s_mov_b32 s0, exec_lo
	s_waitcnt lgkmcnt(0)
	s_barrier
	buffer_gl0_inv
	v_cmpx_lt_u32_e32 31, v0
	s_cbranch_execz .LBB354_105
; %bb.104:
	v_lshl_add_u32 v38, v59, 2, -4
	ds_load_b32 v38, v38
.LBB354_105:
	s_or_b32 exec_lo, exec_lo, s0
	v_add_nc_u32_e32 v39, -1, v58
	s_waitcnt lgkmcnt(0)
	v_add_nc_u32_e32 v35, v38, v35
	s_mov_b32 s8, 0
	s_delay_alu instid0(VALU_DEP_2) | instskip(SKIP_1) | instid1(VALU_DEP_1)
	v_cmp_gt_i32_e32 vcc_lo, 0, v39
	v_cndmask_b32_e32 v39, v39, v58, vcc_lo
	v_lshlrev_b32_e32 v39, 2, v39
	ds_bpermute_b32 v39, v39, v35
	ds_load_b32 v35, v36 offset:60
	s_and_saveexec_b32 s0, s2
	s_cbranch_execz .LBB354_107
; %bb.106:
	v_mov_b32_e32 v40, 0
	v_mov_b32_e32 v36, 2
	s_waitcnt lgkmcnt(0)
	global_store_b64 v40, v[35:36], s[20:21] offset:256
.LBB354_107:
	s_or_b32 exec_lo, exec_lo, s0
	v_cmp_eq_u32_e32 vcc_lo, 0, v58
	s_waitcnt lgkmcnt(0)
	s_waitcnt_vscnt null, 0x0
	s_barrier
	buffer_gl0_inv
	v_cndmask_b32_e32 v36, v39, v38, vcc_lo
	s_delay_alu instid0(VALU_DEP_1) | instskip(NEXT) | instid1(VALU_DEP_1)
	v_cndmask_b32_e64 v53, v36, 0, s2
	v_add_nc_u32_e32 v51, v53, v44
	s_delay_alu instid0(VALU_DEP_1) | instskip(NEXT) | instid1(VALU_DEP_1)
	v_add_nc_u32_e32 v49, v51, v46
	v_add_nc_u32_e32 v47, v49, v48
	s_delay_alu instid0(VALU_DEP_1) | instskip(NEXT) | instid1(VALU_DEP_1)
	v_add_nc_u32_e32 v45, v47, v50
	;; [unrolled: 3-line block ×3, first 2 shown]
	v_add_nc_u32_e32 v39, v41, v57
.LBB354_108:
	v_add_nc_u32_e32 v59, s8, v35
	v_cmp_gt_u32_e64 s0, 0x201, v35
	v_lshrrev_b32_e32 v58, 8, v33
	v_lshrrev_b32_e32 v57, 16, v33
	;; [unrolled: 1-line block ×4, first 2 shown]
	v_cmp_lt_u32_e64 s1, v53, v59
	s_and_b32 vcc_lo, exec_lo, s0
	s_mov_b32 s3, -1
	s_cbranch_vccz .LBB354_134
; %bb.109:
	s_lshl_b64 s[4:5], s[10:11], 3
	s_delay_alu instid0(SALU_CYCLE_1) | instskip(SKIP_2) | instid1(SALU_CYCLE_1)
	s_add_u32 s3, s16, s4
	s_addc_u32 s4, s17, s5
	s_or_b32 s5, s23, s1
	s_and_saveexec_b32 s1, s5
	s_cbranch_execz .LBB354_112
; %bb.110:
	v_and_b32_e32 v40, 1, v33
	s_delay_alu instid0(VALU_DEP_1)
	v_cmp_eq_u32_e32 vcc_lo, 1, v40
	s_and_b32 exec_lo, exec_lo, vcc_lo
	s_cbranch_execz .LBB354_112
; %bb.111:
	v_mov_b32_e32 v54, 0
	s_delay_alu instid0(VALU_DEP_1) | instskip(NEXT) | instid1(VALU_DEP_1)
	v_lshlrev_b64 v[60:61], 3, v[53:54]
	v_add_co_u32 v60, vcc_lo, s3, v60
	s_delay_alu instid0(VALU_DEP_2)
	v_add_co_ci_u32_e32 v61, vcc_lo, s4, v61, vcc_lo
	global_store_b64 v[60:61], v[29:30], off
.LBB354_112:
	s_or_b32 exec_lo, exec_lo, s1
	v_cmp_lt_u32_e32 vcc_lo, v51, v59
	s_or_b32 s5, s23, vcc_lo
	s_delay_alu instid0(SALU_CYCLE_1)
	s_and_saveexec_b32 s1, s5
	s_cbranch_execz .LBB354_115
; %bb.113:
	v_and_b32_e32 v40, 1, v58
	s_delay_alu instid0(VALU_DEP_1)
	v_cmp_eq_u32_e32 vcc_lo, 1, v40
	s_and_b32 exec_lo, exec_lo, vcc_lo
	s_cbranch_execz .LBB354_115
; %bb.114:
	v_mov_b32_e32 v52, 0
	s_delay_alu instid0(VALU_DEP_1) | instskip(NEXT) | instid1(VALU_DEP_1)
	v_lshlrev_b64 v[60:61], 3, v[51:52]
	v_add_co_u32 v60, vcc_lo, s3, v60
	s_delay_alu instid0(VALU_DEP_2)
	v_add_co_ci_u32_e32 v61, vcc_lo, s4, v61, vcc_lo
	global_store_b64 v[60:61], v[31:32], off
.LBB354_115:
	s_or_b32 exec_lo, exec_lo, s1
	v_cmp_lt_u32_e32 vcc_lo, v49, v59
	s_or_b32 s5, s23, vcc_lo
	s_delay_alu instid0(SALU_CYCLE_1)
	;; [unrolled: 21-line block ×7, first 2 shown]
	s_and_saveexec_b32 s1, s5
	s_cbranch_execz .LBB354_133
; %bb.131:
	v_and_b32_e32 v40, 1, v56
	s_delay_alu instid0(VALU_DEP_1)
	v_cmp_eq_u32_e32 vcc_lo, 1, v40
	s_and_b32 exec_lo, exec_lo, vcc_lo
	s_cbranch_execz .LBB354_133
; %bb.132:
	v_mov_b32_e32 v40, 0
	s_delay_alu instid0(VALU_DEP_1) | instskip(NEXT) | instid1(VALU_DEP_1)
	v_lshlrev_b64 v[60:61], 3, v[39:40]
	v_add_co_u32 v60, vcc_lo, s3, v60
	s_delay_alu instid0(VALU_DEP_2)
	v_add_co_ci_u32_e32 v61, vcc_lo, s4, v61, vcc_lo
	global_store_b64 v[60:61], v[19:20], off
.LBB354_133:
	s_or_b32 exec_lo, exec_lo, s1
	s_mov_b32 s3, 0
.LBB354_134:
	v_and_b32_e32 v33, 1, v33
	s_and_b32 vcc_lo, exec_lo, s3
	s_delay_alu instid0(VALU_DEP_1)
	v_cmp_eq_u32_e64 s1, 1, v33
	s_cbranch_vccz .LBB354_155
; %bb.135:
	s_delay_alu instid0(VALU_DEP_1)
	s_and_saveexec_b32 s3, s1
	s_cbranch_execz .LBB354_137
; %bb.136:
	v_subrev_nc_u32_e32 v40, s8, v53
	s_delay_alu instid0(VALU_DEP_1)
	v_lshlrev_b32_e32 v40, 3, v40
	ds_store_b64 v40, v[29:30]
.LBB354_137:
	s_or_b32 exec_lo, exec_lo, s3
	v_and_b32_e32 v29, 1, v58
	s_mov_b32 s1, exec_lo
	s_delay_alu instid0(VALU_DEP_1)
	v_cmpx_eq_u32_e32 1, v29
	s_cbranch_execz .LBB354_139
; %bb.138:
	v_subrev_nc_u32_e32 v29, s8, v51
	s_delay_alu instid0(VALU_DEP_1)
	v_lshlrev_b32_e32 v29, 3, v29
	ds_store_b64 v29, v[31:32]
.LBB354_139:
	s_or_b32 exec_lo, exec_lo, s1
	v_and_b32_e32 v29, 1, v57
	s_mov_b32 s1, exec_lo
	s_delay_alu instid0(VALU_DEP_1)
	v_cmpx_eq_u32_e32 1, v29
	;; [unrolled: 12-line block ×7, first 2 shown]
	s_cbranch_execz .LBB354_151
; %bb.150:
	v_subrev_nc_u32_e32 v17, s8, v39
	s_delay_alu instid0(VALU_DEP_1)
	v_lshlrev_b32_e32 v17, 3, v17
	ds_store_b64 v17, v[19:20]
.LBB354_151:
	s_or_b32 exec_lo, exec_lo, s1
	s_delay_alu instid0(SALU_CYCLE_1)
	s_mov_b32 s3, exec_lo
	s_waitcnt lgkmcnt(0)
	s_waitcnt_vscnt null, 0x0
	s_barrier
	buffer_gl0_inv
	v_cmpx_lt_u32_e64 v0, v35
	s_cbranch_execz .LBB354_154
; %bb.152:
	s_mov_b32 s9, 0
	s_lshl_b64 s[4:5], s[10:11], 3
	s_lshl_b64 s[6:7], s[8:9], 3
	v_dual_mov_b32 v19, v55 :: v_dual_mov_b32 v20, v0
	s_add_u32 s1, s4, s6
	s_addc_u32 s4, s5, s7
	s_add_u32 s1, s16, s1
	s_addc_u32 s4, s17, s4
	v_add_co_u32 v17, s1, s1, v55
	s_delay_alu instid0(VALU_DEP_1)
	v_add_co_ci_u32_e64 v18, null, s4, 0, s1
	.p2align	6
.LBB354_153:                            ; =>This Inner Loop Header: Depth=1
	ds_load_b64 v[21:22], v19
	v_add_nc_u32_e32 v20, 0x200, v20
	v_add_nc_u32_e32 v19, 0x1000, v19
	s_delay_alu instid0(VALU_DEP_2) | instskip(SKIP_4) | instid1(VALU_DEP_1)
	v_cmp_ge_u32_e32 vcc_lo, v20, v35
	s_or_b32 s9, vcc_lo, s9
	s_waitcnt lgkmcnt(0)
	global_store_b64 v[17:18], v[21:22], off
	v_add_co_u32 v17, s1, 0x1000, v17
	v_add_co_ci_u32_e64 v18, s1, 0, v18, s1
	s_and_not1_b32 exec_lo, exec_lo, s9
	s_cbranch_execnz .LBB354_153
.LBB354_154:
	s_or_b32 exec_lo, exec_lo, s3
.LBB354_155:
	s_delay_alu instid0(SALU_CYCLE_1)
	s_and_b32 vcc_lo, exec_lo, s0
	s_mov_b32 s0, -1
	s_waitcnt_vscnt null, 0x0
	s_barrier
	buffer_gl0_inv
	s_cbranch_vccz .LBB354_183
; %bb.156:
	v_cmp_lt_u32_e32 vcc_lo, v53, v59
	s_lshl_b64 s[0:1], s[10:11], 3
	s_delay_alu instid0(SALU_CYCLE_1) | instskip(SKIP_2) | instid1(SALU_CYCLE_1)
	s_add_u32 s0, s18, s0
	s_addc_u32 s1, s19, s1
	s_or_b32 s4, s23, vcc_lo
	s_and_saveexec_b32 s3, s4
	s_cbranch_execz .LBB354_159
; %bb.157:
	v_cmp_eq_u32_e32 vcc_lo, 1, v33
	s_and_b32 exec_lo, exec_lo, vcc_lo
	s_cbranch_execz .LBB354_159
; %bb.158:
	v_mov_b32_e32 v54, 0
	s_delay_alu instid0(VALU_DEP_1) | instskip(NEXT) | instid1(VALU_DEP_1)
	v_lshlrev_b64 v[17:18], 3, v[53:54]
	v_add_co_u32 v17, vcc_lo, s0, v17
	s_delay_alu instid0(VALU_DEP_2)
	v_add_co_ci_u32_e32 v18, vcc_lo, s1, v18, vcc_lo
	global_store_b64 v[17:18], v[13:14], off
.LBB354_159:
	s_or_b32 exec_lo, exec_lo, s3
	v_cmp_lt_u32_e32 vcc_lo, v51, v59
	s_or_b32 s4, s23, vcc_lo
	s_delay_alu instid0(SALU_CYCLE_1)
	s_and_saveexec_b32 s3, s4
	s_cbranch_execz .LBB354_162
; %bb.160:
	v_and_b32_e32 v17, 1, v58
	s_delay_alu instid0(VALU_DEP_1)
	v_cmp_eq_u32_e32 vcc_lo, 1, v17
	s_and_b32 exec_lo, exec_lo, vcc_lo
	s_cbranch_execz .LBB354_162
; %bb.161:
	v_mov_b32_e32 v52, 0
	s_delay_alu instid0(VALU_DEP_1) | instskip(NEXT) | instid1(VALU_DEP_1)
	v_lshlrev_b64 v[17:18], 3, v[51:52]
	v_add_co_u32 v17, vcc_lo, s0, v17
	s_delay_alu instid0(VALU_DEP_2)
	v_add_co_ci_u32_e32 v18, vcc_lo, s1, v18, vcc_lo
	global_store_b64 v[17:18], v[15:16], off
.LBB354_162:
	s_or_b32 exec_lo, exec_lo, s3
	v_cmp_lt_u32_e32 vcc_lo, v49, v59
	s_or_b32 s4, s23, vcc_lo
	s_delay_alu instid0(SALU_CYCLE_1)
	s_and_saveexec_b32 s3, s4
	s_cbranch_execz .LBB354_165
; %bb.163:
	v_and_b32_e32 v17, 1, v57
	s_delay_alu instid0(VALU_DEP_1)
	v_cmp_eq_u32_e32 vcc_lo, 1, v17
	s_and_b32 exec_lo, exec_lo, vcc_lo
	s_cbranch_execz .LBB354_165
; %bb.164:
	v_mov_b32_e32 v50, 0
	s_delay_alu instid0(VALU_DEP_1) | instskip(NEXT) | instid1(VALU_DEP_1)
	v_lshlrev_b64 v[17:18], 3, v[49:50]
	v_add_co_u32 v17, vcc_lo, s0, v17
	s_delay_alu instid0(VALU_DEP_2)
	v_add_co_ci_u32_e32 v18, vcc_lo, s1, v18, vcc_lo
	global_store_b64 v[17:18], v[9:10], off
.LBB354_165:
	;; [unrolled: 21-line block ×7, first 2 shown]
	s_or_b32 exec_lo, exec_lo, s3
.LBB354_181:
	s_and_b32 s0, s2, s22
	s_delay_alu instid0(SALU_CYCLE_1)
	s_and_saveexec_b32 s1, s0
	s_cbranch_execz .LBB354_204
.LBB354_182:
	v_add_co_u32 v0, s0, s10, v35
	s_delay_alu instid0(VALU_DEP_1) | instskip(SKIP_1) | instid1(VALU_DEP_3)
	v_add_co_ci_u32_e64 v1, null, s11, 0, s0
	v_mov_b32_e32 v2, 0
	v_add_co_u32 v0, vcc_lo, v0, s8
	s_delay_alu instid0(VALU_DEP_3)
	v_add_co_ci_u32_e32 v1, vcc_lo, 0, v1, vcc_lo
	global_store_b64 v2, v[0:1], s[12:13]
	s_nop 0
	s_sendmsg sendmsg(MSG_DEALLOC_VGPRS)
	s_endpgm
.LBB354_183:
	s_and_b32 vcc_lo, exec_lo, s0
	s_cbranch_vccz .LBB354_181
; %bb.184:
	s_mov_b32 s0, exec_lo
	v_cmpx_eq_u32_e32 1, v33
	s_cbranch_execz .LBB354_186
; %bb.185:
	v_subrev_nc_u32_e32 v17, s8, v53
	s_delay_alu instid0(VALU_DEP_1)
	v_lshlrev_b32_e32 v17, 3, v17
	ds_store_b64 v17, v[13:14]
.LBB354_186:
	s_or_b32 exec_lo, exec_lo, s0
	v_and_b32_e32 v13, 1, v58
	s_mov_b32 s0, exec_lo
	s_delay_alu instid0(VALU_DEP_1)
	v_cmpx_eq_u32_e32 1, v13
	s_cbranch_execz .LBB354_188
; %bb.187:
	v_subrev_nc_u32_e32 v13, s8, v51
	s_delay_alu instid0(VALU_DEP_1)
	v_lshlrev_b32_e32 v13, 3, v13
	ds_store_b64 v13, v[15:16]
.LBB354_188:
	s_or_b32 exec_lo, exec_lo, s0
	v_and_b32_e32 v13, 1, v57
	s_mov_b32 s0, exec_lo
	s_delay_alu instid0(VALU_DEP_1)
	;; [unrolled: 12-line block ×7, first 2 shown]
	v_cmpx_eq_u32_e32 1, v1
	s_cbranch_execz .LBB354_200
; %bb.199:
	v_subrev_nc_u32_e32 v1, s8, v39
	s_delay_alu instid0(VALU_DEP_1)
	v_lshlrev_b32_e32 v1, 3, v1
	ds_store_b64 v1, v[3:4]
.LBB354_200:
	s_or_b32 exec_lo, exec_lo, s0
	s_delay_alu instid0(SALU_CYCLE_1)
	s_mov_b32 s1, exec_lo
	s_waitcnt lgkmcnt(0)
	s_waitcnt_vscnt null, 0x0
	s_barrier
	buffer_gl0_inv
	v_cmpx_lt_u32_e64 v0, v35
	s_cbranch_execz .LBB354_203
; %bb.201:
	s_mov_b32 s9, 0
	s_lshl_b64 s[4:5], s[10:11], 3
	s_lshl_b64 s[6:7], s[8:9], 3
	s_delay_alu instid0(SALU_CYCLE_1) | instskip(SKIP_4) | instid1(VALU_DEP_1)
	s_add_u32 s0, s4, s6
	s_addc_u32 s3, s5, s7
	s_add_u32 s0, s18, s0
	s_addc_u32 s3, s19, s3
	v_add_co_u32 v1, s0, s0, v55
	v_add_co_ci_u32_e64 v2, null, s3, 0, s0
	.p2align	6
.LBB354_202:                            ; =>This Inner Loop Header: Depth=1
	ds_load_b64 v[3:4], v55
	v_add_nc_u32_e32 v0, 0x200, v0
	v_add_nc_u32_e32 v55, 0x1000, v55
	s_delay_alu instid0(VALU_DEP_2) | instskip(SKIP_4) | instid1(VALU_DEP_1)
	v_cmp_ge_u32_e32 vcc_lo, v0, v35
	s_or_b32 s9, vcc_lo, s9
	s_waitcnt lgkmcnt(0)
	global_store_b64 v[1:2], v[3:4], off
	v_add_co_u32 v1, s0, 0x1000, v1
	v_add_co_ci_u32_e64 v2, s0, 0, v2, s0
	s_and_not1_b32 exec_lo, exec_lo, s9
	s_cbranch_execnz .LBB354_202
.LBB354_203:
	s_or_b32 exec_lo, exec_lo, s1
	s_and_b32 s0, s2, s22
	s_delay_alu instid0(SALU_CYCLE_1)
	s_and_saveexec_b32 s1, s0
	s_cbranch_execnz .LBB354_182
.LBB354_204:
	s_nop 0
	s_sendmsg sendmsg(MSG_DEALLOC_VGPRS)
	s_endpgm
	.section	.rodata,"a",@progbits
	.p2align	6, 0x0
	.amdhsa_kernel _ZN7rocprim17ROCPRIM_400000_NS6detail17trampoline_kernelINS0_14default_configENS1_25partition_config_selectorILNS1_17partition_subalgoE9ExxbEEZZNS1_14partition_implILS5_9ELb0ES3_jN6thrust23THRUST_200600_302600_NS6detail15normal_iteratorINS9_10device_ptrIxEEEESE_PNS0_10empty_typeENS0_5tupleIJSE_SF_EEENSH_IJSE_SG_EEENS0_18inequality_wrapperINS9_8equal_toIxEEEEPmJSF_EEE10hipError_tPvRmT3_T4_T5_T6_T7_T9_mT8_P12ihipStream_tbDpT10_ENKUlT_T0_E_clISt17integral_constantIbLb1EES18_EEDaS13_S14_EUlS13_E_NS1_11comp_targetILNS1_3genE9ELNS1_11target_archE1100ELNS1_3gpuE3ELNS1_3repE0EEENS1_30default_config_static_selectorELNS0_4arch9wavefront6targetE0EEEvT1_
		.amdhsa_group_segment_fixed_size 33800
		.amdhsa_private_segment_fixed_size 0
		.amdhsa_kernarg_size 128
		.amdhsa_user_sgpr_count 15
		.amdhsa_user_sgpr_dispatch_ptr 0
		.amdhsa_user_sgpr_queue_ptr 0
		.amdhsa_user_sgpr_kernarg_segment_ptr 1
		.amdhsa_user_sgpr_dispatch_id 0
		.amdhsa_user_sgpr_private_segment_size 0
		.amdhsa_wavefront_size32 1
		.amdhsa_uses_dynamic_stack 0
		.amdhsa_enable_private_segment 0
		.amdhsa_system_sgpr_workgroup_id_x 1
		.amdhsa_system_sgpr_workgroup_id_y 0
		.amdhsa_system_sgpr_workgroup_id_z 0
		.amdhsa_system_sgpr_workgroup_info 0
		.amdhsa_system_vgpr_workitem_id 0
		.amdhsa_next_free_vgpr 68
		.amdhsa_next_free_sgpr 29
		.amdhsa_reserve_vcc 1
		.amdhsa_float_round_mode_32 0
		.amdhsa_float_round_mode_16_64 0
		.amdhsa_float_denorm_mode_32 3
		.amdhsa_float_denorm_mode_16_64 3
		.amdhsa_dx10_clamp 1
		.amdhsa_ieee_mode 1
		.amdhsa_fp16_overflow 0
		.amdhsa_workgroup_processor_mode 1
		.amdhsa_memory_ordered 1
		.amdhsa_forward_progress 0
		.amdhsa_shared_vgpr_count 0
		.amdhsa_exception_fp_ieee_invalid_op 0
		.amdhsa_exception_fp_denorm_src 0
		.amdhsa_exception_fp_ieee_div_zero 0
		.amdhsa_exception_fp_ieee_overflow 0
		.amdhsa_exception_fp_ieee_underflow 0
		.amdhsa_exception_fp_ieee_inexact 0
		.amdhsa_exception_int_div_zero 0
	.end_amdhsa_kernel
	.section	.text._ZN7rocprim17ROCPRIM_400000_NS6detail17trampoline_kernelINS0_14default_configENS1_25partition_config_selectorILNS1_17partition_subalgoE9ExxbEEZZNS1_14partition_implILS5_9ELb0ES3_jN6thrust23THRUST_200600_302600_NS6detail15normal_iteratorINS9_10device_ptrIxEEEESE_PNS0_10empty_typeENS0_5tupleIJSE_SF_EEENSH_IJSE_SG_EEENS0_18inequality_wrapperINS9_8equal_toIxEEEEPmJSF_EEE10hipError_tPvRmT3_T4_T5_T6_T7_T9_mT8_P12ihipStream_tbDpT10_ENKUlT_T0_E_clISt17integral_constantIbLb1EES18_EEDaS13_S14_EUlS13_E_NS1_11comp_targetILNS1_3genE9ELNS1_11target_archE1100ELNS1_3gpuE3ELNS1_3repE0EEENS1_30default_config_static_selectorELNS0_4arch9wavefront6targetE0EEEvT1_,"axG",@progbits,_ZN7rocprim17ROCPRIM_400000_NS6detail17trampoline_kernelINS0_14default_configENS1_25partition_config_selectorILNS1_17partition_subalgoE9ExxbEEZZNS1_14partition_implILS5_9ELb0ES3_jN6thrust23THRUST_200600_302600_NS6detail15normal_iteratorINS9_10device_ptrIxEEEESE_PNS0_10empty_typeENS0_5tupleIJSE_SF_EEENSH_IJSE_SG_EEENS0_18inequality_wrapperINS9_8equal_toIxEEEEPmJSF_EEE10hipError_tPvRmT3_T4_T5_T6_T7_T9_mT8_P12ihipStream_tbDpT10_ENKUlT_T0_E_clISt17integral_constantIbLb1EES18_EEDaS13_S14_EUlS13_E_NS1_11comp_targetILNS1_3genE9ELNS1_11target_archE1100ELNS1_3gpuE3ELNS1_3repE0EEENS1_30default_config_static_selectorELNS0_4arch9wavefront6targetE0EEEvT1_,comdat
.Lfunc_end354:
	.size	_ZN7rocprim17ROCPRIM_400000_NS6detail17trampoline_kernelINS0_14default_configENS1_25partition_config_selectorILNS1_17partition_subalgoE9ExxbEEZZNS1_14partition_implILS5_9ELb0ES3_jN6thrust23THRUST_200600_302600_NS6detail15normal_iteratorINS9_10device_ptrIxEEEESE_PNS0_10empty_typeENS0_5tupleIJSE_SF_EEENSH_IJSE_SG_EEENS0_18inequality_wrapperINS9_8equal_toIxEEEEPmJSF_EEE10hipError_tPvRmT3_T4_T5_T6_T7_T9_mT8_P12ihipStream_tbDpT10_ENKUlT_T0_E_clISt17integral_constantIbLb1EES18_EEDaS13_S14_EUlS13_E_NS1_11comp_targetILNS1_3genE9ELNS1_11target_archE1100ELNS1_3gpuE3ELNS1_3repE0EEENS1_30default_config_static_selectorELNS0_4arch9wavefront6targetE0EEEvT1_, .Lfunc_end354-_ZN7rocprim17ROCPRIM_400000_NS6detail17trampoline_kernelINS0_14default_configENS1_25partition_config_selectorILNS1_17partition_subalgoE9ExxbEEZZNS1_14partition_implILS5_9ELb0ES3_jN6thrust23THRUST_200600_302600_NS6detail15normal_iteratorINS9_10device_ptrIxEEEESE_PNS0_10empty_typeENS0_5tupleIJSE_SF_EEENSH_IJSE_SG_EEENS0_18inequality_wrapperINS9_8equal_toIxEEEEPmJSF_EEE10hipError_tPvRmT3_T4_T5_T6_T7_T9_mT8_P12ihipStream_tbDpT10_ENKUlT_T0_E_clISt17integral_constantIbLb1EES18_EEDaS13_S14_EUlS13_E_NS1_11comp_targetILNS1_3genE9ELNS1_11target_archE1100ELNS1_3gpuE3ELNS1_3repE0EEENS1_30default_config_static_selectorELNS0_4arch9wavefront6targetE0EEEvT1_
                                        ; -- End function
	.section	.AMDGPU.csdata,"",@progbits
; Kernel info:
; codeLenInByte = 9560
; NumSgprs: 31
; NumVgprs: 68
; ScratchSize: 0
; MemoryBound: 0
; FloatMode: 240
; IeeeMode: 1
; LDSByteSize: 33800 bytes/workgroup (compile time only)
; SGPRBlocks: 3
; VGPRBlocks: 8
; NumSGPRsForWavesPerEU: 31
; NumVGPRsForWavesPerEU: 68
; Occupancy: 12
; WaveLimiterHint : 1
; COMPUTE_PGM_RSRC2:SCRATCH_EN: 0
; COMPUTE_PGM_RSRC2:USER_SGPR: 15
; COMPUTE_PGM_RSRC2:TRAP_HANDLER: 0
; COMPUTE_PGM_RSRC2:TGID_X_EN: 1
; COMPUTE_PGM_RSRC2:TGID_Y_EN: 0
; COMPUTE_PGM_RSRC2:TGID_Z_EN: 0
; COMPUTE_PGM_RSRC2:TIDIG_COMP_CNT: 0
	.section	.text._ZN7rocprim17ROCPRIM_400000_NS6detail17trampoline_kernelINS0_14default_configENS1_25partition_config_selectorILNS1_17partition_subalgoE9ExxbEEZZNS1_14partition_implILS5_9ELb0ES3_jN6thrust23THRUST_200600_302600_NS6detail15normal_iteratorINS9_10device_ptrIxEEEESE_PNS0_10empty_typeENS0_5tupleIJSE_SF_EEENSH_IJSE_SG_EEENS0_18inequality_wrapperINS9_8equal_toIxEEEEPmJSF_EEE10hipError_tPvRmT3_T4_T5_T6_T7_T9_mT8_P12ihipStream_tbDpT10_ENKUlT_T0_E_clISt17integral_constantIbLb1EES18_EEDaS13_S14_EUlS13_E_NS1_11comp_targetILNS1_3genE8ELNS1_11target_archE1030ELNS1_3gpuE2ELNS1_3repE0EEENS1_30default_config_static_selectorELNS0_4arch9wavefront6targetE0EEEvT1_,"axG",@progbits,_ZN7rocprim17ROCPRIM_400000_NS6detail17trampoline_kernelINS0_14default_configENS1_25partition_config_selectorILNS1_17partition_subalgoE9ExxbEEZZNS1_14partition_implILS5_9ELb0ES3_jN6thrust23THRUST_200600_302600_NS6detail15normal_iteratorINS9_10device_ptrIxEEEESE_PNS0_10empty_typeENS0_5tupleIJSE_SF_EEENSH_IJSE_SG_EEENS0_18inequality_wrapperINS9_8equal_toIxEEEEPmJSF_EEE10hipError_tPvRmT3_T4_T5_T6_T7_T9_mT8_P12ihipStream_tbDpT10_ENKUlT_T0_E_clISt17integral_constantIbLb1EES18_EEDaS13_S14_EUlS13_E_NS1_11comp_targetILNS1_3genE8ELNS1_11target_archE1030ELNS1_3gpuE2ELNS1_3repE0EEENS1_30default_config_static_selectorELNS0_4arch9wavefront6targetE0EEEvT1_,comdat
	.protected	_ZN7rocprim17ROCPRIM_400000_NS6detail17trampoline_kernelINS0_14default_configENS1_25partition_config_selectorILNS1_17partition_subalgoE9ExxbEEZZNS1_14partition_implILS5_9ELb0ES3_jN6thrust23THRUST_200600_302600_NS6detail15normal_iteratorINS9_10device_ptrIxEEEESE_PNS0_10empty_typeENS0_5tupleIJSE_SF_EEENSH_IJSE_SG_EEENS0_18inequality_wrapperINS9_8equal_toIxEEEEPmJSF_EEE10hipError_tPvRmT3_T4_T5_T6_T7_T9_mT8_P12ihipStream_tbDpT10_ENKUlT_T0_E_clISt17integral_constantIbLb1EES18_EEDaS13_S14_EUlS13_E_NS1_11comp_targetILNS1_3genE8ELNS1_11target_archE1030ELNS1_3gpuE2ELNS1_3repE0EEENS1_30default_config_static_selectorELNS0_4arch9wavefront6targetE0EEEvT1_ ; -- Begin function _ZN7rocprim17ROCPRIM_400000_NS6detail17trampoline_kernelINS0_14default_configENS1_25partition_config_selectorILNS1_17partition_subalgoE9ExxbEEZZNS1_14partition_implILS5_9ELb0ES3_jN6thrust23THRUST_200600_302600_NS6detail15normal_iteratorINS9_10device_ptrIxEEEESE_PNS0_10empty_typeENS0_5tupleIJSE_SF_EEENSH_IJSE_SG_EEENS0_18inequality_wrapperINS9_8equal_toIxEEEEPmJSF_EEE10hipError_tPvRmT3_T4_T5_T6_T7_T9_mT8_P12ihipStream_tbDpT10_ENKUlT_T0_E_clISt17integral_constantIbLb1EES18_EEDaS13_S14_EUlS13_E_NS1_11comp_targetILNS1_3genE8ELNS1_11target_archE1030ELNS1_3gpuE2ELNS1_3repE0EEENS1_30default_config_static_selectorELNS0_4arch9wavefront6targetE0EEEvT1_
	.globl	_ZN7rocprim17ROCPRIM_400000_NS6detail17trampoline_kernelINS0_14default_configENS1_25partition_config_selectorILNS1_17partition_subalgoE9ExxbEEZZNS1_14partition_implILS5_9ELb0ES3_jN6thrust23THRUST_200600_302600_NS6detail15normal_iteratorINS9_10device_ptrIxEEEESE_PNS0_10empty_typeENS0_5tupleIJSE_SF_EEENSH_IJSE_SG_EEENS0_18inequality_wrapperINS9_8equal_toIxEEEEPmJSF_EEE10hipError_tPvRmT3_T4_T5_T6_T7_T9_mT8_P12ihipStream_tbDpT10_ENKUlT_T0_E_clISt17integral_constantIbLb1EES18_EEDaS13_S14_EUlS13_E_NS1_11comp_targetILNS1_3genE8ELNS1_11target_archE1030ELNS1_3gpuE2ELNS1_3repE0EEENS1_30default_config_static_selectorELNS0_4arch9wavefront6targetE0EEEvT1_
	.p2align	8
	.type	_ZN7rocprim17ROCPRIM_400000_NS6detail17trampoline_kernelINS0_14default_configENS1_25partition_config_selectorILNS1_17partition_subalgoE9ExxbEEZZNS1_14partition_implILS5_9ELb0ES3_jN6thrust23THRUST_200600_302600_NS6detail15normal_iteratorINS9_10device_ptrIxEEEESE_PNS0_10empty_typeENS0_5tupleIJSE_SF_EEENSH_IJSE_SG_EEENS0_18inequality_wrapperINS9_8equal_toIxEEEEPmJSF_EEE10hipError_tPvRmT3_T4_T5_T6_T7_T9_mT8_P12ihipStream_tbDpT10_ENKUlT_T0_E_clISt17integral_constantIbLb1EES18_EEDaS13_S14_EUlS13_E_NS1_11comp_targetILNS1_3genE8ELNS1_11target_archE1030ELNS1_3gpuE2ELNS1_3repE0EEENS1_30default_config_static_selectorELNS0_4arch9wavefront6targetE0EEEvT1_,@function
_ZN7rocprim17ROCPRIM_400000_NS6detail17trampoline_kernelINS0_14default_configENS1_25partition_config_selectorILNS1_17partition_subalgoE9ExxbEEZZNS1_14partition_implILS5_9ELb0ES3_jN6thrust23THRUST_200600_302600_NS6detail15normal_iteratorINS9_10device_ptrIxEEEESE_PNS0_10empty_typeENS0_5tupleIJSE_SF_EEENSH_IJSE_SG_EEENS0_18inequality_wrapperINS9_8equal_toIxEEEEPmJSF_EEE10hipError_tPvRmT3_T4_T5_T6_T7_T9_mT8_P12ihipStream_tbDpT10_ENKUlT_T0_E_clISt17integral_constantIbLb1EES18_EEDaS13_S14_EUlS13_E_NS1_11comp_targetILNS1_3genE8ELNS1_11target_archE1030ELNS1_3gpuE2ELNS1_3repE0EEENS1_30default_config_static_selectorELNS0_4arch9wavefront6targetE0EEEvT1_: ; @_ZN7rocprim17ROCPRIM_400000_NS6detail17trampoline_kernelINS0_14default_configENS1_25partition_config_selectorILNS1_17partition_subalgoE9ExxbEEZZNS1_14partition_implILS5_9ELb0ES3_jN6thrust23THRUST_200600_302600_NS6detail15normal_iteratorINS9_10device_ptrIxEEEESE_PNS0_10empty_typeENS0_5tupleIJSE_SF_EEENSH_IJSE_SG_EEENS0_18inequality_wrapperINS9_8equal_toIxEEEEPmJSF_EEE10hipError_tPvRmT3_T4_T5_T6_T7_T9_mT8_P12ihipStream_tbDpT10_ENKUlT_T0_E_clISt17integral_constantIbLb1EES18_EEDaS13_S14_EUlS13_E_NS1_11comp_targetILNS1_3genE8ELNS1_11target_archE1030ELNS1_3gpuE2ELNS1_3repE0EEENS1_30default_config_static_selectorELNS0_4arch9wavefront6targetE0EEEvT1_
; %bb.0:
	.section	.rodata,"a",@progbits
	.p2align	6, 0x0
	.amdhsa_kernel _ZN7rocprim17ROCPRIM_400000_NS6detail17trampoline_kernelINS0_14default_configENS1_25partition_config_selectorILNS1_17partition_subalgoE9ExxbEEZZNS1_14partition_implILS5_9ELb0ES3_jN6thrust23THRUST_200600_302600_NS6detail15normal_iteratorINS9_10device_ptrIxEEEESE_PNS0_10empty_typeENS0_5tupleIJSE_SF_EEENSH_IJSE_SG_EEENS0_18inequality_wrapperINS9_8equal_toIxEEEEPmJSF_EEE10hipError_tPvRmT3_T4_T5_T6_T7_T9_mT8_P12ihipStream_tbDpT10_ENKUlT_T0_E_clISt17integral_constantIbLb1EES18_EEDaS13_S14_EUlS13_E_NS1_11comp_targetILNS1_3genE8ELNS1_11target_archE1030ELNS1_3gpuE2ELNS1_3repE0EEENS1_30default_config_static_selectorELNS0_4arch9wavefront6targetE0EEEvT1_
		.amdhsa_group_segment_fixed_size 0
		.amdhsa_private_segment_fixed_size 0
		.amdhsa_kernarg_size 128
		.amdhsa_user_sgpr_count 15
		.amdhsa_user_sgpr_dispatch_ptr 0
		.amdhsa_user_sgpr_queue_ptr 0
		.amdhsa_user_sgpr_kernarg_segment_ptr 1
		.amdhsa_user_sgpr_dispatch_id 0
		.amdhsa_user_sgpr_private_segment_size 0
		.amdhsa_wavefront_size32 1
		.amdhsa_uses_dynamic_stack 0
		.amdhsa_enable_private_segment 0
		.amdhsa_system_sgpr_workgroup_id_x 1
		.amdhsa_system_sgpr_workgroup_id_y 0
		.amdhsa_system_sgpr_workgroup_id_z 0
		.amdhsa_system_sgpr_workgroup_info 0
		.amdhsa_system_vgpr_workitem_id 0
		.amdhsa_next_free_vgpr 1
		.amdhsa_next_free_sgpr 1
		.amdhsa_reserve_vcc 0
		.amdhsa_float_round_mode_32 0
		.amdhsa_float_round_mode_16_64 0
		.amdhsa_float_denorm_mode_32 3
		.amdhsa_float_denorm_mode_16_64 3
		.amdhsa_dx10_clamp 1
		.amdhsa_ieee_mode 1
		.amdhsa_fp16_overflow 0
		.amdhsa_workgroup_processor_mode 1
		.amdhsa_memory_ordered 1
		.amdhsa_forward_progress 0
		.amdhsa_shared_vgpr_count 0
		.amdhsa_exception_fp_ieee_invalid_op 0
		.amdhsa_exception_fp_denorm_src 0
		.amdhsa_exception_fp_ieee_div_zero 0
		.amdhsa_exception_fp_ieee_overflow 0
		.amdhsa_exception_fp_ieee_underflow 0
		.amdhsa_exception_fp_ieee_inexact 0
		.amdhsa_exception_int_div_zero 0
	.end_amdhsa_kernel
	.section	.text._ZN7rocprim17ROCPRIM_400000_NS6detail17trampoline_kernelINS0_14default_configENS1_25partition_config_selectorILNS1_17partition_subalgoE9ExxbEEZZNS1_14partition_implILS5_9ELb0ES3_jN6thrust23THRUST_200600_302600_NS6detail15normal_iteratorINS9_10device_ptrIxEEEESE_PNS0_10empty_typeENS0_5tupleIJSE_SF_EEENSH_IJSE_SG_EEENS0_18inequality_wrapperINS9_8equal_toIxEEEEPmJSF_EEE10hipError_tPvRmT3_T4_T5_T6_T7_T9_mT8_P12ihipStream_tbDpT10_ENKUlT_T0_E_clISt17integral_constantIbLb1EES18_EEDaS13_S14_EUlS13_E_NS1_11comp_targetILNS1_3genE8ELNS1_11target_archE1030ELNS1_3gpuE2ELNS1_3repE0EEENS1_30default_config_static_selectorELNS0_4arch9wavefront6targetE0EEEvT1_,"axG",@progbits,_ZN7rocprim17ROCPRIM_400000_NS6detail17trampoline_kernelINS0_14default_configENS1_25partition_config_selectorILNS1_17partition_subalgoE9ExxbEEZZNS1_14partition_implILS5_9ELb0ES3_jN6thrust23THRUST_200600_302600_NS6detail15normal_iteratorINS9_10device_ptrIxEEEESE_PNS0_10empty_typeENS0_5tupleIJSE_SF_EEENSH_IJSE_SG_EEENS0_18inequality_wrapperINS9_8equal_toIxEEEEPmJSF_EEE10hipError_tPvRmT3_T4_T5_T6_T7_T9_mT8_P12ihipStream_tbDpT10_ENKUlT_T0_E_clISt17integral_constantIbLb1EES18_EEDaS13_S14_EUlS13_E_NS1_11comp_targetILNS1_3genE8ELNS1_11target_archE1030ELNS1_3gpuE2ELNS1_3repE0EEENS1_30default_config_static_selectorELNS0_4arch9wavefront6targetE0EEEvT1_,comdat
.Lfunc_end355:
	.size	_ZN7rocprim17ROCPRIM_400000_NS6detail17trampoline_kernelINS0_14default_configENS1_25partition_config_selectorILNS1_17partition_subalgoE9ExxbEEZZNS1_14partition_implILS5_9ELb0ES3_jN6thrust23THRUST_200600_302600_NS6detail15normal_iteratorINS9_10device_ptrIxEEEESE_PNS0_10empty_typeENS0_5tupleIJSE_SF_EEENSH_IJSE_SG_EEENS0_18inequality_wrapperINS9_8equal_toIxEEEEPmJSF_EEE10hipError_tPvRmT3_T4_T5_T6_T7_T9_mT8_P12ihipStream_tbDpT10_ENKUlT_T0_E_clISt17integral_constantIbLb1EES18_EEDaS13_S14_EUlS13_E_NS1_11comp_targetILNS1_3genE8ELNS1_11target_archE1030ELNS1_3gpuE2ELNS1_3repE0EEENS1_30default_config_static_selectorELNS0_4arch9wavefront6targetE0EEEvT1_, .Lfunc_end355-_ZN7rocprim17ROCPRIM_400000_NS6detail17trampoline_kernelINS0_14default_configENS1_25partition_config_selectorILNS1_17partition_subalgoE9ExxbEEZZNS1_14partition_implILS5_9ELb0ES3_jN6thrust23THRUST_200600_302600_NS6detail15normal_iteratorINS9_10device_ptrIxEEEESE_PNS0_10empty_typeENS0_5tupleIJSE_SF_EEENSH_IJSE_SG_EEENS0_18inequality_wrapperINS9_8equal_toIxEEEEPmJSF_EEE10hipError_tPvRmT3_T4_T5_T6_T7_T9_mT8_P12ihipStream_tbDpT10_ENKUlT_T0_E_clISt17integral_constantIbLb1EES18_EEDaS13_S14_EUlS13_E_NS1_11comp_targetILNS1_3genE8ELNS1_11target_archE1030ELNS1_3gpuE2ELNS1_3repE0EEENS1_30default_config_static_selectorELNS0_4arch9wavefront6targetE0EEEvT1_
                                        ; -- End function
	.section	.AMDGPU.csdata,"",@progbits
; Kernel info:
; codeLenInByte = 0
; NumSgprs: 0
; NumVgprs: 0
; ScratchSize: 0
; MemoryBound: 0
; FloatMode: 240
; IeeeMode: 1
; LDSByteSize: 0 bytes/workgroup (compile time only)
; SGPRBlocks: 0
; VGPRBlocks: 0
; NumSGPRsForWavesPerEU: 1
; NumVGPRsForWavesPerEU: 1
; Occupancy: 16
; WaveLimiterHint : 0
; COMPUTE_PGM_RSRC2:SCRATCH_EN: 0
; COMPUTE_PGM_RSRC2:USER_SGPR: 15
; COMPUTE_PGM_RSRC2:TRAP_HANDLER: 0
; COMPUTE_PGM_RSRC2:TGID_X_EN: 1
; COMPUTE_PGM_RSRC2:TGID_Y_EN: 0
; COMPUTE_PGM_RSRC2:TGID_Z_EN: 0
; COMPUTE_PGM_RSRC2:TIDIG_COMP_CNT: 0
	.section	.text._ZN7rocprim17ROCPRIM_400000_NS6detail17trampoline_kernelINS0_14default_configENS1_25partition_config_selectorILNS1_17partition_subalgoE9ExxbEEZZNS1_14partition_implILS5_9ELb0ES3_jN6thrust23THRUST_200600_302600_NS6detail15normal_iteratorINS9_10device_ptrIxEEEESE_PNS0_10empty_typeENS0_5tupleIJSE_SF_EEENSH_IJSE_SG_EEENS0_18inequality_wrapperINS9_8equal_toIxEEEEPmJSF_EEE10hipError_tPvRmT3_T4_T5_T6_T7_T9_mT8_P12ihipStream_tbDpT10_ENKUlT_T0_E_clISt17integral_constantIbLb1EES17_IbLb0EEEEDaS13_S14_EUlS13_E_NS1_11comp_targetILNS1_3genE0ELNS1_11target_archE4294967295ELNS1_3gpuE0ELNS1_3repE0EEENS1_30default_config_static_selectorELNS0_4arch9wavefront6targetE0EEEvT1_,"axG",@progbits,_ZN7rocprim17ROCPRIM_400000_NS6detail17trampoline_kernelINS0_14default_configENS1_25partition_config_selectorILNS1_17partition_subalgoE9ExxbEEZZNS1_14partition_implILS5_9ELb0ES3_jN6thrust23THRUST_200600_302600_NS6detail15normal_iteratorINS9_10device_ptrIxEEEESE_PNS0_10empty_typeENS0_5tupleIJSE_SF_EEENSH_IJSE_SG_EEENS0_18inequality_wrapperINS9_8equal_toIxEEEEPmJSF_EEE10hipError_tPvRmT3_T4_T5_T6_T7_T9_mT8_P12ihipStream_tbDpT10_ENKUlT_T0_E_clISt17integral_constantIbLb1EES17_IbLb0EEEEDaS13_S14_EUlS13_E_NS1_11comp_targetILNS1_3genE0ELNS1_11target_archE4294967295ELNS1_3gpuE0ELNS1_3repE0EEENS1_30default_config_static_selectorELNS0_4arch9wavefront6targetE0EEEvT1_,comdat
	.protected	_ZN7rocprim17ROCPRIM_400000_NS6detail17trampoline_kernelINS0_14default_configENS1_25partition_config_selectorILNS1_17partition_subalgoE9ExxbEEZZNS1_14partition_implILS5_9ELb0ES3_jN6thrust23THRUST_200600_302600_NS6detail15normal_iteratorINS9_10device_ptrIxEEEESE_PNS0_10empty_typeENS0_5tupleIJSE_SF_EEENSH_IJSE_SG_EEENS0_18inequality_wrapperINS9_8equal_toIxEEEEPmJSF_EEE10hipError_tPvRmT3_T4_T5_T6_T7_T9_mT8_P12ihipStream_tbDpT10_ENKUlT_T0_E_clISt17integral_constantIbLb1EES17_IbLb0EEEEDaS13_S14_EUlS13_E_NS1_11comp_targetILNS1_3genE0ELNS1_11target_archE4294967295ELNS1_3gpuE0ELNS1_3repE0EEENS1_30default_config_static_selectorELNS0_4arch9wavefront6targetE0EEEvT1_ ; -- Begin function _ZN7rocprim17ROCPRIM_400000_NS6detail17trampoline_kernelINS0_14default_configENS1_25partition_config_selectorILNS1_17partition_subalgoE9ExxbEEZZNS1_14partition_implILS5_9ELb0ES3_jN6thrust23THRUST_200600_302600_NS6detail15normal_iteratorINS9_10device_ptrIxEEEESE_PNS0_10empty_typeENS0_5tupleIJSE_SF_EEENSH_IJSE_SG_EEENS0_18inequality_wrapperINS9_8equal_toIxEEEEPmJSF_EEE10hipError_tPvRmT3_T4_T5_T6_T7_T9_mT8_P12ihipStream_tbDpT10_ENKUlT_T0_E_clISt17integral_constantIbLb1EES17_IbLb0EEEEDaS13_S14_EUlS13_E_NS1_11comp_targetILNS1_3genE0ELNS1_11target_archE4294967295ELNS1_3gpuE0ELNS1_3repE0EEENS1_30default_config_static_selectorELNS0_4arch9wavefront6targetE0EEEvT1_
	.globl	_ZN7rocprim17ROCPRIM_400000_NS6detail17trampoline_kernelINS0_14default_configENS1_25partition_config_selectorILNS1_17partition_subalgoE9ExxbEEZZNS1_14partition_implILS5_9ELb0ES3_jN6thrust23THRUST_200600_302600_NS6detail15normal_iteratorINS9_10device_ptrIxEEEESE_PNS0_10empty_typeENS0_5tupleIJSE_SF_EEENSH_IJSE_SG_EEENS0_18inequality_wrapperINS9_8equal_toIxEEEEPmJSF_EEE10hipError_tPvRmT3_T4_T5_T6_T7_T9_mT8_P12ihipStream_tbDpT10_ENKUlT_T0_E_clISt17integral_constantIbLb1EES17_IbLb0EEEEDaS13_S14_EUlS13_E_NS1_11comp_targetILNS1_3genE0ELNS1_11target_archE4294967295ELNS1_3gpuE0ELNS1_3repE0EEENS1_30default_config_static_selectorELNS0_4arch9wavefront6targetE0EEEvT1_
	.p2align	8
	.type	_ZN7rocprim17ROCPRIM_400000_NS6detail17trampoline_kernelINS0_14default_configENS1_25partition_config_selectorILNS1_17partition_subalgoE9ExxbEEZZNS1_14partition_implILS5_9ELb0ES3_jN6thrust23THRUST_200600_302600_NS6detail15normal_iteratorINS9_10device_ptrIxEEEESE_PNS0_10empty_typeENS0_5tupleIJSE_SF_EEENSH_IJSE_SG_EEENS0_18inequality_wrapperINS9_8equal_toIxEEEEPmJSF_EEE10hipError_tPvRmT3_T4_T5_T6_T7_T9_mT8_P12ihipStream_tbDpT10_ENKUlT_T0_E_clISt17integral_constantIbLb1EES17_IbLb0EEEEDaS13_S14_EUlS13_E_NS1_11comp_targetILNS1_3genE0ELNS1_11target_archE4294967295ELNS1_3gpuE0ELNS1_3repE0EEENS1_30default_config_static_selectorELNS0_4arch9wavefront6targetE0EEEvT1_,@function
_ZN7rocprim17ROCPRIM_400000_NS6detail17trampoline_kernelINS0_14default_configENS1_25partition_config_selectorILNS1_17partition_subalgoE9ExxbEEZZNS1_14partition_implILS5_9ELb0ES3_jN6thrust23THRUST_200600_302600_NS6detail15normal_iteratorINS9_10device_ptrIxEEEESE_PNS0_10empty_typeENS0_5tupleIJSE_SF_EEENSH_IJSE_SG_EEENS0_18inequality_wrapperINS9_8equal_toIxEEEEPmJSF_EEE10hipError_tPvRmT3_T4_T5_T6_T7_T9_mT8_P12ihipStream_tbDpT10_ENKUlT_T0_E_clISt17integral_constantIbLb1EES17_IbLb0EEEEDaS13_S14_EUlS13_E_NS1_11comp_targetILNS1_3genE0ELNS1_11target_archE4294967295ELNS1_3gpuE0ELNS1_3repE0EEENS1_30default_config_static_selectorELNS0_4arch9wavefront6targetE0EEEvT1_: ; @_ZN7rocprim17ROCPRIM_400000_NS6detail17trampoline_kernelINS0_14default_configENS1_25partition_config_selectorILNS1_17partition_subalgoE9ExxbEEZZNS1_14partition_implILS5_9ELb0ES3_jN6thrust23THRUST_200600_302600_NS6detail15normal_iteratorINS9_10device_ptrIxEEEESE_PNS0_10empty_typeENS0_5tupleIJSE_SF_EEENSH_IJSE_SG_EEENS0_18inequality_wrapperINS9_8equal_toIxEEEEPmJSF_EEE10hipError_tPvRmT3_T4_T5_T6_T7_T9_mT8_P12ihipStream_tbDpT10_ENKUlT_T0_E_clISt17integral_constantIbLb1EES17_IbLb0EEEEDaS13_S14_EUlS13_E_NS1_11comp_targetILNS1_3genE0ELNS1_11target_archE4294967295ELNS1_3gpuE0ELNS1_3repE0EEENS1_30default_config_static_selectorELNS0_4arch9wavefront6targetE0EEEvT1_
; %bb.0:
	.section	.rodata,"a",@progbits
	.p2align	6, 0x0
	.amdhsa_kernel _ZN7rocprim17ROCPRIM_400000_NS6detail17trampoline_kernelINS0_14default_configENS1_25partition_config_selectorILNS1_17partition_subalgoE9ExxbEEZZNS1_14partition_implILS5_9ELb0ES3_jN6thrust23THRUST_200600_302600_NS6detail15normal_iteratorINS9_10device_ptrIxEEEESE_PNS0_10empty_typeENS0_5tupleIJSE_SF_EEENSH_IJSE_SG_EEENS0_18inequality_wrapperINS9_8equal_toIxEEEEPmJSF_EEE10hipError_tPvRmT3_T4_T5_T6_T7_T9_mT8_P12ihipStream_tbDpT10_ENKUlT_T0_E_clISt17integral_constantIbLb1EES17_IbLb0EEEEDaS13_S14_EUlS13_E_NS1_11comp_targetILNS1_3genE0ELNS1_11target_archE4294967295ELNS1_3gpuE0ELNS1_3repE0EEENS1_30default_config_static_selectorELNS0_4arch9wavefront6targetE0EEEvT1_
		.amdhsa_group_segment_fixed_size 0
		.amdhsa_private_segment_fixed_size 0
		.amdhsa_kernarg_size 112
		.amdhsa_user_sgpr_count 15
		.amdhsa_user_sgpr_dispatch_ptr 0
		.amdhsa_user_sgpr_queue_ptr 0
		.amdhsa_user_sgpr_kernarg_segment_ptr 1
		.amdhsa_user_sgpr_dispatch_id 0
		.amdhsa_user_sgpr_private_segment_size 0
		.amdhsa_wavefront_size32 1
		.amdhsa_uses_dynamic_stack 0
		.amdhsa_enable_private_segment 0
		.amdhsa_system_sgpr_workgroup_id_x 1
		.amdhsa_system_sgpr_workgroup_id_y 0
		.amdhsa_system_sgpr_workgroup_id_z 0
		.amdhsa_system_sgpr_workgroup_info 0
		.amdhsa_system_vgpr_workitem_id 0
		.amdhsa_next_free_vgpr 1
		.amdhsa_next_free_sgpr 1
		.amdhsa_reserve_vcc 0
		.amdhsa_float_round_mode_32 0
		.amdhsa_float_round_mode_16_64 0
		.amdhsa_float_denorm_mode_32 3
		.amdhsa_float_denorm_mode_16_64 3
		.amdhsa_dx10_clamp 1
		.amdhsa_ieee_mode 1
		.amdhsa_fp16_overflow 0
		.amdhsa_workgroup_processor_mode 1
		.amdhsa_memory_ordered 1
		.amdhsa_forward_progress 0
		.amdhsa_shared_vgpr_count 0
		.amdhsa_exception_fp_ieee_invalid_op 0
		.amdhsa_exception_fp_denorm_src 0
		.amdhsa_exception_fp_ieee_div_zero 0
		.amdhsa_exception_fp_ieee_overflow 0
		.amdhsa_exception_fp_ieee_underflow 0
		.amdhsa_exception_fp_ieee_inexact 0
		.amdhsa_exception_int_div_zero 0
	.end_amdhsa_kernel
	.section	.text._ZN7rocprim17ROCPRIM_400000_NS6detail17trampoline_kernelINS0_14default_configENS1_25partition_config_selectorILNS1_17partition_subalgoE9ExxbEEZZNS1_14partition_implILS5_9ELb0ES3_jN6thrust23THRUST_200600_302600_NS6detail15normal_iteratorINS9_10device_ptrIxEEEESE_PNS0_10empty_typeENS0_5tupleIJSE_SF_EEENSH_IJSE_SG_EEENS0_18inequality_wrapperINS9_8equal_toIxEEEEPmJSF_EEE10hipError_tPvRmT3_T4_T5_T6_T7_T9_mT8_P12ihipStream_tbDpT10_ENKUlT_T0_E_clISt17integral_constantIbLb1EES17_IbLb0EEEEDaS13_S14_EUlS13_E_NS1_11comp_targetILNS1_3genE0ELNS1_11target_archE4294967295ELNS1_3gpuE0ELNS1_3repE0EEENS1_30default_config_static_selectorELNS0_4arch9wavefront6targetE0EEEvT1_,"axG",@progbits,_ZN7rocprim17ROCPRIM_400000_NS6detail17trampoline_kernelINS0_14default_configENS1_25partition_config_selectorILNS1_17partition_subalgoE9ExxbEEZZNS1_14partition_implILS5_9ELb0ES3_jN6thrust23THRUST_200600_302600_NS6detail15normal_iteratorINS9_10device_ptrIxEEEESE_PNS0_10empty_typeENS0_5tupleIJSE_SF_EEENSH_IJSE_SG_EEENS0_18inequality_wrapperINS9_8equal_toIxEEEEPmJSF_EEE10hipError_tPvRmT3_T4_T5_T6_T7_T9_mT8_P12ihipStream_tbDpT10_ENKUlT_T0_E_clISt17integral_constantIbLb1EES17_IbLb0EEEEDaS13_S14_EUlS13_E_NS1_11comp_targetILNS1_3genE0ELNS1_11target_archE4294967295ELNS1_3gpuE0ELNS1_3repE0EEENS1_30default_config_static_selectorELNS0_4arch9wavefront6targetE0EEEvT1_,comdat
.Lfunc_end356:
	.size	_ZN7rocprim17ROCPRIM_400000_NS6detail17trampoline_kernelINS0_14default_configENS1_25partition_config_selectorILNS1_17partition_subalgoE9ExxbEEZZNS1_14partition_implILS5_9ELb0ES3_jN6thrust23THRUST_200600_302600_NS6detail15normal_iteratorINS9_10device_ptrIxEEEESE_PNS0_10empty_typeENS0_5tupleIJSE_SF_EEENSH_IJSE_SG_EEENS0_18inequality_wrapperINS9_8equal_toIxEEEEPmJSF_EEE10hipError_tPvRmT3_T4_T5_T6_T7_T9_mT8_P12ihipStream_tbDpT10_ENKUlT_T0_E_clISt17integral_constantIbLb1EES17_IbLb0EEEEDaS13_S14_EUlS13_E_NS1_11comp_targetILNS1_3genE0ELNS1_11target_archE4294967295ELNS1_3gpuE0ELNS1_3repE0EEENS1_30default_config_static_selectorELNS0_4arch9wavefront6targetE0EEEvT1_, .Lfunc_end356-_ZN7rocprim17ROCPRIM_400000_NS6detail17trampoline_kernelINS0_14default_configENS1_25partition_config_selectorILNS1_17partition_subalgoE9ExxbEEZZNS1_14partition_implILS5_9ELb0ES3_jN6thrust23THRUST_200600_302600_NS6detail15normal_iteratorINS9_10device_ptrIxEEEESE_PNS0_10empty_typeENS0_5tupleIJSE_SF_EEENSH_IJSE_SG_EEENS0_18inequality_wrapperINS9_8equal_toIxEEEEPmJSF_EEE10hipError_tPvRmT3_T4_T5_T6_T7_T9_mT8_P12ihipStream_tbDpT10_ENKUlT_T0_E_clISt17integral_constantIbLb1EES17_IbLb0EEEEDaS13_S14_EUlS13_E_NS1_11comp_targetILNS1_3genE0ELNS1_11target_archE4294967295ELNS1_3gpuE0ELNS1_3repE0EEENS1_30default_config_static_selectorELNS0_4arch9wavefront6targetE0EEEvT1_
                                        ; -- End function
	.section	.AMDGPU.csdata,"",@progbits
; Kernel info:
; codeLenInByte = 0
; NumSgprs: 0
; NumVgprs: 0
; ScratchSize: 0
; MemoryBound: 0
; FloatMode: 240
; IeeeMode: 1
; LDSByteSize: 0 bytes/workgroup (compile time only)
; SGPRBlocks: 0
; VGPRBlocks: 0
; NumSGPRsForWavesPerEU: 1
; NumVGPRsForWavesPerEU: 1
; Occupancy: 16
; WaveLimiterHint : 0
; COMPUTE_PGM_RSRC2:SCRATCH_EN: 0
; COMPUTE_PGM_RSRC2:USER_SGPR: 15
; COMPUTE_PGM_RSRC2:TRAP_HANDLER: 0
; COMPUTE_PGM_RSRC2:TGID_X_EN: 1
; COMPUTE_PGM_RSRC2:TGID_Y_EN: 0
; COMPUTE_PGM_RSRC2:TGID_Z_EN: 0
; COMPUTE_PGM_RSRC2:TIDIG_COMP_CNT: 0
	.section	.text._ZN7rocprim17ROCPRIM_400000_NS6detail17trampoline_kernelINS0_14default_configENS1_25partition_config_selectorILNS1_17partition_subalgoE9ExxbEEZZNS1_14partition_implILS5_9ELb0ES3_jN6thrust23THRUST_200600_302600_NS6detail15normal_iteratorINS9_10device_ptrIxEEEESE_PNS0_10empty_typeENS0_5tupleIJSE_SF_EEENSH_IJSE_SG_EEENS0_18inequality_wrapperINS9_8equal_toIxEEEEPmJSF_EEE10hipError_tPvRmT3_T4_T5_T6_T7_T9_mT8_P12ihipStream_tbDpT10_ENKUlT_T0_E_clISt17integral_constantIbLb1EES17_IbLb0EEEEDaS13_S14_EUlS13_E_NS1_11comp_targetILNS1_3genE5ELNS1_11target_archE942ELNS1_3gpuE9ELNS1_3repE0EEENS1_30default_config_static_selectorELNS0_4arch9wavefront6targetE0EEEvT1_,"axG",@progbits,_ZN7rocprim17ROCPRIM_400000_NS6detail17trampoline_kernelINS0_14default_configENS1_25partition_config_selectorILNS1_17partition_subalgoE9ExxbEEZZNS1_14partition_implILS5_9ELb0ES3_jN6thrust23THRUST_200600_302600_NS6detail15normal_iteratorINS9_10device_ptrIxEEEESE_PNS0_10empty_typeENS0_5tupleIJSE_SF_EEENSH_IJSE_SG_EEENS0_18inequality_wrapperINS9_8equal_toIxEEEEPmJSF_EEE10hipError_tPvRmT3_T4_T5_T6_T7_T9_mT8_P12ihipStream_tbDpT10_ENKUlT_T0_E_clISt17integral_constantIbLb1EES17_IbLb0EEEEDaS13_S14_EUlS13_E_NS1_11comp_targetILNS1_3genE5ELNS1_11target_archE942ELNS1_3gpuE9ELNS1_3repE0EEENS1_30default_config_static_selectorELNS0_4arch9wavefront6targetE0EEEvT1_,comdat
	.protected	_ZN7rocprim17ROCPRIM_400000_NS6detail17trampoline_kernelINS0_14default_configENS1_25partition_config_selectorILNS1_17partition_subalgoE9ExxbEEZZNS1_14partition_implILS5_9ELb0ES3_jN6thrust23THRUST_200600_302600_NS6detail15normal_iteratorINS9_10device_ptrIxEEEESE_PNS0_10empty_typeENS0_5tupleIJSE_SF_EEENSH_IJSE_SG_EEENS0_18inequality_wrapperINS9_8equal_toIxEEEEPmJSF_EEE10hipError_tPvRmT3_T4_T5_T6_T7_T9_mT8_P12ihipStream_tbDpT10_ENKUlT_T0_E_clISt17integral_constantIbLb1EES17_IbLb0EEEEDaS13_S14_EUlS13_E_NS1_11comp_targetILNS1_3genE5ELNS1_11target_archE942ELNS1_3gpuE9ELNS1_3repE0EEENS1_30default_config_static_selectorELNS0_4arch9wavefront6targetE0EEEvT1_ ; -- Begin function _ZN7rocprim17ROCPRIM_400000_NS6detail17trampoline_kernelINS0_14default_configENS1_25partition_config_selectorILNS1_17partition_subalgoE9ExxbEEZZNS1_14partition_implILS5_9ELb0ES3_jN6thrust23THRUST_200600_302600_NS6detail15normal_iteratorINS9_10device_ptrIxEEEESE_PNS0_10empty_typeENS0_5tupleIJSE_SF_EEENSH_IJSE_SG_EEENS0_18inequality_wrapperINS9_8equal_toIxEEEEPmJSF_EEE10hipError_tPvRmT3_T4_T5_T6_T7_T9_mT8_P12ihipStream_tbDpT10_ENKUlT_T0_E_clISt17integral_constantIbLb1EES17_IbLb0EEEEDaS13_S14_EUlS13_E_NS1_11comp_targetILNS1_3genE5ELNS1_11target_archE942ELNS1_3gpuE9ELNS1_3repE0EEENS1_30default_config_static_selectorELNS0_4arch9wavefront6targetE0EEEvT1_
	.globl	_ZN7rocprim17ROCPRIM_400000_NS6detail17trampoline_kernelINS0_14default_configENS1_25partition_config_selectorILNS1_17partition_subalgoE9ExxbEEZZNS1_14partition_implILS5_9ELb0ES3_jN6thrust23THRUST_200600_302600_NS6detail15normal_iteratorINS9_10device_ptrIxEEEESE_PNS0_10empty_typeENS0_5tupleIJSE_SF_EEENSH_IJSE_SG_EEENS0_18inequality_wrapperINS9_8equal_toIxEEEEPmJSF_EEE10hipError_tPvRmT3_T4_T5_T6_T7_T9_mT8_P12ihipStream_tbDpT10_ENKUlT_T0_E_clISt17integral_constantIbLb1EES17_IbLb0EEEEDaS13_S14_EUlS13_E_NS1_11comp_targetILNS1_3genE5ELNS1_11target_archE942ELNS1_3gpuE9ELNS1_3repE0EEENS1_30default_config_static_selectorELNS0_4arch9wavefront6targetE0EEEvT1_
	.p2align	8
	.type	_ZN7rocprim17ROCPRIM_400000_NS6detail17trampoline_kernelINS0_14default_configENS1_25partition_config_selectorILNS1_17partition_subalgoE9ExxbEEZZNS1_14partition_implILS5_9ELb0ES3_jN6thrust23THRUST_200600_302600_NS6detail15normal_iteratorINS9_10device_ptrIxEEEESE_PNS0_10empty_typeENS0_5tupleIJSE_SF_EEENSH_IJSE_SG_EEENS0_18inequality_wrapperINS9_8equal_toIxEEEEPmJSF_EEE10hipError_tPvRmT3_T4_T5_T6_T7_T9_mT8_P12ihipStream_tbDpT10_ENKUlT_T0_E_clISt17integral_constantIbLb1EES17_IbLb0EEEEDaS13_S14_EUlS13_E_NS1_11comp_targetILNS1_3genE5ELNS1_11target_archE942ELNS1_3gpuE9ELNS1_3repE0EEENS1_30default_config_static_selectorELNS0_4arch9wavefront6targetE0EEEvT1_,@function
_ZN7rocprim17ROCPRIM_400000_NS6detail17trampoline_kernelINS0_14default_configENS1_25partition_config_selectorILNS1_17partition_subalgoE9ExxbEEZZNS1_14partition_implILS5_9ELb0ES3_jN6thrust23THRUST_200600_302600_NS6detail15normal_iteratorINS9_10device_ptrIxEEEESE_PNS0_10empty_typeENS0_5tupleIJSE_SF_EEENSH_IJSE_SG_EEENS0_18inequality_wrapperINS9_8equal_toIxEEEEPmJSF_EEE10hipError_tPvRmT3_T4_T5_T6_T7_T9_mT8_P12ihipStream_tbDpT10_ENKUlT_T0_E_clISt17integral_constantIbLb1EES17_IbLb0EEEEDaS13_S14_EUlS13_E_NS1_11comp_targetILNS1_3genE5ELNS1_11target_archE942ELNS1_3gpuE9ELNS1_3repE0EEENS1_30default_config_static_selectorELNS0_4arch9wavefront6targetE0EEEvT1_: ; @_ZN7rocprim17ROCPRIM_400000_NS6detail17trampoline_kernelINS0_14default_configENS1_25partition_config_selectorILNS1_17partition_subalgoE9ExxbEEZZNS1_14partition_implILS5_9ELb0ES3_jN6thrust23THRUST_200600_302600_NS6detail15normal_iteratorINS9_10device_ptrIxEEEESE_PNS0_10empty_typeENS0_5tupleIJSE_SF_EEENSH_IJSE_SG_EEENS0_18inequality_wrapperINS9_8equal_toIxEEEEPmJSF_EEE10hipError_tPvRmT3_T4_T5_T6_T7_T9_mT8_P12ihipStream_tbDpT10_ENKUlT_T0_E_clISt17integral_constantIbLb1EES17_IbLb0EEEEDaS13_S14_EUlS13_E_NS1_11comp_targetILNS1_3genE5ELNS1_11target_archE942ELNS1_3gpuE9ELNS1_3repE0EEENS1_30default_config_static_selectorELNS0_4arch9wavefront6targetE0EEEvT1_
; %bb.0:
	.section	.rodata,"a",@progbits
	.p2align	6, 0x0
	.amdhsa_kernel _ZN7rocprim17ROCPRIM_400000_NS6detail17trampoline_kernelINS0_14default_configENS1_25partition_config_selectorILNS1_17partition_subalgoE9ExxbEEZZNS1_14partition_implILS5_9ELb0ES3_jN6thrust23THRUST_200600_302600_NS6detail15normal_iteratorINS9_10device_ptrIxEEEESE_PNS0_10empty_typeENS0_5tupleIJSE_SF_EEENSH_IJSE_SG_EEENS0_18inequality_wrapperINS9_8equal_toIxEEEEPmJSF_EEE10hipError_tPvRmT3_T4_T5_T6_T7_T9_mT8_P12ihipStream_tbDpT10_ENKUlT_T0_E_clISt17integral_constantIbLb1EES17_IbLb0EEEEDaS13_S14_EUlS13_E_NS1_11comp_targetILNS1_3genE5ELNS1_11target_archE942ELNS1_3gpuE9ELNS1_3repE0EEENS1_30default_config_static_selectorELNS0_4arch9wavefront6targetE0EEEvT1_
		.amdhsa_group_segment_fixed_size 0
		.amdhsa_private_segment_fixed_size 0
		.amdhsa_kernarg_size 112
		.amdhsa_user_sgpr_count 15
		.amdhsa_user_sgpr_dispatch_ptr 0
		.amdhsa_user_sgpr_queue_ptr 0
		.amdhsa_user_sgpr_kernarg_segment_ptr 1
		.amdhsa_user_sgpr_dispatch_id 0
		.amdhsa_user_sgpr_private_segment_size 0
		.amdhsa_wavefront_size32 1
		.amdhsa_uses_dynamic_stack 0
		.amdhsa_enable_private_segment 0
		.amdhsa_system_sgpr_workgroup_id_x 1
		.amdhsa_system_sgpr_workgroup_id_y 0
		.amdhsa_system_sgpr_workgroup_id_z 0
		.amdhsa_system_sgpr_workgroup_info 0
		.amdhsa_system_vgpr_workitem_id 0
		.amdhsa_next_free_vgpr 1
		.amdhsa_next_free_sgpr 1
		.amdhsa_reserve_vcc 0
		.amdhsa_float_round_mode_32 0
		.amdhsa_float_round_mode_16_64 0
		.amdhsa_float_denorm_mode_32 3
		.amdhsa_float_denorm_mode_16_64 3
		.amdhsa_dx10_clamp 1
		.amdhsa_ieee_mode 1
		.amdhsa_fp16_overflow 0
		.amdhsa_workgroup_processor_mode 1
		.amdhsa_memory_ordered 1
		.amdhsa_forward_progress 0
		.amdhsa_shared_vgpr_count 0
		.amdhsa_exception_fp_ieee_invalid_op 0
		.amdhsa_exception_fp_denorm_src 0
		.amdhsa_exception_fp_ieee_div_zero 0
		.amdhsa_exception_fp_ieee_overflow 0
		.amdhsa_exception_fp_ieee_underflow 0
		.amdhsa_exception_fp_ieee_inexact 0
		.amdhsa_exception_int_div_zero 0
	.end_amdhsa_kernel
	.section	.text._ZN7rocprim17ROCPRIM_400000_NS6detail17trampoline_kernelINS0_14default_configENS1_25partition_config_selectorILNS1_17partition_subalgoE9ExxbEEZZNS1_14partition_implILS5_9ELb0ES3_jN6thrust23THRUST_200600_302600_NS6detail15normal_iteratorINS9_10device_ptrIxEEEESE_PNS0_10empty_typeENS0_5tupleIJSE_SF_EEENSH_IJSE_SG_EEENS0_18inequality_wrapperINS9_8equal_toIxEEEEPmJSF_EEE10hipError_tPvRmT3_T4_T5_T6_T7_T9_mT8_P12ihipStream_tbDpT10_ENKUlT_T0_E_clISt17integral_constantIbLb1EES17_IbLb0EEEEDaS13_S14_EUlS13_E_NS1_11comp_targetILNS1_3genE5ELNS1_11target_archE942ELNS1_3gpuE9ELNS1_3repE0EEENS1_30default_config_static_selectorELNS0_4arch9wavefront6targetE0EEEvT1_,"axG",@progbits,_ZN7rocprim17ROCPRIM_400000_NS6detail17trampoline_kernelINS0_14default_configENS1_25partition_config_selectorILNS1_17partition_subalgoE9ExxbEEZZNS1_14partition_implILS5_9ELb0ES3_jN6thrust23THRUST_200600_302600_NS6detail15normal_iteratorINS9_10device_ptrIxEEEESE_PNS0_10empty_typeENS0_5tupleIJSE_SF_EEENSH_IJSE_SG_EEENS0_18inequality_wrapperINS9_8equal_toIxEEEEPmJSF_EEE10hipError_tPvRmT3_T4_T5_T6_T7_T9_mT8_P12ihipStream_tbDpT10_ENKUlT_T0_E_clISt17integral_constantIbLb1EES17_IbLb0EEEEDaS13_S14_EUlS13_E_NS1_11comp_targetILNS1_3genE5ELNS1_11target_archE942ELNS1_3gpuE9ELNS1_3repE0EEENS1_30default_config_static_selectorELNS0_4arch9wavefront6targetE0EEEvT1_,comdat
.Lfunc_end357:
	.size	_ZN7rocprim17ROCPRIM_400000_NS6detail17trampoline_kernelINS0_14default_configENS1_25partition_config_selectorILNS1_17partition_subalgoE9ExxbEEZZNS1_14partition_implILS5_9ELb0ES3_jN6thrust23THRUST_200600_302600_NS6detail15normal_iteratorINS9_10device_ptrIxEEEESE_PNS0_10empty_typeENS0_5tupleIJSE_SF_EEENSH_IJSE_SG_EEENS0_18inequality_wrapperINS9_8equal_toIxEEEEPmJSF_EEE10hipError_tPvRmT3_T4_T5_T6_T7_T9_mT8_P12ihipStream_tbDpT10_ENKUlT_T0_E_clISt17integral_constantIbLb1EES17_IbLb0EEEEDaS13_S14_EUlS13_E_NS1_11comp_targetILNS1_3genE5ELNS1_11target_archE942ELNS1_3gpuE9ELNS1_3repE0EEENS1_30default_config_static_selectorELNS0_4arch9wavefront6targetE0EEEvT1_, .Lfunc_end357-_ZN7rocprim17ROCPRIM_400000_NS6detail17trampoline_kernelINS0_14default_configENS1_25partition_config_selectorILNS1_17partition_subalgoE9ExxbEEZZNS1_14partition_implILS5_9ELb0ES3_jN6thrust23THRUST_200600_302600_NS6detail15normal_iteratorINS9_10device_ptrIxEEEESE_PNS0_10empty_typeENS0_5tupleIJSE_SF_EEENSH_IJSE_SG_EEENS0_18inequality_wrapperINS9_8equal_toIxEEEEPmJSF_EEE10hipError_tPvRmT3_T4_T5_T6_T7_T9_mT8_P12ihipStream_tbDpT10_ENKUlT_T0_E_clISt17integral_constantIbLb1EES17_IbLb0EEEEDaS13_S14_EUlS13_E_NS1_11comp_targetILNS1_3genE5ELNS1_11target_archE942ELNS1_3gpuE9ELNS1_3repE0EEENS1_30default_config_static_selectorELNS0_4arch9wavefront6targetE0EEEvT1_
                                        ; -- End function
	.section	.AMDGPU.csdata,"",@progbits
; Kernel info:
; codeLenInByte = 0
; NumSgprs: 0
; NumVgprs: 0
; ScratchSize: 0
; MemoryBound: 0
; FloatMode: 240
; IeeeMode: 1
; LDSByteSize: 0 bytes/workgroup (compile time only)
; SGPRBlocks: 0
; VGPRBlocks: 0
; NumSGPRsForWavesPerEU: 1
; NumVGPRsForWavesPerEU: 1
; Occupancy: 16
; WaveLimiterHint : 0
; COMPUTE_PGM_RSRC2:SCRATCH_EN: 0
; COMPUTE_PGM_RSRC2:USER_SGPR: 15
; COMPUTE_PGM_RSRC2:TRAP_HANDLER: 0
; COMPUTE_PGM_RSRC2:TGID_X_EN: 1
; COMPUTE_PGM_RSRC2:TGID_Y_EN: 0
; COMPUTE_PGM_RSRC2:TGID_Z_EN: 0
; COMPUTE_PGM_RSRC2:TIDIG_COMP_CNT: 0
	.section	.text._ZN7rocprim17ROCPRIM_400000_NS6detail17trampoline_kernelINS0_14default_configENS1_25partition_config_selectorILNS1_17partition_subalgoE9ExxbEEZZNS1_14partition_implILS5_9ELb0ES3_jN6thrust23THRUST_200600_302600_NS6detail15normal_iteratorINS9_10device_ptrIxEEEESE_PNS0_10empty_typeENS0_5tupleIJSE_SF_EEENSH_IJSE_SG_EEENS0_18inequality_wrapperINS9_8equal_toIxEEEEPmJSF_EEE10hipError_tPvRmT3_T4_T5_T6_T7_T9_mT8_P12ihipStream_tbDpT10_ENKUlT_T0_E_clISt17integral_constantIbLb1EES17_IbLb0EEEEDaS13_S14_EUlS13_E_NS1_11comp_targetILNS1_3genE4ELNS1_11target_archE910ELNS1_3gpuE8ELNS1_3repE0EEENS1_30default_config_static_selectorELNS0_4arch9wavefront6targetE0EEEvT1_,"axG",@progbits,_ZN7rocprim17ROCPRIM_400000_NS6detail17trampoline_kernelINS0_14default_configENS1_25partition_config_selectorILNS1_17partition_subalgoE9ExxbEEZZNS1_14partition_implILS5_9ELb0ES3_jN6thrust23THRUST_200600_302600_NS6detail15normal_iteratorINS9_10device_ptrIxEEEESE_PNS0_10empty_typeENS0_5tupleIJSE_SF_EEENSH_IJSE_SG_EEENS0_18inequality_wrapperINS9_8equal_toIxEEEEPmJSF_EEE10hipError_tPvRmT3_T4_T5_T6_T7_T9_mT8_P12ihipStream_tbDpT10_ENKUlT_T0_E_clISt17integral_constantIbLb1EES17_IbLb0EEEEDaS13_S14_EUlS13_E_NS1_11comp_targetILNS1_3genE4ELNS1_11target_archE910ELNS1_3gpuE8ELNS1_3repE0EEENS1_30default_config_static_selectorELNS0_4arch9wavefront6targetE0EEEvT1_,comdat
	.protected	_ZN7rocprim17ROCPRIM_400000_NS6detail17trampoline_kernelINS0_14default_configENS1_25partition_config_selectorILNS1_17partition_subalgoE9ExxbEEZZNS1_14partition_implILS5_9ELb0ES3_jN6thrust23THRUST_200600_302600_NS6detail15normal_iteratorINS9_10device_ptrIxEEEESE_PNS0_10empty_typeENS0_5tupleIJSE_SF_EEENSH_IJSE_SG_EEENS0_18inequality_wrapperINS9_8equal_toIxEEEEPmJSF_EEE10hipError_tPvRmT3_T4_T5_T6_T7_T9_mT8_P12ihipStream_tbDpT10_ENKUlT_T0_E_clISt17integral_constantIbLb1EES17_IbLb0EEEEDaS13_S14_EUlS13_E_NS1_11comp_targetILNS1_3genE4ELNS1_11target_archE910ELNS1_3gpuE8ELNS1_3repE0EEENS1_30default_config_static_selectorELNS0_4arch9wavefront6targetE0EEEvT1_ ; -- Begin function _ZN7rocprim17ROCPRIM_400000_NS6detail17trampoline_kernelINS0_14default_configENS1_25partition_config_selectorILNS1_17partition_subalgoE9ExxbEEZZNS1_14partition_implILS5_9ELb0ES3_jN6thrust23THRUST_200600_302600_NS6detail15normal_iteratorINS9_10device_ptrIxEEEESE_PNS0_10empty_typeENS0_5tupleIJSE_SF_EEENSH_IJSE_SG_EEENS0_18inequality_wrapperINS9_8equal_toIxEEEEPmJSF_EEE10hipError_tPvRmT3_T4_T5_T6_T7_T9_mT8_P12ihipStream_tbDpT10_ENKUlT_T0_E_clISt17integral_constantIbLb1EES17_IbLb0EEEEDaS13_S14_EUlS13_E_NS1_11comp_targetILNS1_3genE4ELNS1_11target_archE910ELNS1_3gpuE8ELNS1_3repE0EEENS1_30default_config_static_selectorELNS0_4arch9wavefront6targetE0EEEvT1_
	.globl	_ZN7rocprim17ROCPRIM_400000_NS6detail17trampoline_kernelINS0_14default_configENS1_25partition_config_selectorILNS1_17partition_subalgoE9ExxbEEZZNS1_14partition_implILS5_9ELb0ES3_jN6thrust23THRUST_200600_302600_NS6detail15normal_iteratorINS9_10device_ptrIxEEEESE_PNS0_10empty_typeENS0_5tupleIJSE_SF_EEENSH_IJSE_SG_EEENS0_18inequality_wrapperINS9_8equal_toIxEEEEPmJSF_EEE10hipError_tPvRmT3_T4_T5_T6_T7_T9_mT8_P12ihipStream_tbDpT10_ENKUlT_T0_E_clISt17integral_constantIbLb1EES17_IbLb0EEEEDaS13_S14_EUlS13_E_NS1_11comp_targetILNS1_3genE4ELNS1_11target_archE910ELNS1_3gpuE8ELNS1_3repE0EEENS1_30default_config_static_selectorELNS0_4arch9wavefront6targetE0EEEvT1_
	.p2align	8
	.type	_ZN7rocprim17ROCPRIM_400000_NS6detail17trampoline_kernelINS0_14default_configENS1_25partition_config_selectorILNS1_17partition_subalgoE9ExxbEEZZNS1_14partition_implILS5_9ELb0ES3_jN6thrust23THRUST_200600_302600_NS6detail15normal_iteratorINS9_10device_ptrIxEEEESE_PNS0_10empty_typeENS0_5tupleIJSE_SF_EEENSH_IJSE_SG_EEENS0_18inequality_wrapperINS9_8equal_toIxEEEEPmJSF_EEE10hipError_tPvRmT3_T4_T5_T6_T7_T9_mT8_P12ihipStream_tbDpT10_ENKUlT_T0_E_clISt17integral_constantIbLb1EES17_IbLb0EEEEDaS13_S14_EUlS13_E_NS1_11comp_targetILNS1_3genE4ELNS1_11target_archE910ELNS1_3gpuE8ELNS1_3repE0EEENS1_30default_config_static_selectorELNS0_4arch9wavefront6targetE0EEEvT1_,@function
_ZN7rocprim17ROCPRIM_400000_NS6detail17trampoline_kernelINS0_14default_configENS1_25partition_config_selectorILNS1_17partition_subalgoE9ExxbEEZZNS1_14partition_implILS5_9ELb0ES3_jN6thrust23THRUST_200600_302600_NS6detail15normal_iteratorINS9_10device_ptrIxEEEESE_PNS0_10empty_typeENS0_5tupleIJSE_SF_EEENSH_IJSE_SG_EEENS0_18inequality_wrapperINS9_8equal_toIxEEEEPmJSF_EEE10hipError_tPvRmT3_T4_T5_T6_T7_T9_mT8_P12ihipStream_tbDpT10_ENKUlT_T0_E_clISt17integral_constantIbLb1EES17_IbLb0EEEEDaS13_S14_EUlS13_E_NS1_11comp_targetILNS1_3genE4ELNS1_11target_archE910ELNS1_3gpuE8ELNS1_3repE0EEENS1_30default_config_static_selectorELNS0_4arch9wavefront6targetE0EEEvT1_: ; @_ZN7rocprim17ROCPRIM_400000_NS6detail17trampoline_kernelINS0_14default_configENS1_25partition_config_selectorILNS1_17partition_subalgoE9ExxbEEZZNS1_14partition_implILS5_9ELb0ES3_jN6thrust23THRUST_200600_302600_NS6detail15normal_iteratorINS9_10device_ptrIxEEEESE_PNS0_10empty_typeENS0_5tupleIJSE_SF_EEENSH_IJSE_SG_EEENS0_18inequality_wrapperINS9_8equal_toIxEEEEPmJSF_EEE10hipError_tPvRmT3_T4_T5_T6_T7_T9_mT8_P12ihipStream_tbDpT10_ENKUlT_T0_E_clISt17integral_constantIbLb1EES17_IbLb0EEEEDaS13_S14_EUlS13_E_NS1_11comp_targetILNS1_3genE4ELNS1_11target_archE910ELNS1_3gpuE8ELNS1_3repE0EEENS1_30default_config_static_selectorELNS0_4arch9wavefront6targetE0EEEvT1_
; %bb.0:
	.section	.rodata,"a",@progbits
	.p2align	6, 0x0
	.amdhsa_kernel _ZN7rocprim17ROCPRIM_400000_NS6detail17trampoline_kernelINS0_14default_configENS1_25partition_config_selectorILNS1_17partition_subalgoE9ExxbEEZZNS1_14partition_implILS5_9ELb0ES3_jN6thrust23THRUST_200600_302600_NS6detail15normal_iteratorINS9_10device_ptrIxEEEESE_PNS0_10empty_typeENS0_5tupleIJSE_SF_EEENSH_IJSE_SG_EEENS0_18inequality_wrapperINS9_8equal_toIxEEEEPmJSF_EEE10hipError_tPvRmT3_T4_T5_T6_T7_T9_mT8_P12ihipStream_tbDpT10_ENKUlT_T0_E_clISt17integral_constantIbLb1EES17_IbLb0EEEEDaS13_S14_EUlS13_E_NS1_11comp_targetILNS1_3genE4ELNS1_11target_archE910ELNS1_3gpuE8ELNS1_3repE0EEENS1_30default_config_static_selectorELNS0_4arch9wavefront6targetE0EEEvT1_
		.amdhsa_group_segment_fixed_size 0
		.amdhsa_private_segment_fixed_size 0
		.amdhsa_kernarg_size 112
		.amdhsa_user_sgpr_count 15
		.amdhsa_user_sgpr_dispatch_ptr 0
		.amdhsa_user_sgpr_queue_ptr 0
		.amdhsa_user_sgpr_kernarg_segment_ptr 1
		.amdhsa_user_sgpr_dispatch_id 0
		.amdhsa_user_sgpr_private_segment_size 0
		.amdhsa_wavefront_size32 1
		.amdhsa_uses_dynamic_stack 0
		.amdhsa_enable_private_segment 0
		.amdhsa_system_sgpr_workgroup_id_x 1
		.amdhsa_system_sgpr_workgroup_id_y 0
		.amdhsa_system_sgpr_workgroup_id_z 0
		.amdhsa_system_sgpr_workgroup_info 0
		.amdhsa_system_vgpr_workitem_id 0
		.amdhsa_next_free_vgpr 1
		.amdhsa_next_free_sgpr 1
		.amdhsa_reserve_vcc 0
		.amdhsa_float_round_mode_32 0
		.amdhsa_float_round_mode_16_64 0
		.amdhsa_float_denorm_mode_32 3
		.amdhsa_float_denorm_mode_16_64 3
		.amdhsa_dx10_clamp 1
		.amdhsa_ieee_mode 1
		.amdhsa_fp16_overflow 0
		.amdhsa_workgroup_processor_mode 1
		.amdhsa_memory_ordered 1
		.amdhsa_forward_progress 0
		.amdhsa_shared_vgpr_count 0
		.amdhsa_exception_fp_ieee_invalid_op 0
		.amdhsa_exception_fp_denorm_src 0
		.amdhsa_exception_fp_ieee_div_zero 0
		.amdhsa_exception_fp_ieee_overflow 0
		.amdhsa_exception_fp_ieee_underflow 0
		.amdhsa_exception_fp_ieee_inexact 0
		.amdhsa_exception_int_div_zero 0
	.end_amdhsa_kernel
	.section	.text._ZN7rocprim17ROCPRIM_400000_NS6detail17trampoline_kernelINS0_14default_configENS1_25partition_config_selectorILNS1_17partition_subalgoE9ExxbEEZZNS1_14partition_implILS5_9ELb0ES3_jN6thrust23THRUST_200600_302600_NS6detail15normal_iteratorINS9_10device_ptrIxEEEESE_PNS0_10empty_typeENS0_5tupleIJSE_SF_EEENSH_IJSE_SG_EEENS0_18inequality_wrapperINS9_8equal_toIxEEEEPmJSF_EEE10hipError_tPvRmT3_T4_T5_T6_T7_T9_mT8_P12ihipStream_tbDpT10_ENKUlT_T0_E_clISt17integral_constantIbLb1EES17_IbLb0EEEEDaS13_S14_EUlS13_E_NS1_11comp_targetILNS1_3genE4ELNS1_11target_archE910ELNS1_3gpuE8ELNS1_3repE0EEENS1_30default_config_static_selectorELNS0_4arch9wavefront6targetE0EEEvT1_,"axG",@progbits,_ZN7rocprim17ROCPRIM_400000_NS6detail17trampoline_kernelINS0_14default_configENS1_25partition_config_selectorILNS1_17partition_subalgoE9ExxbEEZZNS1_14partition_implILS5_9ELb0ES3_jN6thrust23THRUST_200600_302600_NS6detail15normal_iteratorINS9_10device_ptrIxEEEESE_PNS0_10empty_typeENS0_5tupleIJSE_SF_EEENSH_IJSE_SG_EEENS0_18inequality_wrapperINS9_8equal_toIxEEEEPmJSF_EEE10hipError_tPvRmT3_T4_T5_T6_T7_T9_mT8_P12ihipStream_tbDpT10_ENKUlT_T0_E_clISt17integral_constantIbLb1EES17_IbLb0EEEEDaS13_S14_EUlS13_E_NS1_11comp_targetILNS1_3genE4ELNS1_11target_archE910ELNS1_3gpuE8ELNS1_3repE0EEENS1_30default_config_static_selectorELNS0_4arch9wavefront6targetE0EEEvT1_,comdat
.Lfunc_end358:
	.size	_ZN7rocprim17ROCPRIM_400000_NS6detail17trampoline_kernelINS0_14default_configENS1_25partition_config_selectorILNS1_17partition_subalgoE9ExxbEEZZNS1_14partition_implILS5_9ELb0ES3_jN6thrust23THRUST_200600_302600_NS6detail15normal_iteratorINS9_10device_ptrIxEEEESE_PNS0_10empty_typeENS0_5tupleIJSE_SF_EEENSH_IJSE_SG_EEENS0_18inequality_wrapperINS9_8equal_toIxEEEEPmJSF_EEE10hipError_tPvRmT3_T4_T5_T6_T7_T9_mT8_P12ihipStream_tbDpT10_ENKUlT_T0_E_clISt17integral_constantIbLb1EES17_IbLb0EEEEDaS13_S14_EUlS13_E_NS1_11comp_targetILNS1_3genE4ELNS1_11target_archE910ELNS1_3gpuE8ELNS1_3repE0EEENS1_30default_config_static_selectorELNS0_4arch9wavefront6targetE0EEEvT1_, .Lfunc_end358-_ZN7rocprim17ROCPRIM_400000_NS6detail17trampoline_kernelINS0_14default_configENS1_25partition_config_selectorILNS1_17partition_subalgoE9ExxbEEZZNS1_14partition_implILS5_9ELb0ES3_jN6thrust23THRUST_200600_302600_NS6detail15normal_iteratorINS9_10device_ptrIxEEEESE_PNS0_10empty_typeENS0_5tupleIJSE_SF_EEENSH_IJSE_SG_EEENS0_18inequality_wrapperINS9_8equal_toIxEEEEPmJSF_EEE10hipError_tPvRmT3_T4_T5_T6_T7_T9_mT8_P12ihipStream_tbDpT10_ENKUlT_T0_E_clISt17integral_constantIbLb1EES17_IbLb0EEEEDaS13_S14_EUlS13_E_NS1_11comp_targetILNS1_3genE4ELNS1_11target_archE910ELNS1_3gpuE8ELNS1_3repE0EEENS1_30default_config_static_selectorELNS0_4arch9wavefront6targetE0EEEvT1_
                                        ; -- End function
	.section	.AMDGPU.csdata,"",@progbits
; Kernel info:
; codeLenInByte = 0
; NumSgprs: 0
; NumVgprs: 0
; ScratchSize: 0
; MemoryBound: 0
; FloatMode: 240
; IeeeMode: 1
; LDSByteSize: 0 bytes/workgroup (compile time only)
; SGPRBlocks: 0
; VGPRBlocks: 0
; NumSGPRsForWavesPerEU: 1
; NumVGPRsForWavesPerEU: 1
; Occupancy: 16
; WaveLimiterHint : 0
; COMPUTE_PGM_RSRC2:SCRATCH_EN: 0
; COMPUTE_PGM_RSRC2:USER_SGPR: 15
; COMPUTE_PGM_RSRC2:TRAP_HANDLER: 0
; COMPUTE_PGM_RSRC2:TGID_X_EN: 1
; COMPUTE_PGM_RSRC2:TGID_Y_EN: 0
; COMPUTE_PGM_RSRC2:TGID_Z_EN: 0
; COMPUTE_PGM_RSRC2:TIDIG_COMP_CNT: 0
	.section	.text._ZN7rocprim17ROCPRIM_400000_NS6detail17trampoline_kernelINS0_14default_configENS1_25partition_config_selectorILNS1_17partition_subalgoE9ExxbEEZZNS1_14partition_implILS5_9ELb0ES3_jN6thrust23THRUST_200600_302600_NS6detail15normal_iteratorINS9_10device_ptrIxEEEESE_PNS0_10empty_typeENS0_5tupleIJSE_SF_EEENSH_IJSE_SG_EEENS0_18inequality_wrapperINS9_8equal_toIxEEEEPmJSF_EEE10hipError_tPvRmT3_T4_T5_T6_T7_T9_mT8_P12ihipStream_tbDpT10_ENKUlT_T0_E_clISt17integral_constantIbLb1EES17_IbLb0EEEEDaS13_S14_EUlS13_E_NS1_11comp_targetILNS1_3genE3ELNS1_11target_archE908ELNS1_3gpuE7ELNS1_3repE0EEENS1_30default_config_static_selectorELNS0_4arch9wavefront6targetE0EEEvT1_,"axG",@progbits,_ZN7rocprim17ROCPRIM_400000_NS6detail17trampoline_kernelINS0_14default_configENS1_25partition_config_selectorILNS1_17partition_subalgoE9ExxbEEZZNS1_14partition_implILS5_9ELb0ES3_jN6thrust23THRUST_200600_302600_NS6detail15normal_iteratorINS9_10device_ptrIxEEEESE_PNS0_10empty_typeENS0_5tupleIJSE_SF_EEENSH_IJSE_SG_EEENS0_18inequality_wrapperINS9_8equal_toIxEEEEPmJSF_EEE10hipError_tPvRmT3_T4_T5_T6_T7_T9_mT8_P12ihipStream_tbDpT10_ENKUlT_T0_E_clISt17integral_constantIbLb1EES17_IbLb0EEEEDaS13_S14_EUlS13_E_NS1_11comp_targetILNS1_3genE3ELNS1_11target_archE908ELNS1_3gpuE7ELNS1_3repE0EEENS1_30default_config_static_selectorELNS0_4arch9wavefront6targetE0EEEvT1_,comdat
	.protected	_ZN7rocprim17ROCPRIM_400000_NS6detail17trampoline_kernelINS0_14default_configENS1_25partition_config_selectorILNS1_17partition_subalgoE9ExxbEEZZNS1_14partition_implILS5_9ELb0ES3_jN6thrust23THRUST_200600_302600_NS6detail15normal_iteratorINS9_10device_ptrIxEEEESE_PNS0_10empty_typeENS0_5tupleIJSE_SF_EEENSH_IJSE_SG_EEENS0_18inequality_wrapperINS9_8equal_toIxEEEEPmJSF_EEE10hipError_tPvRmT3_T4_T5_T6_T7_T9_mT8_P12ihipStream_tbDpT10_ENKUlT_T0_E_clISt17integral_constantIbLb1EES17_IbLb0EEEEDaS13_S14_EUlS13_E_NS1_11comp_targetILNS1_3genE3ELNS1_11target_archE908ELNS1_3gpuE7ELNS1_3repE0EEENS1_30default_config_static_selectorELNS0_4arch9wavefront6targetE0EEEvT1_ ; -- Begin function _ZN7rocprim17ROCPRIM_400000_NS6detail17trampoline_kernelINS0_14default_configENS1_25partition_config_selectorILNS1_17partition_subalgoE9ExxbEEZZNS1_14partition_implILS5_9ELb0ES3_jN6thrust23THRUST_200600_302600_NS6detail15normal_iteratorINS9_10device_ptrIxEEEESE_PNS0_10empty_typeENS0_5tupleIJSE_SF_EEENSH_IJSE_SG_EEENS0_18inequality_wrapperINS9_8equal_toIxEEEEPmJSF_EEE10hipError_tPvRmT3_T4_T5_T6_T7_T9_mT8_P12ihipStream_tbDpT10_ENKUlT_T0_E_clISt17integral_constantIbLb1EES17_IbLb0EEEEDaS13_S14_EUlS13_E_NS1_11comp_targetILNS1_3genE3ELNS1_11target_archE908ELNS1_3gpuE7ELNS1_3repE0EEENS1_30default_config_static_selectorELNS0_4arch9wavefront6targetE0EEEvT1_
	.globl	_ZN7rocprim17ROCPRIM_400000_NS6detail17trampoline_kernelINS0_14default_configENS1_25partition_config_selectorILNS1_17partition_subalgoE9ExxbEEZZNS1_14partition_implILS5_9ELb0ES3_jN6thrust23THRUST_200600_302600_NS6detail15normal_iteratorINS9_10device_ptrIxEEEESE_PNS0_10empty_typeENS0_5tupleIJSE_SF_EEENSH_IJSE_SG_EEENS0_18inequality_wrapperINS9_8equal_toIxEEEEPmJSF_EEE10hipError_tPvRmT3_T4_T5_T6_T7_T9_mT8_P12ihipStream_tbDpT10_ENKUlT_T0_E_clISt17integral_constantIbLb1EES17_IbLb0EEEEDaS13_S14_EUlS13_E_NS1_11comp_targetILNS1_3genE3ELNS1_11target_archE908ELNS1_3gpuE7ELNS1_3repE0EEENS1_30default_config_static_selectorELNS0_4arch9wavefront6targetE0EEEvT1_
	.p2align	8
	.type	_ZN7rocprim17ROCPRIM_400000_NS6detail17trampoline_kernelINS0_14default_configENS1_25partition_config_selectorILNS1_17partition_subalgoE9ExxbEEZZNS1_14partition_implILS5_9ELb0ES3_jN6thrust23THRUST_200600_302600_NS6detail15normal_iteratorINS9_10device_ptrIxEEEESE_PNS0_10empty_typeENS0_5tupleIJSE_SF_EEENSH_IJSE_SG_EEENS0_18inequality_wrapperINS9_8equal_toIxEEEEPmJSF_EEE10hipError_tPvRmT3_T4_T5_T6_T7_T9_mT8_P12ihipStream_tbDpT10_ENKUlT_T0_E_clISt17integral_constantIbLb1EES17_IbLb0EEEEDaS13_S14_EUlS13_E_NS1_11comp_targetILNS1_3genE3ELNS1_11target_archE908ELNS1_3gpuE7ELNS1_3repE0EEENS1_30default_config_static_selectorELNS0_4arch9wavefront6targetE0EEEvT1_,@function
_ZN7rocprim17ROCPRIM_400000_NS6detail17trampoline_kernelINS0_14default_configENS1_25partition_config_selectorILNS1_17partition_subalgoE9ExxbEEZZNS1_14partition_implILS5_9ELb0ES3_jN6thrust23THRUST_200600_302600_NS6detail15normal_iteratorINS9_10device_ptrIxEEEESE_PNS0_10empty_typeENS0_5tupleIJSE_SF_EEENSH_IJSE_SG_EEENS0_18inequality_wrapperINS9_8equal_toIxEEEEPmJSF_EEE10hipError_tPvRmT3_T4_T5_T6_T7_T9_mT8_P12ihipStream_tbDpT10_ENKUlT_T0_E_clISt17integral_constantIbLb1EES17_IbLb0EEEEDaS13_S14_EUlS13_E_NS1_11comp_targetILNS1_3genE3ELNS1_11target_archE908ELNS1_3gpuE7ELNS1_3repE0EEENS1_30default_config_static_selectorELNS0_4arch9wavefront6targetE0EEEvT1_: ; @_ZN7rocprim17ROCPRIM_400000_NS6detail17trampoline_kernelINS0_14default_configENS1_25partition_config_selectorILNS1_17partition_subalgoE9ExxbEEZZNS1_14partition_implILS5_9ELb0ES3_jN6thrust23THRUST_200600_302600_NS6detail15normal_iteratorINS9_10device_ptrIxEEEESE_PNS0_10empty_typeENS0_5tupleIJSE_SF_EEENSH_IJSE_SG_EEENS0_18inequality_wrapperINS9_8equal_toIxEEEEPmJSF_EEE10hipError_tPvRmT3_T4_T5_T6_T7_T9_mT8_P12ihipStream_tbDpT10_ENKUlT_T0_E_clISt17integral_constantIbLb1EES17_IbLb0EEEEDaS13_S14_EUlS13_E_NS1_11comp_targetILNS1_3genE3ELNS1_11target_archE908ELNS1_3gpuE7ELNS1_3repE0EEENS1_30default_config_static_selectorELNS0_4arch9wavefront6targetE0EEEvT1_
; %bb.0:
	.section	.rodata,"a",@progbits
	.p2align	6, 0x0
	.amdhsa_kernel _ZN7rocprim17ROCPRIM_400000_NS6detail17trampoline_kernelINS0_14default_configENS1_25partition_config_selectorILNS1_17partition_subalgoE9ExxbEEZZNS1_14partition_implILS5_9ELb0ES3_jN6thrust23THRUST_200600_302600_NS6detail15normal_iteratorINS9_10device_ptrIxEEEESE_PNS0_10empty_typeENS0_5tupleIJSE_SF_EEENSH_IJSE_SG_EEENS0_18inequality_wrapperINS9_8equal_toIxEEEEPmJSF_EEE10hipError_tPvRmT3_T4_T5_T6_T7_T9_mT8_P12ihipStream_tbDpT10_ENKUlT_T0_E_clISt17integral_constantIbLb1EES17_IbLb0EEEEDaS13_S14_EUlS13_E_NS1_11comp_targetILNS1_3genE3ELNS1_11target_archE908ELNS1_3gpuE7ELNS1_3repE0EEENS1_30default_config_static_selectorELNS0_4arch9wavefront6targetE0EEEvT1_
		.amdhsa_group_segment_fixed_size 0
		.amdhsa_private_segment_fixed_size 0
		.amdhsa_kernarg_size 112
		.amdhsa_user_sgpr_count 15
		.amdhsa_user_sgpr_dispatch_ptr 0
		.amdhsa_user_sgpr_queue_ptr 0
		.amdhsa_user_sgpr_kernarg_segment_ptr 1
		.amdhsa_user_sgpr_dispatch_id 0
		.amdhsa_user_sgpr_private_segment_size 0
		.amdhsa_wavefront_size32 1
		.amdhsa_uses_dynamic_stack 0
		.amdhsa_enable_private_segment 0
		.amdhsa_system_sgpr_workgroup_id_x 1
		.amdhsa_system_sgpr_workgroup_id_y 0
		.amdhsa_system_sgpr_workgroup_id_z 0
		.amdhsa_system_sgpr_workgroup_info 0
		.amdhsa_system_vgpr_workitem_id 0
		.amdhsa_next_free_vgpr 1
		.amdhsa_next_free_sgpr 1
		.amdhsa_reserve_vcc 0
		.amdhsa_float_round_mode_32 0
		.amdhsa_float_round_mode_16_64 0
		.amdhsa_float_denorm_mode_32 3
		.amdhsa_float_denorm_mode_16_64 3
		.amdhsa_dx10_clamp 1
		.amdhsa_ieee_mode 1
		.amdhsa_fp16_overflow 0
		.amdhsa_workgroup_processor_mode 1
		.amdhsa_memory_ordered 1
		.amdhsa_forward_progress 0
		.amdhsa_shared_vgpr_count 0
		.amdhsa_exception_fp_ieee_invalid_op 0
		.amdhsa_exception_fp_denorm_src 0
		.amdhsa_exception_fp_ieee_div_zero 0
		.amdhsa_exception_fp_ieee_overflow 0
		.amdhsa_exception_fp_ieee_underflow 0
		.amdhsa_exception_fp_ieee_inexact 0
		.amdhsa_exception_int_div_zero 0
	.end_amdhsa_kernel
	.section	.text._ZN7rocprim17ROCPRIM_400000_NS6detail17trampoline_kernelINS0_14default_configENS1_25partition_config_selectorILNS1_17partition_subalgoE9ExxbEEZZNS1_14partition_implILS5_9ELb0ES3_jN6thrust23THRUST_200600_302600_NS6detail15normal_iteratorINS9_10device_ptrIxEEEESE_PNS0_10empty_typeENS0_5tupleIJSE_SF_EEENSH_IJSE_SG_EEENS0_18inequality_wrapperINS9_8equal_toIxEEEEPmJSF_EEE10hipError_tPvRmT3_T4_T5_T6_T7_T9_mT8_P12ihipStream_tbDpT10_ENKUlT_T0_E_clISt17integral_constantIbLb1EES17_IbLb0EEEEDaS13_S14_EUlS13_E_NS1_11comp_targetILNS1_3genE3ELNS1_11target_archE908ELNS1_3gpuE7ELNS1_3repE0EEENS1_30default_config_static_selectorELNS0_4arch9wavefront6targetE0EEEvT1_,"axG",@progbits,_ZN7rocprim17ROCPRIM_400000_NS6detail17trampoline_kernelINS0_14default_configENS1_25partition_config_selectorILNS1_17partition_subalgoE9ExxbEEZZNS1_14partition_implILS5_9ELb0ES3_jN6thrust23THRUST_200600_302600_NS6detail15normal_iteratorINS9_10device_ptrIxEEEESE_PNS0_10empty_typeENS0_5tupleIJSE_SF_EEENSH_IJSE_SG_EEENS0_18inequality_wrapperINS9_8equal_toIxEEEEPmJSF_EEE10hipError_tPvRmT3_T4_T5_T6_T7_T9_mT8_P12ihipStream_tbDpT10_ENKUlT_T0_E_clISt17integral_constantIbLb1EES17_IbLb0EEEEDaS13_S14_EUlS13_E_NS1_11comp_targetILNS1_3genE3ELNS1_11target_archE908ELNS1_3gpuE7ELNS1_3repE0EEENS1_30default_config_static_selectorELNS0_4arch9wavefront6targetE0EEEvT1_,comdat
.Lfunc_end359:
	.size	_ZN7rocprim17ROCPRIM_400000_NS6detail17trampoline_kernelINS0_14default_configENS1_25partition_config_selectorILNS1_17partition_subalgoE9ExxbEEZZNS1_14partition_implILS5_9ELb0ES3_jN6thrust23THRUST_200600_302600_NS6detail15normal_iteratorINS9_10device_ptrIxEEEESE_PNS0_10empty_typeENS0_5tupleIJSE_SF_EEENSH_IJSE_SG_EEENS0_18inequality_wrapperINS9_8equal_toIxEEEEPmJSF_EEE10hipError_tPvRmT3_T4_T5_T6_T7_T9_mT8_P12ihipStream_tbDpT10_ENKUlT_T0_E_clISt17integral_constantIbLb1EES17_IbLb0EEEEDaS13_S14_EUlS13_E_NS1_11comp_targetILNS1_3genE3ELNS1_11target_archE908ELNS1_3gpuE7ELNS1_3repE0EEENS1_30default_config_static_selectorELNS0_4arch9wavefront6targetE0EEEvT1_, .Lfunc_end359-_ZN7rocprim17ROCPRIM_400000_NS6detail17trampoline_kernelINS0_14default_configENS1_25partition_config_selectorILNS1_17partition_subalgoE9ExxbEEZZNS1_14partition_implILS5_9ELb0ES3_jN6thrust23THRUST_200600_302600_NS6detail15normal_iteratorINS9_10device_ptrIxEEEESE_PNS0_10empty_typeENS0_5tupleIJSE_SF_EEENSH_IJSE_SG_EEENS0_18inequality_wrapperINS9_8equal_toIxEEEEPmJSF_EEE10hipError_tPvRmT3_T4_T5_T6_T7_T9_mT8_P12ihipStream_tbDpT10_ENKUlT_T0_E_clISt17integral_constantIbLb1EES17_IbLb0EEEEDaS13_S14_EUlS13_E_NS1_11comp_targetILNS1_3genE3ELNS1_11target_archE908ELNS1_3gpuE7ELNS1_3repE0EEENS1_30default_config_static_selectorELNS0_4arch9wavefront6targetE0EEEvT1_
                                        ; -- End function
	.section	.AMDGPU.csdata,"",@progbits
; Kernel info:
; codeLenInByte = 0
; NumSgprs: 0
; NumVgprs: 0
; ScratchSize: 0
; MemoryBound: 0
; FloatMode: 240
; IeeeMode: 1
; LDSByteSize: 0 bytes/workgroup (compile time only)
; SGPRBlocks: 0
; VGPRBlocks: 0
; NumSGPRsForWavesPerEU: 1
; NumVGPRsForWavesPerEU: 1
; Occupancy: 16
; WaveLimiterHint : 0
; COMPUTE_PGM_RSRC2:SCRATCH_EN: 0
; COMPUTE_PGM_RSRC2:USER_SGPR: 15
; COMPUTE_PGM_RSRC2:TRAP_HANDLER: 0
; COMPUTE_PGM_RSRC2:TGID_X_EN: 1
; COMPUTE_PGM_RSRC2:TGID_Y_EN: 0
; COMPUTE_PGM_RSRC2:TGID_Z_EN: 0
; COMPUTE_PGM_RSRC2:TIDIG_COMP_CNT: 0
	.section	.text._ZN7rocprim17ROCPRIM_400000_NS6detail17trampoline_kernelINS0_14default_configENS1_25partition_config_selectorILNS1_17partition_subalgoE9ExxbEEZZNS1_14partition_implILS5_9ELb0ES3_jN6thrust23THRUST_200600_302600_NS6detail15normal_iteratorINS9_10device_ptrIxEEEESE_PNS0_10empty_typeENS0_5tupleIJSE_SF_EEENSH_IJSE_SG_EEENS0_18inequality_wrapperINS9_8equal_toIxEEEEPmJSF_EEE10hipError_tPvRmT3_T4_T5_T6_T7_T9_mT8_P12ihipStream_tbDpT10_ENKUlT_T0_E_clISt17integral_constantIbLb1EES17_IbLb0EEEEDaS13_S14_EUlS13_E_NS1_11comp_targetILNS1_3genE2ELNS1_11target_archE906ELNS1_3gpuE6ELNS1_3repE0EEENS1_30default_config_static_selectorELNS0_4arch9wavefront6targetE0EEEvT1_,"axG",@progbits,_ZN7rocprim17ROCPRIM_400000_NS6detail17trampoline_kernelINS0_14default_configENS1_25partition_config_selectorILNS1_17partition_subalgoE9ExxbEEZZNS1_14partition_implILS5_9ELb0ES3_jN6thrust23THRUST_200600_302600_NS6detail15normal_iteratorINS9_10device_ptrIxEEEESE_PNS0_10empty_typeENS0_5tupleIJSE_SF_EEENSH_IJSE_SG_EEENS0_18inequality_wrapperINS9_8equal_toIxEEEEPmJSF_EEE10hipError_tPvRmT3_T4_T5_T6_T7_T9_mT8_P12ihipStream_tbDpT10_ENKUlT_T0_E_clISt17integral_constantIbLb1EES17_IbLb0EEEEDaS13_S14_EUlS13_E_NS1_11comp_targetILNS1_3genE2ELNS1_11target_archE906ELNS1_3gpuE6ELNS1_3repE0EEENS1_30default_config_static_selectorELNS0_4arch9wavefront6targetE0EEEvT1_,comdat
	.protected	_ZN7rocprim17ROCPRIM_400000_NS6detail17trampoline_kernelINS0_14default_configENS1_25partition_config_selectorILNS1_17partition_subalgoE9ExxbEEZZNS1_14partition_implILS5_9ELb0ES3_jN6thrust23THRUST_200600_302600_NS6detail15normal_iteratorINS9_10device_ptrIxEEEESE_PNS0_10empty_typeENS0_5tupleIJSE_SF_EEENSH_IJSE_SG_EEENS0_18inequality_wrapperINS9_8equal_toIxEEEEPmJSF_EEE10hipError_tPvRmT3_T4_T5_T6_T7_T9_mT8_P12ihipStream_tbDpT10_ENKUlT_T0_E_clISt17integral_constantIbLb1EES17_IbLb0EEEEDaS13_S14_EUlS13_E_NS1_11comp_targetILNS1_3genE2ELNS1_11target_archE906ELNS1_3gpuE6ELNS1_3repE0EEENS1_30default_config_static_selectorELNS0_4arch9wavefront6targetE0EEEvT1_ ; -- Begin function _ZN7rocprim17ROCPRIM_400000_NS6detail17trampoline_kernelINS0_14default_configENS1_25partition_config_selectorILNS1_17partition_subalgoE9ExxbEEZZNS1_14partition_implILS5_9ELb0ES3_jN6thrust23THRUST_200600_302600_NS6detail15normal_iteratorINS9_10device_ptrIxEEEESE_PNS0_10empty_typeENS0_5tupleIJSE_SF_EEENSH_IJSE_SG_EEENS0_18inequality_wrapperINS9_8equal_toIxEEEEPmJSF_EEE10hipError_tPvRmT3_T4_T5_T6_T7_T9_mT8_P12ihipStream_tbDpT10_ENKUlT_T0_E_clISt17integral_constantIbLb1EES17_IbLb0EEEEDaS13_S14_EUlS13_E_NS1_11comp_targetILNS1_3genE2ELNS1_11target_archE906ELNS1_3gpuE6ELNS1_3repE0EEENS1_30default_config_static_selectorELNS0_4arch9wavefront6targetE0EEEvT1_
	.globl	_ZN7rocprim17ROCPRIM_400000_NS6detail17trampoline_kernelINS0_14default_configENS1_25partition_config_selectorILNS1_17partition_subalgoE9ExxbEEZZNS1_14partition_implILS5_9ELb0ES3_jN6thrust23THRUST_200600_302600_NS6detail15normal_iteratorINS9_10device_ptrIxEEEESE_PNS0_10empty_typeENS0_5tupleIJSE_SF_EEENSH_IJSE_SG_EEENS0_18inequality_wrapperINS9_8equal_toIxEEEEPmJSF_EEE10hipError_tPvRmT3_T4_T5_T6_T7_T9_mT8_P12ihipStream_tbDpT10_ENKUlT_T0_E_clISt17integral_constantIbLb1EES17_IbLb0EEEEDaS13_S14_EUlS13_E_NS1_11comp_targetILNS1_3genE2ELNS1_11target_archE906ELNS1_3gpuE6ELNS1_3repE0EEENS1_30default_config_static_selectorELNS0_4arch9wavefront6targetE0EEEvT1_
	.p2align	8
	.type	_ZN7rocprim17ROCPRIM_400000_NS6detail17trampoline_kernelINS0_14default_configENS1_25partition_config_selectorILNS1_17partition_subalgoE9ExxbEEZZNS1_14partition_implILS5_9ELb0ES3_jN6thrust23THRUST_200600_302600_NS6detail15normal_iteratorINS9_10device_ptrIxEEEESE_PNS0_10empty_typeENS0_5tupleIJSE_SF_EEENSH_IJSE_SG_EEENS0_18inequality_wrapperINS9_8equal_toIxEEEEPmJSF_EEE10hipError_tPvRmT3_T4_T5_T6_T7_T9_mT8_P12ihipStream_tbDpT10_ENKUlT_T0_E_clISt17integral_constantIbLb1EES17_IbLb0EEEEDaS13_S14_EUlS13_E_NS1_11comp_targetILNS1_3genE2ELNS1_11target_archE906ELNS1_3gpuE6ELNS1_3repE0EEENS1_30default_config_static_selectorELNS0_4arch9wavefront6targetE0EEEvT1_,@function
_ZN7rocprim17ROCPRIM_400000_NS6detail17trampoline_kernelINS0_14default_configENS1_25partition_config_selectorILNS1_17partition_subalgoE9ExxbEEZZNS1_14partition_implILS5_9ELb0ES3_jN6thrust23THRUST_200600_302600_NS6detail15normal_iteratorINS9_10device_ptrIxEEEESE_PNS0_10empty_typeENS0_5tupleIJSE_SF_EEENSH_IJSE_SG_EEENS0_18inequality_wrapperINS9_8equal_toIxEEEEPmJSF_EEE10hipError_tPvRmT3_T4_T5_T6_T7_T9_mT8_P12ihipStream_tbDpT10_ENKUlT_T0_E_clISt17integral_constantIbLb1EES17_IbLb0EEEEDaS13_S14_EUlS13_E_NS1_11comp_targetILNS1_3genE2ELNS1_11target_archE906ELNS1_3gpuE6ELNS1_3repE0EEENS1_30default_config_static_selectorELNS0_4arch9wavefront6targetE0EEEvT1_: ; @_ZN7rocprim17ROCPRIM_400000_NS6detail17trampoline_kernelINS0_14default_configENS1_25partition_config_selectorILNS1_17partition_subalgoE9ExxbEEZZNS1_14partition_implILS5_9ELb0ES3_jN6thrust23THRUST_200600_302600_NS6detail15normal_iteratorINS9_10device_ptrIxEEEESE_PNS0_10empty_typeENS0_5tupleIJSE_SF_EEENSH_IJSE_SG_EEENS0_18inequality_wrapperINS9_8equal_toIxEEEEPmJSF_EEE10hipError_tPvRmT3_T4_T5_T6_T7_T9_mT8_P12ihipStream_tbDpT10_ENKUlT_T0_E_clISt17integral_constantIbLb1EES17_IbLb0EEEEDaS13_S14_EUlS13_E_NS1_11comp_targetILNS1_3genE2ELNS1_11target_archE906ELNS1_3gpuE6ELNS1_3repE0EEENS1_30default_config_static_selectorELNS0_4arch9wavefront6targetE0EEEvT1_
; %bb.0:
	.section	.rodata,"a",@progbits
	.p2align	6, 0x0
	.amdhsa_kernel _ZN7rocprim17ROCPRIM_400000_NS6detail17trampoline_kernelINS0_14default_configENS1_25partition_config_selectorILNS1_17partition_subalgoE9ExxbEEZZNS1_14partition_implILS5_9ELb0ES3_jN6thrust23THRUST_200600_302600_NS6detail15normal_iteratorINS9_10device_ptrIxEEEESE_PNS0_10empty_typeENS0_5tupleIJSE_SF_EEENSH_IJSE_SG_EEENS0_18inequality_wrapperINS9_8equal_toIxEEEEPmJSF_EEE10hipError_tPvRmT3_T4_T5_T6_T7_T9_mT8_P12ihipStream_tbDpT10_ENKUlT_T0_E_clISt17integral_constantIbLb1EES17_IbLb0EEEEDaS13_S14_EUlS13_E_NS1_11comp_targetILNS1_3genE2ELNS1_11target_archE906ELNS1_3gpuE6ELNS1_3repE0EEENS1_30default_config_static_selectorELNS0_4arch9wavefront6targetE0EEEvT1_
		.amdhsa_group_segment_fixed_size 0
		.amdhsa_private_segment_fixed_size 0
		.amdhsa_kernarg_size 112
		.amdhsa_user_sgpr_count 15
		.amdhsa_user_sgpr_dispatch_ptr 0
		.amdhsa_user_sgpr_queue_ptr 0
		.amdhsa_user_sgpr_kernarg_segment_ptr 1
		.amdhsa_user_sgpr_dispatch_id 0
		.amdhsa_user_sgpr_private_segment_size 0
		.amdhsa_wavefront_size32 1
		.amdhsa_uses_dynamic_stack 0
		.amdhsa_enable_private_segment 0
		.amdhsa_system_sgpr_workgroup_id_x 1
		.amdhsa_system_sgpr_workgroup_id_y 0
		.amdhsa_system_sgpr_workgroup_id_z 0
		.amdhsa_system_sgpr_workgroup_info 0
		.amdhsa_system_vgpr_workitem_id 0
		.amdhsa_next_free_vgpr 1
		.amdhsa_next_free_sgpr 1
		.amdhsa_reserve_vcc 0
		.amdhsa_float_round_mode_32 0
		.amdhsa_float_round_mode_16_64 0
		.amdhsa_float_denorm_mode_32 3
		.amdhsa_float_denorm_mode_16_64 3
		.amdhsa_dx10_clamp 1
		.amdhsa_ieee_mode 1
		.amdhsa_fp16_overflow 0
		.amdhsa_workgroup_processor_mode 1
		.amdhsa_memory_ordered 1
		.amdhsa_forward_progress 0
		.amdhsa_shared_vgpr_count 0
		.amdhsa_exception_fp_ieee_invalid_op 0
		.amdhsa_exception_fp_denorm_src 0
		.amdhsa_exception_fp_ieee_div_zero 0
		.amdhsa_exception_fp_ieee_overflow 0
		.amdhsa_exception_fp_ieee_underflow 0
		.amdhsa_exception_fp_ieee_inexact 0
		.amdhsa_exception_int_div_zero 0
	.end_amdhsa_kernel
	.section	.text._ZN7rocprim17ROCPRIM_400000_NS6detail17trampoline_kernelINS0_14default_configENS1_25partition_config_selectorILNS1_17partition_subalgoE9ExxbEEZZNS1_14partition_implILS5_9ELb0ES3_jN6thrust23THRUST_200600_302600_NS6detail15normal_iteratorINS9_10device_ptrIxEEEESE_PNS0_10empty_typeENS0_5tupleIJSE_SF_EEENSH_IJSE_SG_EEENS0_18inequality_wrapperINS9_8equal_toIxEEEEPmJSF_EEE10hipError_tPvRmT3_T4_T5_T6_T7_T9_mT8_P12ihipStream_tbDpT10_ENKUlT_T0_E_clISt17integral_constantIbLb1EES17_IbLb0EEEEDaS13_S14_EUlS13_E_NS1_11comp_targetILNS1_3genE2ELNS1_11target_archE906ELNS1_3gpuE6ELNS1_3repE0EEENS1_30default_config_static_selectorELNS0_4arch9wavefront6targetE0EEEvT1_,"axG",@progbits,_ZN7rocprim17ROCPRIM_400000_NS6detail17trampoline_kernelINS0_14default_configENS1_25partition_config_selectorILNS1_17partition_subalgoE9ExxbEEZZNS1_14partition_implILS5_9ELb0ES3_jN6thrust23THRUST_200600_302600_NS6detail15normal_iteratorINS9_10device_ptrIxEEEESE_PNS0_10empty_typeENS0_5tupleIJSE_SF_EEENSH_IJSE_SG_EEENS0_18inequality_wrapperINS9_8equal_toIxEEEEPmJSF_EEE10hipError_tPvRmT3_T4_T5_T6_T7_T9_mT8_P12ihipStream_tbDpT10_ENKUlT_T0_E_clISt17integral_constantIbLb1EES17_IbLb0EEEEDaS13_S14_EUlS13_E_NS1_11comp_targetILNS1_3genE2ELNS1_11target_archE906ELNS1_3gpuE6ELNS1_3repE0EEENS1_30default_config_static_selectorELNS0_4arch9wavefront6targetE0EEEvT1_,comdat
.Lfunc_end360:
	.size	_ZN7rocprim17ROCPRIM_400000_NS6detail17trampoline_kernelINS0_14default_configENS1_25partition_config_selectorILNS1_17partition_subalgoE9ExxbEEZZNS1_14partition_implILS5_9ELb0ES3_jN6thrust23THRUST_200600_302600_NS6detail15normal_iteratorINS9_10device_ptrIxEEEESE_PNS0_10empty_typeENS0_5tupleIJSE_SF_EEENSH_IJSE_SG_EEENS0_18inequality_wrapperINS9_8equal_toIxEEEEPmJSF_EEE10hipError_tPvRmT3_T4_T5_T6_T7_T9_mT8_P12ihipStream_tbDpT10_ENKUlT_T0_E_clISt17integral_constantIbLb1EES17_IbLb0EEEEDaS13_S14_EUlS13_E_NS1_11comp_targetILNS1_3genE2ELNS1_11target_archE906ELNS1_3gpuE6ELNS1_3repE0EEENS1_30default_config_static_selectorELNS0_4arch9wavefront6targetE0EEEvT1_, .Lfunc_end360-_ZN7rocprim17ROCPRIM_400000_NS6detail17trampoline_kernelINS0_14default_configENS1_25partition_config_selectorILNS1_17partition_subalgoE9ExxbEEZZNS1_14partition_implILS5_9ELb0ES3_jN6thrust23THRUST_200600_302600_NS6detail15normal_iteratorINS9_10device_ptrIxEEEESE_PNS0_10empty_typeENS0_5tupleIJSE_SF_EEENSH_IJSE_SG_EEENS0_18inequality_wrapperINS9_8equal_toIxEEEEPmJSF_EEE10hipError_tPvRmT3_T4_T5_T6_T7_T9_mT8_P12ihipStream_tbDpT10_ENKUlT_T0_E_clISt17integral_constantIbLb1EES17_IbLb0EEEEDaS13_S14_EUlS13_E_NS1_11comp_targetILNS1_3genE2ELNS1_11target_archE906ELNS1_3gpuE6ELNS1_3repE0EEENS1_30default_config_static_selectorELNS0_4arch9wavefront6targetE0EEEvT1_
                                        ; -- End function
	.section	.AMDGPU.csdata,"",@progbits
; Kernel info:
; codeLenInByte = 0
; NumSgprs: 0
; NumVgprs: 0
; ScratchSize: 0
; MemoryBound: 0
; FloatMode: 240
; IeeeMode: 1
; LDSByteSize: 0 bytes/workgroup (compile time only)
; SGPRBlocks: 0
; VGPRBlocks: 0
; NumSGPRsForWavesPerEU: 1
; NumVGPRsForWavesPerEU: 1
; Occupancy: 15
; WaveLimiterHint : 0
; COMPUTE_PGM_RSRC2:SCRATCH_EN: 0
; COMPUTE_PGM_RSRC2:USER_SGPR: 15
; COMPUTE_PGM_RSRC2:TRAP_HANDLER: 0
; COMPUTE_PGM_RSRC2:TGID_X_EN: 1
; COMPUTE_PGM_RSRC2:TGID_Y_EN: 0
; COMPUTE_PGM_RSRC2:TGID_Z_EN: 0
; COMPUTE_PGM_RSRC2:TIDIG_COMP_CNT: 0
	.section	.text._ZN7rocprim17ROCPRIM_400000_NS6detail17trampoline_kernelINS0_14default_configENS1_25partition_config_selectorILNS1_17partition_subalgoE9ExxbEEZZNS1_14partition_implILS5_9ELb0ES3_jN6thrust23THRUST_200600_302600_NS6detail15normal_iteratorINS9_10device_ptrIxEEEESE_PNS0_10empty_typeENS0_5tupleIJSE_SF_EEENSH_IJSE_SG_EEENS0_18inequality_wrapperINS9_8equal_toIxEEEEPmJSF_EEE10hipError_tPvRmT3_T4_T5_T6_T7_T9_mT8_P12ihipStream_tbDpT10_ENKUlT_T0_E_clISt17integral_constantIbLb1EES17_IbLb0EEEEDaS13_S14_EUlS13_E_NS1_11comp_targetILNS1_3genE10ELNS1_11target_archE1200ELNS1_3gpuE4ELNS1_3repE0EEENS1_30default_config_static_selectorELNS0_4arch9wavefront6targetE0EEEvT1_,"axG",@progbits,_ZN7rocprim17ROCPRIM_400000_NS6detail17trampoline_kernelINS0_14default_configENS1_25partition_config_selectorILNS1_17partition_subalgoE9ExxbEEZZNS1_14partition_implILS5_9ELb0ES3_jN6thrust23THRUST_200600_302600_NS6detail15normal_iteratorINS9_10device_ptrIxEEEESE_PNS0_10empty_typeENS0_5tupleIJSE_SF_EEENSH_IJSE_SG_EEENS0_18inequality_wrapperINS9_8equal_toIxEEEEPmJSF_EEE10hipError_tPvRmT3_T4_T5_T6_T7_T9_mT8_P12ihipStream_tbDpT10_ENKUlT_T0_E_clISt17integral_constantIbLb1EES17_IbLb0EEEEDaS13_S14_EUlS13_E_NS1_11comp_targetILNS1_3genE10ELNS1_11target_archE1200ELNS1_3gpuE4ELNS1_3repE0EEENS1_30default_config_static_selectorELNS0_4arch9wavefront6targetE0EEEvT1_,comdat
	.protected	_ZN7rocprim17ROCPRIM_400000_NS6detail17trampoline_kernelINS0_14default_configENS1_25partition_config_selectorILNS1_17partition_subalgoE9ExxbEEZZNS1_14partition_implILS5_9ELb0ES3_jN6thrust23THRUST_200600_302600_NS6detail15normal_iteratorINS9_10device_ptrIxEEEESE_PNS0_10empty_typeENS0_5tupleIJSE_SF_EEENSH_IJSE_SG_EEENS0_18inequality_wrapperINS9_8equal_toIxEEEEPmJSF_EEE10hipError_tPvRmT3_T4_T5_T6_T7_T9_mT8_P12ihipStream_tbDpT10_ENKUlT_T0_E_clISt17integral_constantIbLb1EES17_IbLb0EEEEDaS13_S14_EUlS13_E_NS1_11comp_targetILNS1_3genE10ELNS1_11target_archE1200ELNS1_3gpuE4ELNS1_3repE0EEENS1_30default_config_static_selectorELNS0_4arch9wavefront6targetE0EEEvT1_ ; -- Begin function _ZN7rocprim17ROCPRIM_400000_NS6detail17trampoline_kernelINS0_14default_configENS1_25partition_config_selectorILNS1_17partition_subalgoE9ExxbEEZZNS1_14partition_implILS5_9ELb0ES3_jN6thrust23THRUST_200600_302600_NS6detail15normal_iteratorINS9_10device_ptrIxEEEESE_PNS0_10empty_typeENS0_5tupleIJSE_SF_EEENSH_IJSE_SG_EEENS0_18inequality_wrapperINS9_8equal_toIxEEEEPmJSF_EEE10hipError_tPvRmT3_T4_T5_T6_T7_T9_mT8_P12ihipStream_tbDpT10_ENKUlT_T0_E_clISt17integral_constantIbLb1EES17_IbLb0EEEEDaS13_S14_EUlS13_E_NS1_11comp_targetILNS1_3genE10ELNS1_11target_archE1200ELNS1_3gpuE4ELNS1_3repE0EEENS1_30default_config_static_selectorELNS0_4arch9wavefront6targetE0EEEvT1_
	.globl	_ZN7rocprim17ROCPRIM_400000_NS6detail17trampoline_kernelINS0_14default_configENS1_25partition_config_selectorILNS1_17partition_subalgoE9ExxbEEZZNS1_14partition_implILS5_9ELb0ES3_jN6thrust23THRUST_200600_302600_NS6detail15normal_iteratorINS9_10device_ptrIxEEEESE_PNS0_10empty_typeENS0_5tupleIJSE_SF_EEENSH_IJSE_SG_EEENS0_18inequality_wrapperINS9_8equal_toIxEEEEPmJSF_EEE10hipError_tPvRmT3_T4_T5_T6_T7_T9_mT8_P12ihipStream_tbDpT10_ENKUlT_T0_E_clISt17integral_constantIbLb1EES17_IbLb0EEEEDaS13_S14_EUlS13_E_NS1_11comp_targetILNS1_3genE10ELNS1_11target_archE1200ELNS1_3gpuE4ELNS1_3repE0EEENS1_30default_config_static_selectorELNS0_4arch9wavefront6targetE0EEEvT1_
	.p2align	8
	.type	_ZN7rocprim17ROCPRIM_400000_NS6detail17trampoline_kernelINS0_14default_configENS1_25partition_config_selectorILNS1_17partition_subalgoE9ExxbEEZZNS1_14partition_implILS5_9ELb0ES3_jN6thrust23THRUST_200600_302600_NS6detail15normal_iteratorINS9_10device_ptrIxEEEESE_PNS0_10empty_typeENS0_5tupleIJSE_SF_EEENSH_IJSE_SG_EEENS0_18inequality_wrapperINS9_8equal_toIxEEEEPmJSF_EEE10hipError_tPvRmT3_T4_T5_T6_T7_T9_mT8_P12ihipStream_tbDpT10_ENKUlT_T0_E_clISt17integral_constantIbLb1EES17_IbLb0EEEEDaS13_S14_EUlS13_E_NS1_11comp_targetILNS1_3genE10ELNS1_11target_archE1200ELNS1_3gpuE4ELNS1_3repE0EEENS1_30default_config_static_selectorELNS0_4arch9wavefront6targetE0EEEvT1_,@function
_ZN7rocprim17ROCPRIM_400000_NS6detail17trampoline_kernelINS0_14default_configENS1_25partition_config_selectorILNS1_17partition_subalgoE9ExxbEEZZNS1_14partition_implILS5_9ELb0ES3_jN6thrust23THRUST_200600_302600_NS6detail15normal_iteratorINS9_10device_ptrIxEEEESE_PNS0_10empty_typeENS0_5tupleIJSE_SF_EEENSH_IJSE_SG_EEENS0_18inequality_wrapperINS9_8equal_toIxEEEEPmJSF_EEE10hipError_tPvRmT3_T4_T5_T6_T7_T9_mT8_P12ihipStream_tbDpT10_ENKUlT_T0_E_clISt17integral_constantIbLb1EES17_IbLb0EEEEDaS13_S14_EUlS13_E_NS1_11comp_targetILNS1_3genE10ELNS1_11target_archE1200ELNS1_3gpuE4ELNS1_3repE0EEENS1_30default_config_static_selectorELNS0_4arch9wavefront6targetE0EEEvT1_: ; @_ZN7rocprim17ROCPRIM_400000_NS6detail17trampoline_kernelINS0_14default_configENS1_25partition_config_selectorILNS1_17partition_subalgoE9ExxbEEZZNS1_14partition_implILS5_9ELb0ES3_jN6thrust23THRUST_200600_302600_NS6detail15normal_iteratorINS9_10device_ptrIxEEEESE_PNS0_10empty_typeENS0_5tupleIJSE_SF_EEENSH_IJSE_SG_EEENS0_18inequality_wrapperINS9_8equal_toIxEEEEPmJSF_EEE10hipError_tPvRmT3_T4_T5_T6_T7_T9_mT8_P12ihipStream_tbDpT10_ENKUlT_T0_E_clISt17integral_constantIbLb1EES17_IbLb0EEEEDaS13_S14_EUlS13_E_NS1_11comp_targetILNS1_3genE10ELNS1_11target_archE1200ELNS1_3gpuE4ELNS1_3repE0EEENS1_30default_config_static_selectorELNS0_4arch9wavefront6targetE0EEEvT1_
; %bb.0:
	.section	.rodata,"a",@progbits
	.p2align	6, 0x0
	.amdhsa_kernel _ZN7rocprim17ROCPRIM_400000_NS6detail17trampoline_kernelINS0_14default_configENS1_25partition_config_selectorILNS1_17partition_subalgoE9ExxbEEZZNS1_14partition_implILS5_9ELb0ES3_jN6thrust23THRUST_200600_302600_NS6detail15normal_iteratorINS9_10device_ptrIxEEEESE_PNS0_10empty_typeENS0_5tupleIJSE_SF_EEENSH_IJSE_SG_EEENS0_18inequality_wrapperINS9_8equal_toIxEEEEPmJSF_EEE10hipError_tPvRmT3_T4_T5_T6_T7_T9_mT8_P12ihipStream_tbDpT10_ENKUlT_T0_E_clISt17integral_constantIbLb1EES17_IbLb0EEEEDaS13_S14_EUlS13_E_NS1_11comp_targetILNS1_3genE10ELNS1_11target_archE1200ELNS1_3gpuE4ELNS1_3repE0EEENS1_30default_config_static_selectorELNS0_4arch9wavefront6targetE0EEEvT1_
		.amdhsa_group_segment_fixed_size 0
		.amdhsa_private_segment_fixed_size 0
		.amdhsa_kernarg_size 112
		.amdhsa_user_sgpr_count 15
		.amdhsa_user_sgpr_dispatch_ptr 0
		.amdhsa_user_sgpr_queue_ptr 0
		.amdhsa_user_sgpr_kernarg_segment_ptr 1
		.amdhsa_user_sgpr_dispatch_id 0
		.amdhsa_user_sgpr_private_segment_size 0
		.amdhsa_wavefront_size32 1
		.amdhsa_uses_dynamic_stack 0
		.amdhsa_enable_private_segment 0
		.amdhsa_system_sgpr_workgroup_id_x 1
		.amdhsa_system_sgpr_workgroup_id_y 0
		.amdhsa_system_sgpr_workgroup_id_z 0
		.amdhsa_system_sgpr_workgroup_info 0
		.amdhsa_system_vgpr_workitem_id 0
		.amdhsa_next_free_vgpr 1
		.amdhsa_next_free_sgpr 1
		.amdhsa_reserve_vcc 0
		.amdhsa_float_round_mode_32 0
		.amdhsa_float_round_mode_16_64 0
		.amdhsa_float_denorm_mode_32 3
		.amdhsa_float_denorm_mode_16_64 3
		.amdhsa_dx10_clamp 1
		.amdhsa_ieee_mode 1
		.amdhsa_fp16_overflow 0
		.amdhsa_workgroup_processor_mode 1
		.amdhsa_memory_ordered 1
		.amdhsa_forward_progress 0
		.amdhsa_shared_vgpr_count 0
		.amdhsa_exception_fp_ieee_invalid_op 0
		.amdhsa_exception_fp_denorm_src 0
		.amdhsa_exception_fp_ieee_div_zero 0
		.amdhsa_exception_fp_ieee_overflow 0
		.amdhsa_exception_fp_ieee_underflow 0
		.amdhsa_exception_fp_ieee_inexact 0
		.amdhsa_exception_int_div_zero 0
	.end_amdhsa_kernel
	.section	.text._ZN7rocprim17ROCPRIM_400000_NS6detail17trampoline_kernelINS0_14default_configENS1_25partition_config_selectorILNS1_17partition_subalgoE9ExxbEEZZNS1_14partition_implILS5_9ELb0ES3_jN6thrust23THRUST_200600_302600_NS6detail15normal_iteratorINS9_10device_ptrIxEEEESE_PNS0_10empty_typeENS0_5tupleIJSE_SF_EEENSH_IJSE_SG_EEENS0_18inequality_wrapperINS9_8equal_toIxEEEEPmJSF_EEE10hipError_tPvRmT3_T4_T5_T6_T7_T9_mT8_P12ihipStream_tbDpT10_ENKUlT_T0_E_clISt17integral_constantIbLb1EES17_IbLb0EEEEDaS13_S14_EUlS13_E_NS1_11comp_targetILNS1_3genE10ELNS1_11target_archE1200ELNS1_3gpuE4ELNS1_3repE0EEENS1_30default_config_static_selectorELNS0_4arch9wavefront6targetE0EEEvT1_,"axG",@progbits,_ZN7rocprim17ROCPRIM_400000_NS6detail17trampoline_kernelINS0_14default_configENS1_25partition_config_selectorILNS1_17partition_subalgoE9ExxbEEZZNS1_14partition_implILS5_9ELb0ES3_jN6thrust23THRUST_200600_302600_NS6detail15normal_iteratorINS9_10device_ptrIxEEEESE_PNS0_10empty_typeENS0_5tupleIJSE_SF_EEENSH_IJSE_SG_EEENS0_18inequality_wrapperINS9_8equal_toIxEEEEPmJSF_EEE10hipError_tPvRmT3_T4_T5_T6_T7_T9_mT8_P12ihipStream_tbDpT10_ENKUlT_T0_E_clISt17integral_constantIbLb1EES17_IbLb0EEEEDaS13_S14_EUlS13_E_NS1_11comp_targetILNS1_3genE10ELNS1_11target_archE1200ELNS1_3gpuE4ELNS1_3repE0EEENS1_30default_config_static_selectorELNS0_4arch9wavefront6targetE0EEEvT1_,comdat
.Lfunc_end361:
	.size	_ZN7rocprim17ROCPRIM_400000_NS6detail17trampoline_kernelINS0_14default_configENS1_25partition_config_selectorILNS1_17partition_subalgoE9ExxbEEZZNS1_14partition_implILS5_9ELb0ES3_jN6thrust23THRUST_200600_302600_NS6detail15normal_iteratorINS9_10device_ptrIxEEEESE_PNS0_10empty_typeENS0_5tupleIJSE_SF_EEENSH_IJSE_SG_EEENS0_18inequality_wrapperINS9_8equal_toIxEEEEPmJSF_EEE10hipError_tPvRmT3_T4_T5_T6_T7_T9_mT8_P12ihipStream_tbDpT10_ENKUlT_T0_E_clISt17integral_constantIbLb1EES17_IbLb0EEEEDaS13_S14_EUlS13_E_NS1_11comp_targetILNS1_3genE10ELNS1_11target_archE1200ELNS1_3gpuE4ELNS1_3repE0EEENS1_30default_config_static_selectorELNS0_4arch9wavefront6targetE0EEEvT1_, .Lfunc_end361-_ZN7rocprim17ROCPRIM_400000_NS6detail17trampoline_kernelINS0_14default_configENS1_25partition_config_selectorILNS1_17partition_subalgoE9ExxbEEZZNS1_14partition_implILS5_9ELb0ES3_jN6thrust23THRUST_200600_302600_NS6detail15normal_iteratorINS9_10device_ptrIxEEEESE_PNS0_10empty_typeENS0_5tupleIJSE_SF_EEENSH_IJSE_SG_EEENS0_18inequality_wrapperINS9_8equal_toIxEEEEPmJSF_EEE10hipError_tPvRmT3_T4_T5_T6_T7_T9_mT8_P12ihipStream_tbDpT10_ENKUlT_T0_E_clISt17integral_constantIbLb1EES17_IbLb0EEEEDaS13_S14_EUlS13_E_NS1_11comp_targetILNS1_3genE10ELNS1_11target_archE1200ELNS1_3gpuE4ELNS1_3repE0EEENS1_30default_config_static_selectorELNS0_4arch9wavefront6targetE0EEEvT1_
                                        ; -- End function
	.section	.AMDGPU.csdata,"",@progbits
; Kernel info:
; codeLenInByte = 0
; NumSgprs: 0
; NumVgprs: 0
; ScratchSize: 0
; MemoryBound: 0
; FloatMode: 240
; IeeeMode: 1
; LDSByteSize: 0 bytes/workgroup (compile time only)
; SGPRBlocks: 0
; VGPRBlocks: 0
; NumSGPRsForWavesPerEU: 1
; NumVGPRsForWavesPerEU: 1
; Occupancy: 15
; WaveLimiterHint : 0
; COMPUTE_PGM_RSRC2:SCRATCH_EN: 0
; COMPUTE_PGM_RSRC2:USER_SGPR: 15
; COMPUTE_PGM_RSRC2:TRAP_HANDLER: 0
; COMPUTE_PGM_RSRC2:TGID_X_EN: 1
; COMPUTE_PGM_RSRC2:TGID_Y_EN: 0
; COMPUTE_PGM_RSRC2:TGID_Z_EN: 0
; COMPUTE_PGM_RSRC2:TIDIG_COMP_CNT: 0
	.section	.text._ZN7rocprim17ROCPRIM_400000_NS6detail17trampoline_kernelINS0_14default_configENS1_25partition_config_selectorILNS1_17partition_subalgoE9ExxbEEZZNS1_14partition_implILS5_9ELb0ES3_jN6thrust23THRUST_200600_302600_NS6detail15normal_iteratorINS9_10device_ptrIxEEEESE_PNS0_10empty_typeENS0_5tupleIJSE_SF_EEENSH_IJSE_SG_EEENS0_18inequality_wrapperINS9_8equal_toIxEEEEPmJSF_EEE10hipError_tPvRmT3_T4_T5_T6_T7_T9_mT8_P12ihipStream_tbDpT10_ENKUlT_T0_E_clISt17integral_constantIbLb1EES17_IbLb0EEEEDaS13_S14_EUlS13_E_NS1_11comp_targetILNS1_3genE9ELNS1_11target_archE1100ELNS1_3gpuE3ELNS1_3repE0EEENS1_30default_config_static_selectorELNS0_4arch9wavefront6targetE0EEEvT1_,"axG",@progbits,_ZN7rocprim17ROCPRIM_400000_NS6detail17trampoline_kernelINS0_14default_configENS1_25partition_config_selectorILNS1_17partition_subalgoE9ExxbEEZZNS1_14partition_implILS5_9ELb0ES3_jN6thrust23THRUST_200600_302600_NS6detail15normal_iteratorINS9_10device_ptrIxEEEESE_PNS0_10empty_typeENS0_5tupleIJSE_SF_EEENSH_IJSE_SG_EEENS0_18inequality_wrapperINS9_8equal_toIxEEEEPmJSF_EEE10hipError_tPvRmT3_T4_T5_T6_T7_T9_mT8_P12ihipStream_tbDpT10_ENKUlT_T0_E_clISt17integral_constantIbLb1EES17_IbLb0EEEEDaS13_S14_EUlS13_E_NS1_11comp_targetILNS1_3genE9ELNS1_11target_archE1100ELNS1_3gpuE3ELNS1_3repE0EEENS1_30default_config_static_selectorELNS0_4arch9wavefront6targetE0EEEvT1_,comdat
	.protected	_ZN7rocprim17ROCPRIM_400000_NS6detail17trampoline_kernelINS0_14default_configENS1_25partition_config_selectorILNS1_17partition_subalgoE9ExxbEEZZNS1_14partition_implILS5_9ELb0ES3_jN6thrust23THRUST_200600_302600_NS6detail15normal_iteratorINS9_10device_ptrIxEEEESE_PNS0_10empty_typeENS0_5tupleIJSE_SF_EEENSH_IJSE_SG_EEENS0_18inequality_wrapperINS9_8equal_toIxEEEEPmJSF_EEE10hipError_tPvRmT3_T4_T5_T6_T7_T9_mT8_P12ihipStream_tbDpT10_ENKUlT_T0_E_clISt17integral_constantIbLb1EES17_IbLb0EEEEDaS13_S14_EUlS13_E_NS1_11comp_targetILNS1_3genE9ELNS1_11target_archE1100ELNS1_3gpuE3ELNS1_3repE0EEENS1_30default_config_static_selectorELNS0_4arch9wavefront6targetE0EEEvT1_ ; -- Begin function _ZN7rocprim17ROCPRIM_400000_NS6detail17trampoline_kernelINS0_14default_configENS1_25partition_config_selectorILNS1_17partition_subalgoE9ExxbEEZZNS1_14partition_implILS5_9ELb0ES3_jN6thrust23THRUST_200600_302600_NS6detail15normal_iteratorINS9_10device_ptrIxEEEESE_PNS0_10empty_typeENS0_5tupleIJSE_SF_EEENSH_IJSE_SG_EEENS0_18inequality_wrapperINS9_8equal_toIxEEEEPmJSF_EEE10hipError_tPvRmT3_T4_T5_T6_T7_T9_mT8_P12ihipStream_tbDpT10_ENKUlT_T0_E_clISt17integral_constantIbLb1EES17_IbLb0EEEEDaS13_S14_EUlS13_E_NS1_11comp_targetILNS1_3genE9ELNS1_11target_archE1100ELNS1_3gpuE3ELNS1_3repE0EEENS1_30default_config_static_selectorELNS0_4arch9wavefront6targetE0EEEvT1_
	.globl	_ZN7rocprim17ROCPRIM_400000_NS6detail17trampoline_kernelINS0_14default_configENS1_25partition_config_selectorILNS1_17partition_subalgoE9ExxbEEZZNS1_14partition_implILS5_9ELb0ES3_jN6thrust23THRUST_200600_302600_NS6detail15normal_iteratorINS9_10device_ptrIxEEEESE_PNS0_10empty_typeENS0_5tupleIJSE_SF_EEENSH_IJSE_SG_EEENS0_18inequality_wrapperINS9_8equal_toIxEEEEPmJSF_EEE10hipError_tPvRmT3_T4_T5_T6_T7_T9_mT8_P12ihipStream_tbDpT10_ENKUlT_T0_E_clISt17integral_constantIbLb1EES17_IbLb0EEEEDaS13_S14_EUlS13_E_NS1_11comp_targetILNS1_3genE9ELNS1_11target_archE1100ELNS1_3gpuE3ELNS1_3repE0EEENS1_30default_config_static_selectorELNS0_4arch9wavefront6targetE0EEEvT1_
	.p2align	8
	.type	_ZN7rocprim17ROCPRIM_400000_NS6detail17trampoline_kernelINS0_14default_configENS1_25partition_config_selectorILNS1_17partition_subalgoE9ExxbEEZZNS1_14partition_implILS5_9ELb0ES3_jN6thrust23THRUST_200600_302600_NS6detail15normal_iteratorINS9_10device_ptrIxEEEESE_PNS0_10empty_typeENS0_5tupleIJSE_SF_EEENSH_IJSE_SG_EEENS0_18inequality_wrapperINS9_8equal_toIxEEEEPmJSF_EEE10hipError_tPvRmT3_T4_T5_T6_T7_T9_mT8_P12ihipStream_tbDpT10_ENKUlT_T0_E_clISt17integral_constantIbLb1EES17_IbLb0EEEEDaS13_S14_EUlS13_E_NS1_11comp_targetILNS1_3genE9ELNS1_11target_archE1100ELNS1_3gpuE3ELNS1_3repE0EEENS1_30default_config_static_selectorELNS0_4arch9wavefront6targetE0EEEvT1_,@function
_ZN7rocprim17ROCPRIM_400000_NS6detail17trampoline_kernelINS0_14default_configENS1_25partition_config_selectorILNS1_17partition_subalgoE9ExxbEEZZNS1_14partition_implILS5_9ELb0ES3_jN6thrust23THRUST_200600_302600_NS6detail15normal_iteratorINS9_10device_ptrIxEEEESE_PNS0_10empty_typeENS0_5tupleIJSE_SF_EEENSH_IJSE_SG_EEENS0_18inequality_wrapperINS9_8equal_toIxEEEEPmJSF_EEE10hipError_tPvRmT3_T4_T5_T6_T7_T9_mT8_P12ihipStream_tbDpT10_ENKUlT_T0_E_clISt17integral_constantIbLb1EES17_IbLb0EEEEDaS13_S14_EUlS13_E_NS1_11comp_targetILNS1_3genE9ELNS1_11target_archE1100ELNS1_3gpuE3ELNS1_3repE0EEENS1_30default_config_static_selectorELNS0_4arch9wavefront6targetE0EEEvT1_: ; @_ZN7rocprim17ROCPRIM_400000_NS6detail17trampoline_kernelINS0_14default_configENS1_25partition_config_selectorILNS1_17partition_subalgoE9ExxbEEZZNS1_14partition_implILS5_9ELb0ES3_jN6thrust23THRUST_200600_302600_NS6detail15normal_iteratorINS9_10device_ptrIxEEEESE_PNS0_10empty_typeENS0_5tupleIJSE_SF_EEENSH_IJSE_SG_EEENS0_18inequality_wrapperINS9_8equal_toIxEEEEPmJSF_EEE10hipError_tPvRmT3_T4_T5_T6_T7_T9_mT8_P12ihipStream_tbDpT10_ENKUlT_T0_E_clISt17integral_constantIbLb1EES17_IbLb0EEEEDaS13_S14_EUlS13_E_NS1_11comp_targetILNS1_3genE9ELNS1_11target_archE1100ELNS1_3gpuE3ELNS1_3repE0EEENS1_30default_config_static_selectorELNS0_4arch9wavefront6targetE0EEEvT1_
; %bb.0:
	s_clause 0x4
	s_load_b128 s[4:7], s[0:1], 0x8
	s_load_b32 s14, s[0:1], 0x68
	s_load_b128 s[16:19], s[0:1], 0x40
	s_load_b64 s[2:3], s[0:1], 0x50
	s_load_b64 s[8:9], s[0:1], 0x18
	s_mov_b32 s23, 0
	v_lshlrev_b32_e32 v55, 3, v0
	v_lshrrev_b32_e32 v33, 2, v0
	v_or_b32_e32 v38, 0x200, v0
	v_or_b32_e32 v36, 0x400, v0
	;; [unrolled: 1-line block ×7, first 2 shown]
	s_waitcnt lgkmcnt(0)
	s_lshl_b64 s[12:13], s[6:7], 3
	s_delay_alu instid0(SALU_CYCLE_1)
	s_add_u32 s21, s4, s12
	s_addc_u32 s24, s5, s13
	s_add_i32 s20, s14, -1
	s_load_b64 s[10:11], s[18:19], 0x0
	s_lshl_b32 s4, s20, 12
	s_lshl_b32 s5, s14, 12
	s_add_i32 s4, s6, s4
	s_lshl_b32 s22, s15, 12
	s_sub_i32 s19, s2, s4
	s_add_u32 s4, s6, s5
	s_addc_u32 s5, s7, 0
	s_cmp_eq_u32 s15, s20
	v_cmp_ge_u64_e64 s2, s[4:5], s[2:3]
	s_cselect_b32 s14, -1, 0
	s_lshl_b64 s[4:5], s[22:23], 3
	s_mov_b32 s22, -1
	s_delay_alu instid0(VALU_DEP_1) | instskip(NEXT) | instid1(SALU_CYCLE_1)
	s_and_b32 s20, s14, s2
	s_xor_b32 s18, s20, -1
	s_add_u32 s21, s21, s4
	s_addc_u32 s3, s24, s5
	s_and_b32 vcc_lo, exec_lo, s18
	s_cbranch_vccz .LBB362_2
; %bb.1:
	v_add_co_u32 v1, s2, s21, v55
	s_delay_alu instid0(VALU_DEP_1) | instskip(SKIP_1) | instid1(VALU_DEP_3)
	v_add_co_ci_u32_e64 v2, null, s3, 0, s2
	v_lshrrev_b32_e32 v18, 2, v38
	v_add_co_u32 v3, vcc_lo, 0x1000, v1
	s_delay_alu instid0(VALU_DEP_3)
	v_add_co_ci_u32_e32 v4, vcc_lo, 0, v2, vcc_lo
	v_add_co_u32 v5, vcc_lo, 0x2000, v1
	v_add_co_ci_u32_e32 v6, vcc_lo, 0, v2, vcc_lo
	v_add_co_u32 v7, vcc_lo, 0x3000, v1
	;; [unrolled: 2-line block ×6, first 2 shown]
	v_add_co_ci_u32_e32 v16, vcc_lo, 0, v2, vcc_lo
	s_clause 0x7
	flat_load_b64 v[1:2], v[1:2]
	flat_load_b64 v[3:4], v[3:4]
	;; [unrolled: 1-line block ×8, first 2 shown]
	v_lshrrev_b32_e32 v19, 2, v36
	v_lshrrev_b32_e32 v20, 2, v40
	;; [unrolled: 1-line block ×3, first 2 shown]
	v_and_b32_e32 v17, 0x78, v33
	v_lshrrev_b32_e32 v22, 2, v37
	v_lshrrev_b32_e32 v23, 2, v34
	;; [unrolled: 1-line block ×3, first 2 shown]
	v_and_b32_e32 v18, 0xf8, v18
	v_and_b32_e32 v19, 0x178, v19
	;; [unrolled: 1-line block ×4, first 2 shown]
	v_add_nc_u32_e32 v17, v17, v55
	v_and_b32_e32 v22, 0x2f8, v22
	v_and_b32_e32 v23, 0x378, v23
	;; [unrolled: 1-line block ×3, first 2 shown]
	v_add_nc_u32_e32 v18, v18, v55
	v_add_nc_u32_e32 v19, v19, v55
	;; [unrolled: 1-line block ×4, first 2 shown]
	s_mov_b32 s22, 0
	v_add_nc_u32_e32 v22, v22, v55
	v_add_nc_u32_e32 v23, v23, v55
	;; [unrolled: 1-line block ×3, first 2 shown]
	s_waitcnt vmcnt(7) lgkmcnt(0)
	ds_store_b64 v17, v[1:2]
	s_waitcnt vmcnt(6)
	ds_store_b64 v18, v[3:4] offset:4096
	s_waitcnt vmcnt(5)
	ds_store_b64 v19, v[5:6] offset:8192
	;; [unrolled: 2-line block ×7, first 2 shown]
	s_waitcnt lgkmcnt(0)
	s_barrier
.LBB362_2:
	v_cmp_gt_u32_e64 s2, s19, v0
	s_and_not1_b32 vcc_lo, exec_lo, s22
	s_cbranch_vccnz .LBB362_20
; %bb.3:
                                        ; implicit-def: $vgpr1_vgpr2_vgpr3_vgpr4_vgpr5_vgpr6_vgpr7_vgpr8_vgpr9_vgpr10_vgpr11_vgpr12_vgpr13_vgpr14_vgpr15_vgpr16
	s_delay_alu instid0(VALU_DEP_1)
	s_and_saveexec_b32 s22, s2
	s_cbranch_execz .LBB362_11
; %bb.4:
	v_add_co_u32 v1, s2, s21, v55
	s_delay_alu instid0(VALU_DEP_1) | instskip(SKIP_2) | instid1(SALU_CYCLE_1)
	v_add_co_ci_u32_e64 v2, null, s3, 0, s2
	flat_load_b64 v[1:2], v[1:2]
	s_or_b32 exec_lo, exec_lo, s22
	s_mov_b32 s2, exec_lo
	v_cmpx_gt_u32_e64 s19, v38
	s_cbranch_execnz .LBB362_12
.LBB362_5:
	s_or_b32 exec_lo, exec_lo, s2
	s_delay_alu instid0(SALU_CYCLE_1)
	s_mov_b32 s2, exec_lo
	v_cmpx_gt_u32_e64 s19, v36
	s_cbranch_execz .LBB362_13
.LBB362_6:
	v_lshlrev_b32_e32 v5, 3, v36
	s_delay_alu instid0(VALU_DEP_1) | instskip(NEXT) | instid1(VALU_DEP_1)
	v_add_co_u32 v5, s22, s21, v5
	v_add_co_ci_u32_e64 v6, null, s3, 0, s22
	flat_load_b64 v[5:6], v[5:6]
	s_or_b32 exec_lo, exec_lo, s2
	s_delay_alu instid0(SALU_CYCLE_1)
	s_mov_b32 s2, exec_lo
	v_cmpx_gt_u32_e64 s19, v40
	s_cbranch_execnz .LBB362_14
.LBB362_7:
	s_or_b32 exec_lo, exec_lo, s2
	s_delay_alu instid0(SALU_CYCLE_1)
	s_mov_b32 s2, exec_lo
	v_cmpx_gt_u32_e64 s19, v39
	s_cbranch_execz .LBB362_15
.LBB362_8:
	v_lshlrev_b32_e32 v9, 3, v39
	s_delay_alu instid0(VALU_DEP_1) | instskip(NEXT) | instid1(VALU_DEP_1)
	v_add_co_u32 v9, s22, s21, v9
	v_add_co_ci_u32_e64 v10, null, s3, 0, s22
	flat_load_b64 v[9:10], v[9:10]
	s_or_b32 exec_lo, exec_lo, s2
	s_delay_alu instid0(SALU_CYCLE_1)
	s_mov_b32 s2, exec_lo
	v_cmpx_gt_u32_e64 s19, v37
	s_cbranch_execnz .LBB362_16
.LBB362_9:
	s_or_b32 exec_lo, exec_lo, s2
	s_delay_alu instid0(SALU_CYCLE_1)
	s_mov_b32 s2, exec_lo
	v_cmpx_gt_u32_e64 s19, v34
	s_cbranch_execz .LBB362_17
.LBB362_10:
	v_lshlrev_b32_e32 v13, 3, v34
	s_delay_alu instid0(VALU_DEP_1) | instskip(NEXT) | instid1(VALU_DEP_1)
	v_add_co_u32 v13, s22, s21, v13
	v_add_co_ci_u32_e64 v14, null, s3, 0, s22
	flat_load_b64 v[13:14], v[13:14]
	s_or_b32 exec_lo, exec_lo, s2
	s_delay_alu instid0(SALU_CYCLE_1)
	s_mov_b32 s2, exec_lo
	v_cmpx_gt_u32_e64 s19, v35
	s_cbranch_execnz .LBB362_18
	s_branch .LBB362_19
.LBB362_11:
	s_or_b32 exec_lo, exec_lo, s22
	s_delay_alu instid0(SALU_CYCLE_1)
	s_mov_b32 s2, exec_lo
	v_cmpx_gt_u32_e64 s19, v38
	s_cbranch_execz .LBB362_5
.LBB362_12:
	v_lshlrev_b32_e32 v3, 3, v38
	s_delay_alu instid0(VALU_DEP_1) | instskip(NEXT) | instid1(VALU_DEP_1)
	v_add_co_u32 v3, s22, s21, v3
	v_add_co_ci_u32_e64 v4, null, s3, 0, s22
	flat_load_b64 v[3:4], v[3:4]
	s_or_b32 exec_lo, exec_lo, s2
	s_delay_alu instid0(SALU_CYCLE_1)
	s_mov_b32 s2, exec_lo
	v_cmpx_gt_u32_e64 s19, v36
	s_cbranch_execnz .LBB362_6
.LBB362_13:
	s_or_b32 exec_lo, exec_lo, s2
	s_delay_alu instid0(SALU_CYCLE_1)
	s_mov_b32 s2, exec_lo
	v_cmpx_gt_u32_e64 s19, v40
	s_cbranch_execz .LBB362_7
.LBB362_14:
	v_lshlrev_b32_e32 v7, 3, v40
	s_delay_alu instid0(VALU_DEP_1) | instskip(NEXT) | instid1(VALU_DEP_1)
	v_add_co_u32 v7, s22, s21, v7
	v_add_co_ci_u32_e64 v8, null, s3, 0, s22
	flat_load_b64 v[7:8], v[7:8]
	s_or_b32 exec_lo, exec_lo, s2
	s_delay_alu instid0(SALU_CYCLE_1)
	s_mov_b32 s2, exec_lo
	v_cmpx_gt_u32_e64 s19, v39
	s_cbranch_execnz .LBB362_8
.LBB362_15:
	s_or_b32 exec_lo, exec_lo, s2
	s_delay_alu instid0(SALU_CYCLE_1)
	s_mov_b32 s2, exec_lo
	v_cmpx_gt_u32_e64 s19, v37
	s_cbranch_execz .LBB362_9
.LBB362_16:
	v_lshlrev_b32_e32 v11, 3, v37
	s_delay_alu instid0(VALU_DEP_1) | instskip(NEXT) | instid1(VALU_DEP_1)
	v_add_co_u32 v11, s22, s21, v11
	v_add_co_ci_u32_e64 v12, null, s3, 0, s22
	flat_load_b64 v[11:12], v[11:12]
	s_or_b32 exec_lo, exec_lo, s2
	s_delay_alu instid0(SALU_CYCLE_1)
	s_mov_b32 s2, exec_lo
	v_cmpx_gt_u32_e64 s19, v34
	s_cbranch_execnz .LBB362_10
.LBB362_17:
	s_or_b32 exec_lo, exec_lo, s2
	s_delay_alu instid0(SALU_CYCLE_1)
	s_mov_b32 s2, exec_lo
	v_cmpx_gt_u32_e64 s19, v35
	s_cbranch_execz .LBB362_19
.LBB362_18:
	v_lshlrev_b32_e32 v15, 3, v35
	s_delay_alu instid0(VALU_DEP_1) | instskip(NEXT) | instid1(VALU_DEP_1)
	v_add_co_u32 v15, s22, s21, v15
	v_add_co_ci_u32_e64 v16, null, s3, 0, s22
	flat_load_b64 v[15:16], v[15:16]
.LBB362_19:
	s_or_b32 exec_lo, exec_lo, s2
	v_lshrrev_b32_e32 v17, 2, v38
	v_lshrrev_b32_e32 v18, 2, v36
	;; [unrolled: 1-line block ×4, first 2 shown]
	v_and_b32_e32 v19, 0x78, v33
	v_lshrrev_b32_e32 v22, 2, v37
	v_lshrrev_b32_e32 v23, 2, v34
	;; [unrolled: 1-line block ×3, first 2 shown]
	v_and_b32_e32 v17, 0xf8, v17
	v_and_b32_e32 v18, 0x1f8, v18
	;; [unrolled: 1-line block ×4, first 2 shown]
	v_add_nc_u32_e32 v19, v19, v55
	v_and_b32_e32 v22, 0x3f8, v22
	v_and_b32_e32 v23, 0x3f8, v23
	;; [unrolled: 1-line block ×3, first 2 shown]
	v_add_nc_u32_e32 v17, v17, v55
	v_add_nc_u32_e32 v18, v18, v55
	;; [unrolled: 1-line block ×7, first 2 shown]
	s_waitcnt vmcnt(0) lgkmcnt(0)
	ds_store_b64 v19, v[1:2]
	ds_store_b64 v17, v[3:4] offset:4096
	ds_store_b64 v18, v[5:6] offset:8192
	;; [unrolled: 1-line block ×7, first 2 shown]
	s_waitcnt lgkmcnt(0)
	s_barrier
.LBB362_20:
	v_add_lshl_u32 v41, v33, v55, 3
	s_waitcnt lgkmcnt(0)
	buffer_gl0_inv
	s_add_u32 s2, s8, s12
	s_addc_u32 s8, s9, s13
	s_add_u32 s2, s2, s4
	ds_load_2addr_b64 v[29:32], v41 offset1:1
	ds_load_2addr_b64 v[25:28], v41 offset0:2 offset1:3
	ds_load_2addr_b64 v[21:24], v41 offset0:4 offset1:5
	;; [unrolled: 1-line block ×3, first 2 shown]
	s_addc_u32 s4, s8, s5
	s_and_b32 vcc_lo, exec_lo, s18
	s_mov_b32 s5, -1
	s_waitcnt lgkmcnt(0)
	s_barrier
	buffer_gl0_inv
	s_cbranch_vccz .LBB362_22
; %bb.21:
	v_add_co_u32 v1, s5, s2, v55
	s_delay_alu instid0(VALU_DEP_1) | instskip(SKIP_1) | instid1(VALU_DEP_3)
	v_add_co_ci_u32_e64 v2, null, s4, 0, s5
	v_lshrrev_b32_e32 v43, 2, v38
	v_add_co_u32 v3, vcc_lo, 0x1000, v1
	s_delay_alu instid0(VALU_DEP_3)
	v_add_co_ci_u32_e32 v4, vcc_lo, 0, v2, vcc_lo
	v_add_co_u32 v5, vcc_lo, 0x2000, v1
	v_add_co_ci_u32_e32 v6, vcc_lo, 0, v2, vcc_lo
	v_add_co_u32 v7, vcc_lo, 0x3000, v1
	;; [unrolled: 2-line block ×6, first 2 shown]
	v_add_co_ci_u32_e32 v16, vcc_lo, 0, v2, vcc_lo
	s_clause 0x7
	flat_load_b64 v[1:2], v[1:2]
	flat_load_b64 v[3:4], v[3:4]
	;; [unrolled: 1-line block ×8, first 2 shown]
	v_lshrrev_b32_e32 v44, 2, v36
	v_lshrrev_b32_e32 v45, 2, v40
	;; [unrolled: 1-line block ×3, first 2 shown]
	v_and_b32_e32 v42, 0x78, v33
	v_lshrrev_b32_e32 v47, 2, v37
	v_lshrrev_b32_e32 v48, 2, v34
	;; [unrolled: 1-line block ×3, first 2 shown]
	v_and_b32_e32 v43, 0xf8, v43
	v_and_b32_e32 v44, 0x178, v44
	;; [unrolled: 1-line block ×4, first 2 shown]
	v_add_nc_u32_e32 v42, v42, v55
	v_and_b32_e32 v47, 0x2f8, v47
	v_and_b32_e32 v48, 0x378, v48
	;; [unrolled: 1-line block ×3, first 2 shown]
	v_add_nc_u32_e32 v43, v43, v55
	v_add_nc_u32_e32 v44, v44, v55
	;; [unrolled: 1-line block ×4, first 2 shown]
	s_mov_b32 s5, 0
	v_add_nc_u32_e32 v47, v47, v55
	v_add_nc_u32_e32 v48, v48, v55
	v_add_nc_u32_e32 v49, v49, v55
	s_waitcnt vmcnt(7) lgkmcnt(7)
	ds_store_b64 v42, v[1:2]
	s_waitcnt vmcnt(6) lgkmcnt(7)
	ds_store_b64 v43, v[3:4] offset:4096
	s_waitcnt vmcnt(5) lgkmcnt(7)
	ds_store_b64 v44, v[5:6] offset:8192
	;; [unrolled: 2-line block ×7, first 2 shown]
	s_waitcnt lgkmcnt(0)
	s_barrier
.LBB362_22:
	s_and_not1_b32 vcc_lo, exec_lo, s5
	s_cbranch_vccnz .LBB362_40
; %bb.23:
	s_mov_b32 s5, exec_lo
                                        ; implicit-def: $vgpr1_vgpr2
	v_cmpx_gt_u32_e64 s19, v0
	s_cbranch_execz .LBB362_25
; %bb.24:
	v_add_co_u32 v1, s8, s2, v55
	s_delay_alu instid0(VALU_DEP_1)
	v_add_co_ci_u32_e64 v2, null, s4, 0, s8
	flat_load_b64 v[1:2], v[1:2]
.LBB362_25:
	s_or_b32 exec_lo, exec_lo, s5
	s_delay_alu instid0(SALU_CYCLE_1)
	s_mov_b32 s5, exec_lo
                                        ; implicit-def: $vgpr3_vgpr4
	v_cmpx_gt_u32_e64 s19, v38
	s_cbranch_execz .LBB362_27
; %bb.26:
	v_lshlrev_b32_e32 v3, 3, v38
	s_delay_alu instid0(VALU_DEP_1) | instskip(NEXT) | instid1(VALU_DEP_1)
	v_add_co_u32 v3, s8, s2, v3
	v_add_co_ci_u32_e64 v4, null, s4, 0, s8
	flat_load_b64 v[3:4], v[3:4]
.LBB362_27:
	s_or_b32 exec_lo, exec_lo, s5
	s_delay_alu instid0(SALU_CYCLE_1)
	s_mov_b32 s5, exec_lo
                                        ; implicit-def: $vgpr5_vgpr6
	v_cmpx_gt_u32_e64 s19, v36
	s_cbranch_execz .LBB362_29
; %bb.28:
	v_lshlrev_b32_e32 v5, 3, v36
	s_delay_alu instid0(VALU_DEP_1) | instskip(NEXT) | instid1(VALU_DEP_1)
	v_add_co_u32 v5, s8, s2, v5
	v_add_co_ci_u32_e64 v6, null, s4, 0, s8
	flat_load_b64 v[5:6], v[5:6]
.LBB362_29:
	s_or_b32 exec_lo, exec_lo, s5
	s_delay_alu instid0(SALU_CYCLE_1)
	s_mov_b32 s5, exec_lo
                                        ; implicit-def: $vgpr7_vgpr8
	v_cmpx_gt_u32_e64 s19, v40
	s_cbranch_execz .LBB362_31
; %bb.30:
	v_lshlrev_b32_e32 v7, 3, v40
	s_delay_alu instid0(VALU_DEP_1) | instskip(NEXT) | instid1(VALU_DEP_1)
	v_add_co_u32 v7, s8, s2, v7
	v_add_co_ci_u32_e64 v8, null, s4, 0, s8
	flat_load_b64 v[7:8], v[7:8]
.LBB362_31:
	s_or_b32 exec_lo, exec_lo, s5
	s_delay_alu instid0(SALU_CYCLE_1)
	s_mov_b32 s5, exec_lo
                                        ; implicit-def: $vgpr9_vgpr10
	v_cmpx_gt_u32_e64 s19, v39
	s_cbranch_execz .LBB362_33
; %bb.32:
	v_lshlrev_b32_e32 v9, 3, v39
	s_delay_alu instid0(VALU_DEP_1) | instskip(NEXT) | instid1(VALU_DEP_1)
	v_add_co_u32 v9, s8, s2, v9
	v_add_co_ci_u32_e64 v10, null, s4, 0, s8
	flat_load_b64 v[9:10], v[9:10]
.LBB362_33:
	s_or_b32 exec_lo, exec_lo, s5
	s_delay_alu instid0(SALU_CYCLE_1)
	s_mov_b32 s5, exec_lo
                                        ; implicit-def: $vgpr11_vgpr12
	v_cmpx_gt_u32_e64 s19, v37
	s_cbranch_execz .LBB362_35
; %bb.34:
	v_lshlrev_b32_e32 v11, 3, v37
	s_delay_alu instid0(VALU_DEP_1) | instskip(NEXT) | instid1(VALU_DEP_1)
	v_add_co_u32 v11, s8, s2, v11
	v_add_co_ci_u32_e64 v12, null, s4, 0, s8
	flat_load_b64 v[11:12], v[11:12]
.LBB362_35:
	s_or_b32 exec_lo, exec_lo, s5
	s_delay_alu instid0(SALU_CYCLE_1)
	s_mov_b32 s5, exec_lo
                                        ; implicit-def: $vgpr13_vgpr14
	v_cmpx_gt_u32_e64 s19, v34
	s_cbranch_execz .LBB362_37
; %bb.36:
	v_lshlrev_b32_e32 v13, 3, v34
	s_delay_alu instid0(VALU_DEP_1) | instskip(NEXT) | instid1(VALU_DEP_1)
	v_add_co_u32 v13, s8, s2, v13
	v_add_co_ci_u32_e64 v14, null, s4, 0, s8
	flat_load_b64 v[13:14], v[13:14]
.LBB362_37:
	s_or_b32 exec_lo, exec_lo, s5
	s_delay_alu instid0(SALU_CYCLE_1)
	s_mov_b32 s5, exec_lo
                                        ; implicit-def: $vgpr15_vgpr16
	v_cmpx_gt_u32_e64 s19, v35
	s_cbranch_execz .LBB362_39
; %bb.38:
	v_lshlrev_b32_e32 v15, 3, v35
	s_delay_alu instid0(VALU_DEP_1) | instskip(NEXT) | instid1(VALU_DEP_1)
	v_add_co_u32 v15, s2, s2, v15
	v_add_co_ci_u32_e64 v16, null, s4, 0, s2
	flat_load_b64 v[15:16], v[15:16]
.LBB362_39:
	s_or_b32 exec_lo, exec_lo, s5
	v_lshrrev_b32_e32 v38, 2, v38
	v_lshrrev_b32_e32 v36, 2, v36
	;; [unrolled: 1-line block ×4, first 2 shown]
	v_and_b32_e32 v33, 0x78, v33
	v_lshrrev_b32_e32 v37, 2, v37
	v_lshrrev_b32_e32 v34, 2, v34
	;; [unrolled: 1-line block ×3, first 2 shown]
	v_and_b32_e32 v38, 0xf8, v38
	v_and_b32_e32 v36, 0x1f8, v36
	;; [unrolled: 1-line block ×4, first 2 shown]
	v_add_nc_u32_e32 v33, v33, v55
	v_and_b32_e32 v37, 0x3f8, v37
	v_and_b32_e32 v34, 0x3f8, v34
	;; [unrolled: 1-line block ×3, first 2 shown]
	v_add_nc_u32_e32 v38, v38, v55
	v_add_nc_u32_e32 v36, v36, v55
	;; [unrolled: 1-line block ×7, first 2 shown]
	s_waitcnt vmcnt(0) lgkmcnt(0)
	ds_store_b64 v33, v[1:2]
	ds_store_b64 v38, v[3:4] offset:4096
	ds_store_b64 v36, v[5:6] offset:8192
	;; [unrolled: 1-line block ×7, first 2 shown]
	s_waitcnt lgkmcnt(0)
	s_barrier
.LBB362_40:
	buffer_gl0_inv
	ds_load_2addr_b64 v[13:16], v41 offset1:1
	ds_load_2addr_b64 v[9:12], v41 offset0:2 offset1:3
	ds_load_2addr_b64 v[5:8], v41 offset0:4 offset1:5
	;; [unrolled: 1-line block ×3, first 2 shown]
	s_cmp_lg_u32 s15, 0
	s_mov_b32 s12, 0
	s_cselect_b32 s9, -1, 0
	s_cmp_lg_u64 s[6:7], 0
	s_waitcnt lgkmcnt(0)
	s_cselect_b32 s2, -1, 0
	s_barrier
	s_or_b32 s2, s9, s2
	buffer_gl0_inv
	s_and_b32 vcc_lo, exec_lo, s2
	s_cbranch_vccz .LBB362_45
; %bb.41:
	v_add_co_u32 v33, s2, -8, s21
	s_delay_alu instid0(VALU_DEP_1)
	v_add_co_ci_u32_e64 v34, null, -1, s3, s2
	s_mov_b32 s3, -1
	s_and_b32 vcc_lo, exec_lo, s18
	flat_load_b64 v[35:36], v[33:34]
	ds_store_b64 v55, v[19:20]
	s_cbranch_vccz .LBB362_46
; %bb.42:
	s_waitcnt vmcnt(0) lgkmcnt(1)
	v_dual_mov_b32 v33, v35 :: v_dual_mov_b32 v34, v36
	s_mov_b32 s3, 0
	s_mov_b32 s2, exec_lo
	s_waitcnt lgkmcnt(0)
	s_barrier
	buffer_gl0_inv
	v_cmpx_ne_u32_e32 0, v0
	s_cbranch_execz .LBB362_44
; %bb.43:
	v_add_nc_u32_e32 v33, -8, v55
	ds_load_b64 v[33:34], v33
.LBB362_44:
	s_or_b32 exec_lo, exec_lo, s2
	v_cmp_ne_u64_e32 vcc_lo, v[17:18], v[19:20]
	s_waitcnt lgkmcnt(0)
	v_cmp_ne_u64_e64 s2, v[33:34], v[29:30]
	v_cndmask_b32_e64 v37, 0, 1, vcc_lo
	v_cmp_ne_u64_e32 vcc_lo, v[23:24], v[17:18]
	s_delay_alu instid0(VALU_DEP_2) | instskip(SKIP_2) | instid1(VALU_DEP_2)
	v_lshlrev_b16 v37, 8, v37
	v_cndmask_b32_e64 v38, 0, 1, vcc_lo
	v_cmp_ne_u64_e32 vcc_lo, v[21:22], v[23:24]
	v_or_b32_e32 v37, v38, v37
	v_cndmask_b32_e64 v39, 0, 1, vcc_lo
	v_cmp_ne_u64_e32 vcc_lo, v[25:26], v[27:28]
	s_delay_alu instid0(VALU_DEP_3) | instskip(NEXT) | instid1(VALU_DEP_3)
	v_lshlrev_b32_e32 v37, 16, v37
	v_lshlrev_b16 v39, 8, v39
	v_cndmask_b32_e64 v40, 0, 1, vcc_lo
	v_cmp_ne_u64_e32 vcc_lo, v[27:28], v[21:22]
	s_delay_alu instid0(VALU_DEP_2) | instskip(SKIP_2) | instid1(VALU_DEP_2)
	v_lshlrev_b16 v40, 8, v40
	v_cndmask_b32_e64 v41, 0, 1, vcc_lo
	v_cmp_ne_u64_e32 vcc_lo, v[31:32], v[25:26]
	v_or_b32_e32 v39, v41, v39
	v_cndmask_b32_e64 v42, 0, 1, vcc_lo
	v_cmp_ne_u64_e32 vcc_lo, v[29:30], v[31:32]
	s_delay_alu instid0(VALU_DEP_3) | instskip(NEXT) | instid1(VALU_DEP_3)
	v_and_b32_e32 v39, 0xffff, v39
	v_or_b32_e32 v40, v42, v40
	v_cndmask_b32_e64 v43, 0, 1, vcc_lo
	s_delay_alu instid0(VALU_DEP_3) | instskip(NEXT) | instid1(VALU_DEP_3)
	v_or_b32_e32 v34, v39, v37
	v_lshlrev_b32_e32 v38, 16, v40
	s_delay_alu instid0(VALU_DEP_3) | instskip(NEXT) | instid1(VALU_DEP_1)
	v_lshlrev_b16 v42, 8, v43
	v_and_b32_e32 v40, 0xffff, v42
	s_delay_alu instid0(VALU_DEP_1)
	v_or_b32_e32 v33, v40, v38
	s_and_b32 vcc_lo, exec_lo, s3
	s_cbranch_vccnz .LBB362_47
	s_branch .LBB362_50
.LBB362_45:
                                        ; implicit-def: $sgpr2
                                        ; implicit-def: $vgpr34
	s_branch .LBB362_51
.LBB362_46:
                                        ; implicit-def: $sgpr2
                                        ; implicit-def: $vgpr34
	s_and_b32 vcc_lo, exec_lo, s3
	s_cbranch_vccz .LBB362_50
.LBB362_47:
	s_mov_b32 s2, exec_lo
	s_waitcnt vmcnt(0) lgkmcnt(0)
	s_barrier
	buffer_gl0_inv
	v_cmpx_ne_u32_e32 0, v0
	s_cbranch_execz .LBB362_49
; %bb.48:
	v_add_nc_u32_e32 v33, -8, v55
	ds_load_b64 v[35:36], v33
.LBB362_49:
	s_or_b32 exec_lo, exec_lo, s2
	v_or_b32_e32 v33, 7, v55
	v_or_b32_e32 v34, 6, v55
	v_cmp_ne_u64_e32 vcc_lo, v[17:18], v[19:20]
	v_or_b32_e32 v37, 5, v55
	v_cmp_ne_u64_e64 s3, v[23:24], v[17:18]
	v_cmp_gt_u32_e64 s2, s19, v33
	v_cmp_gt_u32_e64 s4, s19, v34
	v_cmp_ne_u64_e64 s5, v[21:22], v[23:24]
	v_cmp_gt_u32_e64 s6, s19, v37
	v_or_b32_e32 v37, 3, v55
	s_and_b32 s2, s2, vcc_lo
	v_or_b32_e32 v38, 4, v55
	v_cndmask_b32_e64 v33, 0, 1, s2
	s_and_b32 s2, s4, s3
	v_cmp_ne_u64_e32 vcc_lo, v[25:26], v[27:28]
	v_cndmask_b32_e64 v34, 0, 1, s2
	s_and_b32 s2, s6, s5
	v_cmp_gt_u32_e64 s3, s19, v38
	v_cndmask_b32_e64 v39, 0, 1, s2
	v_cmp_gt_u32_e64 s2, s19, v37
	v_or_b32_e32 v37, 2, v55
	v_or_b32_e32 v38, 1, v55
	v_cmp_ne_u64_e64 s4, v[27:28], v[21:22]
	v_cmp_ne_u64_e64 s6, v[29:30], v[31:32]
	s_and_b32 s2, s2, vcc_lo
	v_cmp_ne_u64_e32 vcc_lo, v[31:32], v[25:26]
	v_cndmask_b32_e64 v40, 0, 1, s2
	v_cmp_gt_u32_e64 s2, s19, v37
	v_cmp_gt_u32_e64 s5, s19, v38
	s_and_b32 s3, s3, s4
	v_lshlrev_b16 v39, 8, v39
	v_cndmask_b32_e64 v37, 0, 1, s3
	s_and_b32 s2, s2, vcc_lo
	v_lshlrev_b16 v40, 8, v40
	v_cndmask_b32_e64 v38, 0, 1, s2
	s_and_b32 s2, s5, s6
	v_lshlrev_b16 v33, 8, v33
	v_cndmask_b32_e64 v41, 0, 1, s2
	v_or_b32_e32 v37, v37, v39
	v_or_b32_e32 v38, v38, v40
	s_waitcnt lgkmcnt(0)
	v_cmp_ne_u64_e32 vcc_lo, v[35:36], v[29:30]
	v_or_b32_e32 v33, v34, v33
	v_lshlrev_b16 v40, 8, v41
	v_and_b32_e32 v37, 0xffff, v37
	v_lshlrev_b32_e32 v34, 16, v38
	v_cmp_gt_u32_e64 s2, s19, v55
	v_lshlrev_b32_e32 v39, 16, v33
	v_and_b32_e32 v38, 0xffff, v40
	s_delay_alu instid0(VALU_DEP_3) | instskip(NEXT) | instid1(VALU_DEP_1)
	s_and_b32 s2, s2, vcc_lo
	v_or_b32_e32 v33, v38, v34
	s_delay_alu instid0(VALU_DEP_3)
	v_or_b32_e32 v34, v37, v39
.LBB362_50:
	s_mov_b32 s12, -1
	s_cbranch_execnz .LBB362_59
.LBB362_51:
	v_cmp_ne_u64_e64 s3, v[17:18], v[19:20]
	v_cmp_ne_u64_e64 s4, v[23:24], v[17:18]
	;; [unrolled: 1-line block ×7, first 2 shown]
	s_and_b32 vcc_lo, exec_lo, s18
	ds_store_b64 v55, v[19:20]
	s_cbranch_vccz .LBB362_55
; %bb.52:
	v_cndmask_b32_e64 v33, 0, 1, s3
	s_waitcnt vmcnt(0) lgkmcnt(2)
	v_cndmask_b32_e64 v35, 0, 1, s5
	v_cndmask_b32_e64 v37, 0, 1, s7
	;; [unrolled: 1-line block ×6, first 2 shown]
	v_lshlrev_b16 v35, 8, v35
	v_lshlrev_b16 v33, 8, v33
	v_lshlrev_b16 v37, 8, v37
	v_lshlrev_b16 v38, 8, v38
	s_mov_b32 s3, 0
	v_or_b32_e32 v35, v36, v35
	v_or_b32_e32 v33, v34, v33
	;; [unrolled: 1-line block ×4, first 2 shown]
	s_mov_b32 s4, exec_lo
	v_and_b32_e32 v35, 0xffff, v35
	v_lshlrev_b32_e32 v33, 16, v33
	v_lshlrev_b32_e32 v37, 16, v34
	v_and_b32_e32 v36, 0xffff, v36
	s_waitcnt lgkmcnt(0)
	s_barrier
	v_or_b32_e32 v34, v35, v33
	buffer_gl0_inv
	v_or_b32_e32 v33, v36, v37
                                        ; implicit-def: $sgpr2
	v_cmpx_ne_u32_e32 0, v0
	s_xor_b32 s4, exec_lo, s4
	s_cbranch_execz .LBB362_54
; %bb.53:
	v_add_nc_u32_e32 v35, -8, v55
	s_or_b32 s12, s12, exec_lo
	ds_load_b64 v[35:36], v35
	s_waitcnt lgkmcnt(0)
	v_cmp_ne_u64_e32 vcc_lo, v[35:36], v[29:30]
	s_and_b32 s2, vcc_lo, exec_lo
.LBB362_54:
	s_or_b32 exec_lo, exec_lo, s4
	s_delay_alu instid0(SALU_CYCLE_1)
	s_and_b32 vcc_lo, exec_lo, s3
	s_cbranch_vccnz .LBB362_56
	s_branch .LBB362_59
.LBB362_55:
                                        ; implicit-def: $sgpr2
                                        ; implicit-def: $vgpr34
	s_cbranch_execz .LBB362_59
.LBB362_56:
	v_or_b32_e32 v33, 7, v55
	v_or_b32_e32 v34, 6, v55
	v_cmp_ne_u64_e32 vcc_lo, v[17:18], v[19:20]
	v_cmp_ne_u64_e64 s2, v[23:24], v[17:18]
	s_waitcnt vmcnt(0) lgkmcnt(2)
	v_or_b32_e32 v35, 4, v55
	v_cmp_gt_u32_e64 s3, s19, v33
	v_or_b32_e32 v33, 5, v55
	v_cmp_gt_u32_e64 s5, s19, v34
	v_cmp_ne_u64_e64 s4, v[21:22], v[23:24]
	v_cmp_ne_u64_e64 s6, v[27:28], v[21:22]
	s_and_b32 s3, s3, vcc_lo
	v_cmp_gt_u32_e32 vcc_lo, s19, v33
	v_cndmask_b32_e64 v34, 0, 1, s3
	v_cmp_gt_u32_e64 s3, s19, v35
	s_and_b32 s2, s5, s2
	v_or_b32_e32 v36, 3, v55
	v_cndmask_b32_e64 v33, 0, 1, s2
	s_and_b32 s2, vcc_lo, s4
	v_or_b32_e32 v38, 1, v55
	v_cndmask_b32_e64 v35, 0, 1, s2
	s_and_b32 s2, s3, s6
	v_cmp_ne_u64_e32 vcc_lo, v[25:26], v[27:28]
	v_cndmask_b32_e64 v37, 0, 1, s2
	v_cmp_gt_u32_e64 s2, s19, v36
	v_cmp_ne_u64_e64 s3, v[29:30], v[31:32]
	v_or_b32_e32 v39, 2, v55
	v_cmp_gt_u32_e64 s4, s19, v38
	v_cmp_ne_u64_e64 s5, v[31:32], v[25:26]
	s_and_b32 s2, s2, vcc_lo
	v_lshlrev_b16 v35, 8, v35
	v_cmp_gt_u32_e64 s6, s19, v39
	v_cndmask_b32_e64 v36, 0, 1, s2
	s_and_b32 s2, s4, s3
	v_lshlrev_b16 v34, 8, v34
	v_cndmask_b32_e64 v38, 0, 1, s2
	s_and_b32 s2, s6, s5
	v_lshlrev_b16 v36, 8, v36
	v_cndmask_b32_e64 v39, 0, 1, s2
	v_or_b32_e32 v35, v37, v35
	v_lshlrev_b16 v38, 8, v38
	v_or_b32_e32 v33, v33, v34
	s_mov_b32 s3, exec_lo
	v_or_b32_e32 v34, v39, v36
	v_and_b32_e32 v35, 0xffff, v35
	v_or_b32_e32 v36, 1, v38
	v_lshlrev_b32_e32 v33, 16, v33
	s_waitcnt lgkmcnt(0)
	v_lshlrev_b32_e32 v37, 16, v34
	s_barrier
	v_and_b32_e32 v36, 0xffff, v36
	v_or_b32_e32 v34, v35, v33
	buffer_gl0_inv
                                        ; implicit-def: $sgpr2
	v_or_b32_e32 v33, v36, v37
	v_cmpx_ne_u32_e32 0, v0
	s_cbranch_execz .LBB362_58
; %bb.57:
	v_add_nc_u32_e32 v35, -8, v55
	v_cmp_gt_u32_e64 s2, s19, v55
	s_or_b32 s12, s12, exec_lo
	ds_load_b64 v[35:36], v35
	s_waitcnt lgkmcnt(0)
	v_cmp_ne_u64_e32 vcc_lo, v[35:36], v[29:30]
	s_and_b32 s2, s2, vcc_lo
	s_delay_alu instid0(SALU_CYCLE_1)
	s_and_b32 s2, s2, exec_lo
.LBB362_58:
	s_or_b32 exec_lo, exec_lo, s3
.LBB362_59:
	s_and_saveexec_b32 s3, s12
	s_cbranch_execz .LBB362_61
; %bb.60:
	s_waitcnt vmcnt(0) lgkmcnt(1)
	v_and_b32_e32 v35, 0xffffff00, v33
	v_cndmask_b32_e64 v36, 0, 1, s2
	s_delay_alu instid0(VALU_DEP_1) | instskip(NEXT) | instid1(VALU_DEP_1)
	v_or_b32_e32 v35, v36, v35
	v_and_b32_e32 v35, 0xffff, v35
	s_delay_alu instid0(VALU_DEP_1)
	v_and_or_b32 v33, 0xffff0000, v33, v35
.LBB362_61:
	s_or_b32 exec_lo, exec_lo, s3
	s_load_b64 s[12:13], s[0:1], 0x60
	s_and_not1_b32 vcc_lo, exec_lo, s20
	s_cbranch_vccnz .LBB362_63
; %bb.62:
	v_cmp_gt_u32_e32 vcc_lo, s19, v55
	s_waitcnt vmcnt(0) lgkmcnt(0)
	v_or_b32_e32 v36, 1, v55
	v_and_b32_e32 v37, 0xffffff00, v34
	v_or_b32_e32 v38, 2, v55
	v_cndmask_b32_e32 v35, 0, v33, vcc_lo
	s_delay_alu instid0(VALU_DEP_4) | instskip(SKIP_1) | instid1(VALU_DEP_4)
	v_cmp_gt_u32_e32 vcc_lo, s19, v36
	v_or_b32_e32 v36, 4, v55
	v_cmp_gt_u32_e64 s2, s19, v38
	v_or_b32_e32 v38, 3, v55
	v_and_b32_e32 v35, 0xff, v35
	s_delay_alu instid0(VALU_DEP_2) | instskip(NEXT) | instid1(VALU_DEP_2)
	v_cmp_gt_u32_e64 s3, s19, v38
	v_cndmask_b32_e32 v35, v35, v33, vcc_lo
	v_cmp_gt_u32_e32 vcc_lo, s19, v36
	v_cndmask_b32_e32 v36, v37, v34, vcc_lo
	v_or_b32_e32 v37, 5, v55
	s_delay_alu instid0(VALU_DEP_2) | instskip(SKIP_1) | instid1(VALU_DEP_1)
	v_and_b32_e32 v36, 0xffff00ff, v36
	v_and_b32_e32 v35, 0xffff, v35
	v_cndmask_b32_e64 v35, v35, v33, s2
	s_delay_alu instid0(VALU_DEP_4) | instskip(SKIP_1) | instid1(VALU_DEP_3)
	v_cmp_gt_u32_e64 s2, s19, v37
	v_or_b32_e32 v37, 6, v55
	v_and_b32_e32 v35, 0xffffff, v35
	s_delay_alu instid0(VALU_DEP_3) | instskip(NEXT) | instid1(VALU_DEP_2)
	v_cndmask_b32_e64 v36, v36, v34, s2
	v_cndmask_b32_e64 v35, v35, v33, s3
	s_delay_alu instid0(VALU_DEP_1) | instskip(SKIP_2) | instid1(VALU_DEP_3)
	v_dual_cndmask_b32 v35, v35, v33 :: v_dual_and_b32 v36, 0xff00ffff, v36
	v_cmp_gt_u32_e32 vcc_lo, s19, v37
	v_or_b32_e32 v37, 7, v55
	v_cndmask_b32_e64 v35, v35, v33, s2
	s_delay_alu instid0(VALU_DEP_1) | instskip(NEXT) | instid1(VALU_DEP_1)
	v_dual_cndmask_b32 v36, v36, v34 :: v_dual_cndmask_b32 v35, v35, v33
	v_and_b32_e32 v36, 0xffffff, v36
	s_delay_alu instid0(VALU_DEP_4) | instskip(NEXT) | instid1(VALU_DEP_2)
	v_cmp_gt_u32_e32 vcc_lo, s19, v37
	v_dual_cndmask_b32 v34, v36, v34 :: v_dual_cndmask_b32 v33, v35, v33
.LBB362_63:
	s_delay_alu instid0(VALU_DEP_1) | instskip(SKIP_1) | instid1(VALU_DEP_2)
	v_and_b32_e32 v44, 0xff, v33
	s_waitcnt vmcnt(0) lgkmcnt(0)
	v_alignbit_b32 v35, v34, v33, 24
	v_bfe_u32 v46, v33, 8, 8
	v_bfe_u32 v48, v33, 16, 8
	v_and_b32_e32 v52, 0xff, v34
	v_bfe_u32 v54, v34, 8, 8
	v_and_b32_e32 v50, 0xff, v35
	v_add_nc_u32_e32 v35, v46, v44
	v_mbcnt_lo_u32_b32 v58, -1, 0
	v_bfe_u32 v57, v34, 16, 8
	v_lshrrev_b32_e32 v56, 24, v34
	v_lshrrev_b32_e32 v59, 5, v0
	v_add3_u32 v35, v35, v48, v50
	v_and_b32_e32 v36, 15, v58
	v_and_b32_e32 v37, 16, v58
	s_and_b32 vcc_lo, exec_lo, s9
	s_mov_b32 s9, -1
	v_add3_u32 v35, v35, v52, v54
	v_cmp_eq_u32_e64 s4, 0, v36
	v_cmp_lt_u32_e64 s2, 1, v36
	v_cmp_lt_u32_e64 s5, 3, v36
	;; [unrolled: 1-line block ×3, first 2 shown]
	v_add3_u32 v60, v35, v57, v56
	v_or_b32_e32 v35, 31, v0
	v_cmp_eq_u32_e64 s7, 0, v37
	s_barrier
	buffer_gl0_inv
	v_cmp_eq_u32_e64 s6, v35, v0
	s_cbranch_vccz .LBB362_94
; %bb.64:
	v_mov_b32_dpp v35, v60 row_shr:1 row_mask:0xf bank_mask:0xf
	s_delay_alu instid0(VALU_DEP_1) | instskip(NEXT) | instid1(VALU_DEP_1)
	v_cndmask_b32_e64 v35, v35, 0, s4
	v_add_nc_u32_e32 v35, v35, v60
	s_delay_alu instid0(VALU_DEP_1) | instskip(NEXT) | instid1(VALU_DEP_1)
	v_mov_b32_dpp v36, v35 row_shr:2 row_mask:0xf bank_mask:0xf
	v_cndmask_b32_e64 v36, 0, v36, s2
	s_delay_alu instid0(VALU_DEP_1) | instskip(NEXT) | instid1(VALU_DEP_1)
	v_add_nc_u32_e32 v35, v35, v36
	v_mov_b32_dpp v36, v35 row_shr:4 row_mask:0xf bank_mask:0xf
	s_delay_alu instid0(VALU_DEP_1) | instskip(NEXT) | instid1(VALU_DEP_1)
	v_cndmask_b32_e64 v36, 0, v36, s5
	v_add_nc_u32_e32 v35, v35, v36
	s_delay_alu instid0(VALU_DEP_1) | instskip(NEXT) | instid1(VALU_DEP_1)
	v_mov_b32_dpp v36, v35 row_shr:8 row_mask:0xf bank_mask:0xf
	v_cndmask_b32_e64 v36, 0, v36, s3
	s_delay_alu instid0(VALU_DEP_1) | instskip(SKIP_3) | instid1(VALU_DEP_1)
	v_add_nc_u32_e32 v35, v35, v36
	ds_swizzle_b32 v36, v35 offset:swizzle(BROADCAST,32,15)
	s_waitcnt lgkmcnt(0)
	v_cndmask_b32_e64 v36, v36, 0, s7
	v_add_nc_u32_e32 v35, v35, v36
	s_and_saveexec_b32 s8, s6
	s_cbranch_execz .LBB362_66
; %bb.65:
	v_lshlrev_b32_e32 v36, 2, v59
	ds_store_b32 v36, v35
.LBB362_66:
	s_or_b32 exec_lo, exec_lo, s8
	s_delay_alu instid0(SALU_CYCLE_1)
	s_mov_b32 s8, exec_lo
	s_waitcnt lgkmcnt(0)
	s_barrier
	buffer_gl0_inv
	v_cmpx_gt_u32_e32 16, v0
	s_cbranch_execz .LBB362_68
; %bb.67:
	v_lshlrev_b32_e32 v36, 2, v0
	ds_load_b32 v37, v36
	s_waitcnt lgkmcnt(0)
	v_mov_b32_dpp v38, v37 row_shr:1 row_mask:0xf bank_mask:0xf
	s_delay_alu instid0(VALU_DEP_1) | instskip(NEXT) | instid1(VALU_DEP_1)
	v_cndmask_b32_e64 v38, v38, 0, s4
	v_add_nc_u32_e32 v37, v38, v37
	s_delay_alu instid0(VALU_DEP_1) | instskip(NEXT) | instid1(VALU_DEP_1)
	v_mov_b32_dpp v38, v37 row_shr:2 row_mask:0xf bank_mask:0xf
	v_cndmask_b32_e64 v38, 0, v38, s2
	s_delay_alu instid0(VALU_DEP_1) | instskip(NEXT) | instid1(VALU_DEP_1)
	v_add_nc_u32_e32 v37, v37, v38
	v_mov_b32_dpp v38, v37 row_shr:4 row_mask:0xf bank_mask:0xf
	s_delay_alu instid0(VALU_DEP_1) | instskip(NEXT) | instid1(VALU_DEP_1)
	v_cndmask_b32_e64 v38, 0, v38, s5
	v_add_nc_u32_e32 v37, v37, v38
	s_delay_alu instid0(VALU_DEP_1) | instskip(NEXT) | instid1(VALU_DEP_1)
	v_mov_b32_dpp v38, v37 row_shr:8 row_mask:0xf bank_mask:0xf
	v_cndmask_b32_e64 v38, 0, v38, s3
	s_delay_alu instid0(VALU_DEP_1)
	v_add_nc_u32_e32 v37, v37, v38
	ds_store_b32 v36, v37
.LBB362_68:
	s_or_b32 exec_lo, exec_lo, s8
	v_cmp_gt_u32_e32 vcc_lo, 32, v0
	s_mov_b32 s9, exec_lo
	s_waitcnt lgkmcnt(0)
	s_barrier
	buffer_gl0_inv
                                        ; implicit-def: $vgpr43
	v_cmpx_lt_u32_e32 31, v0
	s_cbranch_execz .LBB362_70
; %bb.69:
	v_lshl_add_u32 v36, v59, 2, -4
	ds_load_b32 v43, v36
	s_waitcnt lgkmcnt(0)
	v_add_nc_u32_e32 v35, v43, v35
.LBB362_70:
	s_or_b32 exec_lo, exec_lo, s9
	v_add_nc_u32_e32 v36, -1, v58
	s_delay_alu instid0(VALU_DEP_1) | instskip(NEXT) | instid1(VALU_DEP_1)
	v_cmp_gt_i32_e64 s8, 0, v36
	v_cndmask_b32_e64 v36, v36, v58, s8
	v_cmp_eq_u32_e64 s8, 0, v58
	s_delay_alu instid0(VALU_DEP_2)
	v_lshlrev_b32_e32 v36, 2, v36
	ds_bpermute_b32 v45, v36, v35
	s_and_saveexec_b32 s9, vcc_lo
	s_cbranch_execz .LBB362_93
; %bb.71:
	v_mov_b32_e32 v39, 0
	ds_load_b32 v35, v39 offset:60
	s_and_saveexec_b32 s19, s8
	s_cbranch_execz .LBB362_73
; %bb.72:
	s_add_i32 s20, s15, 32
	s_mov_b32 s21, 0
	v_mov_b32_e32 v36, 1
	s_lshl_b64 s[20:21], s[20:21], 3
	s_delay_alu instid0(SALU_CYCLE_1)
	s_add_u32 s20, s12, s20
	s_addc_u32 s21, s13, s21
	s_waitcnt lgkmcnt(0)
	global_store_b64 v39, v[35:36], s[20:21]
.LBB362_73:
	s_or_b32 exec_lo, exec_lo, s19
	v_xad_u32 v37, v58, -1, s15
	s_mov_b32 s20, 0
	s_mov_b32 s19, exec_lo
	s_delay_alu instid0(VALU_DEP_1) | instskip(NEXT) | instid1(VALU_DEP_1)
	v_add_nc_u32_e32 v38, 32, v37
	v_lshlrev_b64 v[38:39], 3, v[38:39]
	s_delay_alu instid0(VALU_DEP_1) | instskip(NEXT) | instid1(VALU_DEP_2)
	v_add_co_u32 v41, vcc_lo, s12, v38
	v_add_co_ci_u32_e32 v42, vcc_lo, s13, v39, vcc_lo
	global_load_b64 v[39:40], v[41:42], off glc
	s_waitcnt vmcnt(0)
	v_and_b32_e32 v36, 0xff, v40
	s_delay_alu instid0(VALU_DEP_1)
	v_cmpx_eq_u16_e32 0, v36
	s_cbranch_execz .LBB362_79
; %bb.74:
	s_mov_b32 s21, 1
	.p2align	6
.LBB362_75:                             ; =>This Loop Header: Depth=1
                                        ;     Child Loop BB362_76 Depth 2
	s_delay_alu instid0(SALU_CYCLE_1)
	s_max_u32 s22, s21, 1
.LBB362_76:                             ;   Parent Loop BB362_75 Depth=1
                                        ; =>  This Inner Loop Header: Depth=2
	s_delay_alu instid0(SALU_CYCLE_1)
	s_add_i32 s22, s22, -1
	s_sleep 1
	s_cmp_eq_u32 s22, 0
	s_cbranch_scc0 .LBB362_76
; %bb.77:                               ;   in Loop: Header=BB362_75 Depth=1
	global_load_b64 v[39:40], v[41:42], off glc
	s_cmp_lt_u32 s21, 32
	s_cselect_b32 s22, -1, 0
	s_delay_alu instid0(SALU_CYCLE_1) | instskip(SKIP_3) | instid1(VALU_DEP_1)
	s_cmp_lg_u32 s22, 0
	s_addc_u32 s21, s21, 0
	s_waitcnt vmcnt(0)
	v_and_b32_e32 v36, 0xff, v40
	v_cmp_ne_u16_e32 vcc_lo, 0, v36
	s_or_b32 s20, vcc_lo, s20
	s_delay_alu instid0(SALU_CYCLE_1)
	s_and_not1_b32 exec_lo, exec_lo, s20
	s_cbranch_execnz .LBB362_75
; %bb.78:
	s_or_b32 exec_lo, exec_lo, s20
.LBB362_79:
	s_delay_alu instid0(SALU_CYCLE_1)
	s_or_b32 exec_lo, exec_lo, s19
	v_cmp_ne_u32_e32 vcc_lo, 31, v58
	v_lshlrev_b32_e64 v49, v58, -1
	v_add_nc_u32_e32 v53, 2, v58
	v_add_nc_u32_e32 v66, 16, v58
	v_add_co_ci_u32_e32 v36, vcc_lo, 0, v58, vcc_lo
	s_delay_alu instid0(VALU_DEP_1)
	v_lshlrev_b32_e32 v47, 2, v36
	v_and_b32_e32 v36, 0xff, v40
	ds_bpermute_b32 v38, v47, v39
	v_cmp_eq_u16_e32 vcc_lo, 2, v36
	v_and_or_b32 v36, vcc_lo, v49, 0x80000000
	v_cmp_gt_u32_e32 vcc_lo, 30, v58
	s_delay_alu instid0(VALU_DEP_2) | instskip(SKIP_1) | instid1(VALU_DEP_2)
	v_ctz_i32_b32_e32 v36, v36
	v_cndmask_b32_e64 v41, 0, 1, vcc_lo
	v_cmp_lt_u32_e32 vcc_lo, v58, v36
	s_waitcnt lgkmcnt(0)
	s_delay_alu instid0(VALU_DEP_2) | instskip(NEXT) | instid1(VALU_DEP_1)
	v_dual_cndmask_b32 v38, 0, v38 :: v_dual_lshlrev_b32 v41, 1, v41
	v_add_lshl_u32 v51, v41, v58, 2
	v_cmp_gt_u32_e32 vcc_lo, 28, v58
	s_delay_alu instid0(VALU_DEP_3) | instskip(SKIP_4) | instid1(VALU_DEP_1)
	v_add_nc_u32_e32 v38, v38, v39
	v_cndmask_b32_e64 v41, 0, 1, vcc_lo
	v_cmp_le_u32_e32 vcc_lo, v53, v36
	ds_bpermute_b32 v39, v51, v38
	v_lshlrev_b32_e32 v41, 2, v41
	v_add_lshl_u32 v61, v41, v58, 2
	s_waitcnt lgkmcnt(0)
	v_cndmask_b32_e32 v39, 0, v39, vcc_lo
	v_cmp_gt_u32_e32 vcc_lo, 24, v58
	s_delay_alu instid0(VALU_DEP_2) | instskip(SKIP_4) | instid1(VALU_DEP_2)
	v_add_nc_u32_e32 v38, v38, v39
	v_cndmask_b32_e64 v41, 0, 1, vcc_lo
	ds_bpermute_b32 v39, v61, v38
	v_add_nc_u32_e32 v62, 4, v58
	v_lshlrev_b32_e32 v41, 3, v41
	v_cmp_le_u32_e32 vcc_lo, v62, v36
	s_delay_alu instid0(VALU_DEP_2) | instskip(SKIP_3) | instid1(VALU_DEP_2)
	v_add_lshl_u32 v63, v41, v58, 2
	s_waitcnt lgkmcnt(0)
	v_cndmask_b32_e32 v39, 0, v39, vcc_lo
	v_cmp_gt_u32_e32 vcc_lo, 16, v58
	v_add_nc_u32_e32 v38, v38, v39
	v_cndmask_b32_e64 v41, 0, 1, vcc_lo
	ds_bpermute_b32 v39, v63, v38
	v_add_nc_u32_e32 v64, 8, v58
	v_lshlrev_b32_e32 v41, 4, v41
	s_delay_alu instid0(VALU_DEP_2) | instskip(NEXT) | instid1(VALU_DEP_2)
	v_cmp_le_u32_e32 vcc_lo, v64, v36
	v_add_lshl_u32 v65, v41, v58, 2
	s_waitcnt lgkmcnt(0)
	v_cndmask_b32_e32 v39, 0, v39, vcc_lo
	v_cmp_le_u32_e32 vcc_lo, v66, v36
	s_delay_alu instid0(VALU_DEP_2) | instskip(SKIP_3) | instid1(VALU_DEP_1)
	v_add_nc_u32_e32 v38, v38, v39
	ds_bpermute_b32 v39, v65, v38
	s_waitcnt lgkmcnt(0)
	v_cndmask_b32_e32 v36, 0, v39, vcc_lo
	v_dual_mov_b32 v38, 0 :: v_dual_add_nc_u32 v39, v38, v36
	s_branch .LBB362_81
.LBB362_80:                             ;   in Loop: Header=BB362_81 Depth=1
	s_or_b32 exec_lo, exec_lo, s19
	ds_bpermute_b32 v42, v47, v39
	v_and_b32_e32 v41, 0xff, v40
	v_subrev_nc_u32_e32 v37, 32, v37
	s_delay_alu instid0(VALU_DEP_2) | instskip(SKIP_1) | instid1(VALU_DEP_1)
	v_cmp_eq_u16_e32 vcc_lo, 2, v41
	v_and_or_b32 v41, vcc_lo, v49, 0x80000000
	v_ctz_i32_b32_e32 v41, v41
	s_delay_alu instid0(VALU_DEP_1) | instskip(SKIP_3) | instid1(VALU_DEP_2)
	v_cmp_lt_u32_e32 vcc_lo, v58, v41
	s_waitcnt lgkmcnt(0)
	v_cndmask_b32_e32 v42, 0, v42, vcc_lo
	v_cmp_le_u32_e32 vcc_lo, v53, v41
	v_add_nc_u32_e32 v39, v42, v39
	ds_bpermute_b32 v42, v51, v39
	s_waitcnt lgkmcnt(0)
	v_cndmask_b32_e32 v42, 0, v42, vcc_lo
	v_cmp_le_u32_e32 vcc_lo, v62, v41
	s_delay_alu instid0(VALU_DEP_2) | instskip(SKIP_4) | instid1(VALU_DEP_2)
	v_add_nc_u32_e32 v39, v39, v42
	ds_bpermute_b32 v42, v61, v39
	s_waitcnt lgkmcnt(0)
	v_cndmask_b32_e32 v42, 0, v42, vcc_lo
	v_cmp_le_u32_e32 vcc_lo, v64, v41
	v_add_nc_u32_e32 v39, v39, v42
	ds_bpermute_b32 v42, v63, v39
	s_waitcnt lgkmcnt(0)
	v_cndmask_b32_e32 v42, 0, v42, vcc_lo
	v_cmp_le_u32_e32 vcc_lo, v66, v41
	s_delay_alu instid0(VALU_DEP_2) | instskip(SKIP_3) | instid1(VALU_DEP_1)
	v_add_nc_u32_e32 v39, v39, v42
	ds_bpermute_b32 v42, v65, v39
	s_waitcnt lgkmcnt(0)
	v_cndmask_b32_e32 v41, 0, v42, vcc_lo
	v_add3_u32 v39, v41, v36, v39
.LBB362_81:                             ; =>This Loop Header: Depth=1
                                        ;     Child Loop BB362_84 Depth 2
                                        ;       Child Loop BB362_85 Depth 3
	v_and_b32_e32 v36, 0xff, v40
	s_delay_alu instid0(VALU_DEP_1) | instskip(SKIP_2) | instid1(VALU_DEP_1)
	v_cmp_ne_u16_e32 vcc_lo, 2, v36
	v_cndmask_b32_e64 v36, 0, 1, vcc_lo
	;;#ASMSTART
	;;#ASMEND
	v_cmp_ne_u32_e32 vcc_lo, 0, v36
	v_mov_b32_e32 v36, v39
	s_cmp_lg_u32 vcc_lo, exec_lo
	s_cbranch_scc1 .LBB362_88
; %bb.82:                               ;   in Loop: Header=BB362_81 Depth=1
	v_lshlrev_b64 v[39:40], 3, v[37:38]
	s_mov_b32 s19, exec_lo
	s_delay_alu instid0(VALU_DEP_1) | instskip(NEXT) | instid1(VALU_DEP_2)
	v_add_co_u32 v41, vcc_lo, s12, v39
	v_add_co_ci_u32_e32 v42, vcc_lo, s13, v40, vcc_lo
	global_load_b64 v[39:40], v[41:42], off glc
	s_waitcnt vmcnt(0)
	v_and_b32_e32 v67, 0xff, v40
	s_delay_alu instid0(VALU_DEP_1)
	v_cmpx_eq_u16_e32 0, v67
	s_cbranch_execz .LBB362_80
; %bb.83:                               ;   in Loop: Header=BB362_81 Depth=1
	s_mov_b32 s21, 1
	s_mov_b32 s20, 0
	.p2align	6
.LBB362_84:                             ;   Parent Loop BB362_81 Depth=1
                                        ; =>  This Loop Header: Depth=2
                                        ;       Child Loop BB362_85 Depth 3
	s_max_u32 s22, s21, 1
.LBB362_85:                             ;   Parent Loop BB362_81 Depth=1
                                        ;     Parent Loop BB362_84 Depth=2
                                        ; =>    This Inner Loop Header: Depth=3
	s_delay_alu instid0(SALU_CYCLE_1)
	s_add_i32 s22, s22, -1
	s_sleep 1
	s_cmp_eq_u32 s22, 0
	s_cbranch_scc0 .LBB362_85
; %bb.86:                               ;   in Loop: Header=BB362_84 Depth=2
	global_load_b64 v[39:40], v[41:42], off glc
	s_cmp_lt_u32 s21, 32
	s_cselect_b32 s22, -1, 0
	s_delay_alu instid0(SALU_CYCLE_1) | instskip(SKIP_3) | instid1(VALU_DEP_1)
	s_cmp_lg_u32 s22, 0
	s_addc_u32 s21, s21, 0
	s_waitcnt vmcnt(0)
	v_and_b32_e32 v67, 0xff, v40
	v_cmp_ne_u16_e32 vcc_lo, 0, v67
	s_or_b32 s20, vcc_lo, s20
	s_delay_alu instid0(SALU_CYCLE_1)
	s_and_not1_b32 exec_lo, exec_lo, s20
	s_cbranch_execnz .LBB362_84
; %bb.87:                               ;   in Loop: Header=BB362_81 Depth=1
	s_or_b32 exec_lo, exec_lo, s20
	s_branch .LBB362_80
.LBB362_88:                             ;   in Loop: Header=BB362_81 Depth=1
                                        ; implicit-def: $vgpr39
                                        ; implicit-def: $vgpr40
	s_cbranch_execz .LBB362_81
; %bb.89:
	s_and_saveexec_b32 s19, s8
	s_cbranch_execz .LBB362_91
; %bb.90:
	s_add_i32 s20, s15, 32
	s_mov_b32 s21, 0
	v_dual_mov_b32 v38, 2 :: v_dual_add_nc_u32 v37, v36, v35
	s_lshl_b64 s[20:21], s[20:21], 3
	v_mov_b32_e32 v39, 0
	s_add_u32 s20, s12, s20
	s_addc_u32 s21, s13, s21
	global_store_b64 v39, v[37:38], s[20:21]
	ds_store_b64 v39, v[35:36] offset:33792
.LBB362_91:
	s_or_b32 exec_lo, exec_lo, s19
	v_cmp_eq_u32_e32 vcc_lo, 0, v0
	s_and_b32 exec_lo, exec_lo, vcc_lo
	s_cbranch_execz .LBB362_93
; %bb.92:
	v_mov_b32_e32 v35, 0
	ds_store_b32 v35, v36 offset:60
.LBB362_93:
	s_or_b32 exec_lo, exec_lo, s9
	v_mov_b32_e32 v35, 0
	s_waitcnt lgkmcnt(0)
	s_waitcnt_vscnt null, 0x0
	s_barrier
	buffer_gl0_inv
	v_cndmask_b32_e64 v37, v45, v43, s8
	ds_load_b32 v36, v35 offset:60
	v_cmp_ne_u32_e32 vcc_lo, 0, v0
	s_waitcnt lgkmcnt(0)
	s_barrier
	buffer_gl0_inv
	v_cndmask_b32_e32 v37, 0, v37, vcc_lo
	s_delay_alu instid0(VALU_DEP_1) | instskip(SKIP_2) | instid1(VALU_DEP_1)
	v_add_nc_u32_e32 v53, v36, v37
	ds_load_b64 v[35:36], v35 offset:33792
	v_add_nc_u32_e32 v51, v53, v44
	v_add_nc_u32_e32 v49, v51, v46
	s_delay_alu instid0(VALU_DEP_1) | instskip(NEXT) | instid1(VALU_DEP_1)
	v_add_nc_u32_e32 v47, v49, v48
	v_add_nc_u32_e32 v45, v47, v50
	s_waitcnt lgkmcnt(0)
	v_readfirstlane_b32 s8, v36
	s_delay_alu instid0(VALU_DEP_2) | instskip(NEXT) | instid1(VALU_DEP_1)
	v_add_nc_u32_e32 v43, v45, v52
	v_add_nc_u32_e32 v41, v43, v54
	s_delay_alu instid0(VALU_DEP_1)
	v_add_nc_u32_e32 v39, v41, v57
	v_lshrrev_b64 v[37:38], 24, v[33:34]
	s_branch .LBB362_104
.LBB362_94:
                                        ; implicit-def: $vgpr39
                                        ; implicit-def: $vgpr41
                                        ; implicit-def: $vgpr43
                                        ; implicit-def: $vgpr45
                                        ; implicit-def: $vgpr47
                                        ; implicit-def: $vgpr49
                                        ; implicit-def: $vgpr51
                                        ; implicit-def: $vgpr53
                                        ; implicit-def: $sgpr8
                                        ; implicit-def: $vgpr35
	v_lshrrev_b64 v[37:38], 24, v[33:34]
	s_and_b32 vcc_lo, exec_lo, s9
	s_cbranch_vccz .LBB362_104
; %bb.95:
	v_mov_b32_dpp v35, v60 row_shr:1 row_mask:0xf bank_mask:0xf
	s_delay_alu instid0(VALU_DEP_1) | instskip(NEXT) | instid1(VALU_DEP_1)
	v_cndmask_b32_e64 v35, v35, 0, s4
	v_add_nc_u32_e32 v35, v35, v60
	s_delay_alu instid0(VALU_DEP_1) | instskip(NEXT) | instid1(VALU_DEP_1)
	v_mov_b32_dpp v36, v35 row_shr:2 row_mask:0xf bank_mask:0xf
	v_cndmask_b32_e64 v36, 0, v36, s2
	s_delay_alu instid0(VALU_DEP_1) | instskip(NEXT) | instid1(VALU_DEP_1)
	v_add_nc_u32_e32 v35, v35, v36
	v_mov_b32_dpp v36, v35 row_shr:4 row_mask:0xf bank_mask:0xf
	s_delay_alu instid0(VALU_DEP_1) | instskip(NEXT) | instid1(VALU_DEP_1)
	v_cndmask_b32_e64 v36, 0, v36, s5
	v_add_nc_u32_e32 v35, v35, v36
	s_delay_alu instid0(VALU_DEP_1) | instskip(NEXT) | instid1(VALU_DEP_1)
	v_mov_b32_dpp v36, v35 row_shr:8 row_mask:0xf bank_mask:0xf
	v_cndmask_b32_e64 v36, 0, v36, s3
	s_delay_alu instid0(VALU_DEP_1) | instskip(SKIP_3) | instid1(VALU_DEP_1)
	v_add_nc_u32_e32 v35, v35, v36
	ds_swizzle_b32 v36, v35 offset:swizzle(BROADCAST,32,15)
	s_waitcnt lgkmcnt(0)
	v_cndmask_b32_e64 v36, v36, 0, s7
	v_add_nc_u32_e32 v35, v35, v36
	s_and_saveexec_b32 s7, s6
	s_cbranch_execz .LBB362_97
; %bb.96:
	v_lshlrev_b32_e32 v36, 2, v59
	ds_store_b32 v36, v35
.LBB362_97:
	s_or_b32 exec_lo, exec_lo, s7
	s_delay_alu instid0(SALU_CYCLE_1)
	s_mov_b32 s6, exec_lo
	s_waitcnt lgkmcnt(0)
	s_barrier
	buffer_gl0_inv
	v_cmpx_gt_u32_e32 16, v0
	s_cbranch_execz .LBB362_99
; %bb.98:
	v_lshlrev_b32_e32 v36, 2, v0
	ds_load_b32 v38, v36
	s_waitcnt lgkmcnt(0)
	v_mov_b32_dpp v39, v38 row_shr:1 row_mask:0xf bank_mask:0xf
	s_delay_alu instid0(VALU_DEP_1) | instskip(NEXT) | instid1(VALU_DEP_1)
	v_cndmask_b32_e64 v39, v39, 0, s4
	v_add_nc_u32_e32 v38, v39, v38
	s_delay_alu instid0(VALU_DEP_1) | instskip(NEXT) | instid1(VALU_DEP_1)
	v_mov_b32_dpp v39, v38 row_shr:2 row_mask:0xf bank_mask:0xf
	v_cndmask_b32_e64 v39, 0, v39, s2
	s_delay_alu instid0(VALU_DEP_1) | instskip(NEXT) | instid1(VALU_DEP_1)
	v_add_nc_u32_e32 v38, v38, v39
	v_mov_b32_dpp v39, v38 row_shr:4 row_mask:0xf bank_mask:0xf
	s_delay_alu instid0(VALU_DEP_1) | instskip(NEXT) | instid1(VALU_DEP_1)
	v_cndmask_b32_e64 v39, 0, v39, s5
	v_add_nc_u32_e32 v38, v38, v39
	s_delay_alu instid0(VALU_DEP_1) | instskip(NEXT) | instid1(VALU_DEP_1)
	v_mov_b32_dpp v39, v38 row_shr:8 row_mask:0xf bank_mask:0xf
	v_cndmask_b32_e64 v39, 0, v39, s3
	s_delay_alu instid0(VALU_DEP_1)
	v_add_nc_u32_e32 v38, v38, v39
	ds_store_b32 v36, v38
.LBB362_99:
	s_or_b32 exec_lo, exec_lo, s6
	v_mov_b32_e32 v36, 0
	v_mov_b32_e32 v38, 0
	s_mov_b32 s2, exec_lo
	s_waitcnt lgkmcnt(0)
	s_barrier
	buffer_gl0_inv
	v_cmpx_lt_u32_e32 31, v0
	s_cbranch_execz .LBB362_101
; %bb.100:
	v_lshl_add_u32 v38, v59, 2, -4
	ds_load_b32 v38, v38
.LBB362_101:
	s_or_b32 exec_lo, exec_lo, s2
	v_add_nc_u32_e32 v39, -1, v58
	s_waitcnt lgkmcnt(0)
	v_add_nc_u32_e32 v35, v38, v35
	s_mov_b32 s8, 0
	s_delay_alu instid0(VALU_DEP_2) | instskip(SKIP_2) | instid1(VALU_DEP_2)
	v_cmp_gt_i32_e32 vcc_lo, 0, v39
	v_cndmask_b32_e32 v39, v39, v58, vcc_lo
	v_cmp_eq_u32_e32 vcc_lo, 0, v0
	v_lshlrev_b32_e32 v39, 2, v39
	ds_bpermute_b32 v39, v39, v35
	ds_load_b32 v35, v36 offset:60
	s_and_saveexec_b32 s2, vcc_lo
	s_cbranch_execz .LBB362_103
; %bb.102:
	v_mov_b32_e32 v40, 0
	v_mov_b32_e32 v36, 2
	s_waitcnt lgkmcnt(0)
	global_store_b64 v40, v[35:36], s[12:13] offset:256
.LBB362_103:
	s_or_b32 exec_lo, exec_lo, s2
	v_cmp_eq_u32_e64 s2, 0, v58
	s_waitcnt lgkmcnt(0)
	s_waitcnt_vscnt null, 0x0
	s_barrier
	buffer_gl0_inv
	v_cndmask_b32_e64 v36, v39, v38, s2
	s_delay_alu instid0(VALU_DEP_1) | instskip(NEXT) | instid1(VALU_DEP_1)
	v_cndmask_b32_e64 v53, v36, 0, vcc_lo
	v_add_nc_u32_e32 v51, v53, v44
	s_delay_alu instid0(VALU_DEP_1) | instskip(NEXT) | instid1(VALU_DEP_1)
	v_add_nc_u32_e32 v49, v51, v46
	v_add_nc_u32_e32 v47, v49, v48
	s_delay_alu instid0(VALU_DEP_1) | instskip(NEXT) | instid1(VALU_DEP_1)
	v_add_nc_u32_e32 v45, v47, v50
	;; [unrolled: 3-line block ×3, first 2 shown]
	v_add_nc_u32_e32 v39, v41, v57
.LBB362_104:
	s_load_b128 s[4:7], s[0:1], 0x28
	v_add_nc_u32_e32 v59, s8, v35
	v_cmp_gt_u32_e64 s0, 0x201, v35
	v_lshrrev_b32_e32 v58, 8, v33
	v_lshrrev_b32_e32 v57, 16, v33
	;; [unrolled: 1-line block ×4, first 2 shown]
	v_cmp_lt_u32_e64 s1, v53, v59
	s_and_b32 vcc_lo, exec_lo, s0
	s_mov_b32 s2, -1
	s_cbranch_vccz .LBB362_130
; %bb.105:
	s_lshl_b64 s[2:3], s[10:11], 3
	s_waitcnt lgkmcnt(0)
	s_add_u32 s2, s4, s2
	s_addc_u32 s3, s5, s3
	s_or_b32 s9, s18, s1
	s_delay_alu instid0(SALU_CYCLE_1)
	s_and_saveexec_b32 s1, s9
	s_cbranch_execz .LBB362_108
; %bb.106:
	v_and_b32_e32 v40, 1, v33
	s_delay_alu instid0(VALU_DEP_1)
	v_cmp_eq_u32_e32 vcc_lo, 1, v40
	s_and_b32 exec_lo, exec_lo, vcc_lo
	s_cbranch_execz .LBB362_108
; %bb.107:
	v_mov_b32_e32 v54, 0
	s_delay_alu instid0(VALU_DEP_1) | instskip(NEXT) | instid1(VALU_DEP_1)
	v_lshlrev_b64 v[60:61], 3, v[53:54]
	v_add_co_u32 v60, vcc_lo, s2, v60
	s_delay_alu instid0(VALU_DEP_2)
	v_add_co_ci_u32_e32 v61, vcc_lo, s3, v61, vcc_lo
	global_store_b64 v[60:61], v[29:30], off
.LBB362_108:
	s_or_b32 exec_lo, exec_lo, s1
	v_cmp_lt_u32_e32 vcc_lo, v51, v59
	s_or_b32 s9, s18, vcc_lo
	s_delay_alu instid0(SALU_CYCLE_1)
	s_and_saveexec_b32 s1, s9
	s_cbranch_execz .LBB362_111
; %bb.109:
	v_and_b32_e32 v40, 1, v58
	s_delay_alu instid0(VALU_DEP_1)
	v_cmp_eq_u32_e32 vcc_lo, 1, v40
	s_and_b32 exec_lo, exec_lo, vcc_lo
	s_cbranch_execz .LBB362_111
; %bb.110:
	v_mov_b32_e32 v52, 0
	s_delay_alu instid0(VALU_DEP_1) | instskip(NEXT) | instid1(VALU_DEP_1)
	v_lshlrev_b64 v[60:61], 3, v[51:52]
	v_add_co_u32 v60, vcc_lo, s2, v60
	s_delay_alu instid0(VALU_DEP_2)
	v_add_co_ci_u32_e32 v61, vcc_lo, s3, v61, vcc_lo
	global_store_b64 v[60:61], v[31:32], off
.LBB362_111:
	s_or_b32 exec_lo, exec_lo, s1
	v_cmp_lt_u32_e32 vcc_lo, v49, v59
	s_or_b32 s9, s18, vcc_lo
	;; [unrolled: 21-line block ×7, first 2 shown]
	s_delay_alu instid0(SALU_CYCLE_1)
	s_and_saveexec_b32 s1, s9
	s_cbranch_execz .LBB362_129
; %bb.127:
	v_and_b32_e32 v40, 1, v56
	s_delay_alu instid0(VALU_DEP_1)
	v_cmp_eq_u32_e32 vcc_lo, 1, v40
	s_and_b32 exec_lo, exec_lo, vcc_lo
	s_cbranch_execz .LBB362_129
; %bb.128:
	v_mov_b32_e32 v40, 0
	s_delay_alu instid0(VALU_DEP_1) | instskip(NEXT) | instid1(VALU_DEP_1)
	v_lshlrev_b64 v[60:61], 3, v[39:40]
	v_add_co_u32 v60, vcc_lo, s2, v60
	s_delay_alu instid0(VALU_DEP_2)
	v_add_co_ci_u32_e32 v61, vcc_lo, s3, v61, vcc_lo
	global_store_b64 v[60:61], v[19:20], off
.LBB362_129:
	s_or_b32 exec_lo, exec_lo, s1
	s_mov_b32 s2, 0
.LBB362_130:
	v_and_b32_e32 v33, 1, v33
	s_and_b32 vcc_lo, exec_lo, s2
	s_delay_alu instid0(VALU_DEP_1)
	v_cmp_eq_u32_e64 s1, 1, v33
	s_cbranch_vccz .LBB362_151
; %bb.131:
	s_delay_alu instid0(VALU_DEP_1)
	s_and_saveexec_b32 s2, s1
	s_cbranch_execz .LBB362_133
; %bb.132:
	v_subrev_nc_u32_e32 v40, s8, v53
	s_delay_alu instid0(VALU_DEP_1)
	v_lshlrev_b32_e32 v40, 3, v40
	ds_store_b64 v40, v[29:30]
.LBB362_133:
	s_or_b32 exec_lo, exec_lo, s2
	v_and_b32_e32 v29, 1, v58
	s_mov_b32 s1, exec_lo
	s_delay_alu instid0(VALU_DEP_1)
	v_cmpx_eq_u32_e32 1, v29
	s_cbranch_execz .LBB362_135
; %bb.134:
	v_subrev_nc_u32_e32 v29, s8, v51
	s_delay_alu instid0(VALU_DEP_1)
	v_lshlrev_b32_e32 v29, 3, v29
	ds_store_b64 v29, v[31:32]
.LBB362_135:
	s_or_b32 exec_lo, exec_lo, s1
	v_and_b32_e32 v29, 1, v57
	s_mov_b32 s1, exec_lo
	s_delay_alu instid0(VALU_DEP_1)
	v_cmpx_eq_u32_e32 1, v29
	;; [unrolled: 12-line block ×7, first 2 shown]
	s_cbranch_execz .LBB362_147
; %bb.146:
	v_subrev_nc_u32_e32 v17, s8, v39
	s_delay_alu instid0(VALU_DEP_1)
	v_lshlrev_b32_e32 v17, 3, v17
	ds_store_b64 v17, v[19:20]
.LBB362_147:
	s_or_b32 exec_lo, exec_lo, s1
	s_delay_alu instid0(SALU_CYCLE_1)
	s_mov_b32 s2, exec_lo
	s_waitcnt lgkmcnt(0)
	s_waitcnt_vscnt null, 0x0
	s_barrier
	buffer_gl0_inv
	v_cmpx_lt_u32_e64 v0, v35
	s_cbranch_execz .LBB362_150
; %bb.148:
	s_mov_b32 s9, 0
	s_lshl_b64 s[12:13], s[10:11], 3
	s_lshl_b64 s[20:21], s[8:9], 3
	v_dual_mov_b32 v19, v55 :: v_dual_mov_b32 v20, v0
	s_add_u32 s1, s12, s20
	s_addc_u32 s3, s13, s21
	s_add_u32 s1, s4, s1
	s_addc_u32 s3, s5, s3
	v_add_co_u32 v17, s1, s1, v55
	s_delay_alu instid0(VALU_DEP_1)
	v_add_co_ci_u32_e64 v18, null, s3, 0, s1
	.p2align	6
.LBB362_149:                            ; =>This Inner Loop Header: Depth=1
	ds_load_b64 v[21:22], v19
	v_add_nc_u32_e32 v20, 0x200, v20
	v_add_nc_u32_e32 v19, 0x1000, v19
	s_delay_alu instid0(VALU_DEP_2) | instskip(SKIP_4) | instid1(VALU_DEP_1)
	v_cmp_ge_u32_e32 vcc_lo, v20, v35
	s_or_b32 s9, vcc_lo, s9
	s_waitcnt lgkmcnt(0)
	global_store_b64 v[17:18], v[21:22], off
	v_add_co_u32 v17, s1, 0x1000, v17
	v_add_co_ci_u32_e64 v18, s1, 0, v18, s1
	s_and_not1_b32 exec_lo, exec_lo, s9
	s_cbranch_execnz .LBB362_149
.LBB362_150:
	s_or_b32 exec_lo, exec_lo, s2
.LBB362_151:
	s_delay_alu instid0(SALU_CYCLE_1)
	s_and_b32 vcc_lo, exec_lo, s0
	s_mov_b32 s0, -1
	s_waitcnt lgkmcnt(0)
	s_waitcnt_vscnt null, 0x0
	s_barrier
	buffer_gl0_inv
	s_cbranch_vccz .LBB362_179
; %bb.152:
	v_cmp_lt_u32_e32 vcc_lo, v53, v59
	s_lshl_b64 s[0:1], s[10:11], 3
	s_delay_alu instid0(SALU_CYCLE_1) | instskip(SKIP_2) | instid1(SALU_CYCLE_1)
	s_add_u32 s0, s6, s0
	s_addc_u32 s1, s7, s1
	s_or_b32 s3, s18, vcc_lo
	s_and_saveexec_b32 s2, s3
	s_cbranch_execz .LBB362_155
; %bb.153:
	v_cmp_eq_u32_e32 vcc_lo, 1, v33
	s_and_b32 exec_lo, exec_lo, vcc_lo
	s_cbranch_execz .LBB362_155
; %bb.154:
	v_mov_b32_e32 v54, 0
	s_delay_alu instid0(VALU_DEP_1) | instskip(NEXT) | instid1(VALU_DEP_1)
	v_lshlrev_b64 v[17:18], 3, v[53:54]
	v_add_co_u32 v17, vcc_lo, s0, v17
	s_delay_alu instid0(VALU_DEP_2)
	v_add_co_ci_u32_e32 v18, vcc_lo, s1, v18, vcc_lo
	global_store_b64 v[17:18], v[13:14], off
.LBB362_155:
	s_or_b32 exec_lo, exec_lo, s2
	v_cmp_lt_u32_e32 vcc_lo, v51, v59
	s_or_b32 s3, s18, vcc_lo
	s_delay_alu instid0(SALU_CYCLE_1)
	s_and_saveexec_b32 s2, s3
	s_cbranch_execz .LBB362_158
; %bb.156:
	v_and_b32_e32 v17, 1, v58
	s_delay_alu instid0(VALU_DEP_1)
	v_cmp_eq_u32_e32 vcc_lo, 1, v17
	s_and_b32 exec_lo, exec_lo, vcc_lo
	s_cbranch_execz .LBB362_158
; %bb.157:
	v_mov_b32_e32 v52, 0
	s_delay_alu instid0(VALU_DEP_1) | instskip(NEXT) | instid1(VALU_DEP_1)
	v_lshlrev_b64 v[17:18], 3, v[51:52]
	v_add_co_u32 v17, vcc_lo, s0, v17
	s_delay_alu instid0(VALU_DEP_2)
	v_add_co_ci_u32_e32 v18, vcc_lo, s1, v18, vcc_lo
	global_store_b64 v[17:18], v[15:16], off
.LBB362_158:
	s_or_b32 exec_lo, exec_lo, s2
	v_cmp_lt_u32_e32 vcc_lo, v49, v59
	s_or_b32 s3, s18, vcc_lo
	s_delay_alu instid0(SALU_CYCLE_1)
	s_and_saveexec_b32 s2, s3
	s_cbranch_execz .LBB362_161
; %bb.159:
	v_and_b32_e32 v17, 1, v57
	s_delay_alu instid0(VALU_DEP_1)
	v_cmp_eq_u32_e32 vcc_lo, 1, v17
	s_and_b32 exec_lo, exec_lo, vcc_lo
	s_cbranch_execz .LBB362_161
; %bb.160:
	v_mov_b32_e32 v50, 0
	s_delay_alu instid0(VALU_DEP_1) | instskip(NEXT) | instid1(VALU_DEP_1)
	v_lshlrev_b64 v[17:18], 3, v[49:50]
	v_add_co_u32 v17, vcc_lo, s0, v17
	s_delay_alu instid0(VALU_DEP_2)
	v_add_co_ci_u32_e32 v18, vcc_lo, s1, v18, vcc_lo
	global_store_b64 v[17:18], v[9:10], off
.LBB362_161:
	;; [unrolled: 21-line block ×7, first 2 shown]
	s_or_b32 exec_lo, exec_lo, s2
.LBB362_177:
	v_cmp_eq_u32_e32 vcc_lo, 0, v0
	s_and_b32 s0, vcc_lo, s14
	s_delay_alu instid0(SALU_CYCLE_1)
	s_and_saveexec_b32 s1, s0
	s_cbranch_execz .LBB362_200
.LBB362_178:
	v_add_co_u32 v0, s0, s10, v35
	s_delay_alu instid0(VALU_DEP_1) | instskip(SKIP_1) | instid1(VALU_DEP_3)
	v_add_co_ci_u32_e64 v1, null, s11, 0, s0
	v_mov_b32_e32 v2, 0
	v_add_co_u32 v0, vcc_lo, v0, s8
	s_delay_alu instid0(VALU_DEP_3)
	v_add_co_ci_u32_e32 v1, vcc_lo, 0, v1, vcc_lo
	global_store_b64 v2, v[0:1], s[16:17]
	s_nop 0
	s_sendmsg sendmsg(MSG_DEALLOC_VGPRS)
	s_endpgm
.LBB362_179:
	s_and_b32 vcc_lo, exec_lo, s0
	s_cbranch_vccz .LBB362_177
; %bb.180:
	s_mov_b32 s0, exec_lo
	v_cmpx_eq_u32_e32 1, v33
	s_cbranch_execz .LBB362_182
; %bb.181:
	v_subrev_nc_u32_e32 v17, s8, v53
	s_delay_alu instid0(VALU_DEP_1)
	v_lshlrev_b32_e32 v17, 3, v17
	ds_store_b64 v17, v[13:14]
.LBB362_182:
	s_or_b32 exec_lo, exec_lo, s0
	v_and_b32_e32 v13, 1, v58
	s_mov_b32 s0, exec_lo
	s_delay_alu instid0(VALU_DEP_1)
	v_cmpx_eq_u32_e32 1, v13
	s_cbranch_execz .LBB362_184
; %bb.183:
	v_subrev_nc_u32_e32 v13, s8, v51
	s_delay_alu instid0(VALU_DEP_1)
	v_lshlrev_b32_e32 v13, 3, v13
	ds_store_b64 v13, v[15:16]
.LBB362_184:
	s_or_b32 exec_lo, exec_lo, s0
	v_and_b32_e32 v13, 1, v57
	s_mov_b32 s0, exec_lo
	s_delay_alu instid0(VALU_DEP_1)
	;; [unrolled: 12-line block ×7, first 2 shown]
	v_cmpx_eq_u32_e32 1, v1
	s_cbranch_execz .LBB362_196
; %bb.195:
	v_subrev_nc_u32_e32 v1, s8, v39
	s_delay_alu instid0(VALU_DEP_1)
	v_lshlrev_b32_e32 v1, 3, v1
	ds_store_b64 v1, v[3:4]
.LBB362_196:
	s_or_b32 exec_lo, exec_lo, s0
	s_delay_alu instid0(SALU_CYCLE_1)
	s_mov_b32 s1, exec_lo
	s_waitcnt lgkmcnt(0)
	s_waitcnt_vscnt null, 0x0
	s_barrier
	buffer_gl0_inv
	v_cmpx_lt_u32_e64 v0, v35
	s_cbranch_execz .LBB362_199
; %bb.197:
	s_mov_b32 s9, 0
	s_lshl_b64 s[2:3], s[10:11], 3
	s_lshl_b64 s[4:5], s[8:9], 3
	v_mov_b32_e32 v3, v0
	s_add_u32 s0, s2, s4
	s_addc_u32 s2, s3, s5
	s_add_u32 s0, s6, s0
	s_addc_u32 s2, s7, s2
	v_add_co_u32 v1, s0, s0, v55
	s_delay_alu instid0(VALU_DEP_1)
	v_add_co_ci_u32_e64 v2, null, s2, 0, s0
	.p2align	6
.LBB362_198:                            ; =>This Inner Loop Header: Depth=1
	ds_load_b64 v[4:5], v55
	v_add_nc_u32_e32 v3, 0x200, v3
	v_add_nc_u32_e32 v55, 0x1000, v55
	s_delay_alu instid0(VALU_DEP_2) | instskip(SKIP_4) | instid1(VALU_DEP_1)
	v_cmp_ge_u32_e32 vcc_lo, v3, v35
	s_or_b32 s9, vcc_lo, s9
	s_waitcnt lgkmcnt(0)
	global_store_b64 v[1:2], v[4:5], off
	v_add_co_u32 v1, s0, 0x1000, v1
	v_add_co_ci_u32_e64 v2, s0, 0, v2, s0
	s_and_not1_b32 exec_lo, exec_lo, s9
	s_cbranch_execnz .LBB362_198
.LBB362_199:
	s_or_b32 exec_lo, exec_lo, s1
	v_cmp_eq_u32_e32 vcc_lo, 0, v0
	s_and_b32 s0, vcc_lo, s14
	s_delay_alu instid0(SALU_CYCLE_1)
	s_and_saveexec_b32 s1, s0
	s_cbranch_execnz .LBB362_178
.LBB362_200:
	s_nop 0
	s_sendmsg sendmsg(MSG_DEALLOC_VGPRS)
	s_endpgm
	.section	.rodata,"a",@progbits
	.p2align	6, 0x0
	.amdhsa_kernel _ZN7rocprim17ROCPRIM_400000_NS6detail17trampoline_kernelINS0_14default_configENS1_25partition_config_selectorILNS1_17partition_subalgoE9ExxbEEZZNS1_14partition_implILS5_9ELb0ES3_jN6thrust23THRUST_200600_302600_NS6detail15normal_iteratorINS9_10device_ptrIxEEEESE_PNS0_10empty_typeENS0_5tupleIJSE_SF_EEENSH_IJSE_SG_EEENS0_18inequality_wrapperINS9_8equal_toIxEEEEPmJSF_EEE10hipError_tPvRmT3_T4_T5_T6_T7_T9_mT8_P12ihipStream_tbDpT10_ENKUlT_T0_E_clISt17integral_constantIbLb1EES17_IbLb0EEEEDaS13_S14_EUlS13_E_NS1_11comp_targetILNS1_3genE9ELNS1_11target_archE1100ELNS1_3gpuE3ELNS1_3repE0EEENS1_30default_config_static_selectorELNS0_4arch9wavefront6targetE0EEEvT1_
		.amdhsa_group_segment_fixed_size 33800
		.amdhsa_private_segment_fixed_size 0
		.amdhsa_kernarg_size 112
		.amdhsa_user_sgpr_count 15
		.amdhsa_user_sgpr_dispatch_ptr 0
		.amdhsa_user_sgpr_queue_ptr 0
		.amdhsa_user_sgpr_kernarg_segment_ptr 1
		.amdhsa_user_sgpr_dispatch_id 0
		.amdhsa_user_sgpr_private_segment_size 0
		.amdhsa_wavefront_size32 1
		.amdhsa_uses_dynamic_stack 0
		.amdhsa_enable_private_segment 0
		.amdhsa_system_sgpr_workgroup_id_x 1
		.amdhsa_system_sgpr_workgroup_id_y 0
		.amdhsa_system_sgpr_workgroup_id_z 0
		.amdhsa_system_sgpr_workgroup_info 0
		.amdhsa_system_vgpr_workitem_id 0
		.amdhsa_next_free_vgpr 68
		.amdhsa_next_free_sgpr 25
		.amdhsa_reserve_vcc 1
		.amdhsa_float_round_mode_32 0
		.amdhsa_float_round_mode_16_64 0
		.amdhsa_float_denorm_mode_32 3
		.amdhsa_float_denorm_mode_16_64 3
		.amdhsa_dx10_clamp 1
		.amdhsa_ieee_mode 1
		.amdhsa_fp16_overflow 0
		.amdhsa_workgroup_processor_mode 1
		.amdhsa_memory_ordered 1
		.amdhsa_forward_progress 0
		.amdhsa_shared_vgpr_count 0
		.amdhsa_exception_fp_ieee_invalid_op 0
		.amdhsa_exception_fp_denorm_src 0
		.amdhsa_exception_fp_ieee_div_zero 0
		.amdhsa_exception_fp_ieee_overflow 0
		.amdhsa_exception_fp_ieee_underflow 0
		.amdhsa_exception_fp_ieee_inexact 0
		.amdhsa_exception_int_div_zero 0
	.end_amdhsa_kernel
	.section	.text._ZN7rocprim17ROCPRIM_400000_NS6detail17trampoline_kernelINS0_14default_configENS1_25partition_config_selectorILNS1_17partition_subalgoE9ExxbEEZZNS1_14partition_implILS5_9ELb0ES3_jN6thrust23THRUST_200600_302600_NS6detail15normal_iteratorINS9_10device_ptrIxEEEESE_PNS0_10empty_typeENS0_5tupleIJSE_SF_EEENSH_IJSE_SG_EEENS0_18inequality_wrapperINS9_8equal_toIxEEEEPmJSF_EEE10hipError_tPvRmT3_T4_T5_T6_T7_T9_mT8_P12ihipStream_tbDpT10_ENKUlT_T0_E_clISt17integral_constantIbLb1EES17_IbLb0EEEEDaS13_S14_EUlS13_E_NS1_11comp_targetILNS1_3genE9ELNS1_11target_archE1100ELNS1_3gpuE3ELNS1_3repE0EEENS1_30default_config_static_selectorELNS0_4arch9wavefront6targetE0EEEvT1_,"axG",@progbits,_ZN7rocprim17ROCPRIM_400000_NS6detail17trampoline_kernelINS0_14default_configENS1_25partition_config_selectorILNS1_17partition_subalgoE9ExxbEEZZNS1_14partition_implILS5_9ELb0ES3_jN6thrust23THRUST_200600_302600_NS6detail15normal_iteratorINS9_10device_ptrIxEEEESE_PNS0_10empty_typeENS0_5tupleIJSE_SF_EEENSH_IJSE_SG_EEENS0_18inequality_wrapperINS9_8equal_toIxEEEEPmJSF_EEE10hipError_tPvRmT3_T4_T5_T6_T7_T9_mT8_P12ihipStream_tbDpT10_ENKUlT_T0_E_clISt17integral_constantIbLb1EES17_IbLb0EEEEDaS13_S14_EUlS13_E_NS1_11comp_targetILNS1_3genE9ELNS1_11target_archE1100ELNS1_3gpuE3ELNS1_3repE0EEENS1_30default_config_static_selectorELNS0_4arch9wavefront6targetE0EEEvT1_,comdat
.Lfunc_end362:
	.size	_ZN7rocprim17ROCPRIM_400000_NS6detail17trampoline_kernelINS0_14default_configENS1_25partition_config_selectorILNS1_17partition_subalgoE9ExxbEEZZNS1_14partition_implILS5_9ELb0ES3_jN6thrust23THRUST_200600_302600_NS6detail15normal_iteratorINS9_10device_ptrIxEEEESE_PNS0_10empty_typeENS0_5tupleIJSE_SF_EEENSH_IJSE_SG_EEENS0_18inequality_wrapperINS9_8equal_toIxEEEEPmJSF_EEE10hipError_tPvRmT3_T4_T5_T6_T7_T9_mT8_P12ihipStream_tbDpT10_ENKUlT_T0_E_clISt17integral_constantIbLb1EES17_IbLb0EEEEDaS13_S14_EUlS13_E_NS1_11comp_targetILNS1_3genE9ELNS1_11target_archE1100ELNS1_3gpuE3ELNS1_3repE0EEENS1_30default_config_static_selectorELNS0_4arch9wavefront6targetE0EEEvT1_, .Lfunc_end362-_ZN7rocprim17ROCPRIM_400000_NS6detail17trampoline_kernelINS0_14default_configENS1_25partition_config_selectorILNS1_17partition_subalgoE9ExxbEEZZNS1_14partition_implILS5_9ELb0ES3_jN6thrust23THRUST_200600_302600_NS6detail15normal_iteratorINS9_10device_ptrIxEEEESE_PNS0_10empty_typeENS0_5tupleIJSE_SF_EEENSH_IJSE_SG_EEENS0_18inequality_wrapperINS9_8equal_toIxEEEEPmJSF_EEE10hipError_tPvRmT3_T4_T5_T6_T7_T9_mT8_P12ihipStream_tbDpT10_ENKUlT_T0_E_clISt17integral_constantIbLb1EES17_IbLb0EEEEDaS13_S14_EUlS13_E_NS1_11comp_targetILNS1_3genE9ELNS1_11target_archE1100ELNS1_3gpuE3ELNS1_3repE0EEENS1_30default_config_static_selectorELNS0_4arch9wavefront6targetE0EEEvT1_
                                        ; -- End function
	.section	.AMDGPU.csdata,"",@progbits
; Kernel info:
; codeLenInByte = 9436
; NumSgprs: 27
; NumVgprs: 68
; ScratchSize: 0
; MemoryBound: 0
; FloatMode: 240
; IeeeMode: 1
; LDSByteSize: 33800 bytes/workgroup (compile time only)
; SGPRBlocks: 3
; VGPRBlocks: 8
; NumSGPRsForWavesPerEU: 27
; NumVGPRsForWavesPerEU: 68
; Occupancy: 12
; WaveLimiterHint : 1
; COMPUTE_PGM_RSRC2:SCRATCH_EN: 0
; COMPUTE_PGM_RSRC2:USER_SGPR: 15
; COMPUTE_PGM_RSRC2:TRAP_HANDLER: 0
; COMPUTE_PGM_RSRC2:TGID_X_EN: 1
; COMPUTE_PGM_RSRC2:TGID_Y_EN: 0
; COMPUTE_PGM_RSRC2:TGID_Z_EN: 0
; COMPUTE_PGM_RSRC2:TIDIG_COMP_CNT: 0
	.section	.text._ZN7rocprim17ROCPRIM_400000_NS6detail17trampoline_kernelINS0_14default_configENS1_25partition_config_selectorILNS1_17partition_subalgoE9ExxbEEZZNS1_14partition_implILS5_9ELb0ES3_jN6thrust23THRUST_200600_302600_NS6detail15normal_iteratorINS9_10device_ptrIxEEEESE_PNS0_10empty_typeENS0_5tupleIJSE_SF_EEENSH_IJSE_SG_EEENS0_18inequality_wrapperINS9_8equal_toIxEEEEPmJSF_EEE10hipError_tPvRmT3_T4_T5_T6_T7_T9_mT8_P12ihipStream_tbDpT10_ENKUlT_T0_E_clISt17integral_constantIbLb1EES17_IbLb0EEEEDaS13_S14_EUlS13_E_NS1_11comp_targetILNS1_3genE8ELNS1_11target_archE1030ELNS1_3gpuE2ELNS1_3repE0EEENS1_30default_config_static_selectorELNS0_4arch9wavefront6targetE0EEEvT1_,"axG",@progbits,_ZN7rocprim17ROCPRIM_400000_NS6detail17trampoline_kernelINS0_14default_configENS1_25partition_config_selectorILNS1_17partition_subalgoE9ExxbEEZZNS1_14partition_implILS5_9ELb0ES3_jN6thrust23THRUST_200600_302600_NS6detail15normal_iteratorINS9_10device_ptrIxEEEESE_PNS0_10empty_typeENS0_5tupleIJSE_SF_EEENSH_IJSE_SG_EEENS0_18inequality_wrapperINS9_8equal_toIxEEEEPmJSF_EEE10hipError_tPvRmT3_T4_T5_T6_T7_T9_mT8_P12ihipStream_tbDpT10_ENKUlT_T0_E_clISt17integral_constantIbLb1EES17_IbLb0EEEEDaS13_S14_EUlS13_E_NS1_11comp_targetILNS1_3genE8ELNS1_11target_archE1030ELNS1_3gpuE2ELNS1_3repE0EEENS1_30default_config_static_selectorELNS0_4arch9wavefront6targetE0EEEvT1_,comdat
	.protected	_ZN7rocprim17ROCPRIM_400000_NS6detail17trampoline_kernelINS0_14default_configENS1_25partition_config_selectorILNS1_17partition_subalgoE9ExxbEEZZNS1_14partition_implILS5_9ELb0ES3_jN6thrust23THRUST_200600_302600_NS6detail15normal_iteratorINS9_10device_ptrIxEEEESE_PNS0_10empty_typeENS0_5tupleIJSE_SF_EEENSH_IJSE_SG_EEENS0_18inequality_wrapperINS9_8equal_toIxEEEEPmJSF_EEE10hipError_tPvRmT3_T4_T5_T6_T7_T9_mT8_P12ihipStream_tbDpT10_ENKUlT_T0_E_clISt17integral_constantIbLb1EES17_IbLb0EEEEDaS13_S14_EUlS13_E_NS1_11comp_targetILNS1_3genE8ELNS1_11target_archE1030ELNS1_3gpuE2ELNS1_3repE0EEENS1_30default_config_static_selectorELNS0_4arch9wavefront6targetE0EEEvT1_ ; -- Begin function _ZN7rocprim17ROCPRIM_400000_NS6detail17trampoline_kernelINS0_14default_configENS1_25partition_config_selectorILNS1_17partition_subalgoE9ExxbEEZZNS1_14partition_implILS5_9ELb0ES3_jN6thrust23THRUST_200600_302600_NS6detail15normal_iteratorINS9_10device_ptrIxEEEESE_PNS0_10empty_typeENS0_5tupleIJSE_SF_EEENSH_IJSE_SG_EEENS0_18inequality_wrapperINS9_8equal_toIxEEEEPmJSF_EEE10hipError_tPvRmT3_T4_T5_T6_T7_T9_mT8_P12ihipStream_tbDpT10_ENKUlT_T0_E_clISt17integral_constantIbLb1EES17_IbLb0EEEEDaS13_S14_EUlS13_E_NS1_11comp_targetILNS1_3genE8ELNS1_11target_archE1030ELNS1_3gpuE2ELNS1_3repE0EEENS1_30default_config_static_selectorELNS0_4arch9wavefront6targetE0EEEvT1_
	.globl	_ZN7rocprim17ROCPRIM_400000_NS6detail17trampoline_kernelINS0_14default_configENS1_25partition_config_selectorILNS1_17partition_subalgoE9ExxbEEZZNS1_14partition_implILS5_9ELb0ES3_jN6thrust23THRUST_200600_302600_NS6detail15normal_iteratorINS9_10device_ptrIxEEEESE_PNS0_10empty_typeENS0_5tupleIJSE_SF_EEENSH_IJSE_SG_EEENS0_18inequality_wrapperINS9_8equal_toIxEEEEPmJSF_EEE10hipError_tPvRmT3_T4_T5_T6_T7_T9_mT8_P12ihipStream_tbDpT10_ENKUlT_T0_E_clISt17integral_constantIbLb1EES17_IbLb0EEEEDaS13_S14_EUlS13_E_NS1_11comp_targetILNS1_3genE8ELNS1_11target_archE1030ELNS1_3gpuE2ELNS1_3repE0EEENS1_30default_config_static_selectorELNS0_4arch9wavefront6targetE0EEEvT1_
	.p2align	8
	.type	_ZN7rocprim17ROCPRIM_400000_NS6detail17trampoline_kernelINS0_14default_configENS1_25partition_config_selectorILNS1_17partition_subalgoE9ExxbEEZZNS1_14partition_implILS5_9ELb0ES3_jN6thrust23THRUST_200600_302600_NS6detail15normal_iteratorINS9_10device_ptrIxEEEESE_PNS0_10empty_typeENS0_5tupleIJSE_SF_EEENSH_IJSE_SG_EEENS0_18inequality_wrapperINS9_8equal_toIxEEEEPmJSF_EEE10hipError_tPvRmT3_T4_T5_T6_T7_T9_mT8_P12ihipStream_tbDpT10_ENKUlT_T0_E_clISt17integral_constantIbLb1EES17_IbLb0EEEEDaS13_S14_EUlS13_E_NS1_11comp_targetILNS1_3genE8ELNS1_11target_archE1030ELNS1_3gpuE2ELNS1_3repE0EEENS1_30default_config_static_selectorELNS0_4arch9wavefront6targetE0EEEvT1_,@function
_ZN7rocprim17ROCPRIM_400000_NS6detail17trampoline_kernelINS0_14default_configENS1_25partition_config_selectorILNS1_17partition_subalgoE9ExxbEEZZNS1_14partition_implILS5_9ELb0ES3_jN6thrust23THRUST_200600_302600_NS6detail15normal_iteratorINS9_10device_ptrIxEEEESE_PNS0_10empty_typeENS0_5tupleIJSE_SF_EEENSH_IJSE_SG_EEENS0_18inequality_wrapperINS9_8equal_toIxEEEEPmJSF_EEE10hipError_tPvRmT3_T4_T5_T6_T7_T9_mT8_P12ihipStream_tbDpT10_ENKUlT_T0_E_clISt17integral_constantIbLb1EES17_IbLb0EEEEDaS13_S14_EUlS13_E_NS1_11comp_targetILNS1_3genE8ELNS1_11target_archE1030ELNS1_3gpuE2ELNS1_3repE0EEENS1_30default_config_static_selectorELNS0_4arch9wavefront6targetE0EEEvT1_: ; @_ZN7rocprim17ROCPRIM_400000_NS6detail17trampoline_kernelINS0_14default_configENS1_25partition_config_selectorILNS1_17partition_subalgoE9ExxbEEZZNS1_14partition_implILS5_9ELb0ES3_jN6thrust23THRUST_200600_302600_NS6detail15normal_iteratorINS9_10device_ptrIxEEEESE_PNS0_10empty_typeENS0_5tupleIJSE_SF_EEENSH_IJSE_SG_EEENS0_18inequality_wrapperINS9_8equal_toIxEEEEPmJSF_EEE10hipError_tPvRmT3_T4_T5_T6_T7_T9_mT8_P12ihipStream_tbDpT10_ENKUlT_T0_E_clISt17integral_constantIbLb1EES17_IbLb0EEEEDaS13_S14_EUlS13_E_NS1_11comp_targetILNS1_3genE8ELNS1_11target_archE1030ELNS1_3gpuE2ELNS1_3repE0EEENS1_30default_config_static_selectorELNS0_4arch9wavefront6targetE0EEEvT1_
; %bb.0:
	.section	.rodata,"a",@progbits
	.p2align	6, 0x0
	.amdhsa_kernel _ZN7rocprim17ROCPRIM_400000_NS6detail17trampoline_kernelINS0_14default_configENS1_25partition_config_selectorILNS1_17partition_subalgoE9ExxbEEZZNS1_14partition_implILS5_9ELb0ES3_jN6thrust23THRUST_200600_302600_NS6detail15normal_iteratorINS9_10device_ptrIxEEEESE_PNS0_10empty_typeENS0_5tupleIJSE_SF_EEENSH_IJSE_SG_EEENS0_18inequality_wrapperINS9_8equal_toIxEEEEPmJSF_EEE10hipError_tPvRmT3_T4_T5_T6_T7_T9_mT8_P12ihipStream_tbDpT10_ENKUlT_T0_E_clISt17integral_constantIbLb1EES17_IbLb0EEEEDaS13_S14_EUlS13_E_NS1_11comp_targetILNS1_3genE8ELNS1_11target_archE1030ELNS1_3gpuE2ELNS1_3repE0EEENS1_30default_config_static_selectorELNS0_4arch9wavefront6targetE0EEEvT1_
		.amdhsa_group_segment_fixed_size 0
		.amdhsa_private_segment_fixed_size 0
		.amdhsa_kernarg_size 112
		.amdhsa_user_sgpr_count 15
		.amdhsa_user_sgpr_dispatch_ptr 0
		.amdhsa_user_sgpr_queue_ptr 0
		.amdhsa_user_sgpr_kernarg_segment_ptr 1
		.amdhsa_user_sgpr_dispatch_id 0
		.amdhsa_user_sgpr_private_segment_size 0
		.amdhsa_wavefront_size32 1
		.amdhsa_uses_dynamic_stack 0
		.amdhsa_enable_private_segment 0
		.amdhsa_system_sgpr_workgroup_id_x 1
		.amdhsa_system_sgpr_workgroup_id_y 0
		.amdhsa_system_sgpr_workgroup_id_z 0
		.amdhsa_system_sgpr_workgroup_info 0
		.amdhsa_system_vgpr_workitem_id 0
		.amdhsa_next_free_vgpr 1
		.amdhsa_next_free_sgpr 1
		.amdhsa_reserve_vcc 0
		.amdhsa_float_round_mode_32 0
		.amdhsa_float_round_mode_16_64 0
		.amdhsa_float_denorm_mode_32 3
		.amdhsa_float_denorm_mode_16_64 3
		.amdhsa_dx10_clamp 1
		.amdhsa_ieee_mode 1
		.amdhsa_fp16_overflow 0
		.amdhsa_workgroup_processor_mode 1
		.amdhsa_memory_ordered 1
		.amdhsa_forward_progress 0
		.amdhsa_shared_vgpr_count 0
		.amdhsa_exception_fp_ieee_invalid_op 0
		.amdhsa_exception_fp_denorm_src 0
		.amdhsa_exception_fp_ieee_div_zero 0
		.amdhsa_exception_fp_ieee_overflow 0
		.amdhsa_exception_fp_ieee_underflow 0
		.amdhsa_exception_fp_ieee_inexact 0
		.amdhsa_exception_int_div_zero 0
	.end_amdhsa_kernel
	.section	.text._ZN7rocprim17ROCPRIM_400000_NS6detail17trampoline_kernelINS0_14default_configENS1_25partition_config_selectorILNS1_17partition_subalgoE9ExxbEEZZNS1_14partition_implILS5_9ELb0ES3_jN6thrust23THRUST_200600_302600_NS6detail15normal_iteratorINS9_10device_ptrIxEEEESE_PNS0_10empty_typeENS0_5tupleIJSE_SF_EEENSH_IJSE_SG_EEENS0_18inequality_wrapperINS9_8equal_toIxEEEEPmJSF_EEE10hipError_tPvRmT3_T4_T5_T6_T7_T9_mT8_P12ihipStream_tbDpT10_ENKUlT_T0_E_clISt17integral_constantIbLb1EES17_IbLb0EEEEDaS13_S14_EUlS13_E_NS1_11comp_targetILNS1_3genE8ELNS1_11target_archE1030ELNS1_3gpuE2ELNS1_3repE0EEENS1_30default_config_static_selectorELNS0_4arch9wavefront6targetE0EEEvT1_,"axG",@progbits,_ZN7rocprim17ROCPRIM_400000_NS6detail17trampoline_kernelINS0_14default_configENS1_25partition_config_selectorILNS1_17partition_subalgoE9ExxbEEZZNS1_14partition_implILS5_9ELb0ES3_jN6thrust23THRUST_200600_302600_NS6detail15normal_iteratorINS9_10device_ptrIxEEEESE_PNS0_10empty_typeENS0_5tupleIJSE_SF_EEENSH_IJSE_SG_EEENS0_18inequality_wrapperINS9_8equal_toIxEEEEPmJSF_EEE10hipError_tPvRmT3_T4_T5_T6_T7_T9_mT8_P12ihipStream_tbDpT10_ENKUlT_T0_E_clISt17integral_constantIbLb1EES17_IbLb0EEEEDaS13_S14_EUlS13_E_NS1_11comp_targetILNS1_3genE8ELNS1_11target_archE1030ELNS1_3gpuE2ELNS1_3repE0EEENS1_30default_config_static_selectorELNS0_4arch9wavefront6targetE0EEEvT1_,comdat
.Lfunc_end363:
	.size	_ZN7rocprim17ROCPRIM_400000_NS6detail17trampoline_kernelINS0_14default_configENS1_25partition_config_selectorILNS1_17partition_subalgoE9ExxbEEZZNS1_14partition_implILS5_9ELb0ES3_jN6thrust23THRUST_200600_302600_NS6detail15normal_iteratorINS9_10device_ptrIxEEEESE_PNS0_10empty_typeENS0_5tupleIJSE_SF_EEENSH_IJSE_SG_EEENS0_18inequality_wrapperINS9_8equal_toIxEEEEPmJSF_EEE10hipError_tPvRmT3_T4_T5_T6_T7_T9_mT8_P12ihipStream_tbDpT10_ENKUlT_T0_E_clISt17integral_constantIbLb1EES17_IbLb0EEEEDaS13_S14_EUlS13_E_NS1_11comp_targetILNS1_3genE8ELNS1_11target_archE1030ELNS1_3gpuE2ELNS1_3repE0EEENS1_30default_config_static_selectorELNS0_4arch9wavefront6targetE0EEEvT1_, .Lfunc_end363-_ZN7rocprim17ROCPRIM_400000_NS6detail17trampoline_kernelINS0_14default_configENS1_25partition_config_selectorILNS1_17partition_subalgoE9ExxbEEZZNS1_14partition_implILS5_9ELb0ES3_jN6thrust23THRUST_200600_302600_NS6detail15normal_iteratorINS9_10device_ptrIxEEEESE_PNS0_10empty_typeENS0_5tupleIJSE_SF_EEENSH_IJSE_SG_EEENS0_18inequality_wrapperINS9_8equal_toIxEEEEPmJSF_EEE10hipError_tPvRmT3_T4_T5_T6_T7_T9_mT8_P12ihipStream_tbDpT10_ENKUlT_T0_E_clISt17integral_constantIbLb1EES17_IbLb0EEEEDaS13_S14_EUlS13_E_NS1_11comp_targetILNS1_3genE8ELNS1_11target_archE1030ELNS1_3gpuE2ELNS1_3repE0EEENS1_30default_config_static_selectorELNS0_4arch9wavefront6targetE0EEEvT1_
                                        ; -- End function
	.section	.AMDGPU.csdata,"",@progbits
; Kernel info:
; codeLenInByte = 0
; NumSgprs: 0
; NumVgprs: 0
; ScratchSize: 0
; MemoryBound: 0
; FloatMode: 240
; IeeeMode: 1
; LDSByteSize: 0 bytes/workgroup (compile time only)
; SGPRBlocks: 0
; VGPRBlocks: 0
; NumSGPRsForWavesPerEU: 1
; NumVGPRsForWavesPerEU: 1
; Occupancy: 16
; WaveLimiterHint : 0
; COMPUTE_PGM_RSRC2:SCRATCH_EN: 0
; COMPUTE_PGM_RSRC2:USER_SGPR: 15
; COMPUTE_PGM_RSRC2:TRAP_HANDLER: 0
; COMPUTE_PGM_RSRC2:TGID_X_EN: 1
; COMPUTE_PGM_RSRC2:TGID_Y_EN: 0
; COMPUTE_PGM_RSRC2:TGID_Z_EN: 0
; COMPUTE_PGM_RSRC2:TIDIG_COMP_CNT: 0
	.section	.text._ZN7rocprim17ROCPRIM_400000_NS6detail17trampoline_kernelINS0_14default_configENS1_25partition_config_selectorILNS1_17partition_subalgoE9ExxbEEZZNS1_14partition_implILS5_9ELb0ES3_jN6thrust23THRUST_200600_302600_NS6detail15normal_iteratorINS9_10device_ptrIxEEEESE_PNS0_10empty_typeENS0_5tupleIJSE_SF_EEENSH_IJSE_SG_EEENS0_18inequality_wrapperINS9_8equal_toIxEEEEPmJSF_EEE10hipError_tPvRmT3_T4_T5_T6_T7_T9_mT8_P12ihipStream_tbDpT10_ENKUlT_T0_E_clISt17integral_constantIbLb0EES17_IbLb1EEEEDaS13_S14_EUlS13_E_NS1_11comp_targetILNS1_3genE0ELNS1_11target_archE4294967295ELNS1_3gpuE0ELNS1_3repE0EEENS1_30default_config_static_selectorELNS0_4arch9wavefront6targetE0EEEvT1_,"axG",@progbits,_ZN7rocprim17ROCPRIM_400000_NS6detail17trampoline_kernelINS0_14default_configENS1_25partition_config_selectorILNS1_17partition_subalgoE9ExxbEEZZNS1_14partition_implILS5_9ELb0ES3_jN6thrust23THRUST_200600_302600_NS6detail15normal_iteratorINS9_10device_ptrIxEEEESE_PNS0_10empty_typeENS0_5tupleIJSE_SF_EEENSH_IJSE_SG_EEENS0_18inequality_wrapperINS9_8equal_toIxEEEEPmJSF_EEE10hipError_tPvRmT3_T4_T5_T6_T7_T9_mT8_P12ihipStream_tbDpT10_ENKUlT_T0_E_clISt17integral_constantIbLb0EES17_IbLb1EEEEDaS13_S14_EUlS13_E_NS1_11comp_targetILNS1_3genE0ELNS1_11target_archE4294967295ELNS1_3gpuE0ELNS1_3repE0EEENS1_30default_config_static_selectorELNS0_4arch9wavefront6targetE0EEEvT1_,comdat
	.protected	_ZN7rocprim17ROCPRIM_400000_NS6detail17trampoline_kernelINS0_14default_configENS1_25partition_config_selectorILNS1_17partition_subalgoE9ExxbEEZZNS1_14partition_implILS5_9ELb0ES3_jN6thrust23THRUST_200600_302600_NS6detail15normal_iteratorINS9_10device_ptrIxEEEESE_PNS0_10empty_typeENS0_5tupleIJSE_SF_EEENSH_IJSE_SG_EEENS0_18inequality_wrapperINS9_8equal_toIxEEEEPmJSF_EEE10hipError_tPvRmT3_T4_T5_T6_T7_T9_mT8_P12ihipStream_tbDpT10_ENKUlT_T0_E_clISt17integral_constantIbLb0EES17_IbLb1EEEEDaS13_S14_EUlS13_E_NS1_11comp_targetILNS1_3genE0ELNS1_11target_archE4294967295ELNS1_3gpuE0ELNS1_3repE0EEENS1_30default_config_static_selectorELNS0_4arch9wavefront6targetE0EEEvT1_ ; -- Begin function _ZN7rocprim17ROCPRIM_400000_NS6detail17trampoline_kernelINS0_14default_configENS1_25partition_config_selectorILNS1_17partition_subalgoE9ExxbEEZZNS1_14partition_implILS5_9ELb0ES3_jN6thrust23THRUST_200600_302600_NS6detail15normal_iteratorINS9_10device_ptrIxEEEESE_PNS0_10empty_typeENS0_5tupleIJSE_SF_EEENSH_IJSE_SG_EEENS0_18inequality_wrapperINS9_8equal_toIxEEEEPmJSF_EEE10hipError_tPvRmT3_T4_T5_T6_T7_T9_mT8_P12ihipStream_tbDpT10_ENKUlT_T0_E_clISt17integral_constantIbLb0EES17_IbLb1EEEEDaS13_S14_EUlS13_E_NS1_11comp_targetILNS1_3genE0ELNS1_11target_archE4294967295ELNS1_3gpuE0ELNS1_3repE0EEENS1_30default_config_static_selectorELNS0_4arch9wavefront6targetE0EEEvT1_
	.globl	_ZN7rocprim17ROCPRIM_400000_NS6detail17trampoline_kernelINS0_14default_configENS1_25partition_config_selectorILNS1_17partition_subalgoE9ExxbEEZZNS1_14partition_implILS5_9ELb0ES3_jN6thrust23THRUST_200600_302600_NS6detail15normal_iteratorINS9_10device_ptrIxEEEESE_PNS0_10empty_typeENS0_5tupleIJSE_SF_EEENSH_IJSE_SG_EEENS0_18inequality_wrapperINS9_8equal_toIxEEEEPmJSF_EEE10hipError_tPvRmT3_T4_T5_T6_T7_T9_mT8_P12ihipStream_tbDpT10_ENKUlT_T0_E_clISt17integral_constantIbLb0EES17_IbLb1EEEEDaS13_S14_EUlS13_E_NS1_11comp_targetILNS1_3genE0ELNS1_11target_archE4294967295ELNS1_3gpuE0ELNS1_3repE0EEENS1_30default_config_static_selectorELNS0_4arch9wavefront6targetE0EEEvT1_
	.p2align	8
	.type	_ZN7rocprim17ROCPRIM_400000_NS6detail17trampoline_kernelINS0_14default_configENS1_25partition_config_selectorILNS1_17partition_subalgoE9ExxbEEZZNS1_14partition_implILS5_9ELb0ES3_jN6thrust23THRUST_200600_302600_NS6detail15normal_iteratorINS9_10device_ptrIxEEEESE_PNS0_10empty_typeENS0_5tupleIJSE_SF_EEENSH_IJSE_SG_EEENS0_18inequality_wrapperINS9_8equal_toIxEEEEPmJSF_EEE10hipError_tPvRmT3_T4_T5_T6_T7_T9_mT8_P12ihipStream_tbDpT10_ENKUlT_T0_E_clISt17integral_constantIbLb0EES17_IbLb1EEEEDaS13_S14_EUlS13_E_NS1_11comp_targetILNS1_3genE0ELNS1_11target_archE4294967295ELNS1_3gpuE0ELNS1_3repE0EEENS1_30default_config_static_selectorELNS0_4arch9wavefront6targetE0EEEvT1_,@function
_ZN7rocprim17ROCPRIM_400000_NS6detail17trampoline_kernelINS0_14default_configENS1_25partition_config_selectorILNS1_17partition_subalgoE9ExxbEEZZNS1_14partition_implILS5_9ELb0ES3_jN6thrust23THRUST_200600_302600_NS6detail15normal_iteratorINS9_10device_ptrIxEEEESE_PNS0_10empty_typeENS0_5tupleIJSE_SF_EEENSH_IJSE_SG_EEENS0_18inequality_wrapperINS9_8equal_toIxEEEEPmJSF_EEE10hipError_tPvRmT3_T4_T5_T6_T7_T9_mT8_P12ihipStream_tbDpT10_ENKUlT_T0_E_clISt17integral_constantIbLb0EES17_IbLb1EEEEDaS13_S14_EUlS13_E_NS1_11comp_targetILNS1_3genE0ELNS1_11target_archE4294967295ELNS1_3gpuE0ELNS1_3repE0EEENS1_30default_config_static_selectorELNS0_4arch9wavefront6targetE0EEEvT1_: ; @_ZN7rocprim17ROCPRIM_400000_NS6detail17trampoline_kernelINS0_14default_configENS1_25partition_config_selectorILNS1_17partition_subalgoE9ExxbEEZZNS1_14partition_implILS5_9ELb0ES3_jN6thrust23THRUST_200600_302600_NS6detail15normal_iteratorINS9_10device_ptrIxEEEESE_PNS0_10empty_typeENS0_5tupleIJSE_SF_EEENSH_IJSE_SG_EEENS0_18inequality_wrapperINS9_8equal_toIxEEEEPmJSF_EEE10hipError_tPvRmT3_T4_T5_T6_T7_T9_mT8_P12ihipStream_tbDpT10_ENKUlT_T0_E_clISt17integral_constantIbLb0EES17_IbLb1EEEEDaS13_S14_EUlS13_E_NS1_11comp_targetILNS1_3genE0ELNS1_11target_archE4294967295ELNS1_3gpuE0ELNS1_3repE0EEENS1_30default_config_static_selectorELNS0_4arch9wavefront6targetE0EEEvT1_
; %bb.0:
	.section	.rodata,"a",@progbits
	.p2align	6, 0x0
	.amdhsa_kernel _ZN7rocprim17ROCPRIM_400000_NS6detail17trampoline_kernelINS0_14default_configENS1_25partition_config_selectorILNS1_17partition_subalgoE9ExxbEEZZNS1_14partition_implILS5_9ELb0ES3_jN6thrust23THRUST_200600_302600_NS6detail15normal_iteratorINS9_10device_ptrIxEEEESE_PNS0_10empty_typeENS0_5tupleIJSE_SF_EEENSH_IJSE_SG_EEENS0_18inequality_wrapperINS9_8equal_toIxEEEEPmJSF_EEE10hipError_tPvRmT3_T4_T5_T6_T7_T9_mT8_P12ihipStream_tbDpT10_ENKUlT_T0_E_clISt17integral_constantIbLb0EES17_IbLb1EEEEDaS13_S14_EUlS13_E_NS1_11comp_targetILNS1_3genE0ELNS1_11target_archE4294967295ELNS1_3gpuE0ELNS1_3repE0EEENS1_30default_config_static_selectorELNS0_4arch9wavefront6targetE0EEEvT1_
		.amdhsa_group_segment_fixed_size 0
		.amdhsa_private_segment_fixed_size 0
		.amdhsa_kernarg_size 128
		.amdhsa_user_sgpr_count 15
		.amdhsa_user_sgpr_dispatch_ptr 0
		.amdhsa_user_sgpr_queue_ptr 0
		.amdhsa_user_sgpr_kernarg_segment_ptr 1
		.amdhsa_user_sgpr_dispatch_id 0
		.amdhsa_user_sgpr_private_segment_size 0
		.amdhsa_wavefront_size32 1
		.amdhsa_uses_dynamic_stack 0
		.amdhsa_enable_private_segment 0
		.amdhsa_system_sgpr_workgroup_id_x 1
		.amdhsa_system_sgpr_workgroup_id_y 0
		.amdhsa_system_sgpr_workgroup_id_z 0
		.amdhsa_system_sgpr_workgroup_info 0
		.amdhsa_system_vgpr_workitem_id 0
		.amdhsa_next_free_vgpr 1
		.amdhsa_next_free_sgpr 1
		.amdhsa_reserve_vcc 0
		.amdhsa_float_round_mode_32 0
		.amdhsa_float_round_mode_16_64 0
		.amdhsa_float_denorm_mode_32 3
		.amdhsa_float_denorm_mode_16_64 3
		.amdhsa_dx10_clamp 1
		.amdhsa_ieee_mode 1
		.amdhsa_fp16_overflow 0
		.amdhsa_workgroup_processor_mode 1
		.amdhsa_memory_ordered 1
		.amdhsa_forward_progress 0
		.amdhsa_shared_vgpr_count 0
		.amdhsa_exception_fp_ieee_invalid_op 0
		.amdhsa_exception_fp_denorm_src 0
		.amdhsa_exception_fp_ieee_div_zero 0
		.amdhsa_exception_fp_ieee_overflow 0
		.amdhsa_exception_fp_ieee_underflow 0
		.amdhsa_exception_fp_ieee_inexact 0
		.amdhsa_exception_int_div_zero 0
	.end_amdhsa_kernel
	.section	.text._ZN7rocprim17ROCPRIM_400000_NS6detail17trampoline_kernelINS0_14default_configENS1_25partition_config_selectorILNS1_17partition_subalgoE9ExxbEEZZNS1_14partition_implILS5_9ELb0ES3_jN6thrust23THRUST_200600_302600_NS6detail15normal_iteratorINS9_10device_ptrIxEEEESE_PNS0_10empty_typeENS0_5tupleIJSE_SF_EEENSH_IJSE_SG_EEENS0_18inequality_wrapperINS9_8equal_toIxEEEEPmJSF_EEE10hipError_tPvRmT3_T4_T5_T6_T7_T9_mT8_P12ihipStream_tbDpT10_ENKUlT_T0_E_clISt17integral_constantIbLb0EES17_IbLb1EEEEDaS13_S14_EUlS13_E_NS1_11comp_targetILNS1_3genE0ELNS1_11target_archE4294967295ELNS1_3gpuE0ELNS1_3repE0EEENS1_30default_config_static_selectorELNS0_4arch9wavefront6targetE0EEEvT1_,"axG",@progbits,_ZN7rocprim17ROCPRIM_400000_NS6detail17trampoline_kernelINS0_14default_configENS1_25partition_config_selectorILNS1_17partition_subalgoE9ExxbEEZZNS1_14partition_implILS5_9ELb0ES3_jN6thrust23THRUST_200600_302600_NS6detail15normal_iteratorINS9_10device_ptrIxEEEESE_PNS0_10empty_typeENS0_5tupleIJSE_SF_EEENSH_IJSE_SG_EEENS0_18inequality_wrapperINS9_8equal_toIxEEEEPmJSF_EEE10hipError_tPvRmT3_T4_T5_T6_T7_T9_mT8_P12ihipStream_tbDpT10_ENKUlT_T0_E_clISt17integral_constantIbLb0EES17_IbLb1EEEEDaS13_S14_EUlS13_E_NS1_11comp_targetILNS1_3genE0ELNS1_11target_archE4294967295ELNS1_3gpuE0ELNS1_3repE0EEENS1_30default_config_static_selectorELNS0_4arch9wavefront6targetE0EEEvT1_,comdat
.Lfunc_end364:
	.size	_ZN7rocprim17ROCPRIM_400000_NS6detail17trampoline_kernelINS0_14default_configENS1_25partition_config_selectorILNS1_17partition_subalgoE9ExxbEEZZNS1_14partition_implILS5_9ELb0ES3_jN6thrust23THRUST_200600_302600_NS6detail15normal_iteratorINS9_10device_ptrIxEEEESE_PNS0_10empty_typeENS0_5tupleIJSE_SF_EEENSH_IJSE_SG_EEENS0_18inequality_wrapperINS9_8equal_toIxEEEEPmJSF_EEE10hipError_tPvRmT3_T4_T5_T6_T7_T9_mT8_P12ihipStream_tbDpT10_ENKUlT_T0_E_clISt17integral_constantIbLb0EES17_IbLb1EEEEDaS13_S14_EUlS13_E_NS1_11comp_targetILNS1_3genE0ELNS1_11target_archE4294967295ELNS1_3gpuE0ELNS1_3repE0EEENS1_30default_config_static_selectorELNS0_4arch9wavefront6targetE0EEEvT1_, .Lfunc_end364-_ZN7rocprim17ROCPRIM_400000_NS6detail17trampoline_kernelINS0_14default_configENS1_25partition_config_selectorILNS1_17partition_subalgoE9ExxbEEZZNS1_14partition_implILS5_9ELb0ES3_jN6thrust23THRUST_200600_302600_NS6detail15normal_iteratorINS9_10device_ptrIxEEEESE_PNS0_10empty_typeENS0_5tupleIJSE_SF_EEENSH_IJSE_SG_EEENS0_18inequality_wrapperINS9_8equal_toIxEEEEPmJSF_EEE10hipError_tPvRmT3_T4_T5_T6_T7_T9_mT8_P12ihipStream_tbDpT10_ENKUlT_T0_E_clISt17integral_constantIbLb0EES17_IbLb1EEEEDaS13_S14_EUlS13_E_NS1_11comp_targetILNS1_3genE0ELNS1_11target_archE4294967295ELNS1_3gpuE0ELNS1_3repE0EEENS1_30default_config_static_selectorELNS0_4arch9wavefront6targetE0EEEvT1_
                                        ; -- End function
	.section	.AMDGPU.csdata,"",@progbits
; Kernel info:
; codeLenInByte = 0
; NumSgprs: 0
; NumVgprs: 0
; ScratchSize: 0
; MemoryBound: 0
; FloatMode: 240
; IeeeMode: 1
; LDSByteSize: 0 bytes/workgroup (compile time only)
; SGPRBlocks: 0
; VGPRBlocks: 0
; NumSGPRsForWavesPerEU: 1
; NumVGPRsForWavesPerEU: 1
; Occupancy: 16
; WaveLimiterHint : 0
; COMPUTE_PGM_RSRC2:SCRATCH_EN: 0
; COMPUTE_PGM_RSRC2:USER_SGPR: 15
; COMPUTE_PGM_RSRC2:TRAP_HANDLER: 0
; COMPUTE_PGM_RSRC2:TGID_X_EN: 1
; COMPUTE_PGM_RSRC2:TGID_Y_EN: 0
; COMPUTE_PGM_RSRC2:TGID_Z_EN: 0
; COMPUTE_PGM_RSRC2:TIDIG_COMP_CNT: 0
	.section	.text._ZN7rocprim17ROCPRIM_400000_NS6detail17trampoline_kernelINS0_14default_configENS1_25partition_config_selectorILNS1_17partition_subalgoE9ExxbEEZZNS1_14partition_implILS5_9ELb0ES3_jN6thrust23THRUST_200600_302600_NS6detail15normal_iteratorINS9_10device_ptrIxEEEESE_PNS0_10empty_typeENS0_5tupleIJSE_SF_EEENSH_IJSE_SG_EEENS0_18inequality_wrapperINS9_8equal_toIxEEEEPmJSF_EEE10hipError_tPvRmT3_T4_T5_T6_T7_T9_mT8_P12ihipStream_tbDpT10_ENKUlT_T0_E_clISt17integral_constantIbLb0EES17_IbLb1EEEEDaS13_S14_EUlS13_E_NS1_11comp_targetILNS1_3genE5ELNS1_11target_archE942ELNS1_3gpuE9ELNS1_3repE0EEENS1_30default_config_static_selectorELNS0_4arch9wavefront6targetE0EEEvT1_,"axG",@progbits,_ZN7rocprim17ROCPRIM_400000_NS6detail17trampoline_kernelINS0_14default_configENS1_25partition_config_selectorILNS1_17partition_subalgoE9ExxbEEZZNS1_14partition_implILS5_9ELb0ES3_jN6thrust23THRUST_200600_302600_NS6detail15normal_iteratorINS9_10device_ptrIxEEEESE_PNS0_10empty_typeENS0_5tupleIJSE_SF_EEENSH_IJSE_SG_EEENS0_18inequality_wrapperINS9_8equal_toIxEEEEPmJSF_EEE10hipError_tPvRmT3_T4_T5_T6_T7_T9_mT8_P12ihipStream_tbDpT10_ENKUlT_T0_E_clISt17integral_constantIbLb0EES17_IbLb1EEEEDaS13_S14_EUlS13_E_NS1_11comp_targetILNS1_3genE5ELNS1_11target_archE942ELNS1_3gpuE9ELNS1_3repE0EEENS1_30default_config_static_selectorELNS0_4arch9wavefront6targetE0EEEvT1_,comdat
	.protected	_ZN7rocprim17ROCPRIM_400000_NS6detail17trampoline_kernelINS0_14default_configENS1_25partition_config_selectorILNS1_17partition_subalgoE9ExxbEEZZNS1_14partition_implILS5_9ELb0ES3_jN6thrust23THRUST_200600_302600_NS6detail15normal_iteratorINS9_10device_ptrIxEEEESE_PNS0_10empty_typeENS0_5tupleIJSE_SF_EEENSH_IJSE_SG_EEENS0_18inequality_wrapperINS9_8equal_toIxEEEEPmJSF_EEE10hipError_tPvRmT3_T4_T5_T6_T7_T9_mT8_P12ihipStream_tbDpT10_ENKUlT_T0_E_clISt17integral_constantIbLb0EES17_IbLb1EEEEDaS13_S14_EUlS13_E_NS1_11comp_targetILNS1_3genE5ELNS1_11target_archE942ELNS1_3gpuE9ELNS1_3repE0EEENS1_30default_config_static_selectorELNS0_4arch9wavefront6targetE0EEEvT1_ ; -- Begin function _ZN7rocprim17ROCPRIM_400000_NS6detail17trampoline_kernelINS0_14default_configENS1_25partition_config_selectorILNS1_17partition_subalgoE9ExxbEEZZNS1_14partition_implILS5_9ELb0ES3_jN6thrust23THRUST_200600_302600_NS6detail15normal_iteratorINS9_10device_ptrIxEEEESE_PNS0_10empty_typeENS0_5tupleIJSE_SF_EEENSH_IJSE_SG_EEENS0_18inequality_wrapperINS9_8equal_toIxEEEEPmJSF_EEE10hipError_tPvRmT3_T4_T5_T6_T7_T9_mT8_P12ihipStream_tbDpT10_ENKUlT_T0_E_clISt17integral_constantIbLb0EES17_IbLb1EEEEDaS13_S14_EUlS13_E_NS1_11comp_targetILNS1_3genE5ELNS1_11target_archE942ELNS1_3gpuE9ELNS1_3repE0EEENS1_30default_config_static_selectorELNS0_4arch9wavefront6targetE0EEEvT1_
	.globl	_ZN7rocprim17ROCPRIM_400000_NS6detail17trampoline_kernelINS0_14default_configENS1_25partition_config_selectorILNS1_17partition_subalgoE9ExxbEEZZNS1_14partition_implILS5_9ELb0ES3_jN6thrust23THRUST_200600_302600_NS6detail15normal_iteratorINS9_10device_ptrIxEEEESE_PNS0_10empty_typeENS0_5tupleIJSE_SF_EEENSH_IJSE_SG_EEENS0_18inequality_wrapperINS9_8equal_toIxEEEEPmJSF_EEE10hipError_tPvRmT3_T4_T5_T6_T7_T9_mT8_P12ihipStream_tbDpT10_ENKUlT_T0_E_clISt17integral_constantIbLb0EES17_IbLb1EEEEDaS13_S14_EUlS13_E_NS1_11comp_targetILNS1_3genE5ELNS1_11target_archE942ELNS1_3gpuE9ELNS1_3repE0EEENS1_30default_config_static_selectorELNS0_4arch9wavefront6targetE0EEEvT1_
	.p2align	8
	.type	_ZN7rocprim17ROCPRIM_400000_NS6detail17trampoline_kernelINS0_14default_configENS1_25partition_config_selectorILNS1_17partition_subalgoE9ExxbEEZZNS1_14partition_implILS5_9ELb0ES3_jN6thrust23THRUST_200600_302600_NS6detail15normal_iteratorINS9_10device_ptrIxEEEESE_PNS0_10empty_typeENS0_5tupleIJSE_SF_EEENSH_IJSE_SG_EEENS0_18inequality_wrapperINS9_8equal_toIxEEEEPmJSF_EEE10hipError_tPvRmT3_T4_T5_T6_T7_T9_mT8_P12ihipStream_tbDpT10_ENKUlT_T0_E_clISt17integral_constantIbLb0EES17_IbLb1EEEEDaS13_S14_EUlS13_E_NS1_11comp_targetILNS1_3genE5ELNS1_11target_archE942ELNS1_3gpuE9ELNS1_3repE0EEENS1_30default_config_static_selectorELNS0_4arch9wavefront6targetE0EEEvT1_,@function
_ZN7rocprim17ROCPRIM_400000_NS6detail17trampoline_kernelINS0_14default_configENS1_25partition_config_selectorILNS1_17partition_subalgoE9ExxbEEZZNS1_14partition_implILS5_9ELb0ES3_jN6thrust23THRUST_200600_302600_NS6detail15normal_iteratorINS9_10device_ptrIxEEEESE_PNS0_10empty_typeENS0_5tupleIJSE_SF_EEENSH_IJSE_SG_EEENS0_18inequality_wrapperINS9_8equal_toIxEEEEPmJSF_EEE10hipError_tPvRmT3_T4_T5_T6_T7_T9_mT8_P12ihipStream_tbDpT10_ENKUlT_T0_E_clISt17integral_constantIbLb0EES17_IbLb1EEEEDaS13_S14_EUlS13_E_NS1_11comp_targetILNS1_3genE5ELNS1_11target_archE942ELNS1_3gpuE9ELNS1_3repE0EEENS1_30default_config_static_selectorELNS0_4arch9wavefront6targetE0EEEvT1_: ; @_ZN7rocprim17ROCPRIM_400000_NS6detail17trampoline_kernelINS0_14default_configENS1_25partition_config_selectorILNS1_17partition_subalgoE9ExxbEEZZNS1_14partition_implILS5_9ELb0ES3_jN6thrust23THRUST_200600_302600_NS6detail15normal_iteratorINS9_10device_ptrIxEEEESE_PNS0_10empty_typeENS0_5tupleIJSE_SF_EEENSH_IJSE_SG_EEENS0_18inequality_wrapperINS9_8equal_toIxEEEEPmJSF_EEE10hipError_tPvRmT3_T4_T5_T6_T7_T9_mT8_P12ihipStream_tbDpT10_ENKUlT_T0_E_clISt17integral_constantIbLb0EES17_IbLb1EEEEDaS13_S14_EUlS13_E_NS1_11comp_targetILNS1_3genE5ELNS1_11target_archE942ELNS1_3gpuE9ELNS1_3repE0EEENS1_30default_config_static_selectorELNS0_4arch9wavefront6targetE0EEEvT1_
; %bb.0:
	.section	.rodata,"a",@progbits
	.p2align	6, 0x0
	.amdhsa_kernel _ZN7rocprim17ROCPRIM_400000_NS6detail17trampoline_kernelINS0_14default_configENS1_25partition_config_selectorILNS1_17partition_subalgoE9ExxbEEZZNS1_14partition_implILS5_9ELb0ES3_jN6thrust23THRUST_200600_302600_NS6detail15normal_iteratorINS9_10device_ptrIxEEEESE_PNS0_10empty_typeENS0_5tupleIJSE_SF_EEENSH_IJSE_SG_EEENS0_18inequality_wrapperINS9_8equal_toIxEEEEPmJSF_EEE10hipError_tPvRmT3_T4_T5_T6_T7_T9_mT8_P12ihipStream_tbDpT10_ENKUlT_T0_E_clISt17integral_constantIbLb0EES17_IbLb1EEEEDaS13_S14_EUlS13_E_NS1_11comp_targetILNS1_3genE5ELNS1_11target_archE942ELNS1_3gpuE9ELNS1_3repE0EEENS1_30default_config_static_selectorELNS0_4arch9wavefront6targetE0EEEvT1_
		.amdhsa_group_segment_fixed_size 0
		.amdhsa_private_segment_fixed_size 0
		.amdhsa_kernarg_size 128
		.amdhsa_user_sgpr_count 15
		.amdhsa_user_sgpr_dispatch_ptr 0
		.amdhsa_user_sgpr_queue_ptr 0
		.amdhsa_user_sgpr_kernarg_segment_ptr 1
		.amdhsa_user_sgpr_dispatch_id 0
		.amdhsa_user_sgpr_private_segment_size 0
		.amdhsa_wavefront_size32 1
		.amdhsa_uses_dynamic_stack 0
		.amdhsa_enable_private_segment 0
		.amdhsa_system_sgpr_workgroup_id_x 1
		.amdhsa_system_sgpr_workgroup_id_y 0
		.amdhsa_system_sgpr_workgroup_id_z 0
		.amdhsa_system_sgpr_workgroup_info 0
		.amdhsa_system_vgpr_workitem_id 0
		.amdhsa_next_free_vgpr 1
		.amdhsa_next_free_sgpr 1
		.amdhsa_reserve_vcc 0
		.amdhsa_float_round_mode_32 0
		.amdhsa_float_round_mode_16_64 0
		.amdhsa_float_denorm_mode_32 3
		.amdhsa_float_denorm_mode_16_64 3
		.amdhsa_dx10_clamp 1
		.amdhsa_ieee_mode 1
		.amdhsa_fp16_overflow 0
		.amdhsa_workgroup_processor_mode 1
		.amdhsa_memory_ordered 1
		.amdhsa_forward_progress 0
		.amdhsa_shared_vgpr_count 0
		.amdhsa_exception_fp_ieee_invalid_op 0
		.amdhsa_exception_fp_denorm_src 0
		.amdhsa_exception_fp_ieee_div_zero 0
		.amdhsa_exception_fp_ieee_overflow 0
		.amdhsa_exception_fp_ieee_underflow 0
		.amdhsa_exception_fp_ieee_inexact 0
		.amdhsa_exception_int_div_zero 0
	.end_amdhsa_kernel
	.section	.text._ZN7rocprim17ROCPRIM_400000_NS6detail17trampoline_kernelINS0_14default_configENS1_25partition_config_selectorILNS1_17partition_subalgoE9ExxbEEZZNS1_14partition_implILS5_9ELb0ES3_jN6thrust23THRUST_200600_302600_NS6detail15normal_iteratorINS9_10device_ptrIxEEEESE_PNS0_10empty_typeENS0_5tupleIJSE_SF_EEENSH_IJSE_SG_EEENS0_18inequality_wrapperINS9_8equal_toIxEEEEPmJSF_EEE10hipError_tPvRmT3_T4_T5_T6_T7_T9_mT8_P12ihipStream_tbDpT10_ENKUlT_T0_E_clISt17integral_constantIbLb0EES17_IbLb1EEEEDaS13_S14_EUlS13_E_NS1_11comp_targetILNS1_3genE5ELNS1_11target_archE942ELNS1_3gpuE9ELNS1_3repE0EEENS1_30default_config_static_selectorELNS0_4arch9wavefront6targetE0EEEvT1_,"axG",@progbits,_ZN7rocprim17ROCPRIM_400000_NS6detail17trampoline_kernelINS0_14default_configENS1_25partition_config_selectorILNS1_17partition_subalgoE9ExxbEEZZNS1_14partition_implILS5_9ELb0ES3_jN6thrust23THRUST_200600_302600_NS6detail15normal_iteratorINS9_10device_ptrIxEEEESE_PNS0_10empty_typeENS0_5tupleIJSE_SF_EEENSH_IJSE_SG_EEENS0_18inequality_wrapperINS9_8equal_toIxEEEEPmJSF_EEE10hipError_tPvRmT3_T4_T5_T6_T7_T9_mT8_P12ihipStream_tbDpT10_ENKUlT_T0_E_clISt17integral_constantIbLb0EES17_IbLb1EEEEDaS13_S14_EUlS13_E_NS1_11comp_targetILNS1_3genE5ELNS1_11target_archE942ELNS1_3gpuE9ELNS1_3repE0EEENS1_30default_config_static_selectorELNS0_4arch9wavefront6targetE0EEEvT1_,comdat
.Lfunc_end365:
	.size	_ZN7rocprim17ROCPRIM_400000_NS6detail17trampoline_kernelINS0_14default_configENS1_25partition_config_selectorILNS1_17partition_subalgoE9ExxbEEZZNS1_14partition_implILS5_9ELb0ES3_jN6thrust23THRUST_200600_302600_NS6detail15normal_iteratorINS9_10device_ptrIxEEEESE_PNS0_10empty_typeENS0_5tupleIJSE_SF_EEENSH_IJSE_SG_EEENS0_18inequality_wrapperINS9_8equal_toIxEEEEPmJSF_EEE10hipError_tPvRmT3_T4_T5_T6_T7_T9_mT8_P12ihipStream_tbDpT10_ENKUlT_T0_E_clISt17integral_constantIbLb0EES17_IbLb1EEEEDaS13_S14_EUlS13_E_NS1_11comp_targetILNS1_3genE5ELNS1_11target_archE942ELNS1_3gpuE9ELNS1_3repE0EEENS1_30default_config_static_selectorELNS0_4arch9wavefront6targetE0EEEvT1_, .Lfunc_end365-_ZN7rocprim17ROCPRIM_400000_NS6detail17trampoline_kernelINS0_14default_configENS1_25partition_config_selectorILNS1_17partition_subalgoE9ExxbEEZZNS1_14partition_implILS5_9ELb0ES3_jN6thrust23THRUST_200600_302600_NS6detail15normal_iteratorINS9_10device_ptrIxEEEESE_PNS0_10empty_typeENS0_5tupleIJSE_SF_EEENSH_IJSE_SG_EEENS0_18inequality_wrapperINS9_8equal_toIxEEEEPmJSF_EEE10hipError_tPvRmT3_T4_T5_T6_T7_T9_mT8_P12ihipStream_tbDpT10_ENKUlT_T0_E_clISt17integral_constantIbLb0EES17_IbLb1EEEEDaS13_S14_EUlS13_E_NS1_11comp_targetILNS1_3genE5ELNS1_11target_archE942ELNS1_3gpuE9ELNS1_3repE0EEENS1_30default_config_static_selectorELNS0_4arch9wavefront6targetE0EEEvT1_
                                        ; -- End function
	.section	.AMDGPU.csdata,"",@progbits
; Kernel info:
; codeLenInByte = 0
; NumSgprs: 0
; NumVgprs: 0
; ScratchSize: 0
; MemoryBound: 0
; FloatMode: 240
; IeeeMode: 1
; LDSByteSize: 0 bytes/workgroup (compile time only)
; SGPRBlocks: 0
; VGPRBlocks: 0
; NumSGPRsForWavesPerEU: 1
; NumVGPRsForWavesPerEU: 1
; Occupancy: 16
; WaveLimiterHint : 0
; COMPUTE_PGM_RSRC2:SCRATCH_EN: 0
; COMPUTE_PGM_RSRC2:USER_SGPR: 15
; COMPUTE_PGM_RSRC2:TRAP_HANDLER: 0
; COMPUTE_PGM_RSRC2:TGID_X_EN: 1
; COMPUTE_PGM_RSRC2:TGID_Y_EN: 0
; COMPUTE_PGM_RSRC2:TGID_Z_EN: 0
; COMPUTE_PGM_RSRC2:TIDIG_COMP_CNT: 0
	.section	.text._ZN7rocprim17ROCPRIM_400000_NS6detail17trampoline_kernelINS0_14default_configENS1_25partition_config_selectorILNS1_17partition_subalgoE9ExxbEEZZNS1_14partition_implILS5_9ELb0ES3_jN6thrust23THRUST_200600_302600_NS6detail15normal_iteratorINS9_10device_ptrIxEEEESE_PNS0_10empty_typeENS0_5tupleIJSE_SF_EEENSH_IJSE_SG_EEENS0_18inequality_wrapperINS9_8equal_toIxEEEEPmJSF_EEE10hipError_tPvRmT3_T4_T5_T6_T7_T9_mT8_P12ihipStream_tbDpT10_ENKUlT_T0_E_clISt17integral_constantIbLb0EES17_IbLb1EEEEDaS13_S14_EUlS13_E_NS1_11comp_targetILNS1_3genE4ELNS1_11target_archE910ELNS1_3gpuE8ELNS1_3repE0EEENS1_30default_config_static_selectorELNS0_4arch9wavefront6targetE0EEEvT1_,"axG",@progbits,_ZN7rocprim17ROCPRIM_400000_NS6detail17trampoline_kernelINS0_14default_configENS1_25partition_config_selectorILNS1_17partition_subalgoE9ExxbEEZZNS1_14partition_implILS5_9ELb0ES3_jN6thrust23THRUST_200600_302600_NS6detail15normal_iteratorINS9_10device_ptrIxEEEESE_PNS0_10empty_typeENS0_5tupleIJSE_SF_EEENSH_IJSE_SG_EEENS0_18inequality_wrapperINS9_8equal_toIxEEEEPmJSF_EEE10hipError_tPvRmT3_T4_T5_T6_T7_T9_mT8_P12ihipStream_tbDpT10_ENKUlT_T0_E_clISt17integral_constantIbLb0EES17_IbLb1EEEEDaS13_S14_EUlS13_E_NS1_11comp_targetILNS1_3genE4ELNS1_11target_archE910ELNS1_3gpuE8ELNS1_3repE0EEENS1_30default_config_static_selectorELNS0_4arch9wavefront6targetE0EEEvT1_,comdat
	.protected	_ZN7rocprim17ROCPRIM_400000_NS6detail17trampoline_kernelINS0_14default_configENS1_25partition_config_selectorILNS1_17partition_subalgoE9ExxbEEZZNS1_14partition_implILS5_9ELb0ES3_jN6thrust23THRUST_200600_302600_NS6detail15normal_iteratorINS9_10device_ptrIxEEEESE_PNS0_10empty_typeENS0_5tupleIJSE_SF_EEENSH_IJSE_SG_EEENS0_18inequality_wrapperINS9_8equal_toIxEEEEPmJSF_EEE10hipError_tPvRmT3_T4_T5_T6_T7_T9_mT8_P12ihipStream_tbDpT10_ENKUlT_T0_E_clISt17integral_constantIbLb0EES17_IbLb1EEEEDaS13_S14_EUlS13_E_NS1_11comp_targetILNS1_3genE4ELNS1_11target_archE910ELNS1_3gpuE8ELNS1_3repE0EEENS1_30default_config_static_selectorELNS0_4arch9wavefront6targetE0EEEvT1_ ; -- Begin function _ZN7rocprim17ROCPRIM_400000_NS6detail17trampoline_kernelINS0_14default_configENS1_25partition_config_selectorILNS1_17partition_subalgoE9ExxbEEZZNS1_14partition_implILS5_9ELb0ES3_jN6thrust23THRUST_200600_302600_NS6detail15normal_iteratorINS9_10device_ptrIxEEEESE_PNS0_10empty_typeENS0_5tupleIJSE_SF_EEENSH_IJSE_SG_EEENS0_18inequality_wrapperINS9_8equal_toIxEEEEPmJSF_EEE10hipError_tPvRmT3_T4_T5_T6_T7_T9_mT8_P12ihipStream_tbDpT10_ENKUlT_T0_E_clISt17integral_constantIbLb0EES17_IbLb1EEEEDaS13_S14_EUlS13_E_NS1_11comp_targetILNS1_3genE4ELNS1_11target_archE910ELNS1_3gpuE8ELNS1_3repE0EEENS1_30default_config_static_selectorELNS0_4arch9wavefront6targetE0EEEvT1_
	.globl	_ZN7rocprim17ROCPRIM_400000_NS6detail17trampoline_kernelINS0_14default_configENS1_25partition_config_selectorILNS1_17partition_subalgoE9ExxbEEZZNS1_14partition_implILS5_9ELb0ES3_jN6thrust23THRUST_200600_302600_NS6detail15normal_iteratorINS9_10device_ptrIxEEEESE_PNS0_10empty_typeENS0_5tupleIJSE_SF_EEENSH_IJSE_SG_EEENS0_18inequality_wrapperINS9_8equal_toIxEEEEPmJSF_EEE10hipError_tPvRmT3_T4_T5_T6_T7_T9_mT8_P12ihipStream_tbDpT10_ENKUlT_T0_E_clISt17integral_constantIbLb0EES17_IbLb1EEEEDaS13_S14_EUlS13_E_NS1_11comp_targetILNS1_3genE4ELNS1_11target_archE910ELNS1_3gpuE8ELNS1_3repE0EEENS1_30default_config_static_selectorELNS0_4arch9wavefront6targetE0EEEvT1_
	.p2align	8
	.type	_ZN7rocprim17ROCPRIM_400000_NS6detail17trampoline_kernelINS0_14default_configENS1_25partition_config_selectorILNS1_17partition_subalgoE9ExxbEEZZNS1_14partition_implILS5_9ELb0ES3_jN6thrust23THRUST_200600_302600_NS6detail15normal_iteratorINS9_10device_ptrIxEEEESE_PNS0_10empty_typeENS0_5tupleIJSE_SF_EEENSH_IJSE_SG_EEENS0_18inequality_wrapperINS9_8equal_toIxEEEEPmJSF_EEE10hipError_tPvRmT3_T4_T5_T6_T7_T9_mT8_P12ihipStream_tbDpT10_ENKUlT_T0_E_clISt17integral_constantIbLb0EES17_IbLb1EEEEDaS13_S14_EUlS13_E_NS1_11comp_targetILNS1_3genE4ELNS1_11target_archE910ELNS1_3gpuE8ELNS1_3repE0EEENS1_30default_config_static_selectorELNS0_4arch9wavefront6targetE0EEEvT1_,@function
_ZN7rocprim17ROCPRIM_400000_NS6detail17trampoline_kernelINS0_14default_configENS1_25partition_config_selectorILNS1_17partition_subalgoE9ExxbEEZZNS1_14partition_implILS5_9ELb0ES3_jN6thrust23THRUST_200600_302600_NS6detail15normal_iteratorINS9_10device_ptrIxEEEESE_PNS0_10empty_typeENS0_5tupleIJSE_SF_EEENSH_IJSE_SG_EEENS0_18inequality_wrapperINS9_8equal_toIxEEEEPmJSF_EEE10hipError_tPvRmT3_T4_T5_T6_T7_T9_mT8_P12ihipStream_tbDpT10_ENKUlT_T0_E_clISt17integral_constantIbLb0EES17_IbLb1EEEEDaS13_S14_EUlS13_E_NS1_11comp_targetILNS1_3genE4ELNS1_11target_archE910ELNS1_3gpuE8ELNS1_3repE0EEENS1_30default_config_static_selectorELNS0_4arch9wavefront6targetE0EEEvT1_: ; @_ZN7rocprim17ROCPRIM_400000_NS6detail17trampoline_kernelINS0_14default_configENS1_25partition_config_selectorILNS1_17partition_subalgoE9ExxbEEZZNS1_14partition_implILS5_9ELb0ES3_jN6thrust23THRUST_200600_302600_NS6detail15normal_iteratorINS9_10device_ptrIxEEEESE_PNS0_10empty_typeENS0_5tupleIJSE_SF_EEENSH_IJSE_SG_EEENS0_18inequality_wrapperINS9_8equal_toIxEEEEPmJSF_EEE10hipError_tPvRmT3_T4_T5_T6_T7_T9_mT8_P12ihipStream_tbDpT10_ENKUlT_T0_E_clISt17integral_constantIbLb0EES17_IbLb1EEEEDaS13_S14_EUlS13_E_NS1_11comp_targetILNS1_3genE4ELNS1_11target_archE910ELNS1_3gpuE8ELNS1_3repE0EEENS1_30default_config_static_selectorELNS0_4arch9wavefront6targetE0EEEvT1_
; %bb.0:
	.section	.rodata,"a",@progbits
	.p2align	6, 0x0
	.amdhsa_kernel _ZN7rocprim17ROCPRIM_400000_NS6detail17trampoline_kernelINS0_14default_configENS1_25partition_config_selectorILNS1_17partition_subalgoE9ExxbEEZZNS1_14partition_implILS5_9ELb0ES3_jN6thrust23THRUST_200600_302600_NS6detail15normal_iteratorINS9_10device_ptrIxEEEESE_PNS0_10empty_typeENS0_5tupleIJSE_SF_EEENSH_IJSE_SG_EEENS0_18inequality_wrapperINS9_8equal_toIxEEEEPmJSF_EEE10hipError_tPvRmT3_T4_T5_T6_T7_T9_mT8_P12ihipStream_tbDpT10_ENKUlT_T0_E_clISt17integral_constantIbLb0EES17_IbLb1EEEEDaS13_S14_EUlS13_E_NS1_11comp_targetILNS1_3genE4ELNS1_11target_archE910ELNS1_3gpuE8ELNS1_3repE0EEENS1_30default_config_static_selectorELNS0_4arch9wavefront6targetE0EEEvT1_
		.amdhsa_group_segment_fixed_size 0
		.amdhsa_private_segment_fixed_size 0
		.amdhsa_kernarg_size 128
		.amdhsa_user_sgpr_count 15
		.amdhsa_user_sgpr_dispatch_ptr 0
		.amdhsa_user_sgpr_queue_ptr 0
		.amdhsa_user_sgpr_kernarg_segment_ptr 1
		.amdhsa_user_sgpr_dispatch_id 0
		.amdhsa_user_sgpr_private_segment_size 0
		.amdhsa_wavefront_size32 1
		.amdhsa_uses_dynamic_stack 0
		.amdhsa_enable_private_segment 0
		.amdhsa_system_sgpr_workgroup_id_x 1
		.amdhsa_system_sgpr_workgroup_id_y 0
		.amdhsa_system_sgpr_workgroup_id_z 0
		.amdhsa_system_sgpr_workgroup_info 0
		.amdhsa_system_vgpr_workitem_id 0
		.amdhsa_next_free_vgpr 1
		.amdhsa_next_free_sgpr 1
		.amdhsa_reserve_vcc 0
		.amdhsa_float_round_mode_32 0
		.amdhsa_float_round_mode_16_64 0
		.amdhsa_float_denorm_mode_32 3
		.amdhsa_float_denorm_mode_16_64 3
		.amdhsa_dx10_clamp 1
		.amdhsa_ieee_mode 1
		.amdhsa_fp16_overflow 0
		.amdhsa_workgroup_processor_mode 1
		.amdhsa_memory_ordered 1
		.amdhsa_forward_progress 0
		.amdhsa_shared_vgpr_count 0
		.amdhsa_exception_fp_ieee_invalid_op 0
		.amdhsa_exception_fp_denorm_src 0
		.amdhsa_exception_fp_ieee_div_zero 0
		.amdhsa_exception_fp_ieee_overflow 0
		.amdhsa_exception_fp_ieee_underflow 0
		.amdhsa_exception_fp_ieee_inexact 0
		.amdhsa_exception_int_div_zero 0
	.end_amdhsa_kernel
	.section	.text._ZN7rocprim17ROCPRIM_400000_NS6detail17trampoline_kernelINS0_14default_configENS1_25partition_config_selectorILNS1_17partition_subalgoE9ExxbEEZZNS1_14partition_implILS5_9ELb0ES3_jN6thrust23THRUST_200600_302600_NS6detail15normal_iteratorINS9_10device_ptrIxEEEESE_PNS0_10empty_typeENS0_5tupleIJSE_SF_EEENSH_IJSE_SG_EEENS0_18inequality_wrapperINS9_8equal_toIxEEEEPmJSF_EEE10hipError_tPvRmT3_T4_T5_T6_T7_T9_mT8_P12ihipStream_tbDpT10_ENKUlT_T0_E_clISt17integral_constantIbLb0EES17_IbLb1EEEEDaS13_S14_EUlS13_E_NS1_11comp_targetILNS1_3genE4ELNS1_11target_archE910ELNS1_3gpuE8ELNS1_3repE0EEENS1_30default_config_static_selectorELNS0_4arch9wavefront6targetE0EEEvT1_,"axG",@progbits,_ZN7rocprim17ROCPRIM_400000_NS6detail17trampoline_kernelINS0_14default_configENS1_25partition_config_selectorILNS1_17partition_subalgoE9ExxbEEZZNS1_14partition_implILS5_9ELb0ES3_jN6thrust23THRUST_200600_302600_NS6detail15normal_iteratorINS9_10device_ptrIxEEEESE_PNS0_10empty_typeENS0_5tupleIJSE_SF_EEENSH_IJSE_SG_EEENS0_18inequality_wrapperINS9_8equal_toIxEEEEPmJSF_EEE10hipError_tPvRmT3_T4_T5_T6_T7_T9_mT8_P12ihipStream_tbDpT10_ENKUlT_T0_E_clISt17integral_constantIbLb0EES17_IbLb1EEEEDaS13_S14_EUlS13_E_NS1_11comp_targetILNS1_3genE4ELNS1_11target_archE910ELNS1_3gpuE8ELNS1_3repE0EEENS1_30default_config_static_selectorELNS0_4arch9wavefront6targetE0EEEvT1_,comdat
.Lfunc_end366:
	.size	_ZN7rocprim17ROCPRIM_400000_NS6detail17trampoline_kernelINS0_14default_configENS1_25partition_config_selectorILNS1_17partition_subalgoE9ExxbEEZZNS1_14partition_implILS5_9ELb0ES3_jN6thrust23THRUST_200600_302600_NS6detail15normal_iteratorINS9_10device_ptrIxEEEESE_PNS0_10empty_typeENS0_5tupleIJSE_SF_EEENSH_IJSE_SG_EEENS0_18inequality_wrapperINS9_8equal_toIxEEEEPmJSF_EEE10hipError_tPvRmT3_T4_T5_T6_T7_T9_mT8_P12ihipStream_tbDpT10_ENKUlT_T0_E_clISt17integral_constantIbLb0EES17_IbLb1EEEEDaS13_S14_EUlS13_E_NS1_11comp_targetILNS1_3genE4ELNS1_11target_archE910ELNS1_3gpuE8ELNS1_3repE0EEENS1_30default_config_static_selectorELNS0_4arch9wavefront6targetE0EEEvT1_, .Lfunc_end366-_ZN7rocprim17ROCPRIM_400000_NS6detail17trampoline_kernelINS0_14default_configENS1_25partition_config_selectorILNS1_17partition_subalgoE9ExxbEEZZNS1_14partition_implILS5_9ELb0ES3_jN6thrust23THRUST_200600_302600_NS6detail15normal_iteratorINS9_10device_ptrIxEEEESE_PNS0_10empty_typeENS0_5tupleIJSE_SF_EEENSH_IJSE_SG_EEENS0_18inequality_wrapperINS9_8equal_toIxEEEEPmJSF_EEE10hipError_tPvRmT3_T4_T5_T6_T7_T9_mT8_P12ihipStream_tbDpT10_ENKUlT_T0_E_clISt17integral_constantIbLb0EES17_IbLb1EEEEDaS13_S14_EUlS13_E_NS1_11comp_targetILNS1_3genE4ELNS1_11target_archE910ELNS1_3gpuE8ELNS1_3repE0EEENS1_30default_config_static_selectorELNS0_4arch9wavefront6targetE0EEEvT1_
                                        ; -- End function
	.section	.AMDGPU.csdata,"",@progbits
; Kernel info:
; codeLenInByte = 0
; NumSgprs: 0
; NumVgprs: 0
; ScratchSize: 0
; MemoryBound: 0
; FloatMode: 240
; IeeeMode: 1
; LDSByteSize: 0 bytes/workgroup (compile time only)
; SGPRBlocks: 0
; VGPRBlocks: 0
; NumSGPRsForWavesPerEU: 1
; NumVGPRsForWavesPerEU: 1
; Occupancy: 16
; WaveLimiterHint : 0
; COMPUTE_PGM_RSRC2:SCRATCH_EN: 0
; COMPUTE_PGM_RSRC2:USER_SGPR: 15
; COMPUTE_PGM_RSRC2:TRAP_HANDLER: 0
; COMPUTE_PGM_RSRC2:TGID_X_EN: 1
; COMPUTE_PGM_RSRC2:TGID_Y_EN: 0
; COMPUTE_PGM_RSRC2:TGID_Z_EN: 0
; COMPUTE_PGM_RSRC2:TIDIG_COMP_CNT: 0
	.section	.text._ZN7rocprim17ROCPRIM_400000_NS6detail17trampoline_kernelINS0_14default_configENS1_25partition_config_selectorILNS1_17partition_subalgoE9ExxbEEZZNS1_14partition_implILS5_9ELb0ES3_jN6thrust23THRUST_200600_302600_NS6detail15normal_iteratorINS9_10device_ptrIxEEEESE_PNS0_10empty_typeENS0_5tupleIJSE_SF_EEENSH_IJSE_SG_EEENS0_18inequality_wrapperINS9_8equal_toIxEEEEPmJSF_EEE10hipError_tPvRmT3_T4_T5_T6_T7_T9_mT8_P12ihipStream_tbDpT10_ENKUlT_T0_E_clISt17integral_constantIbLb0EES17_IbLb1EEEEDaS13_S14_EUlS13_E_NS1_11comp_targetILNS1_3genE3ELNS1_11target_archE908ELNS1_3gpuE7ELNS1_3repE0EEENS1_30default_config_static_selectorELNS0_4arch9wavefront6targetE0EEEvT1_,"axG",@progbits,_ZN7rocprim17ROCPRIM_400000_NS6detail17trampoline_kernelINS0_14default_configENS1_25partition_config_selectorILNS1_17partition_subalgoE9ExxbEEZZNS1_14partition_implILS5_9ELb0ES3_jN6thrust23THRUST_200600_302600_NS6detail15normal_iteratorINS9_10device_ptrIxEEEESE_PNS0_10empty_typeENS0_5tupleIJSE_SF_EEENSH_IJSE_SG_EEENS0_18inequality_wrapperINS9_8equal_toIxEEEEPmJSF_EEE10hipError_tPvRmT3_T4_T5_T6_T7_T9_mT8_P12ihipStream_tbDpT10_ENKUlT_T0_E_clISt17integral_constantIbLb0EES17_IbLb1EEEEDaS13_S14_EUlS13_E_NS1_11comp_targetILNS1_3genE3ELNS1_11target_archE908ELNS1_3gpuE7ELNS1_3repE0EEENS1_30default_config_static_selectorELNS0_4arch9wavefront6targetE0EEEvT1_,comdat
	.protected	_ZN7rocprim17ROCPRIM_400000_NS6detail17trampoline_kernelINS0_14default_configENS1_25partition_config_selectorILNS1_17partition_subalgoE9ExxbEEZZNS1_14partition_implILS5_9ELb0ES3_jN6thrust23THRUST_200600_302600_NS6detail15normal_iteratorINS9_10device_ptrIxEEEESE_PNS0_10empty_typeENS0_5tupleIJSE_SF_EEENSH_IJSE_SG_EEENS0_18inequality_wrapperINS9_8equal_toIxEEEEPmJSF_EEE10hipError_tPvRmT3_T4_T5_T6_T7_T9_mT8_P12ihipStream_tbDpT10_ENKUlT_T0_E_clISt17integral_constantIbLb0EES17_IbLb1EEEEDaS13_S14_EUlS13_E_NS1_11comp_targetILNS1_3genE3ELNS1_11target_archE908ELNS1_3gpuE7ELNS1_3repE0EEENS1_30default_config_static_selectorELNS0_4arch9wavefront6targetE0EEEvT1_ ; -- Begin function _ZN7rocprim17ROCPRIM_400000_NS6detail17trampoline_kernelINS0_14default_configENS1_25partition_config_selectorILNS1_17partition_subalgoE9ExxbEEZZNS1_14partition_implILS5_9ELb0ES3_jN6thrust23THRUST_200600_302600_NS6detail15normal_iteratorINS9_10device_ptrIxEEEESE_PNS0_10empty_typeENS0_5tupleIJSE_SF_EEENSH_IJSE_SG_EEENS0_18inequality_wrapperINS9_8equal_toIxEEEEPmJSF_EEE10hipError_tPvRmT3_T4_T5_T6_T7_T9_mT8_P12ihipStream_tbDpT10_ENKUlT_T0_E_clISt17integral_constantIbLb0EES17_IbLb1EEEEDaS13_S14_EUlS13_E_NS1_11comp_targetILNS1_3genE3ELNS1_11target_archE908ELNS1_3gpuE7ELNS1_3repE0EEENS1_30default_config_static_selectorELNS0_4arch9wavefront6targetE0EEEvT1_
	.globl	_ZN7rocprim17ROCPRIM_400000_NS6detail17trampoline_kernelINS0_14default_configENS1_25partition_config_selectorILNS1_17partition_subalgoE9ExxbEEZZNS1_14partition_implILS5_9ELb0ES3_jN6thrust23THRUST_200600_302600_NS6detail15normal_iteratorINS9_10device_ptrIxEEEESE_PNS0_10empty_typeENS0_5tupleIJSE_SF_EEENSH_IJSE_SG_EEENS0_18inequality_wrapperINS9_8equal_toIxEEEEPmJSF_EEE10hipError_tPvRmT3_T4_T5_T6_T7_T9_mT8_P12ihipStream_tbDpT10_ENKUlT_T0_E_clISt17integral_constantIbLb0EES17_IbLb1EEEEDaS13_S14_EUlS13_E_NS1_11comp_targetILNS1_3genE3ELNS1_11target_archE908ELNS1_3gpuE7ELNS1_3repE0EEENS1_30default_config_static_selectorELNS0_4arch9wavefront6targetE0EEEvT1_
	.p2align	8
	.type	_ZN7rocprim17ROCPRIM_400000_NS6detail17trampoline_kernelINS0_14default_configENS1_25partition_config_selectorILNS1_17partition_subalgoE9ExxbEEZZNS1_14partition_implILS5_9ELb0ES3_jN6thrust23THRUST_200600_302600_NS6detail15normal_iteratorINS9_10device_ptrIxEEEESE_PNS0_10empty_typeENS0_5tupleIJSE_SF_EEENSH_IJSE_SG_EEENS0_18inequality_wrapperINS9_8equal_toIxEEEEPmJSF_EEE10hipError_tPvRmT3_T4_T5_T6_T7_T9_mT8_P12ihipStream_tbDpT10_ENKUlT_T0_E_clISt17integral_constantIbLb0EES17_IbLb1EEEEDaS13_S14_EUlS13_E_NS1_11comp_targetILNS1_3genE3ELNS1_11target_archE908ELNS1_3gpuE7ELNS1_3repE0EEENS1_30default_config_static_selectorELNS0_4arch9wavefront6targetE0EEEvT1_,@function
_ZN7rocprim17ROCPRIM_400000_NS6detail17trampoline_kernelINS0_14default_configENS1_25partition_config_selectorILNS1_17partition_subalgoE9ExxbEEZZNS1_14partition_implILS5_9ELb0ES3_jN6thrust23THRUST_200600_302600_NS6detail15normal_iteratorINS9_10device_ptrIxEEEESE_PNS0_10empty_typeENS0_5tupleIJSE_SF_EEENSH_IJSE_SG_EEENS0_18inequality_wrapperINS9_8equal_toIxEEEEPmJSF_EEE10hipError_tPvRmT3_T4_T5_T6_T7_T9_mT8_P12ihipStream_tbDpT10_ENKUlT_T0_E_clISt17integral_constantIbLb0EES17_IbLb1EEEEDaS13_S14_EUlS13_E_NS1_11comp_targetILNS1_3genE3ELNS1_11target_archE908ELNS1_3gpuE7ELNS1_3repE0EEENS1_30default_config_static_selectorELNS0_4arch9wavefront6targetE0EEEvT1_: ; @_ZN7rocprim17ROCPRIM_400000_NS6detail17trampoline_kernelINS0_14default_configENS1_25partition_config_selectorILNS1_17partition_subalgoE9ExxbEEZZNS1_14partition_implILS5_9ELb0ES3_jN6thrust23THRUST_200600_302600_NS6detail15normal_iteratorINS9_10device_ptrIxEEEESE_PNS0_10empty_typeENS0_5tupleIJSE_SF_EEENSH_IJSE_SG_EEENS0_18inequality_wrapperINS9_8equal_toIxEEEEPmJSF_EEE10hipError_tPvRmT3_T4_T5_T6_T7_T9_mT8_P12ihipStream_tbDpT10_ENKUlT_T0_E_clISt17integral_constantIbLb0EES17_IbLb1EEEEDaS13_S14_EUlS13_E_NS1_11comp_targetILNS1_3genE3ELNS1_11target_archE908ELNS1_3gpuE7ELNS1_3repE0EEENS1_30default_config_static_selectorELNS0_4arch9wavefront6targetE0EEEvT1_
; %bb.0:
	.section	.rodata,"a",@progbits
	.p2align	6, 0x0
	.amdhsa_kernel _ZN7rocprim17ROCPRIM_400000_NS6detail17trampoline_kernelINS0_14default_configENS1_25partition_config_selectorILNS1_17partition_subalgoE9ExxbEEZZNS1_14partition_implILS5_9ELb0ES3_jN6thrust23THRUST_200600_302600_NS6detail15normal_iteratorINS9_10device_ptrIxEEEESE_PNS0_10empty_typeENS0_5tupleIJSE_SF_EEENSH_IJSE_SG_EEENS0_18inequality_wrapperINS9_8equal_toIxEEEEPmJSF_EEE10hipError_tPvRmT3_T4_T5_T6_T7_T9_mT8_P12ihipStream_tbDpT10_ENKUlT_T0_E_clISt17integral_constantIbLb0EES17_IbLb1EEEEDaS13_S14_EUlS13_E_NS1_11comp_targetILNS1_3genE3ELNS1_11target_archE908ELNS1_3gpuE7ELNS1_3repE0EEENS1_30default_config_static_selectorELNS0_4arch9wavefront6targetE0EEEvT1_
		.amdhsa_group_segment_fixed_size 0
		.amdhsa_private_segment_fixed_size 0
		.amdhsa_kernarg_size 128
		.amdhsa_user_sgpr_count 15
		.amdhsa_user_sgpr_dispatch_ptr 0
		.amdhsa_user_sgpr_queue_ptr 0
		.amdhsa_user_sgpr_kernarg_segment_ptr 1
		.amdhsa_user_sgpr_dispatch_id 0
		.amdhsa_user_sgpr_private_segment_size 0
		.amdhsa_wavefront_size32 1
		.amdhsa_uses_dynamic_stack 0
		.amdhsa_enable_private_segment 0
		.amdhsa_system_sgpr_workgroup_id_x 1
		.amdhsa_system_sgpr_workgroup_id_y 0
		.amdhsa_system_sgpr_workgroup_id_z 0
		.amdhsa_system_sgpr_workgroup_info 0
		.amdhsa_system_vgpr_workitem_id 0
		.amdhsa_next_free_vgpr 1
		.amdhsa_next_free_sgpr 1
		.amdhsa_reserve_vcc 0
		.amdhsa_float_round_mode_32 0
		.amdhsa_float_round_mode_16_64 0
		.amdhsa_float_denorm_mode_32 3
		.amdhsa_float_denorm_mode_16_64 3
		.amdhsa_dx10_clamp 1
		.amdhsa_ieee_mode 1
		.amdhsa_fp16_overflow 0
		.amdhsa_workgroup_processor_mode 1
		.amdhsa_memory_ordered 1
		.amdhsa_forward_progress 0
		.amdhsa_shared_vgpr_count 0
		.amdhsa_exception_fp_ieee_invalid_op 0
		.amdhsa_exception_fp_denorm_src 0
		.amdhsa_exception_fp_ieee_div_zero 0
		.amdhsa_exception_fp_ieee_overflow 0
		.amdhsa_exception_fp_ieee_underflow 0
		.amdhsa_exception_fp_ieee_inexact 0
		.amdhsa_exception_int_div_zero 0
	.end_amdhsa_kernel
	.section	.text._ZN7rocprim17ROCPRIM_400000_NS6detail17trampoline_kernelINS0_14default_configENS1_25partition_config_selectorILNS1_17partition_subalgoE9ExxbEEZZNS1_14partition_implILS5_9ELb0ES3_jN6thrust23THRUST_200600_302600_NS6detail15normal_iteratorINS9_10device_ptrIxEEEESE_PNS0_10empty_typeENS0_5tupleIJSE_SF_EEENSH_IJSE_SG_EEENS0_18inequality_wrapperINS9_8equal_toIxEEEEPmJSF_EEE10hipError_tPvRmT3_T4_T5_T6_T7_T9_mT8_P12ihipStream_tbDpT10_ENKUlT_T0_E_clISt17integral_constantIbLb0EES17_IbLb1EEEEDaS13_S14_EUlS13_E_NS1_11comp_targetILNS1_3genE3ELNS1_11target_archE908ELNS1_3gpuE7ELNS1_3repE0EEENS1_30default_config_static_selectorELNS0_4arch9wavefront6targetE0EEEvT1_,"axG",@progbits,_ZN7rocprim17ROCPRIM_400000_NS6detail17trampoline_kernelINS0_14default_configENS1_25partition_config_selectorILNS1_17partition_subalgoE9ExxbEEZZNS1_14partition_implILS5_9ELb0ES3_jN6thrust23THRUST_200600_302600_NS6detail15normal_iteratorINS9_10device_ptrIxEEEESE_PNS0_10empty_typeENS0_5tupleIJSE_SF_EEENSH_IJSE_SG_EEENS0_18inequality_wrapperINS9_8equal_toIxEEEEPmJSF_EEE10hipError_tPvRmT3_T4_T5_T6_T7_T9_mT8_P12ihipStream_tbDpT10_ENKUlT_T0_E_clISt17integral_constantIbLb0EES17_IbLb1EEEEDaS13_S14_EUlS13_E_NS1_11comp_targetILNS1_3genE3ELNS1_11target_archE908ELNS1_3gpuE7ELNS1_3repE0EEENS1_30default_config_static_selectorELNS0_4arch9wavefront6targetE0EEEvT1_,comdat
.Lfunc_end367:
	.size	_ZN7rocprim17ROCPRIM_400000_NS6detail17trampoline_kernelINS0_14default_configENS1_25partition_config_selectorILNS1_17partition_subalgoE9ExxbEEZZNS1_14partition_implILS5_9ELb0ES3_jN6thrust23THRUST_200600_302600_NS6detail15normal_iteratorINS9_10device_ptrIxEEEESE_PNS0_10empty_typeENS0_5tupleIJSE_SF_EEENSH_IJSE_SG_EEENS0_18inequality_wrapperINS9_8equal_toIxEEEEPmJSF_EEE10hipError_tPvRmT3_T4_T5_T6_T7_T9_mT8_P12ihipStream_tbDpT10_ENKUlT_T0_E_clISt17integral_constantIbLb0EES17_IbLb1EEEEDaS13_S14_EUlS13_E_NS1_11comp_targetILNS1_3genE3ELNS1_11target_archE908ELNS1_3gpuE7ELNS1_3repE0EEENS1_30default_config_static_selectorELNS0_4arch9wavefront6targetE0EEEvT1_, .Lfunc_end367-_ZN7rocprim17ROCPRIM_400000_NS6detail17trampoline_kernelINS0_14default_configENS1_25partition_config_selectorILNS1_17partition_subalgoE9ExxbEEZZNS1_14partition_implILS5_9ELb0ES3_jN6thrust23THRUST_200600_302600_NS6detail15normal_iteratorINS9_10device_ptrIxEEEESE_PNS0_10empty_typeENS0_5tupleIJSE_SF_EEENSH_IJSE_SG_EEENS0_18inequality_wrapperINS9_8equal_toIxEEEEPmJSF_EEE10hipError_tPvRmT3_T4_T5_T6_T7_T9_mT8_P12ihipStream_tbDpT10_ENKUlT_T0_E_clISt17integral_constantIbLb0EES17_IbLb1EEEEDaS13_S14_EUlS13_E_NS1_11comp_targetILNS1_3genE3ELNS1_11target_archE908ELNS1_3gpuE7ELNS1_3repE0EEENS1_30default_config_static_selectorELNS0_4arch9wavefront6targetE0EEEvT1_
                                        ; -- End function
	.section	.AMDGPU.csdata,"",@progbits
; Kernel info:
; codeLenInByte = 0
; NumSgprs: 0
; NumVgprs: 0
; ScratchSize: 0
; MemoryBound: 0
; FloatMode: 240
; IeeeMode: 1
; LDSByteSize: 0 bytes/workgroup (compile time only)
; SGPRBlocks: 0
; VGPRBlocks: 0
; NumSGPRsForWavesPerEU: 1
; NumVGPRsForWavesPerEU: 1
; Occupancy: 16
; WaveLimiterHint : 0
; COMPUTE_PGM_RSRC2:SCRATCH_EN: 0
; COMPUTE_PGM_RSRC2:USER_SGPR: 15
; COMPUTE_PGM_RSRC2:TRAP_HANDLER: 0
; COMPUTE_PGM_RSRC2:TGID_X_EN: 1
; COMPUTE_PGM_RSRC2:TGID_Y_EN: 0
; COMPUTE_PGM_RSRC2:TGID_Z_EN: 0
; COMPUTE_PGM_RSRC2:TIDIG_COMP_CNT: 0
	.section	.text._ZN7rocprim17ROCPRIM_400000_NS6detail17trampoline_kernelINS0_14default_configENS1_25partition_config_selectorILNS1_17partition_subalgoE9ExxbEEZZNS1_14partition_implILS5_9ELb0ES3_jN6thrust23THRUST_200600_302600_NS6detail15normal_iteratorINS9_10device_ptrIxEEEESE_PNS0_10empty_typeENS0_5tupleIJSE_SF_EEENSH_IJSE_SG_EEENS0_18inequality_wrapperINS9_8equal_toIxEEEEPmJSF_EEE10hipError_tPvRmT3_T4_T5_T6_T7_T9_mT8_P12ihipStream_tbDpT10_ENKUlT_T0_E_clISt17integral_constantIbLb0EES17_IbLb1EEEEDaS13_S14_EUlS13_E_NS1_11comp_targetILNS1_3genE2ELNS1_11target_archE906ELNS1_3gpuE6ELNS1_3repE0EEENS1_30default_config_static_selectorELNS0_4arch9wavefront6targetE0EEEvT1_,"axG",@progbits,_ZN7rocprim17ROCPRIM_400000_NS6detail17trampoline_kernelINS0_14default_configENS1_25partition_config_selectorILNS1_17partition_subalgoE9ExxbEEZZNS1_14partition_implILS5_9ELb0ES3_jN6thrust23THRUST_200600_302600_NS6detail15normal_iteratorINS9_10device_ptrIxEEEESE_PNS0_10empty_typeENS0_5tupleIJSE_SF_EEENSH_IJSE_SG_EEENS0_18inequality_wrapperINS9_8equal_toIxEEEEPmJSF_EEE10hipError_tPvRmT3_T4_T5_T6_T7_T9_mT8_P12ihipStream_tbDpT10_ENKUlT_T0_E_clISt17integral_constantIbLb0EES17_IbLb1EEEEDaS13_S14_EUlS13_E_NS1_11comp_targetILNS1_3genE2ELNS1_11target_archE906ELNS1_3gpuE6ELNS1_3repE0EEENS1_30default_config_static_selectorELNS0_4arch9wavefront6targetE0EEEvT1_,comdat
	.protected	_ZN7rocprim17ROCPRIM_400000_NS6detail17trampoline_kernelINS0_14default_configENS1_25partition_config_selectorILNS1_17partition_subalgoE9ExxbEEZZNS1_14partition_implILS5_9ELb0ES3_jN6thrust23THRUST_200600_302600_NS6detail15normal_iteratorINS9_10device_ptrIxEEEESE_PNS0_10empty_typeENS0_5tupleIJSE_SF_EEENSH_IJSE_SG_EEENS0_18inequality_wrapperINS9_8equal_toIxEEEEPmJSF_EEE10hipError_tPvRmT3_T4_T5_T6_T7_T9_mT8_P12ihipStream_tbDpT10_ENKUlT_T0_E_clISt17integral_constantIbLb0EES17_IbLb1EEEEDaS13_S14_EUlS13_E_NS1_11comp_targetILNS1_3genE2ELNS1_11target_archE906ELNS1_3gpuE6ELNS1_3repE0EEENS1_30default_config_static_selectorELNS0_4arch9wavefront6targetE0EEEvT1_ ; -- Begin function _ZN7rocprim17ROCPRIM_400000_NS6detail17trampoline_kernelINS0_14default_configENS1_25partition_config_selectorILNS1_17partition_subalgoE9ExxbEEZZNS1_14partition_implILS5_9ELb0ES3_jN6thrust23THRUST_200600_302600_NS6detail15normal_iteratorINS9_10device_ptrIxEEEESE_PNS0_10empty_typeENS0_5tupleIJSE_SF_EEENSH_IJSE_SG_EEENS0_18inequality_wrapperINS9_8equal_toIxEEEEPmJSF_EEE10hipError_tPvRmT3_T4_T5_T6_T7_T9_mT8_P12ihipStream_tbDpT10_ENKUlT_T0_E_clISt17integral_constantIbLb0EES17_IbLb1EEEEDaS13_S14_EUlS13_E_NS1_11comp_targetILNS1_3genE2ELNS1_11target_archE906ELNS1_3gpuE6ELNS1_3repE0EEENS1_30default_config_static_selectorELNS0_4arch9wavefront6targetE0EEEvT1_
	.globl	_ZN7rocprim17ROCPRIM_400000_NS6detail17trampoline_kernelINS0_14default_configENS1_25partition_config_selectorILNS1_17partition_subalgoE9ExxbEEZZNS1_14partition_implILS5_9ELb0ES3_jN6thrust23THRUST_200600_302600_NS6detail15normal_iteratorINS9_10device_ptrIxEEEESE_PNS0_10empty_typeENS0_5tupleIJSE_SF_EEENSH_IJSE_SG_EEENS0_18inequality_wrapperINS9_8equal_toIxEEEEPmJSF_EEE10hipError_tPvRmT3_T4_T5_T6_T7_T9_mT8_P12ihipStream_tbDpT10_ENKUlT_T0_E_clISt17integral_constantIbLb0EES17_IbLb1EEEEDaS13_S14_EUlS13_E_NS1_11comp_targetILNS1_3genE2ELNS1_11target_archE906ELNS1_3gpuE6ELNS1_3repE0EEENS1_30default_config_static_selectorELNS0_4arch9wavefront6targetE0EEEvT1_
	.p2align	8
	.type	_ZN7rocprim17ROCPRIM_400000_NS6detail17trampoline_kernelINS0_14default_configENS1_25partition_config_selectorILNS1_17partition_subalgoE9ExxbEEZZNS1_14partition_implILS5_9ELb0ES3_jN6thrust23THRUST_200600_302600_NS6detail15normal_iteratorINS9_10device_ptrIxEEEESE_PNS0_10empty_typeENS0_5tupleIJSE_SF_EEENSH_IJSE_SG_EEENS0_18inequality_wrapperINS9_8equal_toIxEEEEPmJSF_EEE10hipError_tPvRmT3_T4_T5_T6_T7_T9_mT8_P12ihipStream_tbDpT10_ENKUlT_T0_E_clISt17integral_constantIbLb0EES17_IbLb1EEEEDaS13_S14_EUlS13_E_NS1_11comp_targetILNS1_3genE2ELNS1_11target_archE906ELNS1_3gpuE6ELNS1_3repE0EEENS1_30default_config_static_selectorELNS0_4arch9wavefront6targetE0EEEvT1_,@function
_ZN7rocprim17ROCPRIM_400000_NS6detail17trampoline_kernelINS0_14default_configENS1_25partition_config_selectorILNS1_17partition_subalgoE9ExxbEEZZNS1_14partition_implILS5_9ELb0ES3_jN6thrust23THRUST_200600_302600_NS6detail15normal_iteratorINS9_10device_ptrIxEEEESE_PNS0_10empty_typeENS0_5tupleIJSE_SF_EEENSH_IJSE_SG_EEENS0_18inequality_wrapperINS9_8equal_toIxEEEEPmJSF_EEE10hipError_tPvRmT3_T4_T5_T6_T7_T9_mT8_P12ihipStream_tbDpT10_ENKUlT_T0_E_clISt17integral_constantIbLb0EES17_IbLb1EEEEDaS13_S14_EUlS13_E_NS1_11comp_targetILNS1_3genE2ELNS1_11target_archE906ELNS1_3gpuE6ELNS1_3repE0EEENS1_30default_config_static_selectorELNS0_4arch9wavefront6targetE0EEEvT1_: ; @_ZN7rocprim17ROCPRIM_400000_NS6detail17trampoline_kernelINS0_14default_configENS1_25partition_config_selectorILNS1_17partition_subalgoE9ExxbEEZZNS1_14partition_implILS5_9ELb0ES3_jN6thrust23THRUST_200600_302600_NS6detail15normal_iteratorINS9_10device_ptrIxEEEESE_PNS0_10empty_typeENS0_5tupleIJSE_SF_EEENSH_IJSE_SG_EEENS0_18inequality_wrapperINS9_8equal_toIxEEEEPmJSF_EEE10hipError_tPvRmT3_T4_T5_T6_T7_T9_mT8_P12ihipStream_tbDpT10_ENKUlT_T0_E_clISt17integral_constantIbLb0EES17_IbLb1EEEEDaS13_S14_EUlS13_E_NS1_11comp_targetILNS1_3genE2ELNS1_11target_archE906ELNS1_3gpuE6ELNS1_3repE0EEENS1_30default_config_static_selectorELNS0_4arch9wavefront6targetE0EEEvT1_
; %bb.0:
	.section	.rodata,"a",@progbits
	.p2align	6, 0x0
	.amdhsa_kernel _ZN7rocprim17ROCPRIM_400000_NS6detail17trampoline_kernelINS0_14default_configENS1_25partition_config_selectorILNS1_17partition_subalgoE9ExxbEEZZNS1_14partition_implILS5_9ELb0ES3_jN6thrust23THRUST_200600_302600_NS6detail15normal_iteratorINS9_10device_ptrIxEEEESE_PNS0_10empty_typeENS0_5tupleIJSE_SF_EEENSH_IJSE_SG_EEENS0_18inequality_wrapperINS9_8equal_toIxEEEEPmJSF_EEE10hipError_tPvRmT3_T4_T5_T6_T7_T9_mT8_P12ihipStream_tbDpT10_ENKUlT_T0_E_clISt17integral_constantIbLb0EES17_IbLb1EEEEDaS13_S14_EUlS13_E_NS1_11comp_targetILNS1_3genE2ELNS1_11target_archE906ELNS1_3gpuE6ELNS1_3repE0EEENS1_30default_config_static_selectorELNS0_4arch9wavefront6targetE0EEEvT1_
		.amdhsa_group_segment_fixed_size 0
		.amdhsa_private_segment_fixed_size 0
		.amdhsa_kernarg_size 128
		.amdhsa_user_sgpr_count 15
		.amdhsa_user_sgpr_dispatch_ptr 0
		.amdhsa_user_sgpr_queue_ptr 0
		.amdhsa_user_sgpr_kernarg_segment_ptr 1
		.amdhsa_user_sgpr_dispatch_id 0
		.amdhsa_user_sgpr_private_segment_size 0
		.amdhsa_wavefront_size32 1
		.amdhsa_uses_dynamic_stack 0
		.amdhsa_enable_private_segment 0
		.amdhsa_system_sgpr_workgroup_id_x 1
		.amdhsa_system_sgpr_workgroup_id_y 0
		.amdhsa_system_sgpr_workgroup_id_z 0
		.amdhsa_system_sgpr_workgroup_info 0
		.amdhsa_system_vgpr_workitem_id 0
		.amdhsa_next_free_vgpr 1
		.amdhsa_next_free_sgpr 1
		.amdhsa_reserve_vcc 0
		.amdhsa_float_round_mode_32 0
		.amdhsa_float_round_mode_16_64 0
		.amdhsa_float_denorm_mode_32 3
		.amdhsa_float_denorm_mode_16_64 3
		.amdhsa_dx10_clamp 1
		.amdhsa_ieee_mode 1
		.amdhsa_fp16_overflow 0
		.amdhsa_workgroup_processor_mode 1
		.amdhsa_memory_ordered 1
		.amdhsa_forward_progress 0
		.amdhsa_shared_vgpr_count 0
		.amdhsa_exception_fp_ieee_invalid_op 0
		.amdhsa_exception_fp_denorm_src 0
		.amdhsa_exception_fp_ieee_div_zero 0
		.amdhsa_exception_fp_ieee_overflow 0
		.amdhsa_exception_fp_ieee_underflow 0
		.amdhsa_exception_fp_ieee_inexact 0
		.amdhsa_exception_int_div_zero 0
	.end_amdhsa_kernel
	.section	.text._ZN7rocprim17ROCPRIM_400000_NS6detail17trampoline_kernelINS0_14default_configENS1_25partition_config_selectorILNS1_17partition_subalgoE9ExxbEEZZNS1_14partition_implILS5_9ELb0ES3_jN6thrust23THRUST_200600_302600_NS6detail15normal_iteratorINS9_10device_ptrIxEEEESE_PNS0_10empty_typeENS0_5tupleIJSE_SF_EEENSH_IJSE_SG_EEENS0_18inequality_wrapperINS9_8equal_toIxEEEEPmJSF_EEE10hipError_tPvRmT3_T4_T5_T6_T7_T9_mT8_P12ihipStream_tbDpT10_ENKUlT_T0_E_clISt17integral_constantIbLb0EES17_IbLb1EEEEDaS13_S14_EUlS13_E_NS1_11comp_targetILNS1_3genE2ELNS1_11target_archE906ELNS1_3gpuE6ELNS1_3repE0EEENS1_30default_config_static_selectorELNS0_4arch9wavefront6targetE0EEEvT1_,"axG",@progbits,_ZN7rocprim17ROCPRIM_400000_NS6detail17trampoline_kernelINS0_14default_configENS1_25partition_config_selectorILNS1_17partition_subalgoE9ExxbEEZZNS1_14partition_implILS5_9ELb0ES3_jN6thrust23THRUST_200600_302600_NS6detail15normal_iteratorINS9_10device_ptrIxEEEESE_PNS0_10empty_typeENS0_5tupleIJSE_SF_EEENSH_IJSE_SG_EEENS0_18inequality_wrapperINS9_8equal_toIxEEEEPmJSF_EEE10hipError_tPvRmT3_T4_T5_T6_T7_T9_mT8_P12ihipStream_tbDpT10_ENKUlT_T0_E_clISt17integral_constantIbLb0EES17_IbLb1EEEEDaS13_S14_EUlS13_E_NS1_11comp_targetILNS1_3genE2ELNS1_11target_archE906ELNS1_3gpuE6ELNS1_3repE0EEENS1_30default_config_static_selectorELNS0_4arch9wavefront6targetE0EEEvT1_,comdat
.Lfunc_end368:
	.size	_ZN7rocprim17ROCPRIM_400000_NS6detail17trampoline_kernelINS0_14default_configENS1_25partition_config_selectorILNS1_17partition_subalgoE9ExxbEEZZNS1_14partition_implILS5_9ELb0ES3_jN6thrust23THRUST_200600_302600_NS6detail15normal_iteratorINS9_10device_ptrIxEEEESE_PNS0_10empty_typeENS0_5tupleIJSE_SF_EEENSH_IJSE_SG_EEENS0_18inequality_wrapperINS9_8equal_toIxEEEEPmJSF_EEE10hipError_tPvRmT3_T4_T5_T6_T7_T9_mT8_P12ihipStream_tbDpT10_ENKUlT_T0_E_clISt17integral_constantIbLb0EES17_IbLb1EEEEDaS13_S14_EUlS13_E_NS1_11comp_targetILNS1_3genE2ELNS1_11target_archE906ELNS1_3gpuE6ELNS1_3repE0EEENS1_30default_config_static_selectorELNS0_4arch9wavefront6targetE0EEEvT1_, .Lfunc_end368-_ZN7rocprim17ROCPRIM_400000_NS6detail17trampoline_kernelINS0_14default_configENS1_25partition_config_selectorILNS1_17partition_subalgoE9ExxbEEZZNS1_14partition_implILS5_9ELb0ES3_jN6thrust23THRUST_200600_302600_NS6detail15normal_iteratorINS9_10device_ptrIxEEEESE_PNS0_10empty_typeENS0_5tupleIJSE_SF_EEENSH_IJSE_SG_EEENS0_18inequality_wrapperINS9_8equal_toIxEEEEPmJSF_EEE10hipError_tPvRmT3_T4_T5_T6_T7_T9_mT8_P12ihipStream_tbDpT10_ENKUlT_T0_E_clISt17integral_constantIbLb0EES17_IbLb1EEEEDaS13_S14_EUlS13_E_NS1_11comp_targetILNS1_3genE2ELNS1_11target_archE906ELNS1_3gpuE6ELNS1_3repE0EEENS1_30default_config_static_selectorELNS0_4arch9wavefront6targetE0EEEvT1_
                                        ; -- End function
	.section	.AMDGPU.csdata,"",@progbits
; Kernel info:
; codeLenInByte = 0
; NumSgprs: 0
; NumVgprs: 0
; ScratchSize: 0
; MemoryBound: 0
; FloatMode: 240
; IeeeMode: 1
; LDSByteSize: 0 bytes/workgroup (compile time only)
; SGPRBlocks: 0
; VGPRBlocks: 0
; NumSGPRsForWavesPerEU: 1
; NumVGPRsForWavesPerEU: 1
; Occupancy: 15
; WaveLimiterHint : 0
; COMPUTE_PGM_RSRC2:SCRATCH_EN: 0
; COMPUTE_PGM_RSRC2:USER_SGPR: 15
; COMPUTE_PGM_RSRC2:TRAP_HANDLER: 0
; COMPUTE_PGM_RSRC2:TGID_X_EN: 1
; COMPUTE_PGM_RSRC2:TGID_Y_EN: 0
; COMPUTE_PGM_RSRC2:TGID_Z_EN: 0
; COMPUTE_PGM_RSRC2:TIDIG_COMP_CNT: 0
	.section	.text._ZN7rocprim17ROCPRIM_400000_NS6detail17trampoline_kernelINS0_14default_configENS1_25partition_config_selectorILNS1_17partition_subalgoE9ExxbEEZZNS1_14partition_implILS5_9ELb0ES3_jN6thrust23THRUST_200600_302600_NS6detail15normal_iteratorINS9_10device_ptrIxEEEESE_PNS0_10empty_typeENS0_5tupleIJSE_SF_EEENSH_IJSE_SG_EEENS0_18inequality_wrapperINS9_8equal_toIxEEEEPmJSF_EEE10hipError_tPvRmT3_T4_T5_T6_T7_T9_mT8_P12ihipStream_tbDpT10_ENKUlT_T0_E_clISt17integral_constantIbLb0EES17_IbLb1EEEEDaS13_S14_EUlS13_E_NS1_11comp_targetILNS1_3genE10ELNS1_11target_archE1200ELNS1_3gpuE4ELNS1_3repE0EEENS1_30default_config_static_selectorELNS0_4arch9wavefront6targetE0EEEvT1_,"axG",@progbits,_ZN7rocprim17ROCPRIM_400000_NS6detail17trampoline_kernelINS0_14default_configENS1_25partition_config_selectorILNS1_17partition_subalgoE9ExxbEEZZNS1_14partition_implILS5_9ELb0ES3_jN6thrust23THRUST_200600_302600_NS6detail15normal_iteratorINS9_10device_ptrIxEEEESE_PNS0_10empty_typeENS0_5tupleIJSE_SF_EEENSH_IJSE_SG_EEENS0_18inequality_wrapperINS9_8equal_toIxEEEEPmJSF_EEE10hipError_tPvRmT3_T4_T5_T6_T7_T9_mT8_P12ihipStream_tbDpT10_ENKUlT_T0_E_clISt17integral_constantIbLb0EES17_IbLb1EEEEDaS13_S14_EUlS13_E_NS1_11comp_targetILNS1_3genE10ELNS1_11target_archE1200ELNS1_3gpuE4ELNS1_3repE0EEENS1_30default_config_static_selectorELNS0_4arch9wavefront6targetE0EEEvT1_,comdat
	.protected	_ZN7rocprim17ROCPRIM_400000_NS6detail17trampoline_kernelINS0_14default_configENS1_25partition_config_selectorILNS1_17partition_subalgoE9ExxbEEZZNS1_14partition_implILS5_9ELb0ES3_jN6thrust23THRUST_200600_302600_NS6detail15normal_iteratorINS9_10device_ptrIxEEEESE_PNS0_10empty_typeENS0_5tupleIJSE_SF_EEENSH_IJSE_SG_EEENS0_18inequality_wrapperINS9_8equal_toIxEEEEPmJSF_EEE10hipError_tPvRmT3_T4_T5_T6_T7_T9_mT8_P12ihipStream_tbDpT10_ENKUlT_T0_E_clISt17integral_constantIbLb0EES17_IbLb1EEEEDaS13_S14_EUlS13_E_NS1_11comp_targetILNS1_3genE10ELNS1_11target_archE1200ELNS1_3gpuE4ELNS1_3repE0EEENS1_30default_config_static_selectorELNS0_4arch9wavefront6targetE0EEEvT1_ ; -- Begin function _ZN7rocprim17ROCPRIM_400000_NS6detail17trampoline_kernelINS0_14default_configENS1_25partition_config_selectorILNS1_17partition_subalgoE9ExxbEEZZNS1_14partition_implILS5_9ELb0ES3_jN6thrust23THRUST_200600_302600_NS6detail15normal_iteratorINS9_10device_ptrIxEEEESE_PNS0_10empty_typeENS0_5tupleIJSE_SF_EEENSH_IJSE_SG_EEENS0_18inequality_wrapperINS9_8equal_toIxEEEEPmJSF_EEE10hipError_tPvRmT3_T4_T5_T6_T7_T9_mT8_P12ihipStream_tbDpT10_ENKUlT_T0_E_clISt17integral_constantIbLb0EES17_IbLb1EEEEDaS13_S14_EUlS13_E_NS1_11comp_targetILNS1_3genE10ELNS1_11target_archE1200ELNS1_3gpuE4ELNS1_3repE0EEENS1_30default_config_static_selectorELNS0_4arch9wavefront6targetE0EEEvT1_
	.globl	_ZN7rocprim17ROCPRIM_400000_NS6detail17trampoline_kernelINS0_14default_configENS1_25partition_config_selectorILNS1_17partition_subalgoE9ExxbEEZZNS1_14partition_implILS5_9ELb0ES3_jN6thrust23THRUST_200600_302600_NS6detail15normal_iteratorINS9_10device_ptrIxEEEESE_PNS0_10empty_typeENS0_5tupleIJSE_SF_EEENSH_IJSE_SG_EEENS0_18inequality_wrapperINS9_8equal_toIxEEEEPmJSF_EEE10hipError_tPvRmT3_T4_T5_T6_T7_T9_mT8_P12ihipStream_tbDpT10_ENKUlT_T0_E_clISt17integral_constantIbLb0EES17_IbLb1EEEEDaS13_S14_EUlS13_E_NS1_11comp_targetILNS1_3genE10ELNS1_11target_archE1200ELNS1_3gpuE4ELNS1_3repE0EEENS1_30default_config_static_selectorELNS0_4arch9wavefront6targetE0EEEvT1_
	.p2align	8
	.type	_ZN7rocprim17ROCPRIM_400000_NS6detail17trampoline_kernelINS0_14default_configENS1_25partition_config_selectorILNS1_17partition_subalgoE9ExxbEEZZNS1_14partition_implILS5_9ELb0ES3_jN6thrust23THRUST_200600_302600_NS6detail15normal_iteratorINS9_10device_ptrIxEEEESE_PNS0_10empty_typeENS0_5tupleIJSE_SF_EEENSH_IJSE_SG_EEENS0_18inequality_wrapperINS9_8equal_toIxEEEEPmJSF_EEE10hipError_tPvRmT3_T4_T5_T6_T7_T9_mT8_P12ihipStream_tbDpT10_ENKUlT_T0_E_clISt17integral_constantIbLb0EES17_IbLb1EEEEDaS13_S14_EUlS13_E_NS1_11comp_targetILNS1_3genE10ELNS1_11target_archE1200ELNS1_3gpuE4ELNS1_3repE0EEENS1_30default_config_static_selectorELNS0_4arch9wavefront6targetE0EEEvT1_,@function
_ZN7rocprim17ROCPRIM_400000_NS6detail17trampoline_kernelINS0_14default_configENS1_25partition_config_selectorILNS1_17partition_subalgoE9ExxbEEZZNS1_14partition_implILS5_9ELb0ES3_jN6thrust23THRUST_200600_302600_NS6detail15normal_iteratorINS9_10device_ptrIxEEEESE_PNS0_10empty_typeENS0_5tupleIJSE_SF_EEENSH_IJSE_SG_EEENS0_18inequality_wrapperINS9_8equal_toIxEEEEPmJSF_EEE10hipError_tPvRmT3_T4_T5_T6_T7_T9_mT8_P12ihipStream_tbDpT10_ENKUlT_T0_E_clISt17integral_constantIbLb0EES17_IbLb1EEEEDaS13_S14_EUlS13_E_NS1_11comp_targetILNS1_3genE10ELNS1_11target_archE1200ELNS1_3gpuE4ELNS1_3repE0EEENS1_30default_config_static_selectorELNS0_4arch9wavefront6targetE0EEEvT1_: ; @_ZN7rocprim17ROCPRIM_400000_NS6detail17trampoline_kernelINS0_14default_configENS1_25partition_config_selectorILNS1_17partition_subalgoE9ExxbEEZZNS1_14partition_implILS5_9ELb0ES3_jN6thrust23THRUST_200600_302600_NS6detail15normal_iteratorINS9_10device_ptrIxEEEESE_PNS0_10empty_typeENS0_5tupleIJSE_SF_EEENSH_IJSE_SG_EEENS0_18inequality_wrapperINS9_8equal_toIxEEEEPmJSF_EEE10hipError_tPvRmT3_T4_T5_T6_T7_T9_mT8_P12ihipStream_tbDpT10_ENKUlT_T0_E_clISt17integral_constantIbLb0EES17_IbLb1EEEEDaS13_S14_EUlS13_E_NS1_11comp_targetILNS1_3genE10ELNS1_11target_archE1200ELNS1_3gpuE4ELNS1_3repE0EEENS1_30default_config_static_selectorELNS0_4arch9wavefront6targetE0EEEvT1_
; %bb.0:
	.section	.rodata,"a",@progbits
	.p2align	6, 0x0
	.amdhsa_kernel _ZN7rocprim17ROCPRIM_400000_NS6detail17trampoline_kernelINS0_14default_configENS1_25partition_config_selectorILNS1_17partition_subalgoE9ExxbEEZZNS1_14partition_implILS5_9ELb0ES3_jN6thrust23THRUST_200600_302600_NS6detail15normal_iteratorINS9_10device_ptrIxEEEESE_PNS0_10empty_typeENS0_5tupleIJSE_SF_EEENSH_IJSE_SG_EEENS0_18inequality_wrapperINS9_8equal_toIxEEEEPmJSF_EEE10hipError_tPvRmT3_T4_T5_T6_T7_T9_mT8_P12ihipStream_tbDpT10_ENKUlT_T0_E_clISt17integral_constantIbLb0EES17_IbLb1EEEEDaS13_S14_EUlS13_E_NS1_11comp_targetILNS1_3genE10ELNS1_11target_archE1200ELNS1_3gpuE4ELNS1_3repE0EEENS1_30default_config_static_selectorELNS0_4arch9wavefront6targetE0EEEvT1_
		.amdhsa_group_segment_fixed_size 0
		.amdhsa_private_segment_fixed_size 0
		.amdhsa_kernarg_size 128
		.amdhsa_user_sgpr_count 15
		.amdhsa_user_sgpr_dispatch_ptr 0
		.amdhsa_user_sgpr_queue_ptr 0
		.amdhsa_user_sgpr_kernarg_segment_ptr 1
		.amdhsa_user_sgpr_dispatch_id 0
		.amdhsa_user_sgpr_private_segment_size 0
		.amdhsa_wavefront_size32 1
		.amdhsa_uses_dynamic_stack 0
		.amdhsa_enable_private_segment 0
		.amdhsa_system_sgpr_workgroup_id_x 1
		.amdhsa_system_sgpr_workgroup_id_y 0
		.amdhsa_system_sgpr_workgroup_id_z 0
		.amdhsa_system_sgpr_workgroup_info 0
		.amdhsa_system_vgpr_workitem_id 0
		.amdhsa_next_free_vgpr 1
		.amdhsa_next_free_sgpr 1
		.amdhsa_reserve_vcc 0
		.amdhsa_float_round_mode_32 0
		.amdhsa_float_round_mode_16_64 0
		.amdhsa_float_denorm_mode_32 3
		.amdhsa_float_denorm_mode_16_64 3
		.amdhsa_dx10_clamp 1
		.amdhsa_ieee_mode 1
		.amdhsa_fp16_overflow 0
		.amdhsa_workgroup_processor_mode 1
		.amdhsa_memory_ordered 1
		.amdhsa_forward_progress 0
		.amdhsa_shared_vgpr_count 0
		.amdhsa_exception_fp_ieee_invalid_op 0
		.amdhsa_exception_fp_denorm_src 0
		.amdhsa_exception_fp_ieee_div_zero 0
		.amdhsa_exception_fp_ieee_overflow 0
		.amdhsa_exception_fp_ieee_underflow 0
		.amdhsa_exception_fp_ieee_inexact 0
		.amdhsa_exception_int_div_zero 0
	.end_amdhsa_kernel
	.section	.text._ZN7rocprim17ROCPRIM_400000_NS6detail17trampoline_kernelINS0_14default_configENS1_25partition_config_selectorILNS1_17partition_subalgoE9ExxbEEZZNS1_14partition_implILS5_9ELb0ES3_jN6thrust23THRUST_200600_302600_NS6detail15normal_iteratorINS9_10device_ptrIxEEEESE_PNS0_10empty_typeENS0_5tupleIJSE_SF_EEENSH_IJSE_SG_EEENS0_18inequality_wrapperINS9_8equal_toIxEEEEPmJSF_EEE10hipError_tPvRmT3_T4_T5_T6_T7_T9_mT8_P12ihipStream_tbDpT10_ENKUlT_T0_E_clISt17integral_constantIbLb0EES17_IbLb1EEEEDaS13_S14_EUlS13_E_NS1_11comp_targetILNS1_3genE10ELNS1_11target_archE1200ELNS1_3gpuE4ELNS1_3repE0EEENS1_30default_config_static_selectorELNS0_4arch9wavefront6targetE0EEEvT1_,"axG",@progbits,_ZN7rocprim17ROCPRIM_400000_NS6detail17trampoline_kernelINS0_14default_configENS1_25partition_config_selectorILNS1_17partition_subalgoE9ExxbEEZZNS1_14partition_implILS5_9ELb0ES3_jN6thrust23THRUST_200600_302600_NS6detail15normal_iteratorINS9_10device_ptrIxEEEESE_PNS0_10empty_typeENS0_5tupleIJSE_SF_EEENSH_IJSE_SG_EEENS0_18inequality_wrapperINS9_8equal_toIxEEEEPmJSF_EEE10hipError_tPvRmT3_T4_T5_T6_T7_T9_mT8_P12ihipStream_tbDpT10_ENKUlT_T0_E_clISt17integral_constantIbLb0EES17_IbLb1EEEEDaS13_S14_EUlS13_E_NS1_11comp_targetILNS1_3genE10ELNS1_11target_archE1200ELNS1_3gpuE4ELNS1_3repE0EEENS1_30default_config_static_selectorELNS0_4arch9wavefront6targetE0EEEvT1_,comdat
.Lfunc_end369:
	.size	_ZN7rocprim17ROCPRIM_400000_NS6detail17trampoline_kernelINS0_14default_configENS1_25partition_config_selectorILNS1_17partition_subalgoE9ExxbEEZZNS1_14partition_implILS5_9ELb0ES3_jN6thrust23THRUST_200600_302600_NS6detail15normal_iteratorINS9_10device_ptrIxEEEESE_PNS0_10empty_typeENS0_5tupleIJSE_SF_EEENSH_IJSE_SG_EEENS0_18inequality_wrapperINS9_8equal_toIxEEEEPmJSF_EEE10hipError_tPvRmT3_T4_T5_T6_T7_T9_mT8_P12ihipStream_tbDpT10_ENKUlT_T0_E_clISt17integral_constantIbLb0EES17_IbLb1EEEEDaS13_S14_EUlS13_E_NS1_11comp_targetILNS1_3genE10ELNS1_11target_archE1200ELNS1_3gpuE4ELNS1_3repE0EEENS1_30default_config_static_selectorELNS0_4arch9wavefront6targetE0EEEvT1_, .Lfunc_end369-_ZN7rocprim17ROCPRIM_400000_NS6detail17trampoline_kernelINS0_14default_configENS1_25partition_config_selectorILNS1_17partition_subalgoE9ExxbEEZZNS1_14partition_implILS5_9ELb0ES3_jN6thrust23THRUST_200600_302600_NS6detail15normal_iteratorINS9_10device_ptrIxEEEESE_PNS0_10empty_typeENS0_5tupleIJSE_SF_EEENSH_IJSE_SG_EEENS0_18inequality_wrapperINS9_8equal_toIxEEEEPmJSF_EEE10hipError_tPvRmT3_T4_T5_T6_T7_T9_mT8_P12ihipStream_tbDpT10_ENKUlT_T0_E_clISt17integral_constantIbLb0EES17_IbLb1EEEEDaS13_S14_EUlS13_E_NS1_11comp_targetILNS1_3genE10ELNS1_11target_archE1200ELNS1_3gpuE4ELNS1_3repE0EEENS1_30default_config_static_selectorELNS0_4arch9wavefront6targetE0EEEvT1_
                                        ; -- End function
	.section	.AMDGPU.csdata,"",@progbits
; Kernel info:
; codeLenInByte = 0
; NumSgprs: 0
; NumVgprs: 0
; ScratchSize: 0
; MemoryBound: 0
; FloatMode: 240
; IeeeMode: 1
; LDSByteSize: 0 bytes/workgroup (compile time only)
; SGPRBlocks: 0
; VGPRBlocks: 0
; NumSGPRsForWavesPerEU: 1
; NumVGPRsForWavesPerEU: 1
; Occupancy: 15
; WaveLimiterHint : 0
; COMPUTE_PGM_RSRC2:SCRATCH_EN: 0
; COMPUTE_PGM_RSRC2:USER_SGPR: 15
; COMPUTE_PGM_RSRC2:TRAP_HANDLER: 0
; COMPUTE_PGM_RSRC2:TGID_X_EN: 1
; COMPUTE_PGM_RSRC2:TGID_Y_EN: 0
; COMPUTE_PGM_RSRC2:TGID_Z_EN: 0
; COMPUTE_PGM_RSRC2:TIDIG_COMP_CNT: 0
	.section	.text._ZN7rocprim17ROCPRIM_400000_NS6detail17trampoline_kernelINS0_14default_configENS1_25partition_config_selectorILNS1_17partition_subalgoE9ExxbEEZZNS1_14partition_implILS5_9ELb0ES3_jN6thrust23THRUST_200600_302600_NS6detail15normal_iteratorINS9_10device_ptrIxEEEESE_PNS0_10empty_typeENS0_5tupleIJSE_SF_EEENSH_IJSE_SG_EEENS0_18inequality_wrapperINS9_8equal_toIxEEEEPmJSF_EEE10hipError_tPvRmT3_T4_T5_T6_T7_T9_mT8_P12ihipStream_tbDpT10_ENKUlT_T0_E_clISt17integral_constantIbLb0EES17_IbLb1EEEEDaS13_S14_EUlS13_E_NS1_11comp_targetILNS1_3genE9ELNS1_11target_archE1100ELNS1_3gpuE3ELNS1_3repE0EEENS1_30default_config_static_selectorELNS0_4arch9wavefront6targetE0EEEvT1_,"axG",@progbits,_ZN7rocprim17ROCPRIM_400000_NS6detail17trampoline_kernelINS0_14default_configENS1_25partition_config_selectorILNS1_17partition_subalgoE9ExxbEEZZNS1_14partition_implILS5_9ELb0ES3_jN6thrust23THRUST_200600_302600_NS6detail15normal_iteratorINS9_10device_ptrIxEEEESE_PNS0_10empty_typeENS0_5tupleIJSE_SF_EEENSH_IJSE_SG_EEENS0_18inequality_wrapperINS9_8equal_toIxEEEEPmJSF_EEE10hipError_tPvRmT3_T4_T5_T6_T7_T9_mT8_P12ihipStream_tbDpT10_ENKUlT_T0_E_clISt17integral_constantIbLb0EES17_IbLb1EEEEDaS13_S14_EUlS13_E_NS1_11comp_targetILNS1_3genE9ELNS1_11target_archE1100ELNS1_3gpuE3ELNS1_3repE0EEENS1_30default_config_static_selectorELNS0_4arch9wavefront6targetE0EEEvT1_,comdat
	.protected	_ZN7rocprim17ROCPRIM_400000_NS6detail17trampoline_kernelINS0_14default_configENS1_25partition_config_selectorILNS1_17partition_subalgoE9ExxbEEZZNS1_14partition_implILS5_9ELb0ES3_jN6thrust23THRUST_200600_302600_NS6detail15normal_iteratorINS9_10device_ptrIxEEEESE_PNS0_10empty_typeENS0_5tupleIJSE_SF_EEENSH_IJSE_SG_EEENS0_18inequality_wrapperINS9_8equal_toIxEEEEPmJSF_EEE10hipError_tPvRmT3_T4_T5_T6_T7_T9_mT8_P12ihipStream_tbDpT10_ENKUlT_T0_E_clISt17integral_constantIbLb0EES17_IbLb1EEEEDaS13_S14_EUlS13_E_NS1_11comp_targetILNS1_3genE9ELNS1_11target_archE1100ELNS1_3gpuE3ELNS1_3repE0EEENS1_30default_config_static_selectorELNS0_4arch9wavefront6targetE0EEEvT1_ ; -- Begin function _ZN7rocprim17ROCPRIM_400000_NS6detail17trampoline_kernelINS0_14default_configENS1_25partition_config_selectorILNS1_17partition_subalgoE9ExxbEEZZNS1_14partition_implILS5_9ELb0ES3_jN6thrust23THRUST_200600_302600_NS6detail15normal_iteratorINS9_10device_ptrIxEEEESE_PNS0_10empty_typeENS0_5tupleIJSE_SF_EEENSH_IJSE_SG_EEENS0_18inequality_wrapperINS9_8equal_toIxEEEEPmJSF_EEE10hipError_tPvRmT3_T4_T5_T6_T7_T9_mT8_P12ihipStream_tbDpT10_ENKUlT_T0_E_clISt17integral_constantIbLb0EES17_IbLb1EEEEDaS13_S14_EUlS13_E_NS1_11comp_targetILNS1_3genE9ELNS1_11target_archE1100ELNS1_3gpuE3ELNS1_3repE0EEENS1_30default_config_static_selectorELNS0_4arch9wavefront6targetE0EEEvT1_
	.globl	_ZN7rocprim17ROCPRIM_400000_NS6detail17trampoline_kernelINS0_14default_configENS1_25partition_config_selectorILNS1_17partition_subalgoE9ExxbEEZZNS1_14partition_implILS5_9ELb0ES3_jN6thrust23THRUST_200600_302600_NS6detail15normal_iteratorINS9_10device_ptrIxEEEESE_PNS0_10empty_typeENS0_5tupleIJSE_SF_EEENSH_IJSE_SG_EEENS0_18inequality_wrapperINS9_8equal_toIxEEEEPmJSF_EEE10hipError_tPvRmT3_T4_T5_T6_T7_T9_mT8_P12ihipStream_tbDpT10_ENKUlT_T0_E_clISt17integral_constantIbLb0EES17_IbLb1EEEEDaS13_S14_EUlS13_E_NS1_11comp_targetILNS1_3genE9ELNS1_11target_archE1100ELNS1_3gpuE3ELNS1_3repE0EEENS1_30default_config_static_selectorELNS0_4arch9wavefront6targetE0EEEvT1_
	.p2align	8
	.type	_ZN7rocprim17ROCPRIM_400000_NS6detail17trampoline_kernelINS0_14default_configENS1_25partition_config_selectorILNS1_17partition_subalgoE9ExxbEEZZNS1_14partition_implILS5_9ELb0ES3_jN6thrust23THRUST_200600_302600_NS6detail15normal_iteratorINS9_10device_ptrIxEEEESE_PNS0_10empty_typeENS0_5tupleIJSE_SF_EEENSH_IJSE_SG_EEENS0_18inequality_wrapperINS9_8equal_toIxEEEEPmJSF_EEE10hipError_tPvRmT3_T4_T5_T6_T7_T9_mT8_P12ihipStream_tbDpT10_ENKUlT_T0_E_clISt17integral_constantIbLb0EES17_IbLb1EEEEDaS13_S14_EUlS13_E_NS1_11comp_targetILNS1_3genE9ELNS1_11target_archE1100ELNS1_3gpuE3ELNS1_3repE0EEENS1_30default_config_static_selectorELNS0_4arch9wavefront6targetE0EEEvT1_,@function
_ZN7rocprim17ROCPRIM_400000_NS6detail17trampoline_kernelINS0_14default_configENS1_25partition_config_selectorILNS1_17partition_subalgoE9ExxbEEZZNS1_14partition_implILS5_9ELb0ES3_jN6thrust23THRUST_200600_302600_NS6detail15normal_iteratorINS9_10device_ptrIxEEEESE_PNS0_10empty_typeENS0_5tupleIJSE_SF_EEENSH_IJSE_SG_EEENS0_18inequality_wrapperINS9_8equal_toIxEEEEPmJSF_EEE10hipError_tPvRmT3_T4_T5_T6_T7_T9_mT8_P12ihipStream_tbDpT10_ENKUlT_T0_E_clISt17integral_constantIbLb0EES17_IbLb1EEEEDaS13_S14_EUlS13_E_NS1_11comp_targetILNS1_3genE9ELNS1_11target_archE1100ELNS1_3gpuE3ELNS1_3repE0EEENS1_30default_config_static_selectorELNS0_4arch9wavefront6targetE0EEEvT1_: ; @_ZN7rocprim17ROCPRIM_400000_NS6detail17trampoline_kernelINS0_14default_configENS1_25partition_config_selectorILNS1_17partition_subalgoE9ExxbEEZZNS1_14partition_implILS5_9ELb0ES3_jN6thrust23THRUST_200600_302600_NS6detail15normal_iteratorINS9_10device_ptrIxEEEESE_PNS0_10empty_typeENS0_5tupleIJSE_SF_EEENSH_IJSE_SG_EEENS0_18inequality_wrapperINS9_8equal_toIxEEEEPmJSF_EEE10hipError_tPvRmT3_T4_T5_T6_T7_T9_mT8_P12ihipStream_tbDpT10_ENKUlT_T0_E_clISt17integral_constantIbLb0EES17_IbLb1EEEEDaS13_S14_EUlS13_E_NS1_11comp_targetILNS1_3genE9ELNS1_11target_archE1100ELNS1_3gpuE3ELNS1_3repE0EEENS1_30default_config_static_selectorELNS0_4arch9wavefront6targetE0EEEvT1_
; %bb.0:
	s_clause 0x4
	s_load_b128 s[4:7], s[0:1], 0x8
	s_load_b64 s[8:9], s[0:1], 0x18
	s_load_b128 s[12:15], s[0:1], 0x40
	s_load_b64 s[10:11], s[0:1], 0x50
	s_load_b64 s[20:21], s[0:1], 0x60
	v_cmp_ne_u32_e64 s3, 0, v0
	v_cmp_eq_u32_e64 s2, 0, v0
	s_delay_alu instid0(VALU_DEP_1)
	s_and_saveexec_b32 s16, s2
	s_cbranch_execz .LBB370_4
; %bb.1:
	s_mov_b32 s18, exec_lo
	s_mov_b32 s17, exec_lo
	v_mbcnt_lo_u32_b32 v1, s18, 0
                                        ; implicit-def: $vgpr2
	s_delay_alu instid0(VALU_DEP_1)
	v_cmpx_eq_u32_e32 0, v1
	s_cbranch_execz .LBB370_3
; %bb.2:
	s_load_b64 s[22:23], s[0:1], 0x70
	s_bcnt1_i32_b32 s18, s18
	s_delay_alu instid0(SALU_CYCLE_1)
	v_dual_mov_b32 v2, 0 :: v_dual_mov_b32 v3, s18
	s_waitcnt lgkmcnt(0)
	global_atomic_add_u32 v2, v2, v3, s[22:23] glc
.LBB370_3:
	s_or_b32 exec_lo, exec_lo, s17
	s_waitcnt vmcnt(0)
	v_readfirstlane_b32 s17, v2
	s_delay_alu instid0(VALU_DEP_1)
	v_dual_mov_b32 v2, 0 :: v_dual_add_nc_u32 v1, s17, v1
	ds_store_b32 v2, v1
.LBB370_4:
	s_or_b32 exec_lo, exec_lo, s16
	v_mov_b32_e32 v1, 0
	s_clause 0x1
	s_load_b128 s[16:19], s[0:1], 0x28
	s_load_b32 s0, s[0:1], 0x68
	s_waitcnt lgkmcnt(0)
	s_barrier
	buffer_gl0_inv
	ds_load_b32 v3, v1
	s_waitcnt lgkmcnt(0)
	s_barrier
	buffer_gl0_inv
	global_load_b64 v[1:2], v1, s[14:15]
	s_lshl_b64 s[14:15], s[6:7], 3
	s_mov_b32 s1, 0
	s_add_u32 s27, s4, s14
	s_addc_u32 s28, s5, s15
	v_lshlrev_b32_e32 v55, 3, v0
	v_lshrrev_b32_e32 v34, 2, v0
	v_or_b32_e32 v39, 0x200, v0
	v_or_b32_e32 v38, 0x400, v0
	;; [unrolled: 1-line block ×5, first 2 shown]
	s_add_i32 s22, s0, -1
	s_lshl_b32 s5, s0, 12
	s_lshl_b32 s4, s22, 12
	v_or_b32_e32 v33, 0xc00, v0
	v_readfirstlane_b32 s24, v3
	s_add_i32 s4, s6, s4
	v_or_b32_e32 v36, 0xe00, v0
	s_sub_i32 s25, s10, s4
	s_delay_alu instid0(VALU_DEP_2)
	s_lshl_b32 s0, s24, 12
	s_add_u32 s4, s6, s5
	s_addc_u32 s5, s7, 0
	s_cmp_eq_u32 s24, s22
	v_cmp_ge_u64_e64 s4, s[4:5], s[10:11]
	s_cselect_b32 s22, -1, 0
	s_delay_alu instid0(VALU_DEP_1) | instid1(SALU_CYCLE_1)
	s_and_b32 s26, s4, s22
	s_lshl_b64 s[4:5], s[0:1], 3
	s_xor_b32 s23, s26, -1
	s_add_u32 s27, s27, s4
	s_addc_u32 s1, s28, s5
	s_and_b32 vcc_lo, exec_lo, s23
	s_mov_b32 s28, -1
	s_waitcnt vmcnt(0)
	v_readfirstlane_b32 s10, v1
	v_readfirstlane_b32 s11, v2
	s_cbranch_vccz .LBB370_6
; %bb.5:
	v_add_co_u32 v1, s0, s27, v55
	s_delay_alu instid0(VALU_DEP_1) | instskip(SKIP_1) | instid1(VALU_DEP_3)
	v_add_co_ci_u32_e64 v2, null, s1, 0, s0
	v_lshrrev_b32_e32 v18, 2, v39
	v_add_co_u32 v3, vcc_lo, 0x1000, v1
	s_delay_alu instid0(VALU_DEP_3)
	v_add_co_ci_u32_e32 v4, vcc_lo, 0, v2, vcc_lo
	v_add_co_u32 v5, vcc_lo, 0x2000, v1
	v_add_co_ci_u32_e32 v6, vcc_lo, 0, v2, vcc_lo
	v_add_co_u32 v7, vcc_lo, 0x3000, v1
	;; [unrolled: 2-line block ×6, first 2 shown]
	v_add_co_ci_u32_e32 v16, vcc_lo, 0, v2, vcc_lo
	s_clause 0x7
	flat_load_b64 v[1:2], v[1:2]
	flat_load_b64 v[3:4], v[3:4]
	;; [unrolled: 1-line block ×8, first 2 shown]
	v_lshrrev_b32_e32 v19, 2, v38
	v_lshrrev_b32_e32 v20, 2, v40
	v_lshrrev_b32_e32 v21, 2, v37
	v_and_b32_e32 v17, 0x78, v34
	v_lshrrev_b32_e32 v22, 2, v35
	v_lshrrev_b32_e32 v23, 2, v33
	;; [unrolled: 1-line block ×3, first 2 shown]
	v_and_b32_e32 v18, 0xf8, v18
	v_and_b32_e32 v19, 0x178, v19
	v_and_b32_e32 v20, 0x1f8, v20
	v_and_b32_e32 v21, 0x278, v21
	v_add_nc_u32_e32 v17, v17, v55
	v_and_b32_e32 v22, 0x2f8, v22
	v_and_b32_e32 v23, 0x378, v23
	;; [unrolled: 1-line block ×3, first 2 shown]
	v_add_nc_u32_e32 v18, v18, v55
	v_add_nc_u32_e32 v19, v19, v55
	;; [unrolled: 1-line block ×4, first 2 shown]
	s_mov_b32 s28, 0
	v_add_nc_u32_e32 v22, v22, v55
	v_add_nc_u32_e32 v23, v23, v55
	v_add_nc_u32_e32 v24, v24, v55
	s_waitcnt vmcnt(7) lgkmcnt(7)
	ds_store_b64 v17, v[1:2]
	s_waitcnt vmcnt(6) lgkmcnt(7)
	ds_store_b64 v18, v[3:4] offset:4096
	s_waitcnt vmcnt(5) lgkmcnt(7)
	ds_store_b64 v19, v[5:6] offset:8192
	;; [unrolled: 2-line block ×7, first 2 shown]
	s_waitcnt lgkmcnt(0)
	s_barrier
.LBB370_6:
	v_cmp_gt_u32_e64 s0, s25, v0
	s_and_not1_b32 vcc_lo, exec_lo, s28
	s_cbranch_vccnz .LBB370_24
; %bb.7:
                                        ; implicit-def: $vgpr1_vgpr2_vgpr3_vgpr4_vgpr5_vgpr6_vgpr7_vgpr8_vgpr9_vgpr10_vgpr11_vgpr12_vgpr13_vgpr14_vgpr15_vgpr16
	s_delay_alu instid0(VALU_DEP_1)
	s_and_saveexec_b32 s28, s0
	s_cbranch_execz .LBB370_15
; %bb.8:
	v_add_co_u32 v1, s0, s27, v55
	s_delay_alu instid0(VALU_DEP_1) | instskip(SKIP_2) | instid1(SALU_CYCLE_1)
	v_add_co_ci_u32_e64 v2, null, s1, 0, s0
	flat_load_b64 v[1:2], v[1:2]
	s_or_b32 exec_lo, exec_lo, s28
	s_mov_b32 s0, exec_lo
	v_cmpx_gt_u32_e64 s25, v39
	s_cbranch_execnz .LBB370_16
.LBB370_9:
	s_or_b32 exec_lo, exec_lo, s0
	s_delay_alu instid0(SALU_CYCLE_1)
	s_mov_b32 s0, exec_lo
	v_cmpx_gt_u32_e64 s25, v38
	s_cbranch_execz .LBB370_17
.LBB370_10:
	v_lshlrev_b32_e32 v5, 3, v38
	s_delay_alu instid0(VALU_DEP_1) | instskip(NEXT) | instid1(VALU_DEP_1)
	v_add_co_u32 v5, s28, s27, v5
	v_add_co_ci_u32_e64 v6, null, s1, 0, s28
	flat_load_b64 v[5:6], v[5:6]
	s_or_b32 exec_lo, exec_lo, s0
	s_delay_alu instid0(SALU_CYCLE_1)
	s_mov_b32 s0, exec_lo
	v_cmpx_gt_u32_e64 s25, v40
	s_cbranch_execnz .LBB370_18
.LBB370_11:
	s_or_b32 exec_lo, exec_lo, s0
	s_delay_alu instid0(SALU_CYCLE_1)
	s_mov_b32 s0, exec_lo
	v_cmpx_gt_u32_e64 s25, v37
	s_cbranch_execz .LBB370_19
.LBB370_12:
	v_lshlrev_b32_e32 v9, 3, v37
	s_delay_alu instid0(VALU_DEP_1) | instskip(NEXT) | instid1(VALU_DEP_1)
	v_add_co_u32 v9, s28, s27, v9
	v_add_co_ci_u32_e64 v10, null, s1, 0, s28
	flat_load_b64 v[9:10], v[9:10]
	s_or_b32 exec_lo, exec_lo, s0
	s_delay_alu instid0(SALU_CYCLE_1)
	s_mov_b32 s0, exec_lo
	v_cmpx_gt_u32_e64 s25, v35
	s_cbranch_execnz .LBB370_20
.LBB370_13:
	s_or_b32 exec_lo, exec_lo, s0
	s_delay_alu instid0(SALU_CYCLE_1)
	s_mov_b32 s0, exec_lo
	v_cmpx_gt_u32_e64 s25, v33
	s_cbranch_execz .LBB370_21
.LBB370_14:
	v_lshlrev_b32_e32 v13, 3, v33
	s_delay_alu instid0(VALU_DEP_1) | instskip(NEXT) | instid1(VALU_DEP_1)
	v_add_co_u32 v13, s28, s27, v13
	v_add_co_ci_u32_e64 v14, null, s1, 0, s28
	flat_load_b64 v[13:14], v[13:14]
	s_or_b32 exec_lo, exec_lo, s0
	s_delay_alu instid0(SALU_CYCLE_1)
	s_mov_b32 s0, exec_lo
	v_cmpx_gt_u32_e64 s25, v36
	s_cbranch_execnz .LBB370_22
	s_branch .LBB370_23
.LBB370_15:
	s_or_b32 exec_lo, exec_lo, s28
	s_delay_alu instid0(SALU_CYCLE_1)
	s_mov_b32 s0, exec_lo
	v_cmpx_gt_u32_e64 s25, v39
	s_cbranch_execz .LBB370_9
.LBB370_16:
	v_lshlrev_b32_e32 v3, 3, v39
	s_delay_alu instid0(VALU_DEP_1) | instskip(NEXT) | instid1(VALU_DEP_1)
	v_add_co_u32 v3, s28, s27, v3
	v_add_co_ci_u32_e64 v4, null, s1, 0, s28
	flat_load_b64 v[3:4], v[3:4]
	s_or_b32 exec_lo, exec_lo, s0
	s_delay_alu instid0(SALU_CYCLE_1)
	s_mov_b32 s0, exec_lo
	v_cmpx_gt_u32_e64 s25, v38
	s_cbranch_execnz .LBB370_10
.LBB370_17:
	s_or_b32 exec_lo, exec_lo, s0
	s_delay_alu instid0(SALU_CYCLE_1)
	s_mov_b32 s0, exec_lo
	v_cmpx_gt_u32_e64 s25, v40
	s_cbranch_execz .LBB370_11
.LBB370_18:
	v_lshlrev_b32_e32 v7, 3, v40
	s_delay_alu instid0(VALU_DEP_1) | instskip(NEXT) | instid1(VALU_DEP_1)
	v_add_co_u32 v7, s28, s27, v7
	v_add_co_ci_u32_e64 v8, null, s1, 0, s28
	flat_load_b64 v[7:8], v[7:8]
	s_or_b32 exec_lo, exec_lo, s0
	s_delay_alu instid0(SALU_CYCLE_1)
	s_mov_b32 s0, exec_lo
	v_cmpx_gt_u32_e64 s25, v37
	s_cbranch_execnz .LBB370_12
.LBB370_19:
	s_or_b32 exec_lo, exec_lo, s0
	s_delay_alu instid0(SALU_CYCLE_1)
	s_mov_b32 s0, exec_lo
	v_cmpx_gt_u32_e64 s25, v35
	s_cbranch_execz .LBB370_13
.LBB370_20:
	v_lshlrev_b32_e32 v11, 3, v35
	s_delay_alu instid0(VALU_DEP_1) | instskip(NEXT) | instid1(VALU_DEP_1)
	v_add_co_u32 v11, s28, s27, v11
	v_add_co_ci_u32_e64 v12, null, s1, 0, s28
	flat_load_b64 v[11:12], v[11:12]
	s_or_b32 exec_lo, exec_lo, s0
	s_delay_alu instid0(SALU_CYCLE_1)
	s_mov_b32 s0, exec_lo
	v_cmpx_gt_u32_e64 s25, v33
	s_cbranch_execnz .LBB370_14
.LBB370_21:
	s_or_b32 exec_lo, exec_lo, s0
	s_delay_alu instid0(SALU_CYCLE_1)
	s_mov_b32 s0, exec_lo
	v_cmpx_gt_u32_e64 s25, v36
	s_cbranch_execz .LBB370_23
.LBB370_22:
	v_lshlrev_b32_e32 v15, 3, v36
	s_delay_alu instid0(VALU_DEP_1) | instskip(NEXT) | instid1(VALU_DEP_1)
	v_add_co_u32 v15, s28, s27, v15
	v_add_co_ci_u32_e64 v16, null, s1, 0, s28
	flat_load_b64 v[15:16], v[15:16]
.LBB370_23:
	s_or_b32 exec_lo, exec_lo, s0
	v_lshrrev_b32_e32 v17, 2, v39
	v_lshrrev_b32_e32 v18, 2, v38
	v_lshrrev_b32_e32 v20, 2, v40
	v_lshrrev_b32_e32 v21, 2, v37
	v_and_b32_e32 v19, 0x78, v34
	v_lshrrev_b32_e32 v22, 2, v35
	v_lshrrev_b32_e32 v23, 2, v33
	;; [unrolled: 1-line block ×3, first 2 shown]
	v_and_b32_e32 v17, 0xf8, v17
	v_and_b32_e32 v18, 0x1f8, v18
	;; [unrolled: 1-line block ×4, first 2 shown]
	v_add_nc_u32_e32 v19, v19, v55
	v_and_b32_e32 v22, 0x3f8, v22
	v_and_b32_e32 v23, 0x3f8, v23
	v_and_b32_e32 v24, 0x3f8, v24
	v_add_nc_u32_e32 v17, v17, v55
	v_add_nc_u32_e32 v18, v18, v55
	;; [unrolled: 1-line block ×7, first 2 shown]
	s_waitcnt vmcnt(0) lgkmcnt(0)
	ds_store_b64 v19, v[1:2]
	ds_store_b64 v17, v[3:4] offset:4096
	ds_store_b64 v18, v[5:6] offset:8192
	;; [unrolled: 1-line block ×7, first 2 shown]
	s_waitcnt lgkmcnt(0)
	s_barrier
.LBB370_24:
	v_add_lshl_u32 v41, v34, v55, 3
	buffer_gl0_inv
	s_add_u32 s0, s8, s14
	s_addc_u32 s8, s9, s15
	s_add_u32 s0, s0, s4
	ds_load_2addr_b64 v[29:32], v41 offset1:1
	ds_load_2addr_b64 v[25:28], v41 offset0:2 offset1:3
	ds_load_2addr_b64 v[21:24], v41 offset0:4 offset1:5
	;; [unrolled: 1-line block ×3, first 2 shown]
	s_addc_u32 s4, s8, s5
	s_and_b32 vcc_lo, exec_lo, s23
	s_mov_b32 s5, -1
	s_waitcnt lgkmcnt(0)
	s_barrier
	buffer_gl0_inv
	s_cbranch_vccz .LBB370_26
; %bb.25:
	v_add_co_u32 v1, s5, s0, v55
	s_delay_alu instid0(VALU_DEP_1) | instskip(SKIP_1) | instid1(VALU_DEP_3)
	v_add_co_ci_u32_e64 v2, null, s4, 0, s5
	v_lshrrev_b32_e32 v43, 2, v39
	v_add_co_u32 v3, vcc_lo, 0x1000, v1
	s_delay_alu instid0(VALU_DEP_3)
	v_add_co_ci_u32_e32 v4, vcc_lo, 0, v2, vcc_lo
	v_add_co_u32 v5, vcc_lo, 0x2000, v1
	v_add_co_ci_u32_e32 v6, vcc_lo, 0, v2, vcc_lo
	v_add_co_u32 v7, vcc_lo, 0x3000, v1
	;; [unrolled: 2-line block ×6, first 2 shown]
	v_add_co_ci_u32_e32 v16, vcc_lo, 0, v2, vcc_lo
	s_clause 0x7
	flat_load_b64 v[1:2], v[1:2]
	flat_load_b64 v[3:4], v[3:4]
	;; [unrolled: 1-line block ×8, first 2 shown]
	v_lshrrev_b32_e32 v44, 2, v38
	v_lshrrev_b32_e32 v45, 2, v40
	;; [unrolled: 1-line block ×3, first 2 shown]
	v_and_b32_e32 v42, 0x78, v34
	v_lshrrev_b32_e32 v47, 2, v35
	v_lshrrev_b32_e32 v48, 2, v33
	;; [unrolled: 1-line block ×3, first 2 shown]
	v_and_b32_e32 v43, 0xf8, v43
	v_and_b32_e32 v44, 0x178, v44
	v_and_b32_e32 v45, 0x1f8, v45
	v_and_b32_e32 v46, 0x278, v46
	v_add_nc_u32_e32 v42, v42, v55
	v_and_b32_e32 v47, 0x2f8, v47
	v_and_b32_e32 v48, 0x378, v48
	;; [unrolled: 1-line block ×3, first 2 shown]
	v_add_nc_u32_e32 v43, v43, v55
	v_add_nc_u32_e32 v44, v44, v55
	;; [unrolled: 1-line block ×4, first 2 shown]
	s_mov_b32 s5, 0
	v_add_nc_u32_e32 v47, v47, v55
	v_add_nc_u32_e32 v48, v48, v55
	;; [unrolled: 1-line block ×3, first 2 shown]
	s_waitcnt vmcnt(7) lgkmcnt(7)
	ds_store_b64 v42, v[1:2]
	s_waitcnt vmcnt(6) lgkmcnt(7)
	ds_store_b64 v43, v[3:4] offset:4096
	s_waitcnt vmcnt(5) lgkmcnt(7)
	ds_store_b64 v44, v[5:6] offset:8192
	;; [unrolled: 2-line block ×7, first 2 shown]
	s_waitcnt lgkmcnt(0)
	s_barrier
.LBB370_26:
	s_and_not1_b32 vcc_lo, exec_lo, s5
	s_cbranch_vccnz .LBB370_44
; %bb.27:
	s_mov_b32 s5, exec_lo
                                        ; implicit-def: $vgpr1_vgpr2
	v_cmpx_gt_u32_e64 s25, v0
	s_cbranch_execz .LBB370_29
; %bb.28:
	v_add_co_u32 v1, s8, s0, v55
	s_delay_alu instid0(VALU_DEP_1)
	v_add_co_ci_u32_e64 v2, null, s4, 0, s8
	flat_load_b64 v[1:2], v[1:2]
.LBB370_29:
	s_or_b32 exec_lo, exec_lo, s5
	s_delay_alu instid0(SALU_CYCLE_1)
	s_mov_b32 s5, exec_lo
                                        ; implicit-def: $vgpr3_vgpr4
	v_cmpx_gt_u32_e64 s25, v39
	s_cbranch_execz .LBB370_31
; %bb.30:
	v_lshlrev_b32_e32 v3, 3, v39
	s_delay_alu instid0(VALU_DEP_1) | instskip(NEXT) | instid1(VALU_DEP_1)
	v_add_co_u32 v3, s8, s0, v3
	v_add_co_ci_u32_e64 v4, null, s4, 0, s8
	flat_load_b64 v[3:4], v[3:4]
.LBB370_31:
	s_or_b32 exec_lo, exec_lo, s5
	s_delay_alu instid0(SALU_CYCLE_1)
	s_mov_b32 s5, exec_lo
                                        ; implicit-def: $vgpr5_vgpr6
	v_cmpx_gt_u32_e64 s25, v38
	s_cbranch_execz .LBB370_33
; %bb.32:
	v_lshlrev_b32_e32 v5, 3, v38
	s_delay_alu instid0(VALU_DEP_1) | instskip(NEXT) | instid1(VALU_DEP_1)
	v_add_co_u32 v5, s8, s0, v5
	v_add_co_ci_u32_e64 v6, null, s4, 0, s8
	flat_load_b64 v[5:6], v[5:6]
.LBB370_33:
	s_or_b32 exec_lo, exec_lo, s5
	s_delay_alu instid0(SALU_CYCLE_1)
	s_mov_b32 s5, exec_lo
                                        ; implicit-def: $vgpr7_vgpr8
	v_cmpx_gt_u32_e64 s25, v40
	s_cbranch_execz .LBB370_35
; %bb.34:
	v_lshlrev_b32_e32 v7, 3, v40
	s_delay_alu instid0(VALU_DEP_1) | instskip(NEXT) | instid1(VALU_DEP_1)
	v_add_co_u32 v7, s8, s0, v7
	v_add_co_ci_u32_e64 v8, null, s4, 0, s8
	flat_load_b64 v[7:8], v[7:8]
.LBB370_35:
	s_or_b32 exec_lo, exec_lo, s5
	s_delay_alu instid0(SALU_CYCLE_1)
	s_mov_b32 s5, exec_lo
                                        ; implicit-def: $vgpr9_vgpr10
	v_cmpx_gt_u32_e64 s25, v37
	s_cbranch_execz .LBB370_37
; %bb.36:
	v_lshlrev_b32_e32 v9, 3, v37
	s_delay_alu instid0(VALU_DEP_1) | instskip(NEXT) | instid1(VALU_DEP_1)
	v_add_co_u32 v9, s8, s0, v9
	v_add_co_ci_u32_e64 v10, null, s4, 0, s8
	flat_load_b64 v[9:10], v[9:10]
.LBB370_37:
	s_or_b32 exec_lo, exec_lo, s5
	s_delay_alu instid0(SALU_CYCLE_1)
	s_mov_b32 s5, exec_lo
                                        ; implicit-def: $vgpr11_vgpr12
	v_cmpx_gt_u32_e64 s25, v35
	s_cbranch_execz .LBB370_39
; %bb.38:
	v_lshlrev_b32_e32 v11, 3, v35
	s_delay_alu instid0(VALU_DEP_1) | instskip(NEXT) | instid1(VALU_DEP_1)
	v_add_co_u32 v11, s8, s0, v11
	v_add_co_ci_u32_e64 v12, null, s4, 0, s8
	flat_load_b64 v[11:12], v[11:12]
.LBB370_39:
	s_or_b32 exec_lo, exec_lo, s5
	s_delay_alu instid0(SALU_CYCLE_1)
	s_mov_b32 s5, exec_lo
                                        ; implicit-def: $vgpr13_vgpr14
	v_cmpx_gt_u32_e64 s25, v33
	s_cbranch_execz .LBB370_41
; %bb.40:
	v_lshlrev_b32_e32 v13, 3, v33
	s_delay_alu instid0(VALU_DEP_1) | instskip(NEXT) | instid1(VALU_DEP_1)
	v_add_co_u32 v13, s8, s0, v13
	v_add_co_ci_u32_e64 v14, null, s4, 0, s8
	flat_load_b64 v[13:14], v[13:14]
.LBB370_41:
	s_or_b32 exec_lo, exec_lo, s5
	s_delay_alu instid0(SALU_CYCLE_1)
	s_mov_b32 s5, exec_lo
                                        ; implicit-def: $vgpr15_vgpr16
	v_cmpx_gt_u32_e64 s25, v36
	s_cbranch_execz .LBB370_43
; %bb.42:
	v_lshlrev_b32_e32 v15, 3, v36
	s_delay_alu instid0(VALU_DEP_1) | instskip(NEXT) | instid1(VALU_DEP_1)
	v_add_co_u32 v15, s0, s0, v15
	v_add_co_ci_u32_e64 v16, null, s4, 0, s0
	flat_load_b64 v[15:16], v[15:16]
.LBB370_43:
	s_or_b32 exec_lo, exec_lo, s5
	v_lshrrev_b32_e32 v39, 2, v39
	v_lshrrev_b32_e32 v38, 2, v38
	;; [unrolled: 1-line block ×4, first 2 shown]
	v_and_b32_e32 v34, 0x78, v34
	v_lshrrev_b32_e32 v35, 2, v35
	v_lshrrev_b32_e32 v33, 2, v33
	;; [unrolled: 1-line block ×3, first 2 shown]
	v_and_b32_e32 v39, 0xf8, v39
	v_and_b32_e32 v38, 0x1f8, v38
	v_and_b32_e32 v40, 0x1f8, v40
	v_and_b32_e32 v37, 0x3f8, v37
	v_add_nc_u32_e32 v34, v34, v55
	v_and_b32_e32 v35, 0x3f8, v35
	v_and_b32_e32 v33, 0x3f8, v33
	;; [unrolled: 1-line block ×3, first 2 shown]
	v_add_nc_u32_e32 v39, v39, v55
	v_add_nc_u32_e32 v38, v38, v55
	;; [unrolled: 1-line block ×7, first 2 shown]
	s_waitcnt vmcnt(0) lgkmcnt(0)
	ds_store_b64 v34, v[1:2]
	ds_store_b64 v39, v[3:4] offset:4096
	ds_store_b64 v38, v[5:6] offset:8192
	;; [unrolled: 1-line block ×7, first 2 shown]
	s_waitcnt lgkmcnt(0)
	s_barrier
.LBB370_44:
	buffer_gl0_inv
	ds_load_2addr_b64 v[13:16], v41 offset1:1
	ds_load_2addr_b64 v[9:12], v41 offset0:2 offset1:3
	ds_load_2addr_b64 v[5:8], v41 offset0:4 offset1:5
	;; [unrolled: 1-line block ×3, first 2 shown]
	s_cmp_lg_u32 s24, 0
	s_mov_b32 s14, 0
	s_cselect_b32 s9, -1, 0
	s_cmp_lg_u64 s[6:7], 0
	s_waitcnt lgkmcnt(0)
	s_cselect_b32 s0, -1, 0
	s_barrier
	s_or_b32 s0, s0, s9
	buffer_gl0_inv
	s_and_b32 vcc_lo, exec_lo, s0
	s_cbranch_vccz .LBB370_49
; %bb.45:
	v_add_co_u32 v33, s0, -8, s27
	s_delay_alu instid0(VALU_DEP_1)
	v_add_co_ci_u32_e64 v34, null, -1, s1, s0
	s_mov_b32 s1, -1
	s_and_b32 vcc_lo, exec_lo, s23
	flat_load_b64 v[35:36], v[33:34]
	ds_store_b64 v55, v[19:20]
	s_cbranch_vccz .LBB370_50
; %bb.46:
	s_waitcnt vmcnt(0) lgkmcnt(1)
	v_dual_mov_b32 v33, v35 :: v_dual_mov_b32 v34, v36
	s_waitcnt lgkmcnt(0)
	s_barrier
	buffer_gl0_inv
	s_and_saveexec_b32 s0, s3
	s_cbranch_execz .LBB370_48
; %bb.47:
	v_add_nc_u32_e32 v33, -8, v55
	ds_load_b64 v[33:34], v33
.LBB370_48:
	s_or_b32 exec_lo, exec_lo, s0
	v_cmp_ne_u64_e32 vcc_lo, v[17:18], v[19:20]
	s_waitcnt lgkmcnt(0)
	v_cmp_ne_u64_e64 s0, v[33:34], v[29:30]
	v_cndmask_b32_e64 v37, 0, 1, vcc_lo
	v_cmp_ne_u64_e32 vcc_lo, v[23:24], v[17:18]
	s_delay_alu instid0(VALU_DEP_2) | instskip(SKIP_2) | instid1(VALU_DEP_2)
	v_lshlrev_b16 v37, 8, v37
	v_cndmask_b32_e64 v38, 0, 1, vcc_lo
	v_cmp_ne_u64_e32 vcc_lo, v[21:22], v[23:24]
	v_or_b32_e32 v37, v38, v37
	v_cndmask_b32_e64 v39, 0, 1, vcc_lo
	v_cmp_ne_u64_e32 vcc_lo, v[25:26], v[27:28]
	s_delay_alu instid0(VALU_DEP_3) | instskip(NEXT) | instid1(VALU_DEP_3)
	v_lshlrev_b32_e32 v37, 16, v37
	v_lshlrev_b16 v39, 8, v39
	v_cndmask_b32_e64 v40, 0, 1, vcc_lo
	v_cmp_ne_u64_e32 vcc_lo, v[27:28], v[21:22]
	s_delay_alu instid0(VALU_DEP_2) | instskip(SKIP_2) | instid1(VALU_DEP_2)
	v_lshlrev_b16 v40, 8, v40
	v_cndmask_b32_e64 v41, 0, 1, vcc_lo
	v_cmp_ne_u64_e32 vcc_lo, v[31:32], v[25:26]
	v_or_b32_e32 v39, v41, v39
	v_cndmask_b32_e64 v42, 0, 1, vcc_lo
	v_cmp_ne_u64_e32 vcc_lo, v[29:30], v[31:32]
	s_delay_alu instid0(VALU_DEP_3) | instskip(NEXT) | instid1(VALU_DEP_3)
	v_and_b32_e32 v39, 0xffff, v39
	v_or_b32_e32 v40, v42, v40
	v_cndmask_b32_e64 v43, 0, 1, vcc_lo
	s_delay_alu instid0(VALU_DEP_3) | instskip(NEXT) | instid1(VALU_DEP_3)
	v_or_b32_e32 v34, v39, v37
	v_lshlrev_b32_e32 v38, 16, v40
	s_delay_alu instid0(VALU_DEP_3) | instskip(NEXT) | instid1(VALU_DEP_1)
	v_lshlrev_b16 v42, 8, v43
	v_and_b32_e32 v40, 0xffff, v42
	s_delay_alu instid0(VALU_DEP_1)
	v_or_b32_e32 v33, v40, v38
	s_branch .LBB370_54
.LBB370_49:
                                        ; implicit-def: $sgpr0
                                        ; implicit-def: $vgpr34
	s_branch .LBB370_55
.LBB370_50:
                                        ; implicit-def: $sgpr0
                                        ; implicit-def: $vgpr34
	s_and_b32 vcc_lo, exec_lo, s1
	s_cbranch_vccz .LBB370_54
; %bb.51:
	s_waitcnt vmcnt(0) lgkmcnt(0)
	s_barrier
	buffer_gl0_inv
	s_and_saveexec_b32 s0, s3
	s_cbranch_execz .LBB370_53
; %bb.52:
	v_add_nc_u32_e32 v33, -8, v55
	ds_load_b64 v[35:36], v33
.LBB370_53:
	s_or_b32 exec_lo, exec_lo, s0
	v_or_b32_e32 v33, 7, v55
	v_or_b32_e32 v34, 6, v55
	v_cmp_ne_u64_e32 vcc_lo, v[17:18], v[19:20]
	v_or_b32_e32 v37, 5, v55
	v_cmp_ne_u64_e64 s1, v[23:24], v[17:18]
	v_cmp_gt_u32_e64 s0, s25, v33
	v_cmp_gt_u32_e64 s4, s25, v34
	v_cmp_ne_u64_e64 s5, v[21:22], v[23:24]
	v_cmp_gt_u32_e64 s6, s25, v37
	v_or_b32_e32 v37, 3, v55
	s_and_b32 s0, s0, vcc_lo
	v_or_b32_e32 v38, 4, v55
	v_cndmask_b32_e64 v33, 0, 1, s0
	s_and_b32 s0, s4, s1
	v_cmp_ne_u64_e32 vcc_lo, v[25:26], v[27:28]
	v_cndmask_b32_e64 v34, 0, 1, s0
	s_and_b32 s0, s6, s5
	v_cmp_gt_u32_e64 s1, s25, v38
	v_cndmask_b32_e64 v39, 0, 1, s0
	v_cmp_gt_u32_e64 s0, s25, v37
	v_or_b32_e32 v37, 2, v55
	v_or_b32_e32 v38, 1, v55
	v_cmp_ne_u64_e64 s4, v[27:28], v[21:22]
	v_cmp_ne_u64_e64 s6, v[29:30], v[31:32]
	s_and_b32 s0, s0, vcc_lo
	v_cmp_ne_u64_e32 vcc_lo, v[31:32], v[25:26]
	v_cndmask_b32_e64 v40, 0, 1, s0
	v_cmp_gt_u32_e64 s0, s25, v37
	v_cmp_gt_u32_e64 s5, s25, v38
	s_and_b32 s1, s1, s4
	v_lshlrev_b16 v39, 8, v39
	v_cndmask_b32_e64 v37, 0, 1, s1
	s_and_b32 s0, s0, vcc_lo
	v_lshlrev_b16 v40, 8, v40
	v_cndmask_b32_e64 v38, 0, 1, s0
	s_and_b32 s0, s5, s6
	v_lshlrev_b16 v33, 8, v33
	v_cndmask_b32_e64 v41, 0, 1, s0
	v_or_b32_e32 v37, v37, v39
	v_or_b32_e32 v38, v38, v40
	s_waitcnt lgkmcnt(0)
	v_cmp_ne_u64_e32 vcc_lo, v[35:36], v[29:30]
	v_or_b32_e32 v33, v34, v33
	v_lshlrev_b16 v40, 8, v41
	v_and_b32_e32 v37, 0xffff, v37
	v_lshlrev_b32_e32 v34, 16, v38
	v_cmp_gt_u32_e64 s0, s25, v55
	v_lshlrev_b32_e32 v39, 16, v33
	v_and_b32_e32 v38, 0xffff, v40
	s_delay_alu instid0(VALU_DEP_3) | instskip(NEXT) | instid1(VALU_DEP_1)
	s_and_b32 s0, s0, vcc_lo
	v_or_b32_e32 v33, v38, v34
	s_delay_alu instid0(VALU_DEP_3)
	v_or_b32_e32 v34, v37, v39
.LBB370_54:
	s_mov_b32 s14, -1
	s_cbranch_execnz .LBB370_63
.LBB370_55:
	v_cmp_ne_u64_e64 s1, v[17:18], v[19:20]
	v_cmp_ne_u64_e64 s4, v[23:24], v[17:18]
	;; [unrolled: 1-line block ×7, first 2 shown]
	s_and_b32 vcc_lo, exec_lo, s23
	ds_store_b64 v55, v[19:20]
	s_cbranch_vccz .LBB370_59
; %bb.56:
	v_cndmask_b32_e64 v33, 0, 1, s1
	s_waitcnt vmcnt(0) lgkmcnt(2)
	v_cndmask_b32_e64 v35, 0, 1, s5
	v_cndmask_b32_e64 v37, 0, 1, s7
	;; [unrolled: 1-line block ×6, first 2 shown]
	v_lshlrev_b16 v35, 8, v35
	v_lshlrev_b16 v33, 8, v33
	;; [unrolled: 1-line block ×4, first 2 shown]
	s_waitcnt lgkmcnt(0)
	v_or_b32_e32 v35, v36, v35
	v_or_b32_e32 v33, v34, v33
	;; [unrolled: 1-line block ×4, first 2 shown]
	s_barrier
	v_and_b32_e32 v35, 0xffff, v35
	v_lshlrev_b32_e32 v33, 16, v33
	v_lshlrev_b32_e32 v37, 16, v34
	v_and_b32_e32 v36, 0xffff, v36
	buffer_gl0_inv
                                        ; implicit-def: $sgpr0
	v_or_b32_e32 v34, v35, v33
	v_or_b32_e32 v33, v36, v37
	s_and_saveexec_b32 s1, s3
	s_delay_alu instid0(SALU_CYCLE_1)
	s_xor_b32 s1, exec_lo, s1
	s_cbranch_execz .LBB370_58
; %bb.57:
	v_add_nc_u32_e32 v35, -8, v55
	s_or_b32 s14, s14, exec_lo
	ds_load_b64 v[35:36], v35
	s_waitcnt lgkmcnt(0)
	v_cmp_ne_u64_e32 vcc_lo, v[35:36], v[29:30]
	s_and_b32 s0, vcc_lo, exec_lo
.LBB370_58:
	s_or_b32 exec_lo, exec_lo, s1
	s_branch .LBB370_63
.LBB370_59:
                                        ; implicit-def: $sgpr0
                                        ; implicit-def: $vgpr34
	s_cbranch_execz .LBB370_63
; %bb.60:
	v_or_b32_e32 v33, 7, v55
	v_or_b32_e32 v34, 6, v55
	v_cmp_ne_u64_e32 vcc_lo, v[17:18], v[19:20]
	v_cmp_ne_u64_e64 s0, v[23:24], v[17:18]
	s_waitcnt vmcnt(0) lgkmcnt(2)
	v_or_b32_e32 v35, 4, v55
	v_cmp_gt_u32_e64 s1, s25, v33
	v_or_b32_e32 v33, 5, v55
	v_cmp_gt_u32_e64 s5, s25, v34
	v_cmp_ne_u64_e64 s4, v[21:22], v[23:24]
	v_cmp_ne_u64_e64 s6, v[27:28], v[21:22]
	s_and_b32 s1, s1, vcc_lo
	v_cmp_gt_u32_e32 vcc_lo, s25, v33
	v_cndmask_b32_e64 v34, 0, 1, s1
	v_cmp_gt_u32_e64 s1, s25, v35
	s_and_b32 s0, s5, s0
	v_or_b32_e32 v36, 3, v55
	v_cndmask_b32_e64 v33, 0, 1, s0
	s_and_b32 s0, vcc_lo, s4
	v_or_b32_e32 v38, 1, v55
	v_cndmask_b32_e64 v35, 0, 1, s0
	s_and_b32 s0, s1, s6
	v_cmp_ne_u64_e32 vcc_lo, v[25:26], v[27:28]
	v_cndmask_b32_e64 v37, 0, 1, s0
	v_cmp_gt_u32_e64 s0, s25, v36
	v_cmp_ne_u64_e64 s1, v[29:30], v[31:32]
	v_or_b32_e32 v39, 2, v55
	v_cmp_gt_u32_e64 s4, s25, v38
	v_cmp_ne_u64_e64 s5, v[31:32], v[25:26]
	s_and_b32 s0, s0, vcc_lo
	v_lshlrev_b16 v35, 8, v35
	v_cmp_gt_u32_e64 s6, s25, v39
	v_cndmask_b32_e64 v36, 0, 1, s0
	s_and_b32 s0, s4, s1
	v_lshlrev_b16 v34, 8, v34
	v_cndmask_b32_e64 v38, 0, 1, s0
	s_and_b32 s0, s6, s5
	v_lshlrev_b16 v36, 8, v36
	v_cndmask_b32_e64 v39, 0, 1, s0
	v_or_b32_e32 v35, v37, v35
	v_lshlrev_b16 v38, 8, v38
	v_or_b32_e32 v33, v33, v34
	s_waitcnt lgkmcnt(0)
	v_or_b32_e32 v34, v39, v36
	v_and_b32_e32 v35, 0xffff, v35
	v_or_b32_e32 v36, 1, v38
	v_lshlrev_b32_e32 v33, 16, v33
	s_barrier
	v_lshlrev_b32_e32 v37, 16, v34
	buffer_gl0_inv
	v_and_b32_e32 v36, 0xffff, v36
	v_or_b32_e32 v34, v35, v33
                                        ; implicit-def: $sgpr0
	s_delay_alu instid0(VALU_DEP_2)
	v_or_b32_e32 v33, v36, v37
	s_and_saveexec_b32 s1, s3
	s_cbranch_execz .LBB370_62
; %bb.61:
	v_add_nc_u32_e32 v35, -8, v55
	v_cmp_gt_u32_e64 s0, s25, v55
	s_or_b32 s14, s14, exec_lo
	ds_load_b64 v[35:36], v35
	s_waitcnt lgkmcnt(0)
	v_cmp_ne_u64_e32 vcc_lo, v[35:36], v[29:30]
	s_and_b32 s0, s0, vcc_lo
	s_delay_alu instid0(SALU_CYCLE_1)
	s_and_b32 s0, s0, exec_lo
.LBB370_62:
	s_or_b32 exec_lo, exec_lo, s1
.LBB370_63:
	s_and_saveexec_b32 s1, s14
	s_cbranch_execz .LBB370_65
; %bb.64:
	s_waitcnt vmcnt(0) lgkmcnt(1)
	v_and_b32_e32 v35, 0xffffff00, v33
	v_cndmask_b32_e64 v36, 0, 1, s0
	s_delay_alu instid0(VALU_DEP_1) | instskip(NEXT) | instid1(VALU_DEP_1)
	v_or_b32_e32 v35, v36, v35
	v_and_b32_e32 v35, 0xffff, v35
	s_delay_alu instid0(VALU_DEP_1)
	v_and_or_b32 v33, 0xffff0000, v33, v35
.LBB370_65:
	s_or_b32 exec_lo, exec_lo, s1
	s_delay_alu instid0(SALU_CYCLE_1)
	s_and_not1_b32 vcc_lo, exec_lo, s26
	s_cbranch_vccnz .LBB370_67
; %bb.66:
	v_cmp_gt_u32_e32 vcc_lo, s25, v55
	s_waitcnt vmcnt(0) lgkmcnt(1)
	v_or_b32_e32 v36, 1, v55
	v_and_b32_e32 v37, 0xffffff00, v34
	v_or_b32_e32 v38, 2, v55
	v_cndmask_b32_e32 v35, 0, v33, vcc_lo
	s_delay_alu instid0(VALU_DEP_4) | instskip(SKIP_1) | instid1(VALU_DEP_4)
	v_cmp_gt_u32_e32 vcc_lo, s25, v36
	v_or_b32_e32 v36, 4, v55
	v_cmp_gt_u32_e64 s0, s25, v38
	v_or_b32_e32 v38, 3, v55
	v_and_b32_e32 v35, 0xff, v35
	s_delay_alu instid0(VALU_DEP_2) | instskip(NEXT) | instid1(VALU_DEP_2)
	v_cmp_gt_u32_e64 s1, s25, v38
	v_cndmask_b32_e32 v35, v35, v33, vcc_lo
	v_cmp_gt_u32_e32 vcc_lo, s25, v36
	v_cndmask_b32_e32 v36, v37, v34, vcc_lo
	v_or_b32_e32 v37, 5, v55
	s_delay_alu instid0(VALU_DEP_2) | instskip(SKIP_1) | instid1(VALU_DEP_1)
	v_and_b32_e32 v36, 0xffff00ff, v36
	v_and_b32_e32 v35, 0xffff, v35
	v_cndmask_b32_e64 v35, v35, v33, s0
	s_delay_alu instid0(VALU_DEP_4) | instskip(SKIP_1) | instid1(VALU_DEP_3)
	v_cmp_gt_u32_e64 s0, s25, v37
	v_or_b32_e32 v37, 6, v55
	v_and_b32_e32 v35, 0xffffff, v35
	s_delay_alu instid0(VALU_DEP_3) | instskip(NEXT) | instid1(VALU_DEP_2)
	v_cndmask_b32_e64 v36, v36, v34, s0
	v_cndmask_b32_e64 v35, v35, v33, s1
	s_delay_alu instid0(VALU_DEP_1) | instskip(SKIP_2) | instid1(VALU_DEP_3)
	v_dual_cndmask_b32 v35, v35, v33 :: v_dual_and_b32 v36, 0xff00ffff, v36
	v_cmp_gt_u32_e32 vcc_lo, s25, v37
	v_or_b32_e32 v37, 7, v55
	v_cndmask_b32_e64 v35, v35, v33, s0
	s_delay_alu instid0(VALU_DEP_1) | instskip(NEXT) | instid1(VALU_DEP_1)
	v_dual_cndmask_b32 v36, v36, v34 :: v_dual_cndmask_b32 v35, v35, v33
	v_and_b32_e32 v36, 0xffffff, v36
	s_delay_alu instid0(VALU_DEP_4) | instskip(NEXT) | instid1(VALU_DEP_2)
	v_cmp_gt_u32_e32 vcc_lo, s25, v37
	v_dual_cndmask_b32 v34, v36, v34 :: v_dual_cndmask_b32 v33, v35, v33
.LBB370_67:
	s_delay_alu instid0(VALU_DEP_1) | instskip(SKIP_1) | instid1(VALU_DEP_2)
	v_and_b32_e32 v44, 0xff, v33
	s_waitcnt vmcnt(0) lgkmcnt(1)
	v_alignbit_b32 v35, v34, v33, 24
	v_bfe_u32 v46, v33, 8, 8
	v_bfe_u32 v48, v33, 16, 8
	v_and_b32_e32 v52, 0xff, v34
	v_bfe_u32 v54, v34, 8, 8
	v_and_b32_e32 v50, 0xff, v35
	v_add_nc_u32_e32 v35, v46, v44
	v_mbcnt_lo_u32_b32 v58, -1, 0
	v_bfe_u32 v57, v34, 16, 8
	v_lshrrev_b32_e32 v56, 24, v34
	v_lshrrev_b32_e32 v59, 5, v0
	v_add3_u32 v35, v35, v48, v50
	v_and_b32_e32 v36, 15, v58
	v_and_b32_e32 v37, 16, v58
	s_and_b32 vcc_lo, exec_lo, s9
	s_mov_b32 s7, -1
	v_add3_u32 v35, v35, v52, v54
	v_cmp_eq_u32_e64 s3, 0, v36
	v_cmp_lt_u32_e64 s0, 1, v36
	v_cmp_lt_u32_e64 s4, 3, v36
	;; [unrolled: 1-line block ×3, first 2 shown]
	v_add3_u32 v60, v35, v57, v56
	v_or_b32_e32 v35, 31, v0
	v_cmp_eq_u32_e64 s6, 0, v37
	s_waitcnt lgkmcnt(0)
	s_barrier
	buffer_gl0_inv
	v_cmp_eq_u32_e64 s5, v35, v0
	s_cbranch_vccz .LBB370_93
; %bb.68:
	v_mov_b32_dpp v35, v60 row_shr:1 row_mask:0xf bank_mask:0xf
	s_delay_alu instid0(VALU_DEP_1) | instskip(NEXT) | instid1(VALU_DEP_1)
	v_cndmask_b32_e64 v35, v35, 0, s3
	v_add_nc_u32_e32 v35, v35, v60
	s_delay_alu instid0(VALU_DEP_1) | instskip(NEXT) | instid1(VALU_DEP_1)
	v_mov_b32_dpp v36, v35 row_shr:2 row_mask:0xf bank_mask:0xf
	v_cndmask_b32_e64 v36, 0, v36, s0
	s_delay_alu instid0(VALU_DEP_1) | instskip(NEXT) | instid1(VALU_DEP_1)
	v_add_nc_u32_e32 v35, v35, v36
	v_mov_b32_dpp v36, v35 row_shr:4 row_mask:0xf bank_mask:0xf
	s_delay_alu instid0(VALU_DEP_1) | instskip(NEXT) | instid1(VALU_DEP_1)
	v_cndmask_b32_e64 v36, 0, v36, s4
	v_add_nc_u32_e32 v35, v35, v36
	s_delay_alu instid0(VALU_DEP_1) | instskip(NEXT) | instid1(VALU_DEP_1)
	v_mov_b32_dpp v36, v35 row_shr:8 row_mask:0xf bank_mask:0xf
	v_cndmask_b32_e64 v36, 0, v36, s1
	s_delay_alu instid0(VALU_DEP_1) | instskip(SKIP_3) | instid1(VALU_DEP_1)
	v_add_nc_u32_e32 v35, v35, v36
	ds_swizzle_b32 v36, v35 offset:swizzle(BROADCAST,32,15)
	s_waitcnt lgkmcnt(0)
	v_cndmask_b32_e64 v36, v36, 0, s6
	v_add_nc_u32_e32 v35, v35, v36
	s_and_saveexec_b32 s7, s5
	s_cbranch_execz .LBB370_70
; %bb.69:
	v_lshlrev_b32_e32 v36, 2, v59
	ds_store_b32 v36, v35
.LBB370_70:
	s_or_b32 exec_lo, exec_lo, s7
	s_delay_alu instid0(SALU_CYCLE_1)
	s_mov_b32 s7, exec_lo
	s_waitcnt lgkmcnt(0)
	s_barrier
	buffer_gl0_inv
	v_cmpx_gt_u32_e32 16, v0
	s_cbranch_execz .LBB370_72
; %bb.71:
	v_lshlrev_b32_e32 v36, 2, v0
	ds_load_b32 v37, v36
	s_waitcnt lgkmcnt(0)
	v_mov_b32_dpp v38, v37 row_shr:1 row_mask:0xf bank_mask:0xf
	s_delay_alu instid0(VALU_DEP_1) | instskip(NEXT) | instid1(VALU_DEP_1)
	v_cndmask_b32_e64 v38, v38, 0, s3
	v_add_nc_u32_e32 v37, v38, v37
	s_delay_alu instid0(VALU_DEP_1) | instskip(NEXT) | instid1(VALU_DEP_1)
	v_mov_b32_dpp v38, v37 row_shr:2 row_mask:0xf bank_mask:0xf
	v_cndmask_b32_e64 v38, 0, v38, s0
	s_delay_alu instid0(VALU_DEP_1) | instskip(NEXT) | instid1(VALU_DEP_1)
	v_add_nc_u32_e32 v37, v37, v38
	v_mov_b32_dpp v38, v37 row_shr:4 row_mask:0xf bank_mask:0xf
	s_delay_alu instid0(VALU_DEP_1) | instskip(NEXT) | instid1(VALU_DEP_1)
	v_cndmask_b32_e64 v38, 0, v38, s4
	v_add_nc_u32_e32 v37, v37, v38
	s_delay_alu instid0(VALU_DEP_1) | instskip(NEXT) | instid1(VALU_DEP_1)
	v_mov_b32_dpp v38, v37 row_shr:8 row_mask:0xf bank_mask:0xf
	v_cndmask_b32_e64 v38, 0, v38, s1
	s_delay_alu instid0(VALU_DEP_1)
	v_add_nc_u32_e32 v37, v37, v38
	ds_store_b32 v36, v37
.LBB370_72:
	s_or_b32 exec_lo, exec_lo, s7
	v_cmp_gt_u32_e32 vcc_lo, 32, v0
	s_mov_b32 s8, exec_lo
	s_waitcnt lgkmcnt(0)
	s_barrier
	buffer_gl0_inv
                                        ; implicit-def: $vgpr43
	v_cmpx_lt_u32_e32 31, v0
	s_cbranch_execz .LBB370_74
; %bb.73:
	v_lshl_add_u32 v36, v59, 2, -4
	ds_load_b32 v43, v36
	s_waitcnt lgkmcnt(0)
	v_add_nc_u32_e32 v35, v43, v35
.LBB370_74:
	s_or_b32 exec_lo, exec_lo, s8
	v_add_nc_u32_e32 v36, -1, v58
	s_delay_alu instid0(VALU_DEP_1) | instskip(NEXT) | instid1(VALU_DEP_1)
	v_cmp_gt_i32_e64 s7, 0, v36
	v_cndmask_b32_e64 v36, v36, v58, s7
	v_cmp_eq_u32_e64 s7, 0, v58
	s_delay_alu instid0(VALU_DEP_2)
	v_lshlrev_b32_e32 v36, 2, v36
	ds_bpermute_b32 v45, v36, v35
	s_and_saveexec_b32 s8, vcc_lo
	s_cbranch_execz .LBB370_92
; %bb.75:
	v_mov_b32_e32 v39, 0
	ds_load_b32 v35, v39 offset:60
	s_and_saveexec_b32 s9, s7
	s_cbranch_execz .LBB370_77
; %bb.76:
	s_add_i32 s14, s24, 32
	s_mov_b32 s15, 0
	v_mov_b32_e32 v36, 1
	s_lshl_b64 s[14:15], s[14:15], 3
	s_delay_alu instid0(SALU_CYCLE_1)
	s_add_u32 s14, s20, s14
	s_addc_u32 s15, s21, s15
	s_waitcnt lgkmcnt(0)
	global_store_b64 v39, v[35:36], s[14:15]
.LBB370_77:
	s_or_b32 exec_lo, exec_lo, s9
	v_xad_u32 v37, v58, -1, s24
	s_mov_b32 s14, 0
	s_mov_b32 s9, exec_lo
	s_delay_alu instid0(VALU_DEP_1) | instskip(NEXT) | instid1(VALU_DEP_1)
	v_add_nc_u32_e32 v38, 32, v37
	v_lshlrev_b64 v[38:39], 3, v[38:39]
	s_delay_alu instid0(VALU_DEP_1) | instskip(NEXT) | instid1(VALU_DEP_2)
	v_add_co_u32 v41, vcc_lo, s20, v38
	v_add_co_ci_u32_e32 v42, vcc_lo, s21, v39, vcc_lo
	global_load_b64 v[39:40], v[41:42], off glc
	s_waitcnt vmcnt(0)
	v_and_b32_e32 v36, 0xff, v40
	s_delay_alu instid0(VALU_DEP_1)
	v_cmpx_eq_u16_e32 0, v36
	s_cbranch_execz .LBB370_80
.LBB370_78:                             ; =>This Inner Loop Header: Depth=1
	global_load_b64 v[39:40], v[41:42], off glc
	s_waitcnt vmcnt(0)
	v_and_b32_e32 v36, 0xff, v40
	s_delay_alu instid0(VALU_DEP_1) | instskip(SKIP_1) | instid1(SALU_CYCLE_1)
	v_cmp_ne_u16_e32 vcc_lo, 0, v36
	s_or_b32 s14, vcc_lo, s14
	s_and_not1_b32 exec_lo, exec_lo, s14
	s_cbranch_execnz .LBB370_78
; %bb.79:
	s_or_b32 exec_lo, exec_lo, s14
.LBB370_80:
	s_delay_alu instid0(SALU_CYCLE_1)
	s_or_b32 exec_lo, exec_lo, s9
	v_cmp_ne_u32_e32 vcc_lo, 31, v58
	v_lshlrev_b32_e64 v49, v58, -1
	v_add_nc_u32_e32 v53, 2, v58
	v_add_nc_u32_e32 v66, 16, v58
	v_add_co_ci_u32_e32 v36, vcc_lo, 0, v58, vcc_lo
	s_delay_alu instid0(VALU_DEP_1)
	v_lshlrev_b32_e32 v47, 2, v36
	v_and_b32_e32 v36, 0xff, v40
	ds_bpermute_b32 v38, v47, v39
	v_cmp_eq_u16_e32 vcc_lo, 2, v36
	v_and_or_b32 v36, vcc_lo, v49, 0x80000000
	v_cmp_gt_u32_e32 vcc_lo, 30, v58
	s_delay_alu instid0(VALU_DEP_2) | instskip(SKIP_1) | instid1(VALU_DEP_2)
	v_ctz_i32_b32_e32 v36, v36
	v_cndmask_b32_e64 v41, 0, 1, vcc_lo
	v_cmp_lt_u32_e32 vcc_lo, v58, v36
	s_waitcnt lgkmcnt(0)
	s_delay_alu instid0(VALU_DEP_2) | instskip(NEXT) | instid1(VALU_DEP_1)
	v_dual_cndmask_b32 v38, 0, v38 :: v_dual_lshlrev_b32 v41, 1, v41
	v_add_lshl_u32 v51, v41, v58, 2
	v_cmp_gt_u32_e32 vcc_lo, 28, v58
	s_delay_alu instid0(VALU_DEP_3) | instskip(SKIP_4) | instid1(VALU_DEP_1)
	v_add_nc_u32_e32 v38, v38, v39
	v_cndmask_b32_e64 v41, 0, 1, vcc_lo
	v_cmp_le_u32_e32 vcc_lo, v53, v36
	ds_bpermute_b32 v39, v51, v38
	v_lshlrev_b32_e32 v41, 2, v41
	v_add_lshl_u32 v61, v41, v58, 2
	s_waitcnt lgkmcnt(0)
	v_cndmask_b32_e32 v39, 0, v39, vcc_lo
	v_cmp_gt_u32_e32 vcc_lo, 24, v58
	s_delay_alu instid0(VALU_DEP_2) | instskip(SKIP_4) | instid1(VALU_DEP_2)
	v_add_nc_u32_e32 v38, v38, v39
	v_cndmask_b32_e64 v41, 0, 1, vcc_lo
	ds_bpermute_b32 v39, v61, v38
	v_add_nc_u32_e32 v62, 4, v58
	v_lshlrev_b32_e32 v41, 3, v41
	v_cmp_le_u32_e32 vcc_lo, v62, v36
	s_delay_alu instid0(VALU_DEP_2) | instskip(SKIP_3) | instid1(VALU_DEP_2)
	v_add_lshl_u32 v63, v41, v58, 2
	s_waitcnt lgkmcnt(0)
	v_cndmask_b32_e32 v39, 0, v39, vcc_lo
	v_cmp_gt_u32_e32 vcc_lo, 16, v58
	v_add_nc_u32_e32 v38, v38, v39
	v_cndmask_b32_e64 v41, 0, 1, vcc_lo
	ds_bpermute_b32 v39, v63, v38
	v_add_nc_u32_e32 v64, 8, v58
	v_lshlrev_b32_e32 v41, 4, v41
	s_delay_alu instid0(VALU_DEP_2) | instskip(NEXT) | instid1(VALU_DEP_2)
	v_cmp_le_u32_e32 vcc_lo, v64, v36
	v_add_lshl_u32 v65, v41, v58, 2
	s_waitcnt lgkmcnt(0)
	v_cndmask_b32_e32 v39, 0, v39, vcc_lo
	v_cmp_le_u32_e32 vcc_lo, v66, v36
	s_delay_alu instid0(VALU_DEP_2) | instskip(SKIP_3) | instid1(VALU_DEP_1)
	v_add_nc_u32_e32 v38, v38, v39
	ds_bpermute_b32 v39, v65, v38
	s_waitcnt lgkmcnt(0)
	v_cndmask_b32_e32 v36, 0, v39, vcc_lo
	v_dual_mov_b32 v38, 0 :: v_dual_add_nc_u32 v39, v38, v36
	s_branch .LBB370_82
.LBB370_81:                             ;   in Loop: Header=BB370_82 Depth=1
	s_or_b32 exec_lo, exec_lo, s9
	ds_bpermute_b32 v42, v47, v39
	v_and_b32_e32 v41, 0xff, v40
	v_subrev_nc_u32_e32 v37, 32, v37
	s_delay_alu instid0(VALU_DEP_2) | instskip(SKIP_1) | instid1(VALU_DEP_1)
	v_cmp_eq_u16_e32 vcc_lo, 2, v41
	v_and_or_b32 v41, vcc_lo, v49, 0x80000000
	v_ctz_i32_b32_e32 v41, v41
	s_delay_alu instid0(VALU_DEP_1) | instskip(SKIP_3) | instid1(VALU_DEP_2)
	v_cmp_lt_u32_e32 vcc_lo, v58, v41
	s_waitcnt lgkmcnt(0)
	v_cndmask_b32_e32 v42, 0, v42, vcc_lo
	v_cmp_le_u32_e32 vcc_lo, v53, v41
	v_add_nc_u32_e32 v39, v42, v39
	ds_bpermute_b32 v42, v51, v39
	s_waitcnt lgkmcnt(0)
	v_cndmask_b32_e32 v42, 0, v42, vcc_lo
	v_cmp_le_u32_e32 vcc_lo, v62, v41
	s_delay_alu instid0(VALU_DEP_2) | instskip(SKIP_4) | instid1(VALU_DEP_2)
	v_add_nc_u32_e32 v39, v39, v42
	ds_bpermute_b32 v42, v61, v39
	s_waitcnt lgkmcnt(0)
	v_cndmask_b32_e32 v42, 0, v42, vcc_lo
	v_cmp_le_u32_e32 vcc_lo, v64, v41
	v_add_nc_u32_e32 v39, v39, v42
	ds_bpermute_b32 v42, v63, v39
	s_waitcnt lgkmcnt(0)
	v_cndmask_b32_e32 v42, 0, v42, vcc_lo
	v_cmp_le_u32_e32 vcc_lo, v66, v41
	s_delay_alu instid0(VALU_DEP_2) | instskip(SKIP_3) | instid1(VALU_DEP_1)
	v_add_nc_u32_e32 v39, v39, v42
	ds_bpermute_b32 v42, v65, v39
	s_waitcnt lgkmcnt(0)
	v_cndmask_b32_e32 v41, 0, v42, vcc_lo
	v_add3_u32 v39, v41, v36, v39
.LBB370_82:                             ; =>This Loop Header: Depth=1
                                        ;     Child Loop BB370_85 Depth 2
	v_and_b32_e32 v36, 0xff, v40
	s_delay_alu instid0(VALU_DEP_1) | instskip(SKIP_2) | instid1(VALU_DEP_1)
	v_cmp_ne_u16_e32 vcc_lo, 2, v36
	v_cndmask_b32_e64 v36, 0, 1, vcc_lo
	;;#ASMSTART
	;;#ASMEND
	v_cmp_ne_u32_e32 vcc_lo, 0, v36
	v_mov_b32_e32 v36, v39
	s_cmp_lg_u32 vcc_lo, exec_lo
	s_cbranch_scc1 .LBB370_87
; %bb.83:                               ;   in Loop: Header=BB370_82 Depth=1
	v_lshlrev_b64 v[39:40], 3, v[37:38]
	s_mov_b32 s9, exec_lo
	s_delay_alu instid0(VALU_DEP_1) | instskip(NEXT) | instid1(VALU_DEP_2)
	v_add_co_u32 v41, vcc_lo, s20, v39
	v_add_co_ci_u32_e32 v42, vcc_lo, s21, v40, vcc_lo
	global_load_b64 v[39:40], v[41:42], off glc
	s_waitcnt vmcnt(0)
	v_and_b32_e32 v67, 0xff, v40
	s_delay_alu instid0(VALU_DEP_1)
	v_cmpx_eq_u16_e32 0, v67
	s_cbranch_execz .LBB370_81
; %bb.84:                               ;   in Loop: Header=BB370_82 Depth=1
	s_mov_b32 s14, 0
.LBB370_85:                             ;   Parent Loop BB370_82 Depth=1
                                        ; =>  This Inner Loop Header: Depth=2
	global_load_b64 v[39:40], v[41:42], off glc
	s_waitcnt vmcnt(0)
	v_and_b32_e32 v67, 0xff, v40
	s_delay_alu instid0(VALU_DEP_1) | instskip(SKIP_1) | instid1(SALU_CYCLE_1)
	v_cmp_ne_u16_e32 vcc_lo, 0, v67
	s_or_b32 s14, vcc_lo, s14
	s_and_not1_b32 exec_lo, exec_lo, s14
	s_cbranch_execnz .LBB370_85
; %bb.86:                               ;   in Loop: Header=BB370_82 Depth=1
	s_or_b32 exec_lo, exec_lo, s14
	s_branch .LBB370_81
.LBB370_87:                             ;   in Loop: Header=BB370_82 Depth=1
                                        ; implicit-def: $vgpr39
                                        ; implicit-def: $vgpr40
	s_cbranch_execz .LBB370_82
; %bb.88:
	s_and_saveexec_b32 s9, s7
	s_cbranch_execz .LBB370_90
; %bb.89:
	s_add_i32 s14, s24, 32
	s_mov_b32 s15, 0
	v_dual_mov_b32 v38, 2 :: v_dual_add_nc_u32 v37, v36, v35
	s_lshl_b64 s[14:15], s[14:15], 3
	v_mov_b32_e32 v39, 0
	s_add_u32 s14, s20, s14
	s_addc_u32 s15, s21, s15
	global_store_b64 v39, v[37:38], s[14:15]
	ds_store_b64 v39, v[35:36] offset:33792
.LBB370_90:
	s_or_b32 exec_lo, exec_lo, s9
	s_delay_alu instid0(SALU_CYCLE_1)
	s_and_b32 exec_lo, exec_lo, s2
	s_cbranch_execz .LBB370_92
; %bb.91:
	v_mov_b32_e32 v35, 0
	ds_store_b32 v35, v36 offset:60
.LBB370_92:
	s_or_b32 exec_lo, exec_lo, s8
	v_mov_b32_e32 v35, 0
	s_waitcnt lgkmcnt(0)
	s_waitcnt_vscnt null, 0x0
	s_barrier
	buffer_gl0_inv
	v_cndmask_b32_e64 v37, v45, v43, s7
	ds_load_b32 v36, v35 offset:60
	s_waitcnt lgkmcnt(0)
	s_barrier
	buffer_gl0_inv
	v_cndmask_b32_e64 v37, v37, 0, s2
	s_delay_alu instid0(VALU_DEP_1) | instskip(SKIP_2) | instid1(VALU_DEP_1)
	v_add_nc_u32_e32 v53, v36, v37
	ds_load_b64 v[35:36], v35 offset:33792
	v_add_nc_u32_e32 v51, v53, v44
	v_add_nc_u32_e32 v49, v51, v46
	s_delay_alu instid0(VALU_DEP_1) | instskip(NEXT) | instid1(VALU_DEP_1)
	v_add_nc_u32_e32 v47, v49, v48
	v_add_nc_u32_e32 v45, v47, v50
	s_waitcnt lgkmcnt(0)
	v_readfirstlane_b32 s8, v36
	s_delay_alu instid0(VALU_DEP_2) | instskip(NEXT) | instid1(VALU_DEP_1)
	v_add_nc_u32_e32 v43, v45, v52
	v_add_nc_u32_e32 v41, v43, v54
	s_delay_alu instid0(VALU_DEP_1)
	v_add_nc_u32_e32 v39, v41, v57
	v_lshrrev_b64 v[37:38], 24, v[33:34]
	s_branch .LBB370_103
.LBB370_93:
                                        ; implicit-def: $vgpr39
                                        ; implicit-def: $vgpr41
                                        ; implicit-def: $vgpr43
                                        ; implicit-def: $vgpr45
                                        ; implicit-def: $vgpr47
                                        ; implicit-def: $vgpr49
                                        ; implicit-def: $vgpr51
                                        ; implicit-def: $vgpr53
                                        ; implicit-def: $sgpr8
                                        ; implicit-def: $vgpr35
	v_lshrrev_b64 v[37:38], 24, v[33:34]
	s_and_b32 vcc_lo, exec_lo, s7
	s_cbranch_vccz .LBB370_103
; %bb.94:
	v_mov_b32_dpp v35, v60 row_shr:1 row_mask:0xf bank_mask:0xf
	s_delay_alu instid0(VALU_DEP_1) | instskip(NEXT) | instid1(VALU_DEP_1)
	v_cndmask_b32_e64 v35, v35, 0, s3
	v_add_nc_u32_e32 v35, v35, v60
	s_delay_alu instid0(VALU_DEP_1) | instskip(NEXT) | instid1(VALU_DEP_1)
	v_mov_b32_dpp v36, v35 row_shr:2 row_mask:0xf bank_mask:0xf
	v_cndmask_b32_e64 v36, 0, v36, s0
	s_delay_alu instid0(VALU_DEP_1) | instskip(NEXT) | instid1(VALU_DEP_1)
	v_add_nc_u32_e32 v35, v35, v36
	v_mov_b32_dpp v36, v35 row_shr:4 row_mask:0xf bank_mask:0xf
	s_delay_alu instid0(VALU_DEP_1) | instskip(NEXT) | instid1(VALU_DEP_1)
	v_cndmask_b32_e64 v36, 0, v36, s4
	v_add_nc_u32_e32 v35, v35, v36
	s_delay_alu instid0(VALU_DEP_1) | instskip(NEXT) | instid1(VALU_DEP_1)
	v_mov_b32_dpp v36, v35 row_shr:8 row_mask:0xf bank_mask:0xf
	v_cndmask_b32_e64 v36, 0, v36, s1
	s_delay_alu instid0(VALU_DEP_1) | instskip(SKIP_3) | instid1(VALU_DEP_1)
	v_add_nc_u32_e32 v35, v35, v36
	ds_swizzle_b32 v36, v35 offset:swizzle(BROADCAST,32,15)
	s_waitcnt lgkmcnt(0)
	v_cndmask_b32_e64 v36, v36, 0, s6
	v_add_nc_u32_e32 v35, v35, v36
	s_and_saveexec_b32 s6, s5
	s_cbranch_execz .LBB370_96
; %bb.95:
	v_lshlrev_b32_e32 v36, 2, v59
	ds_store_b32 v36, v35
.LBB370_96:
	s_or_b32 exec_lo, exec_lo, s6
	s_delay_alu instid0(SALU_CYCLE_1)
	s_mov_b32 s5, exec_lo
	s_waitcnt lgkmcnt(0)
	s_barrier
	buffer_gl0_inv
	v_cmpx_gt_u32_e32 16, v0
	s_cbranch_execz .LBB370_98
; %bb.97:
	v_lshlrev_b32_e32 v36, 2, v0
	ds_load_b32 v38, v36
	s_waitcnt lgkmcnt(0)
	v_mov_b32_dpp v39, v38 row_shr:1 row_mask:0xf bank_mask:0xf
	s_delay_alu instid0(VALU_DEP_1) | instskip(NEXT) | instid1(VALU_DEP_1)
	v_cndmask_b32_e64 v39, v39, 0, s3
	v_add_nc_u32_e32 v38, v39, v38
	s_delay_alu instid0(VALU_DEP_1) | instskip(NEXT) | instid1(VALU_DEP_1)
	v_mov_b32_dpp v39, v38 row_shr:2 row_mask:0xf bank_mask:0xf
	v_cndmask_b32_e64 v39, 0, v39, s0
	s_delay_alu instid0(VALU_DEP_1) | instskip(NEXT) | instid1(VALU_DEP_1)
	v_add_nc_u32_e32 v38, v38, v39
	v_mov_b32_dpp v39, v38 row_shr:4 row_mask:0xf bank_mask:0xf
	s_delay_alu instid0(VALU_DEP_1) | instskip(NEXT) | instid1(VALU_DEP_1)
	v_cndmask_b32_e64 v39, 0, v39, s4
	v_add_nc_u32_e32 v38, v38, v39
	s_delay_alu instid0(VALU_DEP_1) | instskip(NEXT) | instid1(VALU_DEP_1)
	v_mov_b32_dpp v39, v38 row_shr:8 row_mask:0xf bank_mask:0xf
	v_cndmask_b32_e64 v39, 0, v39, s1
	s_delay_alu instid0(VALU_DEP_1)
	v_add_nc_u32_e32 v38, v38, v39
	ds_store_b32 v36, v38
.LBB370_98:
	s_or_b32 exec_lo, exec_lo, s5
	v_mov_b32_e32 v36, 0
	v_mov_b32_e32 v38, 0
	s_mov_b32 s0, exec_lo
	s_waitcnt lgkmcnt(0)
	s_barrier
	buffer_gl0_inv
	v_cmpx_lt_u32_e32 31, v0
	s_cbranch_execz .LBB370_100
; %bb.99:
	v_lshl_add_u32 v38, v59, 2, -4
	ds_load_b32 v38, v38
.LBB370_100:
	s_or_b32 exec_lo, exec_lo, s0
	v_add_nc_u32_e32 v39, -1, v58
	s_waitcnt lgkmcnt(0)
	v_add_nc_u32_e32 v35, v38, v35
	s_mov_b32 s8, 0
	s_delay_alu instid0(VALU_DEP_2) | instskip(SKIP_1) | instid1(VALU_DEP_1)
	v_cmp_gt_i32_e32 vcc_lo, 0, v39
	v_cndmask_b32_e32 v39, v39, v58, vcc_lo
	v_lshlrev_b32_e32 v39, 2, v39
	ds_bpermute_b32 v39, v39, v35
	ds_load_b32 v35, v36 offset:60
	s_and_saveexec_b32 s0, s2
	s_cbranch_execz .LBB370_102
; %bb.101:
	v_mov_b32_e32 v40, 0
	v_mov_b32_e32 v36, 2
	s_waitcnt lgkmcnt(0)
	global_store_b64 v40, v[35:36], s[20:21] offset:256
.LBB370_102:
	s_or_b32 exec_lo, exec_lo, s0
	v_cmp_eq_u32_e32 vcc_lo, 0, v58
	s_waitcnt lgkmcnt(0)
	s_waitcnt_vscnt null, 0x0
	s_barrier
	buffer_gl0_inv
	v_cndmask_b32_e32 v36, v39, v38, vcc_lo
	s_delay_alu instid0(VALU_DEP_1) | instskip(NEXT) | instid1(VALU_DEP_1)
	v_cndmask_b32_e64 v53, v36, 0, s2
	v_add_nc_u32_e32 v51, v53, v44
	s_delay_alu instid0(VALU_DEP_1) | instskip(NEXT) | instid1(VALU_DEP_1)
	v_add_nc_u32_e32 v49, v51, v46
	v_add_nc_u32_e32 v47, v49, v48
	s_delay_alu instid0(VALU_DEP_1) | instskip(NEXT) | instid1(VALU_DEP_1)
	v_add_nc_u32_e32 v45, v47, v50
	;; [unrolled: 3-line block ×3, first 2 shown]
	v_add_nc_u32_e32 v39, v41, v57
.LBB370_103:
	v_add_nc_u32_e32 v59, s8, v35
	v_cmp_gt_u32_e64 s0, 0x201, v35
	v_lshrrev_b32_e32 v58, 8, v33
	v_lshrrev_b32_e32 v57, 16, v33
	;; [unrolled: 1-line block ×4, first 2 shown]
	v_cmp_lt_u32_e64 s1, v53, v59
	s_and_b32 vcc_lo, exec_lo, s0
	s_mov_b32 s3, -1
	s_cbranch_vccz .LBB370_129
; %bb.104:
	s_lshl_b64 s[4:5], s[10:11], 3
	s_delay_alu instid0(SALU_CYCLE_1) | instskip(SKIP_2) | instid1(SALU_CYCLE_1)
	s_add_u32 s3, s16, s4
	s_addc_u32 s4, s17, s5
	s_or_b32 s5, s23, s1
	s_and_saveexec_b32 s1, s5
	s_cbranch_execz .LBB370_107
; %bb.105:
	v_and_b32_e32 v40, 1, v33
	s_delay_alu instid0(VALU_DEP_1)
	v_cmp_eq_u32_e32 vcc_lo, 1, v40
	s_and_b32 exec_lo, exec_lo, vcc_lo
	s_cbranch_execz .LBB370_107
; %bb.106:
	v_mov_b32_e32 v54, 0
	s_delay_alu instid0(VALU_DEP_1) | instskip(NEXT) | instid1(VALU_DEP_1)
	v_lshlrev_b64 v[60:61], 3, v[53:54]
	v_add_co_u32 v60, vcc_lo, s3, v60
	s_delay_alu instid0(VALU_DEP_2)
	v_add_co_ci_u32_e32 v61, vcc_lo, s4, v61, vcc_lo
	global_store_b64 v[60:61], v[29:30], off
.LBB370_107:
	s_or_b32 exec_lo, exec_lo, s1
	v_cmp_lt_u32_e32 vcc_lo, v51, v59
	s_or_b32 s5, s23, vcc_lo
	s_delay_alu instid0(SALU_CYCLE_1)
	s_and_saveexec_b32 s1, s5
	s_cbranch_execz .LBB370_110
; %bb.108:
	v_and_b32_e32 v40, 1, v58
	s_delay_alu instid0(VALU_DEP_1)
	v_cmp_eq_u32_e32 vcc_lo, 1, v40
	s_and_b32 exec_lo, exec_lo, vcc_lo
	s_cbranch_execz .LBB370_110
; %bb.109:
	v_mov_b32_e32 v52, 0
	s_delay_alu instid0(VALU_DEP_1) | instskip(NEXT) | instid1(VALU_DEP_1)
	v_lshlrev_b64 v[60:61], 3, v[51:52]
	v_add_co_u32 v60, vcc_lo, s3, v60
	s_delay_alu instid0(VALU_DEP_2)
	v_add_co_ci_u32_e32 v61, vcc_lo, s4, v61, vcc_lo
	global_store_b64 v[60:61], v[31:32], off
.LBB370_110:
	s_or_b32 exec_lo, exec_lo, s1
	v_cmp_lt_u32_e32 vcc_lo, v49, v59
	s_or_b32 s5, s23, vcc_lo
	s_delay_alu instid0(SALU_CYCLE_1)
	;; [unrolled: 21-line block ×7, first 2 shown]
	s_and_saveexec_b32 s1, s5
	s_cbranch_execz .LBB370_128
; %bb.126:
	v_and_b32_e32 v40, 1, v56
	s_delay_alu instid0(VALU_DEP_1)
	v_cmp_eq_u32_e32 vcc_lo, 1, v40
	s_and_b32 exec_lo, exec_lo, vcc_lo
	s_cbranch_execz .LBB370_128
; %bb.127:
	v_mov_b32_e32 v40, 0
	s_delay_alu instid0(VALU_DEP_1) | instskip(NEXT) | instid1(VALU_DEP_1)
	v_lshlrev_b64 v[60:61], 3, v[39:40]
	v_add_co_u32 v60, vcc_lo, s3, v60
	s_delay_alu instid0(VALU_DEP_2)
	v_add_co_ci_u32_e32 v61, vcc_lo, s4, v61, vcc_lo
	global_store_b64 v[60:61], v[19:20], off
.LBB370_128:
	s_or_b32 exec_lo, exec_lo, s1
	s_mov_b32 s3, 0
.LBB370_129:
	v_and_b32_e32 v33, 1, v33
	s_and_b32 vcc_lo, exec_lo, s3
	s_delay_alu instid0(VALU_DEP_1)
	v_cmp_eq_u32_e64 s1, 1, v33
	s_cbranch_vccz .LBB370_150
; %bb.130:
	s_delay_alu instid0(VALU_DEP_1)
	s_and_saveexec_b32 s3, s1
	s_cbranch_execz .LBB370_132
; %bb.131:
	v_subrev_nc_u32_e32 v40, s8, v53
	s_delay_alu instid0(VALU_DEP_1)
	v_lshlrev_b32_e32 v40, 3, v40
	ds_store_b64 v40, v[29:30]
.LBB370_132:
	s_or_b32 exec_lo, exec_lo, s3
	v_and_b32_e32 v29, 1, v58
	s_mov_b32 s1, exec_lo
	s_delay_alu instid0(VALU_DEP_1)
	v_cmpx_eq_u32_e32 1, v29
	s_cbranch_execz .LBB370_134
; %bb.133:
	v_subrev_nc_u32_e32 v29, s8, v51
	s_delay_alu instid0(VALU_DEP_1)
	v_lshlrev_b32_e32 v29, 3, v29
	ds_store_b64 v29, v[31:32]
.LBB370_134:
	s_or_b32 exec_lo, exec_lo, s1
	v_and_b32_e32 v29, 1, v57
	s_mov_b32 s1, exec_lo
	s_delay_alu instid0(VALU_DEP_1)
	v_cmpx_eq_u32_e32 1, v29
	;; [unrolled: 12-line block ×7, first 2 shown]
	s_cbranch_execz .LBB370_146
; %bb.145:
	v_subrev_nc_u32_e32 v17, s8, v39
	s_delay_alu instid0(VALU_DEP_1)
	v_lshlrev_b32_e32 v17, 3, v17
	ds_store_b64 v17, v[19:20]
.LBB370_146:
	s_or_b32 exec_lo, exec_lo, s1
	s_delay_alu instid0(SALU_CYCLE_1)
	s_mov_b32 s3, exec_lo
	s_waitcnt lgkmcnt(0)
	s_waitcnt_vscnt null, 0x0
	s_barrier
	buffer_gl0_inv
	v_cmpx_lt_u32_e64 v0, v35
	s_cbranch_execz .LBB370_149
; %bb.147:
	s_mov_b32 s9, 0
	s_lshl_b64 s[4:5], s[10:11], 3
	s_lshl_b64 s[6:7], s[8:9], 3
	v_dual_mov_b32 v19, v55 :: v_dual_mov_b32 v20, v0
	s_add_u32 s1, s4, s6
	s_addc_u32 s4, s5, s7
	s_add_u32 s1, s16, s1
	s_addc_u32 s4, s17, s4
	v_add_co_u32 v17, s1, s1, v55
	s_delay_alu instid0(VALU_DEP_1)
	v_add_co_ci_u32_e64 v18, null, s4, 0, s1
	.p2align	6
.LBB370_148:                            ; =>This Inner Loop Header: Depth=1
	ds_load_b64 v[21:22], v19
	v_add_nc_u32_e32 v20, 0x200, v20
	v_add_nc_u32_e32 v19, 0x1000, v19
	s_delay_alu instid0(VALU_DEP_2) | instskip(SKIP_4) | instid1(VALU_DEP_1)
	v_cmp_ge_u32_e32 vcc_lo, v20, v35
	s_or_b32 s9, vcc_lo, s9
	s_waitcnt lgkmcnt(0)
	global_store_b64 v[17:18], v[21:22], off
	v_add_co_u32 v17, s1, 0x1000, v17
	v_add_co_ci_u32_e64 v18, s1, 0, v18, s1
	s_and_not1_b32 exec_lo, exec_lo, s9
	s_cbranch_execnz .LBB370_148
.LBB370_149:
	s_or_b32 exec_lo, exec_lo, s3
.LBB370_150:
	s_delay_alu instid0(SALU_CYCLE_1)
	s_and_b32 vcc_lo, exec_lo, s0
	s_mov_b32 s0, -1
	s_waitcnt_vscnt null, 0x0
	s_barrier
	buffer_gl0_inv
	s_cbranch_vccz .LBB370_178
; %bb.151:
	v_cmp_lt_u32_e32 vcc_lo, v53, v59
	s_lshl_b64 s[0:1], s[10:11], 3
	s_delay_alu instid0(SALU_CYCLE_1) | instskip(SKIP_2) | instid1(SALU_CYCLE_1)
	s_add_u32 s0, s18, s0
	s_addc_u32 s1, s19, s1
	s_or_b32 s4, s23, vcc_lo
	s_and_saveexec_b32 s3, s4
	s_cbranch_execz .LBB370_154
; %bb.152:
	v_cmp_eq_u32_e32 vcc_lo, 1, v33
	s_and_b32 exec_lo, exec_lo, vcc_lo
	s_cbranch_execz .LBB370_154
; %bb.153:
	v_mov_b32_e32 v54, 0
	s_delay_alu instid0(VALU_DEP_1) | instskip(NEXT) | instid1(VALU_DEP_1)
	v_lshlrev_b64 v[17:18], 3, v[53:54]
	v_add_co_u32 v17, vcc_lo, s0, v17
	s_delay_alu instid0(VALU_DEP_2)
	v_add_co_ci_u32_e32 v18, vcc_lo, s1, v18, vcc_lo
	global_store_b64 v[17:18], v[13:14], off
.LBB370_154:
	s_or_b32 exec_lo, exec_lo, s3
	v_cmp_lt_u32_e32 vcc_lo, v51, v59
	s_or_b32 s4, s23, vcc_lo
	s_delay_alu instid0(SALU_CYCLE_1)
	s_and_saveexec_b32 s3, s4
	s_cbranch_execz .LBB370_157
; %bb.155:
	v_and_b32_e32 v17, 1, v58
	s_delay_alu instid0(VALU_DEP_1)
	v_cmp_eq_u32_e32 vcc_lo, 1, v17
	s_and_b32 exec_lo, exec_lo, vcc_lo
	s_cbranch_execz .LBB370_157
; %bb.156:
	v_mov_b32_e32 v52, 0
	s_delay_alu instid0(VALU_DEP_1) | instskip(NEXT) | instid1(VALU_DEP_1)
	v_lshlrev_b64 v[17:18], 3, v[51:52]
	v_add_co_u32 v17, vcc_lo, s0, v17
	s_delay_alu instid0(VALU_DEP_2)
	v_add_co_ci_u32_e32 v18, vcc_lo, s1, v18, vcc_lo
	global_store_b64 v[17:18], v[15:16], off
.LBB370_157:
	s_or_b32 exec_lo, exec_lo, s3
	v_cmp_lt_u32_e32 vcc_lo, v49, v59
	s_or_b32 s4, s23, vcc_lo
	s_delay_alu instid0(SALU_CYCLE_1)
	s_and_saveexec_b32 s3, s4
	s_cbranch_execz .LBB370_160
; %bb.158:
	v_and_b32_e32 v17, 1, v57
	s_delay_alu instid0(VALU_DEP_1)
	v_cmp_eq_u32_e32 vcc_lo, 1, v17
	s_and_b32 exec_lo, exec_lo, vcc_lo
	s_cbranch_execz .LBB370_160
; %bb.159:
	v_mov_b32_e32 v50, 0
	s_delay_alu instid0(VALU_DEP_1) | instskip(NEXT) | instid1(VALU_DEP_1)
	v_lshlrev_b64 v[17:18], 3, v[49:50]
	v_add_co_u32 v17, vcc_lo, s0, v17
	s_delay_alu instid0(VALU_DEP_2)
	v_add_co_ci_u32_e32 v18, vcc_lo, s1, v18, vcc_lo
	global_store_b64 v[17:18], v[9:10], off
.LBB370_160:
	;; [unrolled: 21-line block ×7, first 2 shown]
	s_or_b32 exec_lo, exec_lo, s3
.LBB370_176:
	s_and_b32 s0, s2, s22
	s_delay_alu instid0(SALU_CYCLE_1)
	s_and_saveexec_b32 s1, s0
	s_cbranch_execz .LBB370_199
.LBB370_177:
	v_add_co_u32 v0, s0, s10, v35
	s_delay_alu instid0(VALU_DEP_1) | instskip(SKIP_1) | instid1(VALU_DEP_3)
	v_add_co_ci_u32_e64 v1, null, s11, 0, s0
	v_mov_b32_e32 v2, 0
	v_add_co_u32 v0, vcc_lo, v0, s8
	s_delay_alu instid0(VALU_DEP_3)
	v_add_co_ci_u32_e32 v1, vcc_lo, 0, v1, vcc_lo
	global_store_b64 v2, v[0:1], s[12:13]
	s_nop 0
	s_sendmsg sendmsg(MSG_DEALLOC_VGPRS)
	s_endpgm
.LBB370_178:
	s_and_b32 vcc_lo, exec_lo, s0
	s_cbranch_vccz .LBB370_176
; %bb.179:
	s_mov_b32 s0, exec_lo
	v_cmpx_eq_u32_e32 1, v33
	s_cbranch_execz .LBB370_181
; %bb.180:
	v_subrev_nc_u32_e32 v17, s8, v53
	s_delay_alu instid0(VALU_DEP_1)
	v_lshlrev_b32_e32 v17, 3, v17
	ds_store_b64 v17, v[13:14]
.LBB370_181:
	s_or_b32 exec_lo, exec_lo, s0
	v_and_b32_e32 v13, 1, v58
	s_mov_b32 s0, exec_lo
	s_delay_alu instid0(VALU_DEP_1)
	v_cmpx_eq_u32_e32 1, v13
	s_cbranch_execz .LBB370_183
; %bb.182:
	v_subrev_nc_u32_e32 v13, s8, v51
	s_delay_alu instid0(VALU_DEP_1)
	v_lshlrev_b32_e32 v13, 3, v13
	ds_store_b64 v13, v[15:16]
.LBB370_183:
	s_or_b32 exec_lo, exec_lo, s0
	v_and_b32_e32 v13, 1, v57
	s_mov_b32 s0, exec_lo
	s_delay_alu instid0(VALU_DEP_1)
	v_cmpx_eq_u32_e32 1, v13
	s_cbranch_execz .LBB370_185
; %bb.184:
	v_subrev_nc_u32_e32 v13, s8, v49
	s_delay_alu instid0(VALU_DEP_1)
	v_lshlrev_b32_e32 v13, 3, v13
	ds_store_b64 v13, v[9:10]
.LBB370_185:
	s_or_b32 exec_lo, exec_lo, s0
	v_and_b32_e32 v9, 1, v37
	s_mov_b32 s0, exec_lo
	s_delay_alu instid0(VALU_DEP_1)
	v_cmpx_eq_u32_e32 1, v9
	s_cbranch_execz .LBB370_187
; %bb.186:
	v_subrev_nc_u32_e32 v9, s8, v47
	s_delay_alu instid0(VALU_DEP_1)
	v_lshlrev_b32_e32 v9, 3, v9
	ds_store_b64 v9, v[11:12]
.LBB370_187:
	s_or_b32 exec_lo, exec_lo, s0
	v_and_b32_e32 v9, 1, v34
	s_mov_b32 s0, exec_lo
	s_delay_alu instid0(VALU_DEP_1)
	v_cmpx_eq_u32_e32 1, v9
	s_cbranch_execz .LBB370_189
; %bb.188:
	v_subrev_nc_u32_e32 v9, s8, v45
	s_delay_alu instid0(VALU_DEP_1)
	v_lshlrev_b32_e32 v9, 3, v9
	ds_store_b64 v9, v[5:6]
.LBB370_189:
	s_or_b32 exec_lo, exec_lo, s0
	v_and_b32_e32 v5, 1, v38
	s_mov_b32 s0, exec_lo
	s_delay_alu instid0(VALU_DEP_1)
	v_cmpx_eq_u32_e32 1, v5
	s_cbranch_execz .LBB370_191
; %bb.190:
	v_subrev_nc_u32_e32 v5, s8, v43
	s_delay_alu instid0(VALU_DEP_1)
	v_lshlrev_b32_e32 v5, 3, v5
	ds_store_b64 v5, v[7:8]
.LBB370_191:
	s_or_b32 exec_lo, exec_lo, s0
	v_and_b32_e32 v5, 1, v36
	s_mov_b32 s0, exec_lo
	s_delay_alu instid0(VALU_DEP_1)
	v_cmpx_eq_u32_e32 1, v5
	s_cbranch_execz .LBB370_193
; %bb.192:
	v_subrev_nc_u32_e32 v5, s8, v41
	s_delay_alu instid0(VALU_DEP_1)
	v_lshlrev_b32_e32 v5, 3, v5
	ds_store_b64 v5, v[1:2]
.LBB370_193:
	s_or_b32 exec_lo, exec_lo, s0
	v_and_b32_e32 v1, 1, v56
	s_mov_b32 s0, exec_lo
	s_delay_alu instid0(VALU_DEP_1)
	v_cmpx_eq_u32_e32 1, v1
	s_cbranch_execz .LBB370_195
; %bb.194:
	v_subrev_nc_u32_e32 v1, s8, v39
	s_delay_alu instid0(VALU_DEP_1)
	v_lshlrev_b32_e32 v1, 3, v1
	ds_store_b64 v1, v[3:4]
.LBB370_195:
	s_or_b32 exec_lo, exec_lo, s0
	s_delay_alu instid0(SALU_CYCLE_1)
	s_mov_b32 s1, exec_lo
	s_waitcnt lgkmcnt(0)
	s_waitcnt_vscnt null, 0x0
	s_barrier
	buffer_gl0_inv
	v_cmpx_lt_u32_e64 v0, v35
	s_cbranch_execz .LBB370_198
; %bb.196:
	s_mov_b32 s9, 0
	s_lshl_b64 s[4:5], s[10:11], 3
	s_lshl_b64 s[6:7], s[8:9], 3
	s_delay_alu instid0(SALU_CYCLE_1) | instskip(SKIP_4) | instid1(VALU_DEP_1)
	s_add_u32 s0, s4, s6
	s_addc_u32 s3, s5, s7
	s_add_u32 s0, s18, s0
	s_addc_u32 s3, s19, s3
	v_add_co_u32 v1, s0, s0, v55
	v_add_co_ci_u32_e64 v2, null, s3, 0, s0
	.p2align	6
.LBB370_197:                            ; =>This Inner Loop Header: Depth=1
	ds_load_b64 v[3:4], v55
	v_add_nc_u32_e32 v0, 0x200, v0
	v_add_nc_u32_e32 v55, 0x1000, v55
	s_delay_alu instid0(VALU_DEP_2) | instskip(SKIP_4) | instid1(VALU_DEP_1)
	v_cmp_ge_u32_e32 vcc_lo, v0, v35
	s_or_b32 s9, vcc_lo, s9
	s_waitcnt lgkmcnt(0)
	global_store_b64 v[1:2], v[3:4], off
	v_add_co_u32 v1, s0, 0x1000, v1
	v_add_co_ci_u32_e64 v2, s0, 0, v2, s0
	s_and_not1_b32 exec_lo, exec_lo, s9
	s_cbranch_execnz .LBB370_197
.LBB370_198:
	s_or_b32 exec_lo, exec_lo, s1
	s_and_b32 s0, s2, s22
	s_delay_alu instid0(SALU_CYCLE_1)
	s_and_saveexec_b32 s1, s0
	s_cbranch_execnz .LBB370_177
.LBB370_199:
	s_nop 0
	s_sendmsg sendmsg(MSG_DEALLOC_VGPRS)
	s_endpgm
	.section	.rodata,"a",@progbits
	.p2align	6, 0x0
	.amdhsa_kernel _ZN7rocprim17ROCPRIM_400000_NS6detail17trampoline_kernelINS0_14default_configENS1_25partition_config_selectorILNS1_17partition_subalgoE9ExxbEEZZNS1_14partition_implILS5_9ELb0ES3_jN6thrust23THRUST_200600_302600_NS6detail15normal_iteratorINS9_10device_ptrIxEEEESE_PNS0_10empty_typeENS0_5tupleIJSE_SF_EEENSH_IJSE_SG_EEENS0_18inequality_wrapperINS9_8equal_toIxEEEEPmJSF_EEE10hipError_tPvRmT3_T4_T5_T6_T7_T9_mT8_P12ihipStream_tbDpT10_ENKUlT_T0_E_clISt17integral_constantIbLb0EES17_IbLb1EEEEDaS13_S14_EUlS13_E_NS1_11comp_targetILNS1_3genE9ELNS1_11target_archE1100ELNS1_3gpuE3ELNS1_3repE0EEENS1_30default_config_static_selectorELNS0_4arch9wavefront6targetE0EEEvT1_
		.amdhsa_group_segment_fixed_size 33800
		.amdhsa_private_segment_fixed_size 0
		.amdhsa_kernarg_size 128
		.amdhsa_user_sgpr_count 15
		.amdhsa_user_sgpr_dispatch_ptr 0
		.amdhsa_user_sgpr_queue_ptr 0
		.amdhsa_user_sgpr_kernarg_segment_ptr 1
		.amdhsa_user_sgpr_dispatch_id 0
		.amdhsa_user_sgpr_private_segment_size 0
		.amdhsa_wavefront_size32 1
		.amdhsa_uses_dynamic_stack 0
		.amdhsa_enable_private_segment 0
		.amdhsa_system_sgpr_workgroup_id_x 1
		.amdhsa_system_sgpr_workgroup_id_y 0
		.amdhsa_system_sgpr_workgroup_id_z 0
		.amdhsa_system_sgpr_workgroup_info 0
		.amdhsa_system_vgpr_workitem_id 0
		.amdhsa_next_free_vgpr 68
		.amdhsa_next_free_sgpr 29
		.amdhsa_reserve_vcc 1
		.amdhsa_float_round_mode_32 0
		.amdhsa_float_round_mode_16_64 0
		.amdhsa_float_denorm_mode_32 3
		.amdhsa_float_denorm_mode_16_64 3
		.amdhsa_dx10_clamp 1
		.amdhsa_ieee_mode 1
		.amdhsa_fp16_overflow 0
		.amdhsa_workgroup_processor_mode 1
		.amdhsa_memory_ordered 1
		.amdhsa_forward_progress 0
		.amdhsa_shared_vgpr_count 0
		.amdhsa_exception_fp_ieee_invalid_op 0
		.amdhsa_exception_fp_denorm_src 0
		.amdhsa_exception_fp_ieee_div_zero 0
		.amdhsa_exception_fp_ieee_overflow 0
		.amdhsa_exception_fp_ieee_underflow 0
		.amdhsa_exception_fp_ieee_inexact 0
		.amdhsa_exception_int_div_zero 0
	.end_amdhsa_kernel
	.section	.text._ZN7rocprim17ROCPRIM_400000_NS6detail17trampoline_kernelINS0_14default_configENS1_25partition_config_selectorILNS1_17partition_subalgoE9ExxbEEZZNS1_14partition_implILS5_9ELb0ES3_jN6thrust23THRUST_200600_302600_NS6detail15normal_iteratorINS9_10device_ptrIxEEEESE_PNS0_10empty_typeENS0_5tupleIJSE_SF_EEENSH_IJSE_SG_EEENS0_18inequality_wrapperINS9_8equal_toIxEEEEPmJSF_EEE10hipError_tPvRmT3_T4_T5_T6_T7_T9_mT8_P12ihipStream_tbDpT10_ENKUlT_T0_E_clISt17integral_constantIbLb0EES17_IbLb1EEEEDaS13_S14_EUlS13_E_NS1_11comp_targetILNS1_3genE9ELNS1_11target_archE1100ELNS1_3gpuE3ELNS1_3repE0EEENS1_30default_config_static_selectorELNS0_4arch9wavefront6targetE0EEEvT1_,"axG",@progbits,_ZN7rocprim17ROCPRIM_400000_NS6detail17trampoline_kernelINS0_14default_configENS1_25partition_config_selectorILNS1_17partition_subalgoE9ExxbEEZZNS1_14partition_implILS5_9ELb0ES3_jN6thrust23THRUST_200600_302600_NS6detail15normal_iteratorINS9_10device_ptrIxEEEESE_PNS0_10empty_typeENS0_5tupleIJSE_SF_EEENSH_IJSE_SG_EEENS0_18inequality_wrapperINS9_8equal_toIxEEEEPmJSF_EEE10hipError_tPvRmT3_T4_T5_T6_T7_T9_mT8_P12ihipStream_tbDpT10_ENKUlT_T0_E_clISt17integral_constantIbLb0EES17_IbLb1EEEEDaS13_S14_EUlS13_E_NS1_11comp_targetILNS1_3genE9ELNS1_11target_archE1100ELNS1_3gpuE3ELNS1_3repE0EEENS1_30default_config_static_selectorELNS0_4arch9wavefront6targetE0EEEvT1_,comdat
.Lfunc_end370:
	.size	_ZN7rocprim17ROCPRIM_400000_NS6detail17trampoline_kernelINS0_14default_configENS1_25partition_config_selectorILNS1_17partition_subalgoE9ExxbEEZZNS1_14partition_implILS5_9ELb0ES3_jN6thrust23THRUST_200600_302600_NS6detail15normal_iteratorINS9_10device_ptrIxEEEESE_PNS0_10empty_typeENS0_5tupleIJSE_SF_EEENSH_IJSE_SG_EEENS0_18inequality_wrapperINS9_8equal_toIxEEEEPmJSF_EEE10hipError_tPvRmT3_T4_T5_T6_T7_T9_mT8_P12ihipStream_tbDpT10_ENKUlT_T0_E_clISt17integral_constantIbLb0EES17_IbLb1EEEEDaS13_S14_EUlS13_E_NS1_11comp_targetILNS1_3genE9ELNS1_11target_archE1100ELNS1_3gpuE3ELNS1_3repE0EEENS1_30default_config_static_selectorELNS0_4arch9wavefront6targetE0EEEvT1_, .Lfunc_end370-_ZN7rocprim17ROCPRIM_400000_NS6detail17trampoline_kernelINS0_14default_configENS1_25partition_config_selectorILNS1_17partition_subalgoE9ExxbEEZZNS1_14partition_implILS5_9ELb0ES3_jN6thrust23THRUST_200600_302600_NS6detail15normal_iteratorINS9_10device_ptrIxEEEESE_PNS0_10empty_typeENS0_5tupleIJSE_SF_EEENSH_IJSE_SG_EEENS0_18inequality_wrapperINS9_8equal_toIxEEEEPmJSF_EEE10hipError_tPvRmT3_T4_T5_T6_T7_T9_mT8_P12ihipStream_tbDpT10_ENKUlT_T0_E_clISt17integral_constantIbLb0EES17_IbLb1EEEEDaS13_S14_EUlS13_E_NS1_11comp_targetILNS1_3genE9ELNS1_11target_archE1100ELNS1_3gpuE3ELNS1_3repE0EEENS1_30default_config_static_selectorELNS0_4arch9wavefront6targetE0EEEvT1_
                                        ; -- End function
	.section	.AMDGPU.csdata,"",@progbits
; Kernel info:
; codeLenInByte = 9460
; NumSgprs: 31
; NumVgprs: 68
; ScratchSize: 0
; MemoryBound: 0
; FloatMode: 240
; IeeeMode: 1
; LDSByteSize: 33800 bytes/workgroup (compile time only)
; SGPRBlocks: 3
; VGPRBlocks: 8
; NumSGPRsForWavesPerEU: 31
; NumVGPRsForWavesPerEU: 68
; Occupancy: 12
; WaveLimiterHint : 1
; COMPUTE_PGM_RSRC2:SCRATCH_EN: 0
; COMPUTE_PGM_RSRC2:USER_SGPR: 15
; COMPUTE_PGM_RSRC2:TRAP_HANDLER: 0
; COMPUTE_PGM_RSRC2:TGID_X_EN: 1
; COMPUTE_PGM_RSRC2:TGID_Y_EN: 0
; COMPUTE_PGM_RSRC2:TGID_Z_EN: 0
; COMPUTE_PGM_RSRC2:TIDIG_COMP_CNT: 0
	.section	.text._ZN7rocprim17ROCPRIM_400000_NS6detail17trampoline_kernelINS0_14default_configENS1_25partition_config_selectorILNS1_17partition_subalgoE9ExxbEEZZNS1_14partition_implILS5_9ELb0ES3_jN6thrust23THRUST_200600_302600_NS6detail15normal_iteratorINS9_10device_ptrIxEEEESE_PNS0_10empty_typeENS0_5tupleIJSE_SF_EEENSH_IJSE_SG_EEENS0_18inequality_wrapperINS9_8equal_toIxEEEEPmJSF_EEE10hipError_tPvRmT3_T4_T5_T6_T7_T9_mT8_P12ihipStream_tbDpT10_ENKUlT_T0_E_clISt17integral_constantIbLb0EES17_IbLb1EEEEDaS13_S14_EUlS13_E_NS1_11comp_targetILNS1_3genE8ELNS1_11target_archE1030ELNS1_3gpuE2ELNS1_3repE0EEENS1_30default_config_static_selectorELNS0_4arch9wavefront6targetE0EEEvT1_,"axG",@progbits,_ZN7rocprim17ROCPRIM_400000_NS6detail17trampoline_kernelINS0_14default_configENS1_25partition_config_selectorILNS1_17partition_subalgoE9ExxbEEZZNS1_14partition_implILS5_9ELb0ES3_jN6thrust23THRUST_200600_302600_NS6detail15normal_iteratorINS9_10device_ptrIxEEEESE_PNS0_10empty_typeENS0_5tupleIJSE_SF_EEENSH_IJSE_SG_EEENS0_18inequality_wrapperINS9_8equal_toIxEEEEPmJSF_EEE10hipError_tPvRmT3_T4_T5_T6_T7_T9_mT8_P12ihipStream_tbDpT10_ENKUlT_T0_E_clISt17integral_constantIbLb0EES17_IbLb1EEEEDaS13_S14_EUlS13_E_NS1_11comp_targetILNS1_3genE8ELNS1_11target_archE1030ELNS1_3gpuE2ELNS1_3repE0EEENS1_30default_config_static_selectorELNS0_4arch9wavefront6targetE0EEEvT1_,comdat
	.protected	_ZN7rocprim17ROCPRIM_400000_NS6detail17trampoline_kernelINS0_14default_configENS1_25partition_config_selectorILNS1_17partition_subalgoE9ExxbEEZZNS1_14partition_implILS5_9ELb0ES3_jN6thrust23THRUST_200600_302600_NS6detail15normal_iteratorINS9_10device_ptrIxEEEESE_PNS0_10empty_typeENS0_5tupleIJSE_SF_EEENSH_IJSE_SG_EEENS0_18inequality_wrapperINS9_8equal_toIxEEEEPmJSF_EEE10hipError_tPvRmT3_T4_T5_T6_T7_T9_mT8_P12ihipStream_tbDpT10_ENKUlT_T0_E_clISt17integral_constantIbLb0EES17_IbLb1EEEEDaS13_S14_EUlS13_E_NS1_11comp_targetILNS1_3genE8ELNS1_11target_archE1030ELNS1_3gpuE2ELNS1_3repE0EEENS1_30default_config_static_selectorELNS0_4arch9wavefront6targetE0EEEvT1_ ; -- Begin function _ZN7rocprim17ROCPRIM_400000_NS6detail17trampoline_kernelINS0_14default_configENS1_25partition_config_selectorILNS1_17partition_subalgoE9ExxbEEZZNS1_14partition_implILS5_9ELb0ES3_jN6thrust23THRUST_200600_302600_NS6detail15normal_iteratorINS9_10device_ptrIxEEEESE_PNS0_10empty_typeENS0_5tupleIJSE_SF_EEENSH_IJSE_SG_EEENS0_18inequality_wrapperINS9_8equal_toIxEEEEPmJSF_EEE10hipError_tPvRmT3_T4_T5_T6_T7_T9_mT8_P12ihipStream_tbDpT10_ENKUlT_T0_E_clISt17integral_constantIbLb0EES17_IbLb1EEEEDaS13_S14_EUlS13_E_NS1_11comp_targetILNS1_3genE8ELNS1_11target_archE1030ELNS1_3gpuE2ELNS1_3repE0EEENS1_30default_config_static_selectorELNS0_4arch9wavefront6targetE0EEEvT1_
	.globl	_ZN7rocprim17ROCPRIM_400000_NS6detail17trampoline_kernelINS0_14default_configENS1_25partition_config_selectorILNS1_17partition_subalgoE9ExxbEEZZNS1_14partition_implILS5_9ELb0ES3_jN6thrust23THRUST_200600_302600_NS6detail15normal_iteratorINS9_10device_ptrIxEEEESE_PNS0_10empty_typeENS0_5tupleIJSE_SF_EEENSH_IJSE_SG_EEENS0_18inequality_wrapperINS9_8equal_toIxEEEEPmJSF_EEE10hipError_tPvRmT3_T4_T5_T6_T7_T9_mT8_P12ihipStream_tbDpT10_ENKUlT_T0_E_clISt17integral_constantIbLb0EES17_IbLb1EEEEDaS13_S14_EUlS13_E_NS1_11comp_targetILNS1_3genE8ELNS1_11target_archE1030ELNS1_3gpuE2ELNS1_3repE0EEENS1_30default_config_static_selectorELNS0_4arch9wavefront6targetE0EEEvT1_
	.p2align	8
	.type	_ZN7rocprim17ROCPRIM_400000_NS6detail17trampoline_kernelINS0_14default_configENS1_25partition_config_selectorILNS1_17partition_subalgoE9ExxbEEZZNS1_14partition_implILS5_9ELb0ES3_jN6thrust23THRUST_200600_302600_NS6detail15normal_iteratorINS9_10device_ptrIxEEEESE_PNS0_10empty_typeENS0_5tupleIJSE_SF_EEENSH_IJSE_SG_EEENS0_18inequality_wrapperINS9_8equal_toIxEEEEPmJSF_EEE10hipError_tPvRmT3_T4_T5_T6_T7_T9_mT8_P12ihipStream_tbDpT10_ENKUlT_T0_E_clISt17integral_constantIbLb0EES17_IbLb1EEEEDaS13_S14_EUlS13_E_NS1_11comp_targetILNS1_3genE8ELNS1_11target_archE1030ELNS1_3gpuE2ELNS1_3repE0EEENS1_30default_config_static_selectorELNS0_4arch9wavefront6targetE0EEEvT1_,@function
_ZN7rocprim17ROCPRIM_400000_NS6detail17trampoline_kernelINS0_14default_configENS1_25partition_config_selectorILNS1_17partition_subalgoE9ExxbEEZZNS1_14partition_implILS5_9ELb0ES3_jN6thrust23THRUST_200600_302600_NS6detail15normal_iteratorINS9_10device_ptrIxEEEESE_PNS0_10empty_typeENS0_5tupleIJSE_SF_EEENSH_IJSE_SG_EEENS0_18inequality_wrapperINS9_8equal_toIxEEEEPmJSF_EEE10hipError_tPvRmT3_T4_T5_T6_T7_T9_mT8_P12ihipStream_tbDpT10_ENKUlT_T0_E_clISt17integral_constantIbLb0EES17_IbLb1EEEEDaS13_S14_EUlS13_E_NS1_11comp_targetILNS1_3genE8ELNS1_11target_archE1030ELNS1_3gpuE2ELNS1_3repE0EEENS1_30default_config_static_selectorELNS0_4arch9wavefront6targetE0EEEvT1_: ; @_ZN7rocprim17ROCPRIM_400000_NS6detail17trampoline_kernelINS0_14default_configENS1_25partition_config_selectorILNS1_17partition_subalgoE9ExxbEEZZNS1_14partition_implILS5_9ELb0ES3_jN6thrust23THRUST_200600_302600_NS6detail15normal_iteratorINS9_10device_ptrIxEEEESE_PNS0_10empty_typeENS0_5tupleIJSE_SF_EEENSH_IJSE_SG_EEENS0_18inequality_wrapperINS9_8equal_toIxEEEEPmJSF_EEE10hipError_tPvRmT3_T4_T5_T6_T7_T9_mT8_P12ihipStream_tbDpT10_ENKUlT_T0_E_clISt17integral_constantIbLb0EES17_IbLb1EEEEDaS13_S14_EUlS13_E_NS1_11comp_targetILNS1_3genE8ELNS1_11target_archE1030ELNS1_3gpuE2ELNS1_3repE0EEENS1_30default_config_static_selectorELNS0_4arch9wavefront6targetE0EEEvT1_
; %bb.0:
	.section	.rodata,"a",@progbits
	.p2align	6, 0x0
	.amdhsa_kernel _ZN7rocprim17ROCPRIM_400000_NS6detail17trampoline_kernelINS0_14default_configENS1_25partition_config_selectorILNS1_17partition_subalgoE9ExxbEEZZNS1_14partition_implILS5_9ELb0ES3_jN6thrust23THRUST_200600_302600_NS6detail15normal_iteratorINS9_10device_ptrIxEEEESE_PNS0_10empty_typeENS0_5tupleIJSE_SF_EEENSH_IJSE_SG_EEENS0_18inequality_wrapperINS9_8equal_toIxEEEEPmJSF_EEE10hipError_tPvRmT3_T4_T5_T6_T7_T9_mT8_P12ihipStream_tbDpT10_ENKUlT_T0_E_clISt17integral_constantIbLb0EES17_IbLb1EEEEDaS13_S14_EUlS13_E_NS1_11comp_targetILNS1_3genE8ELNS1_11target_archE1030ELNS1_3gpuE2ELNS1_3repE0EEENS1_30default_config_static_selectorELNS0_4arch9wavefront6targetE0EEEvT1_
		.amdhsa_group_segment_fixed_size 0
		.amdhsa_private_segment_fixed_size 0
		.amdhsa_kernarg_size 128
		.amdhsa_user_sgpr_count 15
		.amdhsa_user_sgpr_dispatch_ptr 0
		.amdhsa_user_sgpr_queue_ptr 0
		.amdhsa_user_sgpr_kernarg_segment_ptr 1
		.amdhsa_user_sgpr_dispatch_id 0
		.amdhsa_user_sgpr_private_segment_size 0
		.amdhsa_wavefront_size32 1
		.amdhsa_uses_dynamic_stack 0
		.amdhsa_enable_private_segment 0
		.amdhsa_system_sgpr_workgroup_id_x 1
		.amdhsa_system_sgpr_workgroup_id_y 0
		.amdhsa_system_sgpr_workgroup_id_z 0
		.amdhsa_system_sgpr_workgroup_info 0
		.amdhsa_system_vgpr_workitem_id 0
		.amdhsa_next_free_vgpr 1
		.amdhsa_next_free_sgpr 1
		.amdhsa_reserve_vcc 0
		.amdhsa_float_round_mode_32 0
		.amdhsa_float_round_mode_16_64 0
		.amdhsa_float_denorm_mode_32 3
		.amdhsa_float_denorm_mode_16_64 3
		.amdhsa_dx10_clamp 1
		.amdhsa_ieee_mode 1
		.amdhsa_fp16_overflow 0
		.amdhsa_workgroup_processor_mode 1
		.amdhsa_memory_ordered 1
		.amdhsa_forward_progress 0
		.amdhsa_shared_vgpr_count 0
		.amdhsa_exception_fp_ieee_invalid_op 0
		.amdhsa_exception_fp_denorm_src 0
		.amdhsa_exception_fp_ieee_div_zero 0
		.amdhsa_exception_fp_ieee_overflow 0
		.amdhsa_exception_fp_ieee_underflow 0
		.amdhsa_exception_fp_ieee_inexact 0
		.amdhsa_exception_int_div_zero 0
	.end_amdhsa_kernel
	.section	.text._ZN7rocprim17ROCPRIM_400000_NS6detail17trampoline_kernelINS0_14default_configENS1_25partition_config_selectorILNS1_17partition_subalgoE9ExxbEEZZNS1_14partition_implILS5_9ELb0ES3_jN6thrust23THRUST_200600_302600_NS6detail15normal_iteratorINS9_10device_ptrIxEEEESE_PNS0_10empty_typeENS0_5tupleIJSE_SF_EEENSH_IJSE_SG_EEENS0_18inequality_wrapperINS9_8equal_toIxEEEEPmJSF_EEE10hipError_tPvRmT3_T4_T5_T6_T7_T9_mT8_P12ihipStream_tbDpT10_ENKUlT_T0_E_clISt17integral_constantIbLb0EES17_IbLb1EEEEDaS13_S14_EUlS13_E_NS1_11comp_targetILNS1_3genE8ELNS1_11target_archE1030ELNS1_3gpuE2ELNS1_3repE0EEENS1_30default_config_static_selectorELNS0_4arch9wavefront6targetE0EEEvT1_,"axG",@progbits,_ZN7rocprim17ROCPRIM_400000_NS6detail17trampoline_kernelINS0_14default_configENS1_25partition_config_selectorILNS1_17partition_subalgoE9ExxbEEZZNS1_14partition_implILS5_9ELb0ES3_jN6thrust23THRUST_200600_302600_NS6detail15normal_iteratorINS9_10device_ptrIxEEEESE_PNS0_10empty_typeENS0_5tupleIJSE_SF_EEENSH_IJSE_SG_EEENS0_18inequality_wrapperINS9_8equal_toIxEEEEPmJSF_EEE10hipError_tPvRmT3_T4_T5_T6_T7_T9_mT8_P12ihipStream_tbDpT10_ENKUlT_T0_E_clISt17integral_constantIbLb0EES17_IbLb1EEEEDaS13_S14_EUlS13_E_NS1_11comp_targetILNS1_3genE8ELNS1_11target_archE1030ELNS1_3gpuE2ELNS1_3repE0EEENS1_30default_config_static_selectorELNS0_4arch9wavefront6targetE0EEEvT1_,comdat
.Lfunc_end371:
	.size	_ZN7rocprim17ROCPRIM_400000_NS6detail17trampoline_kernelINS0_14default_configENS1_25partition_config_selectorILNS1_17partition_subalgoE9ExxbEEZZNS1_14partition_implILS5_9ELb0ES3_jN6thrust23THRUST_200600_302600_NS6detail15normal_iteratorINS9_10device_ptrIxEEEESE_PNS0_10empty_typeENS0_5tupleIJSE_SF_EEENSH_IJSE_SG_EEENS0_18inequality_wrapperINS9_8equal_toIxEEEEPmJSF_EEE10hipError_tPvRmT3_T4_T5_T6_T7_T9_mT8_P12ihipStream_tbDpT10_ENKUlT_T0_E_clISt17integral_constantIbLb0EES17_IbLb1EEEEDaS13_S14_EUlS13_E_NS1_11comp_targetILNS1_3genE8ELNS1_11target_archE1030ELNS1_3gpuE2ELNS1_3repE0EEENS1_30default_config_static_selectorELNS0_4arch9wavefront6targetE0EEEvT1_, .Lfunc_end371-_ZN7rocprim17ROCPRIM_400000_NS6detail17trampoline_kernelINS0_14default_configENS1_25partition_config_selectorILNS1_17partition_subalgoE9ExxbEEZZNS1_14partition_implILS5_9ELb0ES3_jN6thrust23THRUST_200600_302600_NS6detail15normal_iteratorINS9_10device_ptrIxEEEESE_PNS0_10empty_typeENS0_5tupleIJSE_SF_EEENSH_IJSE_SG_EEENS0_18inequality_wrapperINS9_8equal_toIxEEEEPmJSF_EEE10hipError_tPvRmT3_T4_T5_T6_T7_T9_mT8_P12ihipStream_tbDpT10_ENKUlT_T0_E_clISt17integral_constantIbLb0EES17_IbLb1EEEEDaS13_S14_EUlS13_E_NS1_11comp_targetILNS1_3genE8ELNS1_11target_archE1030ELNS1_3gpuE2ELNS1_3repE0EEENS1_30default_config_static_selectorELNS0_4arch9wavefront6targetE0EEEvT1_
                                        ; -- End function
	.section	.AMDGPU.csdata,"",@progbits
; Kernel info:
; codeLenInByte = 0
; NumSgprs: 0
; NumVgprs: 0
; ScratchSize: 0
; MemoryBound: 0
; FloatMode: 240
; IeeeMode: 1
; LDSByteSize: 0 bytes/workgroup (compile time only)
; SGPRBlocks: 0
; VGPRBlocks: 0
; NumSGPRsForWavesPerEU: 1
; NumVGPRsForWavesPerEU: 1
; Occupancy: 16
; WaveLimiterHint : 0
; COMPUTE_PGM_RSRC2:SCRATCH_EN: 0
; COMPUTE_PGM_RSRC2:USER_SGPR: 15
; COMPUTE_PGM_RSRC2:TRAP_HANDLER: 0
; COMPUTE_PGM_RSRC2:TGID_X_EN: 1
; COMPUTE_PGM_RSRC2:TGID_Y_EN: 0
; COMPUTE_PGM_RSRC2:TGID_Z_EN: 0
; COMPUTE_PGM_RSRC2:TIDIG_COMP_CNT: 0
	.section	.text._ZN7rocprim17ROCPRIM_400000_NS6detail17trampoline_kernelINS0_14default_configENS1_25partition_config_selectorILNS1_17partition_subalgoE9ExxbEEZZNS1_14partition_implILS5_9ELb0ES3_jN6thrust23THRUST_200600_302600_NS6detail15normal_iteratorINS9_10device_ptrIxEEEESE_PNS0_10empty_typeENS0_5tupleIJSE_SF_EEENSH_IJSE_SG_EEENS0_18inequality_wrapperI22is_equal_div_10_uniqueIxEEEPmJSF_EEE10hipError_tPvRmT3_T4_T5_T6_T7_T9_mT8_P12ihipStream_tbDpT10_ENKUlT_T0_E_clISt17integral_constantIbLb0EES18_EEDaS13_S14_EUlS13_E_NS1_11comp_targetILNS1_3genE0ELNS1_11target_archE4294967295ELNS1_3gpuE0ELNS1_3repE0EEENS1_30default_config_static_selectorELNS0_4arch9wavefront6targetE0EEEvT1_,"axG",@progbits,_ZN7rocprim17ROCPRIM_400000_NS6detail17trampoline_kernelINS0_14default_configENS1_25partition_config_selectorILNS1_17partition_subalgoE9ExxbEEZZNS1_14partition_implILS5_9ELb0ES3_jN6thrust23THRUST_200600_302600_NS6detail15normal_iteratorINS9_10device_ptrIxEEEESE_PNS0_10empty_typeENS0_5tupleIJSE_SF_EEENSH_IJSE_SG_EEENS0_18inequality_wrapperI22is_equal_div_10_uniqueIxEEEPmJSF_EEE10hipError_tPvRmT3_T4_T5_T6_T7_T9_mT8_P12ihipStream_tbDpT10_ENKUlT_T0_E_clISt17integral_constantIbLb0EES18_EEDaS13_S14_EUlS13_E_NS1_11comp_targetILNS1_3genE0ELNS1_11target_archE4294967295ELNS1_3gpuE0ELNS1_3repE0EEENS1_30default_config_static_selectorELNS0_4arch9wavefront6targetE0EEEvT1_,comdat
	.protected	_ZN7rocprim17ROCPRIM_400000_NS6detail17trampoline_kernelINS0_14default_configENS1_25partition_config_selectorILNS1_17partition_subalgoE9ExxbEEZZNS1_14partition_implILS5_9ELb0ES3_jN6thrust23THRUST_200600_302600_NS6detail15normal_iteratorINS9_10device_ptrIxEEEESE_PNS0_10empty_typeENS0_5tupleIJSE_SF_EEENSH_IJSE_SG_EEENS0_18inequality_wrapperI22is_equal_div_10_uniqueIxEEEPmJSF_EEE10hipError_tPvRmT3_T4_T5_T6_T7_T9_mT8_P12ihipStream_tbDpT10_ENKUlT_T0_E_clISt17integral_constantIbLb0EES18_EEDaS13_S14_EUlS13_E_NS1_11comp_targetILNS1_3genE0ELNS1_11target_archE4294967295ELNS1_3gpuE0ELNS1_3repE0EEENS1_30default_config_static_selectorELNS0_4arch9wavefront6targetE0EEEvT1_ ; -- Begin function _ZN7rocprim17ROCPRIM_400000_NS6detail17trampoline_kernelINS0_14default_configENS1_25partition_config_selectorILNS1_17partition_subalgoE9ExxbEEZZNS1_14partition_implILS5_9ELb0ES3_jN6thrust23THRUST_200600_302600_NS6detail15normal_iteratorINS9_10device_ptrIxEEEESE_PNS0_10empty_typeENS0_5tupleIJSE_SF_EEENSH_IJSE_SG_EEENS0_18inequality_wrapperI22is_equal_div_10_uniqueIxEEEPmJSF_EEE10hipError_tPvRmT3_T4_T5_T6_T7_T9_mT8_P12ihipStream_tbDpT10_ENKUlT_T0_E_clISt17integral_constantIbLb0EES18_EEDaS13_S14_EUlS13_E_NS1_11comp_targetILNS1_3genE0ELNS1_11target_archE4294967295ELNS1_3gpuE0ELNS1_3repE0EEENS1_30default_config_static_selectorELNS0_4arch9wavefront6targetE0EEEvT1_
	.globl	_ZN7rocprim17ROCPRIM_400000_NS6detail17trampoline_kernelINS0_14default_configENS1_25partition_config_selectorILNS1_17partition_subalgoE9ExxbEEZZNS1_14partition_implILS5_9ELb0ES3_jN6thrust23THRUST_200600_302600_NS6detail15normal_iteratorINS9_10device_ptrIxEEEESE_PNS0_10empty_typeENS0_5tupleIJSE_SF_EEENSH_IJSE_SG_EEENS0_18inequality_wrapperI22is_equal_div_10_uniqueIxEEEPmJSF_EEE10hipError_tPvRmT3_T4_T5_T6_T7_T9_mT8_P12ihipStream_tbDpT10_ENKUlT_T0_E_clISt17integral_constantIbLb0EES18_EEDaS13_S14_EUlS13_E_NS1_11comp_targetILNS1_3genE0ELNS1_11target_archE4294967295ELNS1_3gpuE0ELNS1_3repE0EEENS1_30default_config_static_selectorELNS0_4arch9wavefront6targetE0EEEvT1_
	.p2align	8
	.type	_ZN7rocprim17ROCPRIM_400000_NS6detail17trampoline_kernelINS0_14default_configENS1_25partition_config_selectorILNS1_17partition_subalgoE9ExxbEEZZNS1_14partition_implILS5_9ELb0ES3_jN6thrust23THRUST_200600_302600_NS6detail15normal_iteratorINS9_10device_ptrIxEEEESE_PNS0_10empty_typeENS0_5tupleIJSE_SF_EEENSH_IJSE_SG_EEENS0_18inequality_wrapperI22is_equal_div_10_uniqueIxEEEPmJSF_EEE10hipError_tPvRmT3_T4_T5_T6_T7_T9_mT8_P12ihipStream_tbDpT10_ENKUlT_T0_E_clISt17integral_constantIbLb0EES18_EEDaS13_S14_EUlS13_E_NS1_11comp_targetILNS1_3genE0ELNS1_11target_archE4294967295ELNS1_3gpuE0ELNS1_3repE0EEENS1_30default_config_static_selectorELNS0_4arch9wavefront6targetE0EEEvT1_,@function
_ZN7rocprim17ROCPRIM_400000_NS6detail17trampoline_kernelINS0_14default_configENS1_25partition_config_selectorILNS1_17partition_subalgoE9ExxbEEZZNS1_14partition_implILS5_9ELb0ES3_jN6thrust23THRUST_200600_302600_NS6detail15normal_iteratorINS9_10device_ptrIxEEEESE_PNS0_10empty_typeENS0_5tupleIJSE_SF_EEENSH_IJSE_SG_EEENS0_18inequality_wrapperI22is_equal_div_10_uniqueIxEEEPmJSF_EEE10hipError_tPvRmT3_T4_T5_T6_T7_T9_mT8_P12ihipStream_tbDpT10_ENKUlT_T0_E_clISt17integral_constantIbLb0EES18_EEDaS13_S14_EUlS13_E_NS1_11comp_targetILNS1_3genE0ELNS1_11target_archE4294967295ELNS1_3gpuE0ELNS1_3repE0EEENS1_30default_config_static_selectorELNS0_4arch9wavefront6targetE0EEEvT1_: ; @_ZN7rocprim17ROCPRIM_400000_NS6detail17trampoline_kernelINS0_14default_configENS1_25partition_config_selectorILNS1_17partition_subalgoE9ExxbEEZZNS1_14partition_implILS5_9ELb0ES3_jN6thrust23THRUST_200600_302600_NS6detail15normal_iteratorINS9_10device_ptrIxEEEESE_PNS0_10empty_typeENS0_5tupleIJSE_SF_EEENSH_IJSE_SG_EEENS0_18inequality_wrapperI22is_equal_div_10_uniqueIxEEEPmJSF_EEE10hipError_tPvRmT3_T4_T5_T6_T7_T9_mT8_P12ihipStream_tbDpT10_ENKUlT_T0_E_clISt17integral_constantIbLb0EES18_EEDaS13_S14_EUlS13_E_NS1_11comp_targetILNS1_3genE0ELNS1_11target_archE4294967295ELNS1_3gpuE0ELNS1_3repE0EEENS1_30default_config_static_selectorELNS0_4arch9wavefront6targetE0EEEvT1_
; %bb.0:
	.section	.rodata,"a",@progbits
	.p2align	6, 0x0
	.amdhsa_kernel _ZN7rocprim17ROCPRIM_400000_NS6detail17trampoline_kernelINS0_14default_configENS1_25partition_config_selectorILNS1_17partition_subalgoE9ExxbEEZZNS1_14partition_implILS5_9ELb0ES3_jN6thrust23THRUST_200600_302600_NS6detail15normal_iteratorINS9_10device_ptrIxEEEESE_PNS0_10empty_typeENS0_5tupleIJSE_SF_EEENSH_IJSE_SG_EEENS0_18inequality_wrapperI22is_equal_div_10_uniqueIxEEEPmJSF_EEE10hipError_tPvRmT3_T4_T5_T6_T7_T9_mT8_P12ihipStream_tbDpT10_ENKUlT_T0_E_clISt17integral_constantIbLb0EES18_EEDaS13_S14_EUlS13_E_NS1_11comp_targetILNS1_3genE0ELNS1_11target_archE4294967295ELNS1_3gpuE0ELNS1_3repE0EEENS1_30default_config_static_selectorELNS0_4arch9wavefront6targetE0EEEvT1_
		.amdhsa_group_segment_fixed_size 0
		.amdhsa_private_segment_fixed_size 0
		.amdhsa_kernarg_size 112
		.amdhsa_user_sgpr_count 15
		.amdhsa_user_sgpr_dispatch_ptr 0
		.amdhsa_user_sgpr_queue_ptr 0
		.amdhsa_user_sgpr_kernarg_segment_ptr 1
		.amdhsa_user_sgpr_dispatch_id 0
		.amdhsa_user_sgpr_private_segment_size 0
		.amdhsa_wavefront_size32 1
		.amdhsa_uses_dynamic_stack 0
		.amdhsa_enable_private_segment 0
		.amdhsa_system_sgpr_workgroup_id_x 1
		.amdhsa_system_sgpr_workgroup_id_y 0
		.amdhsa_system_sgpr_workgroup_id_z 0
		.amdhsa_system_sgpr_workgroup_info 0
		.amdhsa_system_vgpr_workitem_id 0
		.amdhsa_next_free_vgpr 1
		.amdhsa_next_free_sgpr 1
		.amdhsa_reserve_vcc 0
		.amdhsa_float_round_mode_32 0
		.amdhsa_float_round_mode_16_64 0
		.amdhsa_float_denorm_mode_32 3
		.amdhsa_float_denorm_mode_16_64 3
		.amdhsa_dx10_clamp 1
		.amdhsa_ieee_mode 1
		.amdhsa_fp16_overflow 0
		.amdhsa_workgroup_processor_mode 1
		.amdhsa_memory_ordered 1
		.amdhsa_forward_progress 0
		.amdhsa_shared_vgpr_count 0
		.amdhsa_exception_fp_ieee_invalid_op 0
		.amdhsa_exception_fp_denorm_src 0
		.amdhsa_exception_fp_ieee_div_zero 0
		.amdhsa_exception_fp_ieee_overflow 0
		.amdhsa_exception_fp_ieee_underflow 0
		.amdhsa_exception_fp_ieee_inexact 0
		.amdhsa_exception_int_div_zero 0
	.end_amdhsa_kernel
	.section	.text._ZN7rocprim17ROCPRIM_400000_NS6detail17trampoline_kernelINS0_14default_configENS1_25partition_config_selectorILNS1_17partition_subalgoE9ExxbEEZZNS1_14partition_implILS5_9ELb0ES3_jN6thrust23THRUST_200600_302600_NS6detail15normal_iteratorINS9_10device_ptrIxEEEESE_PNS0_10empty_typeENS0_5tupleIJSE_SF_EEENSH_IJSE_SG_EEENS0_18inequality_wrapperI22is_equal_div_10_uniqueIxEEEPmJSF_EEE10hipError_tPvRmT3_T4_T5_T6_T7_T9_mT8_P12ihipStream_tbDpT10_ENKUlT_T0_E_clISt17integral_constantIbLb0EES18_EEDaS13_S14_EUlS13_E_NS1_11comp_targetILNS1_3genE0ELNS1_11target_archE4294967295ELNS1_3gpuE0ELNS1_3repE0EEENS1_30default_config_static_selectorELNS0_4arch9wavefront6targetE0EEEvT1_,"axG",@progbits,_ZN7rocprim17ROCPRIM_400000_NS6detail17trampoline_kernelINS0_14default_configENS1_25partition_config_selectorILNS1_17partition_subalgoE9ExxbEEZZNS1_14partition_implILS5_9ELb0ES3_jN6thrust23THRUST_200600_302600_NS6detail15normal_iteratorINS9_10device_ptrIxEEEESE_PNS0_10empty_typeENS0_5tupleIJSE_SF_EEENSH_IJSE_SG_EEENS0_18inequality_wrapperI22is_equal_div_10_uniqueIxEEEPmJSF_EEE10hipError_tPvRmT3_T4_T5_T6_T7_T9_mT8_P12ihipStream_tbDpT10_ENKUlT_T0_E_clISt17integral_constantIbLb0EES18_EEDaS13_S14_EUlS13_E_NS1_11comp_targetILNS1_3genE0ELNS1_11target_archE4294967295ELNS1_3gpuE0ELNS1_3repE0EEENS1_30default_config_static_selectorELNS0_4arch9wavefront6targetE0EEEvT1_,comdat
.Lfunc_end372:
	.size	_ZN7rocprim17ROCPRIM_400000_NS6detail17trampoline_kernelINS0_14default_configENS1_25partition_config_selectorILNS1_17partition_subalgoE9ExxbEEZZNS1_14partition_implILS5_9ELb0ES3_jN6thrust23THRUST_200600_302600_NS6detail15normal_iteratorINS9_10device_ptrIxEEEESE_PNS0_10empty_typeENS0_5tupleIJSE_SF_EEENSH_IJSE_SG_EEENS0_18inequality_wrapperI22is_equal_div_10_uniqueIxEEEPmJSF_EEE10hipError_tPvRmT3_T4_T5_T6_T7_T9_mT8_P12ihipStream_tbDpT10_ENKUlT_T0_E_clISt17integral_constantIbLb0EES18_EEDaS13_S14_EUlS13_E_NS1_11comp_targetILNS1_3genE0ELNS1_11target_archE4294967295ELNS1_3gpuE0ELNS1_3repE0EEENS1_30default_config_static_selectorELNS0_4arch9wavefront6targetE0EEEvT1_, .Lfunc_end372-_ZN7rocprim17ROCPRIM_400000_NS6detail17trampoline_kernelINS0_14default_configENS1_25partition_config_selectorILNS1_17partition_subalgoE9ExxbEEZZNS1_14partition_implILS5_9ELb0ES3_jN6thrust23THRUST_200600_302600_NS6detail15normal_iteratorINS9_10device_ptrIxEEEESE_PNS0_10empty_typeENS0_5tupleIJSE_SF_EEENSH_IJSE_SG_EEENS0_18inequality_wrapperI22is_equal_div_10_uniqueIxEEEPmJSF_EEE10hipError_tPvRmT3_T4_T5_T6_T7_T9_mT8_P12ihipStream_tbDpT10_ENKUlT_T0_E_clISt17integral_constantIbLb0EES18_EEDaS13_S14_EUlS13_E_NS1_11comp_targetILNS1_3genE0ELNS1_11target_archE4294967295ELNS1_3gpuE0ELNS1_3repE0EEENS1_30default_config_static_selectorELNS0_4arch9wavefront6targetE0EEEvT1_
                                        ; -- End function
	.section	.AMDGPU.csdata,"",@progbits
; Kernel info:
; codeLenInByte = 0
; NumSgprs: 0
; NumVgprs: 0
; ScratchSize: 0
; MemoryBound: 0
; FloatMode: 240
; IeeeMode: 1
; LDSByteSize: 0 bytes/workgroup (compile time only)
; SGPRBlocks: 0
; VGPRBlocks: 0
; NumSGPRsForWavesPerEU: 1
; NumVGPRsForWavesPerEU: 1
; Occupancy: 16
; WaveLimiterHint : 0
; COMPUTE_PGM_RSRC2:SCRATCH_EN: 0
; COMPUTE_PGM_RSRC2:USER_SGPR: 15
; COMPUTE_PGM_RSRC2:TRAP_HANDLER: 0
; COMPUTE_PGM_RSRC2:TGID_X_EN: 1
; COMPUTE_PGM_RSRC2:TGID_Y_EN: 0
; COMPUTE_PGM_RSRC2:TGID_Z_EN: 0
; COMPUTE_PGM_RSRC2:TIDIG_COMP_CNT: 0
	.section	.text._ZN7rocprim17ROCPRIM_400000_NS6detail17trampoline_kernelINS0_14default_configENS1_25partition_config_selectorILNS1_17partition_subalgoE9ExxbEEZZNS1_14partition_implILS5_9ELb0ES3_jN6thrust23THRUST_200600_302600_NS6detail15normal_iteratorINS9_10device_ptrIxEEEESE_PNS0_10empty_typeENS0_5tupleIJSE_SF_EEENSH_IJSE_SG_EEENS0_18inequality_wrapperI22is_equal_div_10_uniqueIxEEEPmJSF_EEE10hipError_tPvRmT3_T4_T5_T6_T7_T9_mT8_P12ihipStream_tbDpT10_ENKUlT_T0_E_clISt17integral_constantIbLb0EES18_EEDaS13_S14_EUlS13_E_NS1_11comp_targetILNS1_3genE5ELNS1_11target_archE942ELNS1_3gpuE9ELNS1_3repE0EEENS1_30default_config_static_selectorELNS0_4arch9wavefront6targetE0EEEvT1_,"axG",@progbits,_ZN7rocprim17ROCPRIM_400000_NS6detail17trampoline_kernelINS0_14default_configENS1_25partition_config_selectorILNS1_17partition_subalgoE9ExxbEEZZNS1_14partition_implILS5_9ELb0ES3_jN6thrust23THRUST_200600_302600_NS6detail15normal_iteratorINS9_10device_ptrIxEEEESE_PNS0_10empty_typeENS0_5tupleIJSE_SF_EEENSH_IJSE_SG_EEENS0_18inequality_wrapperI22is_equal_div_10_uniqueIxEEEPmJSF_EEE10hipError_tPvRmT3_T4_T5_T6_T7_T9_mT8_P12ihipStream_tbDpT10_ENKUlT_T0_E_clISt17integral_constantIbLb0EES18_EEDaS13_S14_EUlS13_E_NS1_11comp_targetILNS1_3genE5ELNS1_11target_archE942ELNS1_3gpuE9ELNS1_3repE0EEENS1_30default_config_static_selectorELNS0_4arch9wavefront6targetE0EEEvT1_,comdat
	.protected	_ZN7rocprim17ROCPRIM_400000_NS6detail17trampoline_kernelINS0_14default_configENS1_25partition_config_selectorILNS1_17partition_subalgoE9ExxbEEZZNS1_14partition_implILS5_9ELb0ES3_jN6thrust23THRUST_200600_302600_NS6detail15normal_iteratorINS9_10device_ptrIxEEEESE_PNS0_10empty_typeENS0_5tupleIJSE_SF_EEENSH_IJSE_SG_EEENS0_18inequality_wrapperI22is_equal_div_10_uniqueIxEEEPmJSF_EEE10hipError_tPvRmT3_T4_T5_T6_T7_T9_mT8_P12ihipStream_tbDpT10_ENKUlT_T0_E_clISt17integral_constantIbLb0EES18_EEDaS13_S14_EUlS13_E_NS1_11comp_targetILNS1_3genE5ELNS1_11target_archE942ELNS1_3gpuE9ELNS1_3repE0EEENS1_30default_config_static_selectorELNS0_4arch9wavefront6targetE0EEEvT1_ ; -- Begin function _ZN7rocprim17ROCPRIM_400000_NS6detail17trampoline_kernelINS0_14default_configENS1_25partition_config_selectorILNS1_17partition_subalgoE9ExxbEEZZNS1_14partition_implILS5_9ELb0ES3_jN6thrust23THRUST_200600_302600_NS6detail15normal_iteratorINS9_10device_ptrIxEEEESE_PNS0_10empty_typeENS0_5tupleIJSE_SF_EEENSH_IJSE_SG_EEENS0_18inequality_wrapperI22is_equal_div_10_uniqueIxEEEPmJSF_EEE10hipError_tPvRmT3_T4_T5_T6_T7_T9_mT8_P12ihipStream_tbDpT10_ENKUlT_T0_E_clISt17integral_constantIbLb0EES18_EEDaS13_S14_EUlS13_E_NS1_11comp_targetILNS1_3genE5ELNS1_11target_archE942ELNS1_3gpuE9ELNS1_3repE0EEENS1_30default_config_static_selectorELNS0_4arch9wavefront6targetE0EEEvT1_
	.globl	_ZN7rocprim17ROCPRIM_400000_NS6detail17trampoline_kernelINS0_14default_configENS1_25partition_config_selectorILNS1_17partition_subalgoE9ExxbEEZZNS1_14partition_implILS5_9ELb0ES3_jN6thrust23THRUST_200600_302600_NS6detail15normal_iteratorINS9_10device_ptrIxEEEESE_PNS0_10empty_typeENS0_5tupleIJSE_SF_EEENSH_IJSE_SG_EEENS0_18inequality_wrapperI22is_equal_div_10_uniqueIxEEEPmJSF_EEE10hipError_tPvRmT3_T4_T5_T6_T7_T9_mT8_P12ihipStream_tbDpT10_ENKUlT_T0_E_clISt17integral_constantIbLb0EES18_EEDaS13_S14_EUlS13_E_NS1_11comp_targetILNS1_3genE5ELNS1_11target_archE942ELNS1_3gpuE9ELNS1_3repE0EEENS1_30default_config_static_selectorELNS0_4arch9wavefront6targetE0EEEvT1_
	.p2align	8
	.type	_ZN7rocprim17ROCPRIM_400000_NS6detail17trampoline_kernelINS0_14default_configENS1_25partition_config_selectorILNS1_17partition_subalgoE9ExxbEEZZNS1_14partition_implILS5_9ELb0ES3_jN6thrust23THRUST_200600_302600_NS6detail15normal_iteratorINS9_10device_ptrIxEEEESE_PNS0_10empty_typeENS0_5tupleIJSE_SF_EEENSH_IJSE_SG_EEENS0_18inequality_wrapperI22is_equal_div_10_uniqueIxEEEPmJSF_EEE10hipError_tPvRmT3_T4_T5_T6_T7_T9_mT8_P12ihipStream_tbDpT10_ENKUlT_T0_E_clISt17integral_constantIbLb0EES18_EEDaS13_S14_EUlS13_E_NS1_11comp_targetILNS1_3genE5ELNS1_11target_archE942ELNS1_3gpuE9ELNS1_3repE0EEENS1_30default_config_static_selectorELNS0_4arch9wavefront6targetE0EEEvT1_,@function
_ZN7rocprim17ROCPRIM_400000_NS6detail17trampoline_kernelINS0_14default_configENS1_25partition_config_selectorILNS1_17partition_subalgoE9ExxbEEZZNS1_14partition_implILS5_9ELb0ES3_jN6thrust23THRUST_200600_302600_NS6detail15normal_iteratorINS9_10device_ptrIxEEEESE_PNS0_10empty_typeENS0_5tupleIJSE_SF_EEENSH_IJSE_SG_EEENS0_18inequality_wrapperI22is_equal_div_10_uniqueIxEEEPmJSF_EEE10hipError_tPvRmT3_T4_T5_T6_T7_T9_mT8_P12ihipStream_tbDpT10_ENKUlT_T0_E_clISt17integral_constantIbLb0EES18_EEDaS13_S14_EUlS13_E_NS1_11comp_targetILNS1_3genE5ELNS1_11target_archE942ELNS1_3gpuE9ELNS1_3repE0EEENS1_30default_config_static_selectorELNS0_4arch9wavefront6targetE0EEEvT1_: ; @_ZN7rocprim17ROCPRIM_400000_NS6detail17trampoline_kernelINS0_14default_configENS1_25partition_config_selectorILNS1_17partition_subalgoE9ExxbEEZZNS1_14partition_implILS5_9ELb0ES3_jN6thrust23THRUST_200600_302600_NS6detail15normal_iteratorINS9_10device_ptrIxEEEESE_PNS0_10empty_typeENS0_5tupleIJSE_SF_EEENSH_IJSE_SG_EEENS0_18inequality_wrapperI22is_equal_div_10_uniqueIxEEEPmJSF_EEE10hipError_tPvRmT3_T4_T5_T6_T7_T9_mT8_P12ihipStream_tbDpT10_ENKUlT_T0_E_clISt17integral_constantIbLb0EES18_EEDaS13_S14_EUlS13_E_NS1_11comp_targetILNS1_3genE5ELNS1_11target_archE942ELNS1_3gpuE9ELNS1_3repE0EEENS1_30default_config_static_selectorELNS0_4arch9wavefront6targetE0EEEvT1_
; %bb.0:
	.section	.rodata,"a",@progbits
	.p2align	6, 0x0
	.amdhsa_kernel _ZN7rocprim17ROCPRIM_400000_NS6detail17trampoline_kernelINS0_14default_configENS1_25partition_config_selectorILNS1_17partition_subalgoE9ExxbEEZZNS1_14partition_implILS5_9ELb0ES3_jN6thrust23THRUST_200600_302600_NS6detail15normal_iteratorINS9_10device_ptrIxEEEESE_PNS0_10empty_typeENS0_5tupleIJSE_SF_EEENSH_IJSE_SG_EEENS0_18inequality_wrapperI22is_equal_div_10_uniqueIxEEEPmJSF_EEE10hipError_tPvRmT3_T4_T5_T6_T7_T9_mT8_P12ihipStream_tbDpT10_ENKUlT_T0_E_clISt17integral_constantIbLb0EES18_EEDaS13_S14_EUlS13_E_NS1_11comp_targetILNS1_3genE5ELNS1_11target_archE942ELNS1_3gpuE9ELNS1_3repE0EEENS1_30default_config_static_selectorELNS0_4arch9wavefront6targetE0EEEvT1_
		.amdhsa_group_segment_fixed_size 0
		.amdhsa_private_segment_fixed_size 0
		.amdhsa_kernarg_size 112
		.amdhsa_user_sgpr_count 15
		.amdhsa_user_sgpr_dispatch_ptr 0
		.amdhsa_user_sgpr_queue_ptr 0
		.amdhsa_user_sgpr_kernarg_segment_ptr 1
		.amdhsa_user_sgpr_dispatch_id 0
		.amdhsa_user_sgpr_private_segment_size 0
		.amdhsa_wavefront_size32 1
		.amdhsa_uses_dynamic_stack 0
		.amdhsa_enable_private_segment 0
		.amdhsa_system_sgpr_workgroup_id_x 1
		.amdhsa_system_sgpr_workgroup_id_y 0
		.amdhsa_system_sgpr_workgroup_id_z 0
		.amdhsa_system_sgpr_workgroup_info 0
		.amdhsa_system_vgpr_workitem_id 0
		.amdhsa_next_free_vgpr 1
		.amdhsa_next_free_sgpr 1
		.amdhsa_reserve_vcc 0
		.amdhsa_float_round_mode_32 0
		.amdhsa_float_round_mode_16_64 0
		.amdhsa_float_denorm_mode_32 3
		.amdhsa_float_denorm_mode_16_64 3
		.amdhsa_dx10_clamp 1
		.amdhsa_ieee_mode 1
		.amdhsa_fp16_overflow 0
		.amdhsa_workgroup_processor_mode 1
		.amdhsa_memory_ordered 1
		.amdhsa_forward_progress 0
		.amdhsa_shared_vgpr_count 0
		.amdhsa_exception_fp_ieee_invalid_op 0
		.amdhsa_exception_fp_denorm_src 0
		.amdhsa_exception_fp_ieee_div_zero 0
		.amdhsa_exception_fp_ieee_overflow 0
		.amdhsa_exception_fp_ieee_underflow 0
		.amdhsa_exception_fp_ieee_inexact 0
		.amdhsa_exception_int_div_zero 0
	.end_amdhsa_kernel
	.section	.text._ZN7rocprim17ROCPRIM_400000_NS6detail17trampoline_kernelINS0_14default_configENS1_25partition_config_selectorILNS1_17partition_subalgoE9ExxbEEZZNS1_14partition_implILS5_9ELb0ES3_jN6thrust23THRUST_200600_302600_NS6detail15normal_iteratorINS9_10device_ptrIxEEEESE_PNS0_10empty_typeENS0_5tupleIJSE_SF_EEENSH_IJSE_SG_EEENS0_18inequality_wrapperI22is_equal_div_10_uniqueIxEEEPmJSF_EEE10hipError_tPvRmT3_T4_T5_T6_T7_T9_mT8_P12ihipStream_tbDpT10_ENKUlT_T0_E_clISt17integral_constantIbLb0EES18_EEDaS13_S14_EUlS13_E_NS1_11comp_targetILNS1_3genE5ELNS1_11target_archE942ELNS1_3gpuE9ELNS1_3repE0EEENS1_30default_config_static_selectorELNS0_4arch9wavefront6targetE0EEEvT1_,"axG",@progbits,_ZN7rocprim17ROCPRIM_400000_NS6detail17trampoline_kernelINS0_14default_configENS1_25partition_config_selectorILNS1_17partition_subalgoE9ExxbEEZZNS1_14partition_implILS5_9ELb0ES3_jN6thrust23THRUST_200600_302600_NS6detail15normal_iteratorINS9_10device_ptrIxEEEESE_PNS0_10empty_typeENS0_5tupleIJSE_SF_EEENSH_IJSE_SG_EEENS0_18inequality_wrapperI22is_equal_div_10_uniqueIxEEEPmJSF_EEE10hipError_tPvRmT3_T4_T5_T6_T7_T9_mT8_P12ihipStream_tbDpT10_ENKUlT_T0_E_clISt17integral_constantIbLb0EES18_EEDaS13_S14_EUlS13_E_NS1_11comp_targetILNS1_3genE5ELNS1_11target_archE942ELNS1_3gpuE9ELNS1_3repE0EEENS1_30default_config_static_selectorELNS0_4arch9wavefront6targetE0EEEvT1_,comdat
.Lfunc_end373:
	.size	_ZN7rocprim17ROCPRIM_400000_NS6detail17trampoline_kernelINS0_14default_configENS1_25partition_config_selectorILNS1_17partition_subalgoE9ExxbEEZZNS1_14partition_implILS5_9ELb0ES3_jN6thrust23THRUST_200600_302600_NS6detail15normal_iteratorINS9_10device_ptrIxEEEESE_PNS0_10empty_typeENS0_5tupleIJSE_SF_EEENSH_IJSE_SG_EEENS0_18inequality_wrapperI22is_equal_div_10_uniqueIxEEEPmJSF_EEE10hipError_tPvRmT3_T4_T5_T6_T7_T9_mT8_P12ihipStream_tbDpT10_ENKUlT_T0_E_clISt17integral_constantIbLb0EES18_EEDaS13_S14_EUlS13_E_NS1_11comp_targetILNS1_3genE5ELNS1_11target_archE942ELNS1_3gpuE9ELNS1_3repE0EEENS1_30default_config_static_selectorELNS0_4arch9wavefront6targetE0EEEvT1_, .Lfunc_end373-_ZN7rocprim17ROCPRIM_400000_NS6detail17trampoline_kernelINS0_14default_configENS1_25partition_config_selectorILNS1_17partition_subalgoE9ExxbEEZZNS1_14partition_implILS5_9ELb0ES3_jN6thrust23THRUST_200600_302600_NS6detail15normal_iteratorINS9_10device_ptrIxEEEESE_PNS0_10empty_typeENS0_5tupleIJSE_SF_EEENSH_IJSE_SG_EEENS0_18inequality_wrapperI22is_equal_div_10_uniqueIxEEEPmJSF_EEE10hipError_tPvRmT3_T4_T5_T6_T7_T9_mT8_P12ihipStream_tbDpT10_ENKUlT_T0_E_clISt17integral_constantIbLb0EES18_EEDaS13_S14_EUlS13_E_NS1_11comp_targetILNS1_3genE5ELNS1_11target_archE942ELNS1_3gpuE9ELNS1_3repE0EEENS1_30default_config_static_selectorELNS0_4arch9wavefront6targetE0EEEvT1_
                                        ; -- End function
	.section	.AMDGPU.csdata,"",@progbits
; Kernel info:
; codeLenInByte = 0
; NumSgprs: 0
; NumVgprs: 0
; ScratchSize: 0
; MemoryBound: 0
; FloatMode: 240
; IeeeMode: 1
; LDSByteSize: 0 bytes/workgroup (compile time only)
; SGPRBlocks: 0
; VGPRBlocks: 0
; NumSGPRsForWavesPerEU: 1
; NumVGPRsForWavesPerEU: 1
; Occupancy: 16
; WaveLimiterHint : 0
; COMPUTE_PGM_RSRC2:SCRATCH_EN: 0
; COMPUTE_PGM_RSRC2:USER_SGPR: 15
; COMPUTE_PGM_RSRC2:TRAP_HANDLER: 0
; COMPUTE_PGM_RSRC2:TGID_X_EN: 1
; COMPUTE_PGM_RSRC2:TGID_Y_EN: 0
; COMPUTE_PGM_RSRC2:TGID_Z_EN: 0
; COMPUTE_PGM_RSRC2:TIDIG_COMP_CNT: 0
	.section	.text._ZN7rocprim17ROCPRIM_400000_NS6detail17trampoline_kernelINS0_14default_configENS1_25partition_config_selectorILNS1_17partition_subalgoE9ExxbEEZZNS1_14partition_implILS5_9ELb0ES3_jN6thrust23THRUST_200600_302600_NS6detail15normal_iteratorINS9_10device_ptrIxEEEESE_PNS0_10empty_typeENS0_5tupleIJSE_SF_EEENSH_IJSE_SG_EEENS0_18inequality_wrapperI22is_equal_div_10_uniqueIxEEEPmJSF_EEE10hipError_tPvRmT3_T4_T5_T6_T7_T9_mT8_P12ihipStream_tbDpT10_ENKUlT_T0_E_clISt17integral_constantIbLb0EES18_EEDaS13_S14_EUlS13_E_NS1_11comp_targetILNS1_3genE4ELNS1_11target_archE910ELNS1_3gpuE8ELNS1_3repE0EEENS1_30default_config_static_selectorELNS0_4arch9wavefront6targetE0EEEvT1_,"axG",@progbits,_ZN7rocprim17ROCPRIM_400000_NS6detail17trampoline_kernelINS0_14default_configENS1_25partition_config_selectorILNS1_17partition_subalgoE9ExxbEEZZNS1_14partition_implILS5_9ELb0ES3_jN6thrust23THRUST_200600_302600_NS6detail15normal_iteratorINS9_10device_ptrIxEEEESE_PNS0_10empty_typeENS0_5tupleIJSE_SF_EEENSH_IJSE_SG_EEENS0_18inequality_wrapperI22is_equal_div_10_uniqueIxEEEPmJSF_EEE10hipError_tPvRmT3_T4_T5_T6_T7_T9_mT8_P12ihipStream_tbDpT10_ENKUlT_T0_E_clISt17integral_constantIbLb0EES18_EEDaS13_S14_EUlS13_E_NS1_11comp_targetILNS1_3genE4ELNS1_11target_archE910ELNS1_3gpuE8ELNS1_3repE0EEENS1_30default_config_static_selectorELNS0_4arch9wavefront6targetE0EEEvT1_,comdat
	.protected	_ZN7rocprim17ROCPRIM_400000_NS6detail17trampoline_kernelINS0_14default_configENS1_25partition_config_selectorILNS1_17partition_subalgoE9ExxbEEZZNS1_14partition_implILS5_9ELb0ES3_jN6thrust23THRUST_200600_302600_NS6detail15normal_iteratorINS9_10device_ptrIxEEEESE_PNS0_10empty_typeENS0_5tupleIJSE_SF_EEENSH_IJSE_SG_EEENS0_18inequality_wrapperI22is_equal_div_10_uniqueIxEEEPmJSF_EEE10hipError_tPvRmT3_T4_T5_T6_T7_T9_mT8_P12ihipStream_tbDpT10_ENKUlT_T0_E_clISt17integral_constantIbLb0EES18_EEDaS13_S14_EUlS13_E_NS1_11comp_targetILNS1_3genE4ELNS1_11target_archE910ELNS1_3gpuE8ELNS1_3repE0EEENS1_30default_config_static_selectorELNS0_4arch9wavefront6targetE0EEEvT1_ ; -- Begin function _ZN7rocprim17ROCPRIM_400000_NS6detail17trampoline_kernelINS0_14default_configENS1_25partition_config_selectorILNS1_17partition_subalgoE9ExxbEEZZNS1_14partition_implILS5_9ELb0ES3_jN6thrust23THRUST_200600_302600_NS6detail15normal_iteratorINS9_10device_ptrIxEEEESE_PNS0_10empty_typeENS0_5tupleIJSE_SF_EEENSH_IJSE_SG_EEENS0_18inequality_wrapperI22is_equal_div_10_uniqueIxEEEPmJSF_EEE10hipError_tPvRmT3_T4_T5_T6_T7_T9_mT8_P12ihipStream_tbDpT10_ENKUlT_T0_E_clISt17integral_constantIbLb0EES18_EEDaS13_S14_EUlS13_E_NS1_11comp_targetILNS1_3genE4ELNS1_11target_archE910ELNS1_3gpuE8ELNS1_3repE0EEENS1_30default_config_static_selectorELNS0_4arch9wavefront6targetE0EEEvT1_
	.globl	_ZN7rocprim17ROCPRIM_400000_NS6detail17trampoline_kernelINS0_14default_configENS1_25partition_config_selectorILNS1_17partition_subalgoE9ExxbEEZZNS1_14partition_implILS5_9ELb0ES3_jN6thrust23THRUST_200600_302600_NS6detail15normal_iteratorINS9_10device_ptrIxEEEESE_PNS0_10empty_typeENS0_5tupleIJSE_SF_EEENSH_IJSE_SG_EEENS0_18inequality_wrapperI22is_equal_div_10_uniqueIxEEEPmJSF_EEE10hipError_tPvRmT3_T4_T5_T6_T7_T9_mT8_P12ihipStream_tbDpT10_ENKUlT_T0_E_clISt17integral_constantIbLb0EES18_EEDaS13_S14_EUlS13_E_NS1_11comp_targetILNS1_3genE4ELNS1_11target_archE910ELNS1_3gpuE8ELNS1_3repE0EEENS1_30default_config_static_selectorELNS0_4arch9wavefront6targetE0EEEvT1_
	.p2align	8
	.type	_ZN7rocprim17ROCPRIM_400000_NS6detail17trampoline_kernelINS0_14default_configENS1_25partition_config_selectorILNS1_17partition_subalgoE9ExxbEEZZNS1_14partition_implILS5_9ELb0ES3_jN6thrust23THRUST_200600_302600_NS6detail15normal_iteratorINS9_10device_ptrIxEEEESE_PNS0_10empty_typeENS0_5tupleIJSE_SF_EEENSH_IJSE_SG_EEENS0_18inequality_wrapperI22is_equal_div_10_uniqueIxEEEPmJSF_EEE10hipError_tPvRmT3_T4_T5_T6_T7_T9_mT8_P12ihipStream_tbDpT10_ENKUlT_T0_E_clISt17integral_constantIbLb0EES18_EEDaS13_S14_EUlS13_E_NS1_11comp_targetILNS1_3genE4ELNS1_11target_archE910ELNS1_3gpuE8ELNS1_3repE0EEENS1_30default_config_static_selectorELNS0_4arch9wavefront6targetE0EEEvT1_,@function
_ZN7rocprim17ROCPRIM_400000_NS6detail17trampoline_kernelINS0_14default_configENS1_25partition_config_selectorILNS1_17partition_subalgoE9ExxbEEZZNS1_14partition_implILS5_9ELb0ES3_jN6thrust23THRUST_200600_302600_NS6detail15normal_iteratorINS9_10device_ptrIxEEEESE_PNS0_10empty_typeENS0_5tupleIJSE_SF_EEENSH_IJSE_SG_EEENS0_18inequality_wrapperI22is_equal_div_10_uniqueIxEEEPmJSF_EEE10hipError_tPvRmT3_T4_T5_T6_T7_T9_mT8_P12ihipStream_tbDpT10_ENKUlT_T0_E_clISt17integral_constantIbLb0EES18_EEDaS13_S14_EUlS13_E_NS1_11comp_targetILNS1_3genE4ELNS1_11target_archE910ELNS1_3gpuE8ELNS1_3repE0EEENS1_30default_config_static_selectorELNS0_4arch9wavefront6targetE0EEEvT1_: ; @_ZN7rocprim17ROCPRIM_400000_NS6detail17trampoline_kernelINS0_14default_configENS1_25partition_config_selectorILNS1_17partition_subalgoE9ExxbEEZZNS1_14partition_implILS5_9ELb0ES3_jN6thrust23THRUST_200600_302600_NS6detail15normal_iteratorINS9_10device_ptrIxEEEESE_PNS0_10empty_typeENS0_5tupleIJSE_SF_EEENSH_IJSE_SG_EEENS0_18inequality_wrapperI22is_equal_div_10_uniqueIxEEEPmJSF_EEE10hipError_tPvRmT3_T4_T5_T6_T7_T9_mT8_P12ihipStream_tbDpT10_ENKUlT_T0_E_clISt17integral_constantIbLb0EES18_EEDaS13_S14_EUlS13_E_NS1_11comp_targetILNS1_3genE4ELNS1_11target_archE910ELNS1_3gpuE8ELNS1_3repE0EEENS1_30default_config_static_selectorELNS0_4arch9wavefront6targetE0EEEvT1_
; %bb.0:
	.section	.rodata,"a",@progbits
	.p2align	6, 0x0
	.amdhsa_kernel _ZN7rocprim17ROCPRIM_400000_NS6detail17trampoline_kernelINS0_14default_configENS1_25partition_config_selectorILNS1_17partition_subalgoE9ExxbEEZZNS1_14partition_implILS5_9ELb0ES3_jN6thrust23THRUST_200600_302600_NS6detail15normal_iteratorINS9_10device_ptrIxEEEESE_PNS0_10empty_typeENS0_5tupleIJSE_SF_EEENSH_IJSE_SG_EEENS0_18inequality_wrapperI22is_equal_div_10_uniqueIxEEEPmJSF_EEE10hipError_tPvRmT3_T4_T5_T6_T7_T9_mT8_P12ihipStream_tbDpT10_ENKUlT_T0_E_clISt17integral_constantIbLb0EES18_EEDaS13_S14_EUlS13_E_NS1_11comp_targetILNS1_3genE4ELNS1_11target_archE910ELNS1_3gpuE8ELNS1_3repE0EEENS1_30default_config_static_selectorELNS0_4arch9wavefront6targetE0EEEvT1_
		.amdhsa_group_segment_fixed_size 0
		.amdhsa_private_segment_fixed_size 0
		.amdhsa_kernarg_size 112
		.amdhsa_user_sgpr_count 15
		.amdhsa_user_sgpr_dispatch_ptr 0
		.amdhsa_user_sgpr_queue_ptr 0
		.amdhsa_user_sgpr_kernarg_segment_ptr 1
		.amdhsa_user_sgpr_dispatch_id 0
		.amdhsa_user_sgpr_private_segment_size 0
		.amdhsa_wavefront_size32 1
		.amdhsa_uses_dynamic_stack 0
		.amdhsa_enable_private_segment 0
		.amdhsa_system_sgpr_workgroup_id_x 1
		.amdhsa_system_sgpr_workgroup_id_y 0
		.amdhsa_system_sgpr_workgroup_id_z 0
		.amdhsa_system_sgpr_workgroup_info 0
		.amdhsa_system_vgpr_workitem_id 0
		.amdhsa_next_free_vgpr 1
		.amdhsa_next_free_sgpr 1
		.amdhsa_reserve_vcc 0
		.amdhsa_float_round_mode_32 0
		.amdhsa_float_round_mode_16_64 0
		.amdhsa_float_denorm_mode_32 3
		.amdhsa_float_denorm_mode_16_64 3
		.amdhsa_dx10_clamp 1
		.amdhsa_ieee_mode 1
		.amdhsa_fp16_overflow 0
		.amdhsa_workgroup_processor_mode 1
		.amdhsa_memory_ordered 1
		.amdhsa_forward_progress 0
		.amdhsa_shared_vgpr_count 0
		.amdhsa_exception_fp_ieee_invalid_op 0
		.amdhsa_exception_fp_denorm_src 0
		.amdhsa_exception_fp_ieee_div_zero 0
		.amdhsa_exception_fp_ieee_overflow 0
		.amdhsa_exception_fp_ieee_underflow 0
		.amdhsa_exception_fp_ieee_inexact 0
		.amdhsa_exception_int_div_zero 0
	.end_amdhsa_kernel
	.section	.text._ZN7rocprim17ROCPRIM_400000_NS6detail17trampoline_kernelINS0_14default_configENS1_25partition_config_selectorILNS1_17partition_subalgoE9ExxbEEZZNS1_14partition_implILS5_9ELb0ES3_jN6thrust23THRUST_200600_302600_NS6detail15normal_iteratorINS9_10device_ptrIxEEEESE_PNS0_10empty_typeENS0_5tupleIJSE_SF_EEENSH_IJSE_SG_EEENS0_18inequality_wrapperI22is_equal_div_10_uniqueIxEEEPmJSF_EEE10hipError_tPvRmT3_T4_T5_T6_T7_T9_mT8_P12ihipStream_tbDpT10_ENKUlT_T0_E_clISt17integral_constantIbLb0EES18_EEDaS13_S14_EUlS13_E_NS1_11comp_targetILNS1_3genE4ELNS1_11target_archE910ELNS1_3gpuE8ELNS1_3repE0EEENS1_30default_config_static_selectorELNS0_4arch9wavefront6targetE0EEEvT1_,"axG",@progbits,_ZN7rocprim17ROCPRIM_400000_NS6detail17trampoline_kernelINS0_14default_configENS1_25partition_config_selectorILNS1_17partition_subalgoE9ExxbEEZZNS1_14partition_implILS5_9ELb0ES3_jN6thrust23THRUST_200600_302600_NS6detail15normal_iteratorINS9_10device_ptrIxEEEESE_PNS0_10empty_typeENS0_5tupleIJSE_SF_EEENSH_IJSE_SG_EEENS0_18inequality_wrapperI22is_equal_div_10_uniqueIxEEEPmJSF_EEE10hipError_tPvRmT3_T4_T5_T6_T7_T9_mT8_P12ihipStream_tbDpT10_ENKUlT_T0_E_clISt17integral_constantIbLb0EES18_EEDaS13_S14_EUlS13_E_NS1_11comp_targetILNS1_3genE4ELNS1_11target_archE910ELNS1_3gpuE8ELNS1_3repE0EEENS1_30default_config_static_selectorELNS0_4arch9wavefront6targetE0EEEvT1_,comdat
.Lfunc_end374:
	.size	_ZN7rocprim17ROCPRIM_400000_NS6detail17trampoline_kernelINS0_14default_configENS1_25partition_config_selectorILNS1_17partition_subalgoE9ExxbEEZZNS1_14partition_implILS5_9ELb0ES3_jN6thrust23THRUST_200600_302600_NS6detail15normal_iteratorINS9_10device_ptrIxEEEESE_PNS0_10empty_typeENS0_5tupleIJSE_SF_EEENSH_IJSE_SG_EEENS0_18inequality_wrapperI22is_equal_div_10_uniqueIxEEEPmJSF_EEE10hipError_tPvRmT3_T4_T5_T6_T7_T9_mT8_P12ihipStream_tbDpT10_ENKUlT_T0_E_clISt17integral_constantIbLb0EES18_EEDaS13_S14_EUlS13_E_NS1_11comp_targetILNS1_3genE4ELNS1_11target_archE910ELNS1_3gpuE8ELNS1_3repE0EEENS1_30default_config_static_selectorELNS0_4arch9wavefront6targetE0EEEvT1_, .Lfunc_end374-_ZN7rocprim17ROCPRIM_400000_NS6detail17trampoline_kernelINS0_14default_configENS1_25partition_config_selectorILNS1_17partition_subalgoE9ExxbEEZZNS1_14partition_implILS5_9ELb0ES3_jN6thrust23THRUST_200600_302600_NS6detail15normal_iteratorINS9_10device_ptrIxEEEESE_PNS0_10empty_typeENS0_5tupleIJSE_SF_EEENSH_IJSE_SG_EEENS0_18inequality_wrapperI22is_equal_div_10_uniqueIxEEEPmJSF_EEE10hipError_tPvRmT3_T4_T5_T6_T7_T9_mT8_P12ihipStream_tbDpT10_ENKUlT_T0_E_clISt17integral_constantIbLb0EES18_EEDaS13_S14_EUlS13_E_NS1_11comp_targetILNS1_3genE4ELNS1_11target_archE910ELNS1_3gpuE8ELNS1_3repE0EEENS1_30default_config_static_selectorELNS0_4arch9wavefront6targetE0EEEvT1_
                                        ; -- End function
	.section	.AMDGPU.csdata,"",@progbits
; Kernel info:
; codeLenInByte = 0
; NumSgprs: 0
; NumVgprs: 0
; ScratchSize: 0
; MemoryBound: 0
; FloatMode: 240
; IeeeMode: 1
; LDSByteSize: 0 bytes/workgroup (compile time only)
; SGPRBlocks: 0
; VGPRBlocks: 0
; NumSGPRsForWavesPerEU: 1
; NumVGPRsForWavesPerEU: 1
; Occupancy: 16
; WaveLimiterHint : 0
; COMPUTE_PGM_RSRC2:SCRATCH_EN: 0
; COMPUTE_PGM_RSRC2:USER_SGPR: 15
; COMPUTE_PGM_RSRC2:TRAP_HANDLER: 0
; COMPUTE_PGM_RSRC2:TGID_X_EN: 1
; COMPUTE_PGM_RSRC2:TGID_Y_EN: 0
; COMPUTE_PGM_RSRC2:TGID_Z_EN: 0
; COMPUTE_PGM_RSRC2:TIDIG_COMP_CNT: 0
	.section	.text._ZN7rocprim17ROCPRIM_400000_NS6detail17trampoline_kernelINS0_14default_configENS1_25partition_config_selectorILNS1_17partition_subalgoE9ExxbEEZZNS1_14partition_implILS5_9ELb0ES3_jN6thrust23THRUST_200600_302600_NS6detail15normal_iteratorINS9_10device_ptrIxEEEESE_PNS0_10empty_typeENS0_5tupleIJSE_SF_EEENSH_IJSE_SG_EEENS0_18inequality_wrapperI22is_equal_div_10_uniqueIxEEEPmJSF_EEE10hipError_tPvRmT3_T4_T5_T6_T7_T9_mT8_P12ihipStream_tbDpT10_ENKUlT_T0_E_clISt17integral_constantIbLb0EES18_EEDaS13_S14_EUlS13_E_NS1_11comp_targetILNS1_3genE3ELNS1_11target_archE908ELNS1_3gpuE7ELNS1_3repE0EEENS1_30default_config_static_selectorELNS0_4arch9wavefront6targetE0EEEvT1_,"axG",@progbits,_ZN7rocprim17ROCPRIM_400000_NS6detail17trampoline_kernelINS0_14default_configENS1_25partition_config_selectorILNS1_17partition_subalgoE9ExxbEEZZNS1_14partition_implILS5_9ELb0ES3_jN6thrust23THRUST_200600_302600_NS6detail15normal_iteratorINS9_10device_ptrIxEEEESE_PNS0_10empty_typeENS0_5tupleIJSE_SF_EEENSH_IJSE_SG_EEENS0_18inequality_wrapperI22is_equal_div_10_uniqueIxEEEPmJSF_EEE10hipError_tPvRmT3_T4_T5_T6_T7_T9_mT8_P12ihipStream_tbDpT10_ENKUlT_T0_E_clISt17integral_constantIbLb0EES18_EEDaS13_S14_EUlS13_E_NS1_11comp_targetILNS1_3genE3ELNS1_11target_archE908ELNS1_3gpuE7ELNS1_3repE0EEENS1_30default_config_static_selectorELNS0_4arch9wavefront6targetE0EEEvT1_,comdat
	.protected	_ZN7rocprim17ROCPRIM_400000_NS6detail17trampoline_kernelINS0_14default_configENS1_25partition_config_selectorILNS1_17partition_subalgoE9ExxbEEZZNS1_14partition_implILS5_9ELb0ES3_jN6thrust23THRUST_200600_302600_NS6detail15normal_iteratorINS9_10device_ptrIxEEEESE_PNS0_10empty_typeENS0_5tupleIJSE_SF_EEENSH_IJSE_SG_EEENS0_18inequality_wrapperI22is_equal_div_10_uniqueIxEEEPmJSF_EEE10hipError_tPvRmT3_T4_T5_T6_T7_T9_mT8_P12ihipStream_tbDpT10_ENKUlT_T0_E_clISt17integral_constantIbLb0EES18_EEDaS13_S14_EUlS13_E_NS1_11comp_targetILNS1_3genE3ELNS1_11target_archE908ELNS1_3gpuE7ELNS1_3repE0EEENS1_30default_config_static_selectorELNS0_4arch9wavefront6targetE0EEEvT1_ ; -- Begin function _ZN7rocprim17ROCPRIM_400000_NS6detail17trampoline_kernelINS0_14default_configENS1_25partition_config_selectorILNS1_17partition_subalgoE9ExxbEEZZNS1_14partition_implILS5_9ELb0ES3_jN6thrust23THRUST_200600_302600_NS6detail15normal_iteratorINS9_10device_ptrIxEEEESE_PNS0_10empty_typeENS0_5tupleIJSE_SF_EEENSH_IJSE_SG_EEENS0_18inequality_wrapperI22is_equal_div_10_uniqueIxEEEPmJSF_EEE10hipError_tPvRmT3_T4_T5_T6_T7_T9_mT8_P12ihipStream_tbDpT10_ENKUlT_T0_E_clISt17integral_constantIbLb0EES18_EEDaS13_S14_EUlS13_E_NS1_11comp_targetILNS1_3genE3ELNS1_11target_archE908ELNS1_3gpuE7ELNS1_3repE0EEENS1_30default_config_static_selectorELNS0_4arch9wavefront6targetE0EEEvT1_
	.globl	_ZN7rocprim17ROCPRIM_400000_NS6detail17trampoline_kernelINS0_14default_configENS1_25partition_config_selectorILNS1_17partition_subalgoE9ExxbEEZZNS1_14partition_implILS5_9ELb0ES3_jN6thrust23THRUST_200600_302600_NS6detail15normal_iteratorINS9_10device_ptrIxEEEESE_PNS0_10empty_typeENS0_5tupleIJSE_SF_EEENSH_IJSE_SG_EEENS0_18inequality_wrapperI22is_equal_div_10_uniqueIxEEEPmJSF_EEE10hipError_tPvRmT3_T4_T5_T6_T7_T9_mT8_P12ihipStream_tbDpT10_ENKUlT_T0_E_clISt17integral_constantIbLb0EES18_EEDaS13_S14_EUlS13_E_NS1_11comp_targetILNS1_3genE3ELNS1_11target_archE908ELNS1_3gpuE7ELNS1_3repE0EEENS1_30default_config_static_selectorELNS0_4arch9wavefront6targetE0EEEvT1_
	.p2align	8
	.type	_ZN7rocprim17ROCPRIM_400000_NS6detail17trampoline_kernelINS0_14default_configENS1_25partition_config_selectorILNS1_17partition_subalgoE9ExxbEEZZNS1_14partition_implILS5_9ELb0ES3_jN6thrust23THRUST_200600_302600_NS6detail15normal_iteratorINS9_10device_ptrIxEEEESE_PNS0_10empty_typeENS0_5tupleIJSE_SF_EEENSH_IJSE_SG_EEENS0_18inequality_wrapperI22is_equal_div_10_uniqueIxEEEPmJSF_EEE10hipError_tPvRmT3_T4_T5_T6_T7_T9_mT8_P12ihipStream_tbDpT10_ENKUlT_T0_E_clISt17integral_constantIbLb0EES18_EEDaS13_S14_EUlS13_E_NS1_11comp_targetILNS1_3genE3ELNS1_11target_archE908ELNS1_3gpuE7ELNS1_3repE0EEENS1_30default_config_static_selectorELNS0_4arch9wavefront6targetE0EEEvT1_,@function
_ZN7rocprim17ROCPRIM_400000_NS6detail17trampoline_kernelINS0_14default_configENS1_25partition_config_selectorILNS1_17partition_subalgoE9ExxbEEZZNS1_14partition_implILS5_9ELb0ES3_jN6thrust23THRUST_200600_302600_NS6detail15normal_iteratorINS9_10device_ptrIxEEEESE_PNS0_10empty_typeENS0_5tupleIJSE_SF_EEENSH_IJSE_SG_EEENS0_18inequality_wrapperI22is_equal_div_10_uniqueIxEEEPmJSF_EEE10hipError_tPvRmT3_T4_T5_T6_T7_T9_mT8_P12ihipStream_tbDpT10_ENKUlT_T0_E_clISt17integral_constantIbLb0EES18_EEDaS13_S14_EUlS13_E_NS1_11comp_targetILNS1_3genE3ELNS1_11target_archE908ELNS1_3gpuE7ELNS1_3repE0EEENS1_30default_config_static_selectorELNS0_4arch9wavefront6targetE0EEEvT1_: ; @_ZN7rocprim17ROCPRIM_400000_NS6detail17trampoline_kernelINS0_14default_configENS1_25partition_config_selectorILNS1_17partition_subalgoE9ExxbEEZZNS1_14partition_implILS5_9ELb0ES3_jN6thrust23THRUST_200600_302600_NS6detail15normal_iteratorINS9_10device_ptrIxEEEESE_PNS0_10empty_typeENS0_5tupleIJSE_SF_EEENSH_IJSE_SG_EEENS0_18inequality_wrapperI22is_equal_div_10_uniqueIxEEEPmJSF_EEE10hipError_tPvRmT3_T4_T5_T6_T7_T9_mT8_P12ihipStream_tbDpT10_ENKUlT_T0_E_clISt17integral_constantIbLb0EES18_EEDaS13_S14_EUlS13_E_NS1_11comp_targetILNS1_3genE3ELNS1_11target_archE908ELNS1_3gpuE7ELNS1_3repE0EEENS1_30default_config_static_selectorELNS0_4arch9wavefront6targetE0EEEvT1_
; %bb.0:
	.section	.rodata,"a",@progbits
	.p2align	6, 0x0
	.amdhsa_kernel _ZN7rocprim17ROCPRIM_400000_NS6detail17trampoline_kernelINS0_14default_configENS1_25partition_config_selectorILNS1_17partition_subalgoE9ExxbEEZZNS1_14partition_implILS5_9ELb0ES3_jN6thrust23THRUST_200600_302600_NS6detail15normal_iteratorINS9_10device_ptrIxEEEESE_PNS0_10empty_typeENS0_5tupleIJSE_SF_EEENSH_IJSE_SG_EEENS0_18inequality_wrapperI22is_equal_div_10_uniqueIxEEEPmJSF_EEE10hipError_tPvRmT3_T4_T5_T6_T7_T9_mT8_P12ihipStream_tbDpT10_ENKUlT_T0_E_clISt17integral_constantIbLb0EES18_EEDaS13_S14_EUlS13_E_NS1_11comp_targetILNS1_3genE3ELNS1_11target_archE908ELNS1_3gpuE7ELNS1_3repE0EEENS1_30default_config_static_selectorELNS0_4arch9wavefront6targetE0EEEvT1_
		.amdhsa_group_segment_fixed_size 0
		.amdhsa_private_segment_fixed_size 0
		.amdhsa_kernarg_size 112
		.amdhsa_user_sgpr_count 15
		.amdhsa_user_sgpr_dispatch_ptr 0
		.amdhsa_user_sgpr_queue_ptr 0
		.amdhsa_user_sgpr_kernarg_segment_ptr 1
		.amdhsa_user_sgpr_dispatch_id 0
		.amdhsa_user_sgpr_private_segment_size 0
		.amdhsa_wavefront_size32 1
		.amdhsa_uses_dynamic_stack 0
		.amdhsa_enable_private_segment 0
		.amdhsa_system_sgpr_workgroup_id_x 1
		.amdhsa_system_sgpr_workgroup_id_y 0
		.amdhsa_system_sgpr_workgroup_id_z 0
		.amdhsa_system_sgpr_workgroup_info 0
		.amdhsa_system_vgpr_workitem_id 0
		.amdhsa_next_free_vgpr 1
		.amdhsa_next_free_sgpr 1
		.amdhsa_reserve_vcc 0
		.amdhsa_float_round_mode_32 0
		.amdhsa_float_round_mode_16_64 0
		.amdhsa_float_denorm_mode_32 3
		.amdhsa_float_denorm_mode_16_64 3
		.amdhsa_dx10_clamp 1
		.amdhsa_ieee_mode 1
		.amdhsa_fp16_overflow 0
		.amdhsa_workgroup_processor_mode 1
		.amdhsa_memory_ordered 1
		.amdhsa_forward_progress 0
		.amdhsa_shared_vgpr_count 0
		.amdhsa_exception_fp_ieee_invalid_op 0
		.amdhsa_exception_fp_denorm_src 0
		.amdhsa_exception_fp_ieee_div_zero 0
		.amdhsa_exception_fp_ieee_overflow 0
		.amdhsa_exception_fp_ieee_underflow 0
		.amdhsa_exception_fp_ieee_inexact 0
		.amdhsa_exception_int_div_zero 0
	.end_amdhsa_kernel
	.section	.text._ZN7rocprim17ROCPRIM_400000_NS6detail17trampoline_kernelINS0_14default_configENS1_25partition_config_selectorILNS1_17partition_subalgoE9ExxbEEZZNS1_14partition_implILS5_9ELb0ES3_jN6thrust23THRUST_200600_302600_NS6detail15normal_iteratorINS9_10device_ptrIxEEEESE_PNS0_10empty_typeENS0_5tupleIJSE_SF_EEENSH_IJSE_SG_EEENS0_18inequality_wrapperI22is_equal_div_10_uniqueIxEEEPmJSF_EEE10hipError_tPvRmT3_T4_T5_T6_T7_T9_mT8_P12ihipStream_tbDpT10_ENKUlT_T0_E_clISt17integral_constantIbLb0EES18_EEDaS13_S14_EUlS13_E_NS1_11comp_targetILNS1_3genE3ELNS1_11target_archE908ELNS1_3gpuE7ELNS1_3repE0EEENS1_30default_config_static_selectorELNS0_4arch9wavefront6targetE0EEEvT1_,"axG",@progbits,_ZN7rocprim17ROCPRIM_400000_NS6detail17trampoline_kernelINS0_14default_configENS1_25partition_config_selectorILNS1_17partition_subalgoE9ExxbEEZZNS1_14partition_implILS5_9ELb0ES3_jN6thrust23THRUST_200600_302600_NS6detail15normal_iteratorINS9_10device_ptrIxEEEESE_PNS0_10empty_typeENS0_5tupleIJSE_SF_EEENSH_IJSE_SG_EEENS0_18inequality_wrapperI22is_equal_div_10_uniqueIxEEEPmJSF_EEE10hipError_tPvRmT3_T4_T5_T6_T7_T9_mT8_P12ihipStream_tbDpT10_ENKUlT_T0_E_clISt17integral_constantIbLb0EES18_EEDaS13_S14_EUlS13_E_NS1_11comp_targetILNS1_3genE3ELNS1_11target_archE908ELNS1_3gpuE7ELNS1_3repE0EEENS1_30default_config_static_selectorELNS0_4arch9wavefront6targetE0EEEvT1_,comdat
.Lfunc_end375:
	.size	_ZN7rocprim17ROCPRIM_400000_NS6detail17trampoline_kernelINS0_14default_configENS1_25partition_config_selectorILNS1_17partition_subalgoE9ExxbEEZZNS1_14partition_implILS5_9ELb0ES3_jN6thrust23THRUST_200600_302600_NS6detail15normal_iteratorINS9_10device_ptrIxEEEESE_PNS0_10empty_typeENS0_5tupleIJSE_SF_EEENSH_IJSE_SG_EEENS0_18inequality_wrapperI22is_equal_div_10_uniqueIxEEEPmJSF_EEE10hipError_tPvRmT3_T4_T5_T6_T7_T9_mT8_P12ihipStream_tbDpT10_ENKUlT_T0_E_clISt17integral_constantIbLb0EES18_EEDaS13_S14_EUlS13_E_NS1_11comp_targetILNS1_3genE3ELNS1_11target_archE908ELNS1_3gpuE7ELNS1_3repE0EEENS1_30default_config_static_selectorELNS0_4arch9wavefront6targetE0EEEvT1_, .Lfunc_end375-_ZN7rocprim17ROCPRIM_400000_NS6detail17trampoline_kernelINS0_14default_configENS1_25partition_config_selectorILNS1_17partition_subalgoE9ExxbEEZZNS1_14partition_implILS5_9ELb0ES3_jN6thrust23THRUST_200600_302600_NS6detail15normal_iteratorINS9_10device_ptrIxEEEESE_PNS0_10empty_typeENS0_5tupleIJSE_SF_EEENSH_IJSE_SG_EEENS0_18inequality_wrapperI22is_equal_div_10_uniqueIxEEEPmJSF_EEE10hipError_tPvRmT3_T4_T5_T6_T7_T9_mT8_P12ihipStream_tbDpT10_ENKUlT_T0_E_clISt17integral_constantIbLb0EES18_EEDaS13_S14_EUlS13_E_NS1_11comp_targetILNS1_3genE3ELNS1_11target_archE908ELNS1_3gpuE7ELNS1_3repE0EEENS1_30default_config_static_selectorELNS0_4arch9wavefront6targetE0EEEvT1_
                                        ; -- End function
	.section	.AMDGPU.csdata,"",@progbits
; Kernel info:
; codeLenInByte = 0
; NumSgprs: 0
; NumVgprs: 0
; ScratchSize: 0
; MemoryBound: 0
; FloatMode: 240
; IeeeMode: 1
; LDSByteSize: 0 bytes/workgroup (compile time only)
; SGPRBlocks: 0
; VGPRBlocks: 0
; NumSGPRsForWavesPerEU: 1
; NumVGPRsForWavesPerEU: 1
; Occupancy: 16
; WaveLimiterHint : 0
; COMPUTE_PGM_RSRC2:SCRATCH_EN: 0
; COMPUTE_PGM_RSRC2:USER_SGPR: 15
; COMPUTE_PGM_RSRC2:TRAP_HANDLER: 0
; COMPUTE_PGM_RSRC2:TGID_X_EN: 1
; COMPUTE_PGM_RSRC2:TGID_Y_EN: 0
; COMPUTE_PGM_RSRC2:TGID_Z_EN: 0
; COMPUTE_PGM_RSRC2:TIDIG_COMP_CNT: 0
	.section	.text._ZN7rocprim17ROCPRIM_400000_NS6detail17trampoline_kernelINS0_14default_configENS1_25partition_config_selectorILNS1_17partition_subalgoE9ExxbEEZZNS1_14partition_implILS5_9ELb0ES3_jN6thrust23THRUST_200600_302600_NS6detail15normal_iteratorINS9_10device_ptrIxEEEESE_PNS0_10empty_typeENS0_5tupleIJSE_SF_EEENSH_IJSE_SG_EEENS0_18inequality_wrapperI22is_equal_div_10_uniqueIxEEEPmJSF_EEE10hipError_tPvRmT3_T4_T5_T6_T7_T9_mT8_P12ihipStream_tbDpT10_ENKUlT_T0_E_clISt17integral_constantIbLb0EES18_EEDaS13_S14_EUlS13_E_NS1_11comp_targetILNS1_3genE2ELNS1_11target_archE906ELNS1_3gpuE6ELNS1_3repE0EEENS1_30default_config_static_selectorELNS0_4arch9wavefront6targetE0EEEvT1_,"axG",@progbits,_ZN7rocprim17ROCPRIM_400000_NS6detail17trampoline_kernelINS0_14default_configENS1_25partition_config_selectorILNS1_17partition_subalgoE9ExxbEEZZNS1_14partition_implILS5_9ELb0ES3_jN6thrust23THRUST_200600_302600_NS6detail15normal_iteratorINS9_10device_ptrIxEEEESE_PNS0_10empty_typeENS0_5tupleIJSE_SF_EEENSH_IJSE_SG_EEENS0_18inequality_wrapperI22is_equal_div_10_uniqueIxEEEPmJSF_EEE10hipError_tPvRmT3_T4_T5_T6_T7_T9_mT8_P12ihipStream_tbDpT10_ENKUlT_T0_E_clISt17integral_constantIbLb0EES18_EEDaS13_S14_EUlS13_E_NS1_11comp_targetILNS1_3genE2ELNS1_11target_archE906ELNS1_3gpuE6ELNS1_3repE0EEENS1_30default_config_static_selectorELNS0_4arch9wavefront6targetE0EEEvT1_,comdat
	.protected	_ZN7rocprim17ROCPRIM_400000_NS6detail17trampoline_kernelINS0_14default_configENS1_25partition_config_selectorILNS1_17partition_subalgoE9ExxbEEZZNS1_14partition_implILS5_9ELb0ES3_jN6thrust23THRUST_200600_302600_NS6detail15normal_iteratorINS9_10device_ptrIxEEEESE_PNS0_10empty_typeENS0_5tupleIJSE_SF_EEENSH_IJSE_SG_EEENS0_18inequality_wrapperI22is_equal_div_10_uniqueIxEEEPmJSF_EEE10hipError_tPvRmT3_T4_T5_T6_T7_T9_mT8_P12ihipStream_tbDpT10_ENKUlT_T0_E_clISt17integral_constantIbLb0EES18_EEDaS13_S14_EUlS13_E_NS1_11comp_targetILNS1_3genE2ELNS1_11target_archE906ELNS1_3gpuE6ELNS1_3repE0EEENS1_30default_config_static_selectorELNS0_4arch9wavefront6targetE0EEEvT1_ ; -- Begin function _ZN7rocprim17ROCPRIM_400000_NS6detail17trampoline_kernelINS0_14default_configENS1_25partition_config_selectorILNS1_17partition_subalgoE9ExxbEEZZNS1_14partition_implILS5_9ELb0ES3_jN6thrust23THRUST_200600_302600_NS6detail15normal_iteratorINS9_10device_ptrIxEEEESE_PNS0_10empty_typeENS0_5tupleIJSE_SF_EEENSH_IJSE_SG_EEENS0_18inequality_wrapperI22is_equal_div_10_uniqueIxEEEPmJSF_EEE10hipError_tPvRmT3_T4_T5_T6_T7_T9_mT8_P12ihipStream_tbDpT10_ENKUlT_T0_E_clISt17integral_constantIbLb0EES18_EEDaS13_S14_EUlS13_E_NS1_11comp_targetILNS1_3genE2ELNS1_11target_archE906ELNS1_3gpuE6ELNS1_3repE0EEENS1_30default_config_static_selectorELNS0_4arch9wavefront6targetE0EEEvT1_
	.globl	_ZN7rocprim17ROCPRIM_400000_NS6detail17trampoline_kernelINS0_14default_configENS1_25partition_config_selectorILNS1_17partition_subalgoE9ExxbEEZZNS1_14partition_implILS5_9ELb0ES3_jN6thrust23THRUST_200600_302600_NS6detail15normal_iteratorINS9_10device_ptrIxEEEESE_PNS0_10empty_typeENS0_5tupleIJSE_SF_EEENSH_IJSE_SG_EEENS0_18inequality_wrapperI22is_equal_div_10_uniqueIxEEEPmJSF_EEE10hipError_tPvRmT3_T4_T5_T6_T7_T9_mT8_P12ihipStream_tbDpT10_ENKUlT_T0_E_clISt17integral_constantIbLb0EES18_EEDaS13_S14_EUlS13_E_NS1_11comp_targetILNS1_3genE2ELNS1_11target_archE906ELNS1_3gpuE6ELNS1_3repE0EEENS1_30default_config_static_selectorELNS0_4arch9wavefront6targetE0EEEvT1_
	.p2align	8
	.type	_ZN7rocprim17ROCPRIM_400000_NS6detail17trampoline_kernelINS0_14default_configENS1_25partition_config_selectorILNS1_17partition_subalgoE9ExxbEEZZNS1_14partition_implILS5_9ELb0ES3_jN6thrust23THRUST_200600_302600_NS6detail15normal_iteratorINS9_10device_ptrIxEEEESE_PNS0_10empty_typeENS0_5tupleIJSE_SF_EEENSH_IJSE_SG_EEENS0_18inequality_wrapperI22is_equal_div_10_uniqueIxEEEPmJSF_EEE10hipError_tPvRmT3_T4_T5_T6_T7_T9_mT8_P12ihipStream_tbDpT10_ENKUlT_T0_E_clISt17integral_constantIbLb0EES18_EEDaS13_S14_EUlS13_E_NS1_11comp_targetILNS1_3genE2ELNS1_11target_archE906ELNS1_3gpuE6ELNS1_3repE0EEENS1_30default_config_static_selectorELNS0_4arch9wavefront6targetE0EEEvT1_,@function
_ZN7rocprim17ROCPRIM_400000_NS6detail17trampoline_kernelINS0_14default_configENS1_25partition_config_selectorILNS1_17partition_subalgoE9ExxbEEZZNS1_14partition_implILS5_9ELb0ES3_jN6thrust23THRUST_200600_302600_NS6detail15normal_iteratorINS9_10device_ptrIxEEEESE_PNS0_10empty_typeENS0_5tupleIJSE_SF_EEENSH_IJSE_SG_EEENS0_18inequality_wrapperI22is_equal_div_10_uniqueIxEEEPmJSF_EEE10hipError_tPvRmT3_T4_T5_T6_T7_T9_mT8_P12ihipStream_tbDpT10_ENKUlT_T0_E_clISt17integral_constantIbLb0EES18_EEDaS13_S14_EUlS13_E_NS1_11comp_targetILNS1_3genE2ELNS1_11target_archE906ELNS1_3gpuE6ELNS1_3repE0EEENS1_30default_config_static_selectorELNS0_4arch9wavefront6targetE0EEEvT1_: ; @_ZN7rocprim17ROCPRIM_400000_NS6detail17trampoline_kernelINS0_14default_configENS1_25partition_config_selectorILNS1_17partition_subalgoE9ExxbEEZZNS1_14partition_implILS5_9ELb0ES3_jN6thrust23THRUST_200600_302600_NS6detail15normal_iteratorINS9_10device_ptrIxEEEESE_PNS0_10empty_typeENS0_5tupleIJSE_SF_EEENSH_IJSE_SG_EEENS0_18inequality_wrapperI22is_equal_div_10_uniqueIxEEEPmJSF_EEE10hipError_tPvRmT3_T4_T5_T6_T7_T9_mT8_P12ihipStream_tbDpT10_ENKUlT_T0_E_clISt17integral_constantIbLb0EES18_EEDaS13_S14_EUlS13_E_NS1_11comp_targetILNS1_3genE2ELNS1_11target_archE906ELNS1_3gpuE6ELNS1_3repE0EEENS1_30default_config_static_selectorELNS0_4arch9wavefront6targetE0EEEvT1_
; %bb.0:
	.section	.rodata,"a",@progbits
	.p2align	6, 0x0
	.amdhsa_kernel _ZN7rocprim17ROCPRIM_400000_NS6detail17trampoline_kernelINS0_14default_configENS1_25partition_config_selectorILNS1_17partition_subalgoE9ExxbEEZZNS1_14partition_implILS5_9ELb0ES3_jN6thrust23THRUST_200600_302600_NS6detail15normal_iteratorINS9_10device_ptrIxEEEESE_PNS0_10empty_typeENS0_5tupleIJSE_SF_EEENSH_IJSE_SG_EEENS0_18inequality_wrapperI22is_equal_div_10_uniqueIxEEEPmJSF_EEE10hipError_tPvRmT3_T4_T5_T6_T7_T9_mT8_P12ihipStream_tbDpT10_ENKUlT_T0_E_clISt17integral_constantIbLb0EES18_EEDaS13_S14_EUlS13_E_NS1_11comp_targetILNS1_3genE2ELNS1_11target_archE906ELNS1_3gpuE6ELNS1_3repE0EEENS1_30default_config_static_selectorELNS0_4arch9wavefront6targetE0EEEvT1_
		.amdhsa_group_segment_fixed_size 0
		.amdhsa_private_segment_fixed_size 0
		.amdhsa_kernarg_size 112
		.amdhsa_user_sgpr_count 15
		.amdhsa_user_sgpr_dispatch_ptr 0
		.amdhsa_user_sgpr_queue_ptr 0
		.amdhsa_user_sgpr_kernarg_segment_ptr 1
		.amdhsa_user_sgpr_dispatch_id 0
		.amdhsa_user_sgpr_private_segment_size 0
		.amdhsa_wavefront_size32 1
		.amdhsa_uses_dynamic_stack 0
		.amdhsa_enable_private_segment 0
		.amdhsa_system_sgpr_workgroup_id_x 1
		.amdhsa_system_sgpr_workgroup_id_y 0
		.amdhsa_system_sgpr_workgroup_id_z 0
		.amdhsa_system_sgpr_workgroup_info 0
		.amdhsa_system_vgpr_workitem_id 0
		.amdhsa_next_free_vgpr 1
		.amdhsa_next_free_sgpr 1
		.amdhsa_reserve_vcc 0
		.amdhsa_float_round_mode_32 0
		.amdhsa_float_round_mode_16_64 0
		.amdhsa_float_denorm_mode_32 3
		.amdhsa_float_denorm_mode_16_64 3
		.amdhsa_dx10_clamp 1
		.amdhsa_ieee_mode 1
		.amdhsa_fp16_overflow 0
		.amdhsa_workgroup_processor_mode 1
		.amdhsa_memory_ordered 1
		.amdhsa_forward_progress 0
		.amdhsa_shared_vgpr_count 0
		.amdhsa_exception_fp_ieee_invalid_op 0
		.amdhsa_exception_fp_denorm_src 0
		.amdhsa_exception_fp_ieee_div_zero 0
		.amdhsa_exception_fp_ieee_overflow 0
		.amdhsa_exception_fp_ieee_underflow 0
		.amdhsa_exception_fp_ieee_inexact 0
		.amdhsa_exception_int_div_zero 0
	.end_amdhsa_kernel
	.section	.text._ZN7rocprim17ROCPRIM_400000_NS6detail17trampoline_kernelINS0_14default_configENS1_25partition_config_selectorILNS1_17partition_subalgoE9ExxbEEZZNS1_14partition_implILS5_9ELb0ES3_jN6thrust23THRUST_200600_302600_NS6detail15normal_iteratorINS9_10device_ptrIxEEEESE_PNS0_10empty_typeENS0_5tupleIJSE_SF_EEENSH_IJSE_SG_EEENS0_18inequality_wrapperI22is_equal_div_10_uniqueIxEEEPmJSF_EEE10hipError_tPvRmT3_T4_T5_T6_T7_T9_mT8_P12ihipStream_tbDpT10_ENKUlT_T0_E_clISt17integral_constantIbLb0EES18_EEDaS13_S14_EUlS13_E_NS1_11comp_targetILNS1_3genE2ELNS1_11target_archE906ELNS1_3gpuE6ELNS1_3repE0EEENS1_30default_config_static_selectorELNS0_4arch9wavefront6targetE0EEEvT1_,"axG",@progbits,_ZN7rocprim17ROCPRIM_400000_NS6detail17trampoline_kernelINS0_14default_configENS1_25partition_config_selectorILNS1_17partition_subalgoE9ExxbEEZZNS1_14partition_implILS5_9ELb0ES3_jN6thrust23THRUST_200600_302600_NS6detail15normal_iteratorINS9_10device_ptrIxEEEESE_PNS0_10empty_typeENS0_5tupleIJSE_SF_EEENSH_IJSE_SG_EEENS0_18inequality_wrapperI22is_equal_div_10_uniqueIxEEEPmJSF_EEE10hipError_tPvRmT3_T4_T5_T6_T7_T9_mT8_P12ihipStream_tbDpT10_ENKUlT_T0_E_clISt17integral_constantIbLb0EES18_EEDaS13_S14_EUlS13_E_NS1_11comp_targetILNS1_3genE2ELNS1_11target_archE906ELNS1_3gpuE6ELNS1_3repE0EEENS1_30default_config_static_selectorELNS0_4arch9wavefront6targetE0EEEvT1_,comdat
.Lfunc_end376:
	.size	_ZN7rocprim17ROCPRIM_400000_NS6detail17trampoline_kernelINS0_14default_configENS1_25partition_config_selectorILNS1_17partition_subalgoE9ExxbEEZZNS1_14partition_implILS5_9ELb0ES3_jN6thrust23THRUST_200600_302600_NS6detail15normal_iteratorINS9_10device_ptrIxEEEESE_PNS0_10empty_typeENS0_5tupleIJSE_SF_EEENSH_IJSE_SG_EEENS0_18inequality_wrapperI22is_equal_div_10_uniqueIxEEEPmJSF_EEE10hipError_tPvRmT3_T4_T5_T6_T7_T9_mT8_P12ihipStream_tbDpT10_ENKUlT_T0_E_clISt17integral_constantIbLb0EES18_EEDaS13_S14_EUlS13_E_NS1_11comp_targetILNS1_3genE2ELNS1_11target_archE906ELNS1_3gpuE6ELNS1_3repE0EEENS1_30default_config_static_selectorELNS0_4arch9wavefront6targetE0EEEvT1_, .Lfunc_end376-_ZN7rocprim17ROCPRIM_400000_NS6detail17trampoline_kernelINS0_14default_configENS1_25partition_config_selectorILNS1_17partition_subalgoE9ExxbEEZZNS1_14partition_implILS5_9ELb0ES3_jN6thrust23THRUST_200600_302600_NS6detail15normal_iteratorINS9_10device_ptrIxEEEESE_PNS0_10empty_typeENS0_5tupleIJSE_SF_EEENSH_IJSE_SG_EEENS0_18inequality_wrapperI22is_equal_div_10_uniqueIxEEEPmJSF_EEE10hipError_tPvRmT3_T4_T5_T6_T7_T9_mT8_P12ihipStream_tbDpT10_ENKUlT_T0_E_clISt17integral_constantIbLb0EES18_EEDaS13_S14_EUlS13_E_NS1_11comp_targetILNS1_3genE2ELNS1_11target_archE906ELNS1_3gpuE6ELNS1_3repE0EEENS1_30default_config_static_selectorELNS0_4arch9wavefront6targetE0EEEvT1_
                                        ; -- End function
	.section	.AMDGPU.csdata,"",@progbits
; Kernel info:
; codeLenInByte = 0
; NumSgprs: 0
; NumVgprs: 0
; ScratchSize: 0
; MemoryBound: 0
; FloatMode: 240
; IeeeMode: 1
; LDSByteSize: 0 bytes/workgroup (compile time only)
; SGPRBlocks: 0
; VGPRBlocks: 0
; NumSGPRsForWavesPerEU: 1
; NumVGPRsForWavesPerEU: 1
; Occupancy: 15
; WaveLimiterHint : 0
; COMPUTE_PGM_RSRC2:SCRATCH_EN: 0
; COMPUTE_PGM_RSRC2:USER_SGPR: 15
; COMPUTE_PGM_RSRC2:TRAP_HANDLER: 0
; COMPUTE_PGM_RSRC2:TGID_X_EN: 1
; COMPUTE_PGM_RSRC2:TGID_Y_EN: 0
; COMPUTE_PGM_RSRC2:TGID_Z_EN: 0
; COMPUTE_PGM_RSRC2:TIDIG_COMP_CNT: 0
	.section	.text._ZN7rocprim17ROCPRIM_400000_NS6detail17trampoline_kernelINS0_14default_configENS1_25partition_config_selectorILNS1_17partition_subalgoE9ExxbEEZZNS1_14partition_implILS5_9ELb0ES3_jN6thrust23THRUST_200600_302600_NS6detail15normal_iteratorINS9_10device_ptrIxEEEESE_PNS0_10empty_typeENS0_5tupleIJSE_SF_EEENSH_IJSE_SG_EEENS0_18inequality_wrapperI22is_equal_div_10_uniqueIxEEEPmJSF_EEE10hipError_tPvRmT3_T4_T5_T6_T7_T9_mT8_P12ihipStream_tbDpT10_ENKUlT_T0_E_clISt17integral_constantIbLb0EES18_EEDaS13_S14_EUlS13_E_NS1_11comp_targetILNS1_3genE10ELNS1_11target_archE1200ELNS1_3gpuE4ELNS1_3repE0EEENS1_30default_config_static_selectorELNS0_4arch9wavefront6targetE0EEEvT1_,"axG",@progbits,_ZN7rocprim17ROCPRIM_400000_NS6detail17trampoline_kernelINS0_14default_configENS1_25partition_config_selectorILNS1_17partition_subalgoE9ExxbEEZZNS1_14partition_implILS5_9ELb0ES3_jN6thrust23THRUST_200600_302600_NS6detail15normal_iteratorINS9_10device_ptrIxEEEESE_PNS0_10empty_typeENS0_5tupleIJSE_SF_EEENSH_IJSE_SG_EEENS0_18inequality_wrapperI22is_equal_div_10_uniqueIxEEEPmJSF_EEE10hipError_tPvRmT3_T4_T5_T6_T7_T9_mT8_P12ihipStream_tbDpT10_ENKUlT_T0_E_clISt17integral_constantIbLb0EES18_EEDaS13_S14_EUlS13_E_NS1_11comp_targetILNS1_3genE10ELNS1_11target_archE1200ELNS1_3gpuE4ELNS1_3repE0EEENS1_30default_config_static_selectorELNS0_4arch9wavefront6targetE0EEEvT1_,comdat
	.protected	_ZN7rocprim17ROCPRIM_400000_NS6detail17trampoline_kernelINS0_14default_configENS1_25partition_config_selectorILNS1_17partition_subalgoE9ExxbEEZZNS1_14partition_implILS5_9ELb0ES3_jN6thrust23THRUST_200600_302600_NS6detail15normal_iteratorINS9_10device_ptrIxEEEESE_PNS0_10empty_typeENS0_5tupleIJSE_SF_EEENSH_IJSE_SG_EEENS0_18inequality_wrapperI22is_equal_div_10_uniqueIxEEEPmJSF_EEE10hipError_tPvRmT3_T4_T5_T6_T7_T9_mT8_P12ihipStream_tbDpT10_ENKUlT_T0_E_clISt17integral_constantIbLb0EES18_EEDaS13_S14_EUlS13_E_NS1_11comp_targetILNS1_3genE10ELNS1_11target_archE1200ELNS1_3gpuE4ELNS1_3repE0EEENS1_30default_config_static_selectorELNS0_4arch9wavefront6targetE0EEEvT1_ ; -- Begin function _ZN7rocprim17ROCPRIM_400000_NS6detail17trampoline_kernelINS0_14default_configENS1_25partition_config_selectorILNS1_17partition_subalgoE9ExxbEEZZNS1_14partition_implILS5_9ELb0ES3_jN6thrust23THRUST_200600_302600_NS6detail15normal_iteratorINS9_10device_ptrIxEEEESE_PNS0_10empty_typeENS0_5tupleIJSE_SF_EEENSH_IJSE_SG_EEENS0_18inequality_wrapperI22is_equal_div_10_uniqueIxEEEPmJSF_EEE10hipError_tPvRmT3_T4_T5_T6_T7_T9_mT8_P12ihipStream_tbDpT10_ENKUlT_T0_E_clISt17integral_constantIbLb0EES18_EEDaS13_S14_EUlS13_E_NS1_11comp_targetILNS1_3genE10ELNS1_11target_archE1200ELNS1_3gpuE4ELNS1_3repE0EEENS1_30default_config_static_selectorELNS0_4arch9wavefront6targetE0EEEvT1_
	.globl	_ZN7rocprim17ROCPRIM_400000_NS6detail17trampoline_kernelINS0_14default_configENS1_25partition_config_selectorILNS1_17partition_subalgoE9ExxbEEZZNS1_14partition_implILS5_9ELb0ES3_jN6thrust23THRUST_200600_302600_NS6detail15normal_iteratorINS9_10device_ptrIxEEEESE_PNS0_10empty_typeENS0_5tupleIJSE_SF_EEENSH_IJSE_SG_EEENS0_18inequality_wrapperI22is_equal_div_10_uniqueIxEEEPmJSF_EEE10hipError_tPvRmT3_T4_T5_T6_T7_T9_mT8_P12ihipStream_tbDpT10_ENKUlT_T0_E_clISt17integral_constantIbLb0EES18_EEDaS13_S14_EUlS13_E_NS1_11comp_targetILNS1_3genE10ELNS1_11target_archE1200ELNS1_3gpuE4ELNS1_3repE0EEENS1_30default_config_static_selectorELNS0_4arch9wavefront6targetE0EEEvT1_
	.p2align	8
	.type	_ZN7rocprim17ROCPRIM_400000_NS6detail17trampoline_kernelINS0_14default_configENS1_25partition_config_selectorILNS1_17partition_subalgoE9ExxbEEZZNS1_14partition_implILS5_9ELb0ES3_jN6thrust23THRUST_200600_302600_NS6detail15normal_iteratorINS9_10device_ptrIxEEEESE_PNS0_10empty_typeENS0_5tupleIJSE_SF_EEENSH_IJSE_SG_EEENS0_18inequality_wrapperI22is_equal_div_10_uniqueIxEEEPmJSF_EEE10hipError_tPvRmT3_T4_T5_T6_T7_T9_mT8_P12ihipStream_tbDpT10_ENKUlT_T0_E_clISt17integral_constantIbLb0EES18_EEDaS13_S14_EUlS13_E_NS1_11comp_targetILNS1_3genE10ELNS1_11target_archE1200ELNS1_3gpuE4ELNS1_3repE0EEENS1_30default_config_static_selectorELNS0_4arch9wavefront6targetE0EEEvT1_,@function
_ZN7rocprim17ROCPRIM_400000_NS6detail17trampoline_kernelINS0_14default_configENS1_25partition_config_selectorILNS1_17partition_subalgoE9ExxbEEZZNS1_14partition_implILS5_9ELb0ES3_jN6thrust23THRUST_200600_302600_NS6detail15normal_iteratorINS9_10device_ptrIxEEEESE_PNS0_10empty_typeENS0_5tupleIJSE_SF_EEENSH_IJSE_SG_EEENS0_18inequality_wrapperI22is_equal_div_10_uniqueIxEEEPmJSF_EEE10hipError_tPvRmT3_T4_T5_T6_T7_T9_mT8_P12ihipStream_tbDpT10_ENKUlT_T0_E_clISt17integral_constantIbLb0EES18_EEDaS13_S14_EUlS13_E_NS1_11comp_targetILNS1_3genE10ELNS1_11target_archE1200ELNS1_3gpuE4ELNS1_3repE0EEENS1_30default_config_static_selectorELNS0_4arch9wavefront6targetE0EEEvT1_: ; @_ZN7rocprim17ROCPRIM_400000_NS6detail17trampoline_kernelINS0_14default_configENS1_25partition_config_selectorILNS1_17partition_subalgoE9ExxbEEZZNS1_14partition_implILS5_9ELb0ES3_jN6thrust23THRUST_200600_302600_NS6detail15normal_iteratorINS9_10device_ptrIxEEEESE_PNS0_10empty_typeENS0_5tupleIJSE_SF_EEENSH_IJSE_SG_EEENS0_18inequality_wrapperI22is_equal_div_10_uniqueIxEEEPmJSF_EEE10hipError_tPvRmT3_T4_T5_T6_T7_T9_mT8_P12ihipStream_tbDpT10_ENKUlT_T0_E_clISt17integral_constantIbLb0EES18_EEDaS13_S14_EUlS13_E_NS1_11comp_targetILNS1_3genE10ELNS1_11target_archE1200ELNS1_3gpuE4ELNS1_3repE0EEENS1_30default_config_static_selectorELNS0_4arch9wavefront6targetE0EEEvT1_
; %bb.0:
	.section	.rodata,"a",@progbits
	.p2align	6, 0x0
	.amdhsa_kernel _ZN7rocprim17ROCPRIM_400000_NS6detail17trampoline_kernelINS0_14default_configENS1_25partition_config_selectorILNS1_17partition_subalgoE9ExxbEEZZNS1_14partition_implILS5_9ELb0ES3_jN6thrust23THRUST_200600_302600_NS6detail15normal_iteratorINS9_10device_ptrIxEEEESE_PNS0_10empty_typeENS0_5tupleIJSE_SF_EEENSH_IJSE_SG_EEENS0_18inequality_wrapperI22is_equal_div_10_uniqueIxEEEPmJSF_EEE10hipError_tPvRmT3_T4_T5_T6_T7_T9_mT8_P12ihipStream_tbDpT10_ENKUlT_T0_E_clISt17integral_constantIbLb0EES18_EEDaS13_S14_EUlS13_E_NS1_11comp_targetILNS1_3genE10ELNS1_11target_archE1200ELNS1_3gpuE4ELNS1_3repE0EEENS1_30default_config_static_selectorELNS0_4arch9wavefront6targetE0EEEvT1_
		.amdhsa_group_segment_fixed_size 0
		.amdhsa_private_segment_fixed_size 0
		.amdhsa_kernarg_size 112
		.amdhsa_user_sgpr_count 15
		.amdhsa_user_sgpr_dispatch_ptr 0
		.amdhsa_user_sgpr_queue_ptr 0
		.amdhsa_user_sgpr_kernarg_segment_ptr 1
		.amdhsa_user_sgpr_dispatch_id 0
		.amdhsa_user_sgpr_private_segment_size 0
		.amdhsa_wavefront_size32 1
		.amdhsa_uses_dynamic_stack 0
		.amdhsa_enable_private_segment 0
		.amdhsa_system_sgpr_workgroup_id_x 1
		.amdhsa_system_sgpr_workgroup_id_y 0
		.amdhsa_system_sgpr_workgroup_id_z 0
		.amdhsa_system_sgpr_workgroup_info 0
		.amdhsa_system_vgpr_workitem_id 0
		.amdhsa_next_free_vgpr 1
		.amdhsa_next_free_sgpr 1
		.amdhsa_reserve_vcc 0
		.amdhsa_float_round_mode_32 0
		.amdhsa_float_round_mode_16_64 0
		.amdhsa_float_denorm_mode_32 3
		.amdhsa_float_denorm_mode_16_64 3
		.amdhsa_dx10_clamp 1
		.amdhsa_ieee_mode 1
		.amdhsa_fp16_overflow 0
		.amdhsa_workgroup_processor_mode 1
		.amdhsa_memory_ordered 1
		.amdhsa_forward_progress 0
		.amdhsa_shared_vgpr_count 0
		.amdhsa_exception_fp_ieee_invalid_op 0
		.amdhsa_exception_fp_denorm_src 0
		.amdhsa_exception_fp_ieee_div_zero 0
		.amdhsa_exception_fp_ieee_overflow 0
		.amdhsa_exception_fp_ieee_underflow 0
		.amdhsa_exception_fp_ieee_inexact 0
		.amdhsa_exception_int_div_zero 0
	.end_amdhsa_kernel
	.section	.text._ZN7rocprim17ROCPRIM_400000_NS6detail17trampoline_kernelINS0_14default_configENS1_25partition_config_selectorILNS1_17partition_subalgoE9ExxbEEZZNS1_14partition_implILS5_9ELb0ES3_jN6thrust23THRUST_200600_302600_NS6detail15normal_iteratorINS9_10device_ptrIxEEEESE_PNS0_10empty_typeENS0_5tupleIJSE_SF_EEENSH_IJSE_SG_EEENS0_18inequality_wrapperI22is_equal_div_10_uniqueIxEEEPmJSF_EEE10hipError_tPvRmT3_T4_T5_T6_T7_T9_mT8_P12ihipStream_tbDpT10_ENKUlT_T0_E_clISt17integral_constantIbLb0EES18_EEDaS13_S14_EUlS13_E_NS1_11comp_targetILNS1_3genE10ELNS1_11target_archE1200ELNS1_3gpuE4ELNS1_3repE0EEENS1_30default_config_static_selectorELNS0_4arch9wavefront6targetE0EEEvT1_,"axG",@progbits,_ZN7rocprim17ROCPRIM_400000_NS6detail17trampoline_kernelINS0_14default_configENS1_25partition_config_selectorILNS1_17partition_subalgoE9ExxbEEZZNS1_14partition_implILS5_9ELb0ES3_jN6thrust23THRUST_200600_302600_NS6detail15normal_iteratorINS9_10device_ptrIxEEEESE_PNS0_10empty_typeENS0_5tupleIJSE_SF_EEENSH_IJSE_SG_EEENS0_18inequality_wrapperI22is_equal_div_10_uniqueIxEEEPmJSF_EEE10hipError_tPvRmT3_T4_T5_T6_T7_T9_mT8_P12ihipStream_tbDpT10_ENKUlT_T0_E_clISt17integral_constantIbLb0EES18_EEDaS13_S14_EUlS13_E_NS1_11comp_targetILNS1_3genE10ELNS1_11target_archE1200ELNS1_3gpuE4ELNS1_3repE0EEENS1_30default_config_static_selectorELNS0_4arch9wavefront6targetE0EEEvT1_,comdat
.Lfunc_end377:
	.size	_ZN7rocprim17ROCPRIM_400000_NS6detail17trampoline_kernelINS0_14default_configENS1_25partition_config_selectorILNS1_17partition_subalgoE9ExxbEEZZNS1_14partition_implILS5_9ELb0ES3_jN6thrust23THRUST_200600_302600_NS6detail15normal_iteratorINS9_10device_ptrIxEEEESE_PNS0_10empty_typeENS0_5tupleIJSE_SF_EEENSH_IJSE_SG_EEENS0_18inequality_wrapperI22is_equal_div_10_uniqueIxEEEPmJSF_EEE10hipError_tPvRmT3_T4_T5_T6_T7_T9_mT8_P12ihipStream_tbDpT10_ENKUlT_T0_E_clISt17integral_constantIbLb0EES18_EEDaS13_S14_EUlS13_E_NS1_11comp_targetILNS1_3genE10ELNS1_11target_archE1200ELNS1_3gpuE4ELNS1_3repE0EEENS1_30default_config_static_selectorELNS0_4arch9wavefront6targetE0EEEvT1_, .Lfunc_end377-_ZN7rocprim17ROCPRIM_400000_NS6detail17trampoline_kernelINS0_14default_configENS1_25partition_config_selectorILNS1_17partition_subalgoE9ExxbEEZZNS1_14partition_implILS5_9ELb0ES3_jN6thrust23THRUST_200600_302600_NS6detail15normal_iteratorINS9_10device_ptrIxEEEESE_PNS0_10empty_typeENS0_5tupleIJSE_SF_EEENSH_IJSE_SG_EEENS0_18inequality_wrapperI22is_equal_div_10_uniqueIxEEEPmJSF_EEE10hipError_tPvRmT3_T4_T5_T6_T7_T9_mT8_P12ihipStream_tbDpT10_ENKUlT_T0_E_clISt17integral_constantIbLb0EES18_EEDaS13_S14_EUlS13_E_NS1_11comp_targetILNS1_3genE10ELNS1_11target_archE1200ELNS1_3gpuE4ELNS1_3repE0EEENS1_30default_config_static_selectorELNS0_4arch9wavefront6targetE0EEEvT1_
                                        ; -- End function
	.section	.AMDGPU.csdata,"",@progbits
; Kernel info:
; codeLenInByte = 0
; NumSgprs: 0
; NumVgprs: 0
; ScratchSize: 0
; MemoryBound: 0
; FloatMode: 240
; IeeeMode: 1
; LDSByteSize: 0 bytes/workgroup (compile time only)
; SGPRBlocks: 0
; VGPRBlocks: 0
; NumSGPRsForWavesPerEU: 1
; NumVGPRsForWavesPerEU: 1
; Occupancy: 15
; WaveLimiterHint : 0
; COMPUTE_PGM_RSRC2:SCRATCH_EN: 0
; COMPUTE_PGM_RSRC2:USER_SGPR: 15
; COMPUTE_PGM_RSRC2:TRAP_HANDLER: 0
; COMPUTE_PGM_RSRC2:TGID_X_EN: 1
; COMPUTE_PGM_RSRC2:TGID_Y_EN: 0
; COMPUTE_PGM_RSRC2:TGID_Z_EN: 0
; COMPUTE_PGM_RSRC2:TIDIG_COMP_CNT: 0
	.section	.text._ZN7rocprim17ROCPRIM_400000_NS6detail17trampoline_kernelINS0_14default_configENS1_25partition_config_selectorILNS1_17partition_subalgoE9ExxbEEZZNS1_14partition_implILS5_9ELb0ES3_jN6thrust23THRUST_200600_302600_NS6detail15normal_iteratorINS9_10device_ptrIxEEEESE_PNS0_10empty_typeENS0_5tupleIJSE_SF_EEENSH_IJSE_SG_EEENS0_18inequality_wrapperI22is_equal_div_10_uniqueIxEEEPmJSF_EEE10hipError_tPvRmT3_T4_T5_T6_T7_T9_mT8_P12ihipStream_tbDpT10_ENKUlT_T0_E_clISt17integral_constantIbLb0EES18_EEDaS13_S14_EUlS13_E_NS1_11comp_targetILNS1_3genE9ELNS1_11target_archE1100ELNS1_3gpuE3ELNS1_3repE0EEENS1_30default_config_static_selectorELNS0_4arch9wavefront6targetE0EEEvT1_,"axG",@progbits,_ZN7rocprim17ROCPRIM_400000_NS6detail17trampoline_kernelINS0_14default_configENS1_25partition_config_selectorILNS1_17partition_subalgoE9ExxbEEZZNS1_14partition_implILS5_9ELb0ES3_jN6thrust23THRUST_200600_302600_NS6detail15normal_iteratorINS9_10device_ptrIxEEEESE_PNS0_10empty_typeENS0_5tupleIJSE_SF_EEENSH_IJSE_SG_EEENS0_18inequality_wrapperI22is_equal_div_10_uniqueIxEEEPmJSF_EEE10hipError_tPvRmT3_T4_T5_T6_T7_T9_mT8_P12ihipStream_tbDpT10_ENKUlT_T0_E_clISt17integral_constantIbLb0EES18_EEDaS13_S14_EUlS13_E_NS1_11comp_targetILNS1_3genE9ELNS1_11target_archE1100ELNS1_3gpuE3ELNS1_3repE0EEENS1_30default_config_static_selectorELNS0_4arch9wavefront6targetE0EEEvT1_,comdat
	.protected	_ZN7rocprim17ROCPRIM_400000_NS6detail17trampoline_kernelINS0_14default_configENS1_25partition_config_selectorILNS1_17partition_subalgoE9ExxbEEZZNS1_14partition_implILS5_9ELb0ES3_jN6thrust23THRUST_200600_302600_NS6detail15normal_iteratorINS9_10device_ptrIxEEEESE_PNS0_10empty_typeENS0_5tupleIJSE_SF_EEENSH_IJSE_SG_EEENS0_18inequality_wrapperI22is_equal_div_10_uniqueIxEEEPmJSF_EEE10hipError_tPvRmT3_T4_T5_T6_T7_T9_mT8_P12ihipStream_tbDpT10_ENKUlT_T0_E_clISt17integral_constantIbLb0EES18_EEDaS13_S14_EUlS13_E_NS1_11comp_targetILNS1_3genE9ELNS1_11target_archE1100ELNS1_3gpuE3ELNS1_3repE0EEENS1_30default_config_static_selectorELNS0_4arch9wavefront6targetE0EEEvT1_ ; -- Begin function _ZN7rocprim17ROCPRIM_400000_NS6detail17trampoline_kernelINS0_14default_configENS1_25partition_config_selectorILNS1_17partition_subalgoE9ExxbEEZZNS1_14partition_implILS5_9ELb0ES3_jN6thrust23THRUST_200600_302600_NS6detail15normal_iteratorINS9_10device_ptrIxEEEESE_PNS0_10empty_typeENS0_5tupleIJSE_SF_EEENSH_IJSE_SG_EEENS0_18inequality_wrapperI22is_equal_div_10_uniqueIxEEEPmJSF_EEE10hipError_tPvRmT3_T4_T5_T6_T7_T9_mT8_P12ihipStream_tbDpT10_ENKUlT_T0_E_clISt17integral_constantIbLb0EES18_EEDaS13_S14_EUlS13_E_NS1_11comp_targetILNS1_3genE9ELNS1_11target_archE1100ELNS1_3gpuE3ELNS1_3repE0EEENS1_30default_config_static_selectorELNS0_4arch9wavefront6targetE0EEEvT1_
	.globl	_ZN7rocprim17ROCPRIM_400000_NS6detail17trampoline_kernelINS0_14default_configENS1_25partition_config_selectorILNS1_17partition_subalgoE9ExxbEEZZNS1_14partition_implILS5_9ELb0ES3_jN6thrust23THRUST_200600_302600_NS6detail15normal_iteratorINS9_10device_ptrIxEEEESE_PNS0_10empty_typeENS0_5tupleIJSE_SF_EEENSH_IJSE_SG_EEENS0_18inequality_wrapperI22is_equal_div_10_uniqueIxEEEPmJSF_EEE10hipError_tPvRmT3_T4_T5_T6_T7_T9_mT8_P12ihipStream_tbDpT10_ENKUlT_T0_E_clISt17integral_constantIbLb0EES18_EEDaS13_S14_EUlS13_E_NS1_11comp_targetILNS1_3genE9ELNS1_11target_archE1100ELNS1_3gpuE3ELNS1_3repE0EEENS1_30default_config_static_selectorELNS0_4arch9wavefront6targetE0EEEvT1_
	.p2align	8
	.type	_ZN7rocprim17ROCPRIM_400000_NS6detail17trampoline_kernelINS0_14default_configENS1_25partition_config_selectorILNS1_17partition_subalgoE9ExxbEEZZNS1_14partition_implILS5_9ELb0ES3_jN6thrust23THRUST_200600_302600_NS6detail15normal_iteratorINS9_10device_ptrIxEEEESE_PNS0_10empty_typeENS0_5tupleIJSE_SF_EEENSH_IJSE_SG_EEENS0_18inequality_wrapperI22is_equal_div_10_uniqueIxEEEPmJSF_EEE10hipError_tPvRmT3_T4_T5_T6_T7_T9_mT8_P12ihipStream_tbDpT10_ENKUlT_T0_E_clISt17integral_constantIbLb0EES18_EEDaS13_S14_EUlS13_E_NS1_11comp_targetILNS1_3genE9ELNS1_11target_archE1100ELNS1_3gpuE3ELNS1_3repE0EEENS1_30default_config_static_selectorELNS0_4arch9wavefront6targetE0EEEvT1_,@function
_ZN7rocprim17ROCPRIM_400000_NS6detail17trampoline_kernelINS0_14default_configENS1_25partition_config_selectorILNS1_17partition_subalgoE9ExxbEEZZNS1_14partition_implILS5_9ELb0ES3_jN6thrust23THRUST_200600_302600_NS6detail15normal_iteratorINS9_10device_ptrIxEEEESE_PNS0_10empty_typeENS0_5tupleIJSE_SF_EEENSH_IJSE_SG_EEENS0_18inequality_wrapperI22is_equal_div_10_uniqueIxEEEPmJSF_EEE10hipError_tPvRmT3_T4_T5_T6_T7_T9_mT8_P12ihipStream_tbDpT10_ENKUlT_T0_E_clISt17integral_constantIbLb0EES18_EEDaS13_S14_EUlS13_E_NS1_11comp_targetILNS1_3genE9ELNS1_11target_archE1100ELNS1_3gpuE3ELNS1_3repE0EEENS1_30default_config_static_selectorELNS0_4arch9wavefront6targetE0EEEvT1_: ; @_ZN7rocprim17ROCPRIM_400000_NS6detail17trampoline_kernelINS0_14default_configENS1_25partition_config_selectorILNS1_17partition_subalgoE9ExxbEEZZNS1_14partition_implILS5_9ELb0ES3_jN6thrust23THRUST_200600_302600_NS6detail15normal_iteratorINS9_10device_ptrIxEEEESE_PNS0_10empty_typeENS0_5tupleIJSE_SF_EEENSH_IJSE_SG_EEENS0_18inequality_wrapperI22is_equal_div_10_uniqueIxEEEPmJSF_EEE10hipError_tPvRmT3_T4_T5_T6_T7_T9_mT8_P12ihipStream_tbDpT10_ENKUlT_T0_E_clISt17integral_constantIbLb0EES18_EEDaS13_S14_EUlS13_E_NS1_11comp_targetILNS1_3genE9ELNS1_11target_archE1100ELNS1_3gpuE3ELNS1_3repE0EEENS1_30default_config_static_selectorELNS0_4arch9wavefront6targetE0EEEvT1_
; %bb.0:
	s_clause 0x4
	s_load_b128 s[4:7], s[0:1], 0x8
	s_load_b32 s14, s[0:1], 0x68
	s_load_b128 s[16:19], s[0:1], 0x40
	s_load_b64 s[2:3], s[0:1], 0x50
	s_load_b64 s[8:9], s[0:1], 0x18
	s_mov_b32 s21, 0
	v_lshlrev_b32_e32 v55, 3, v0
	v_lshrrev_b32_e32 v33, 2, v0
	v_or_b32_e32 v38, 0x200, v0
	v_or_b32_e32 v36, 0x400, v0
	;; [unrolled: 1-line block ×7, first 2 shown]
	s_waitcnt lgkmcnt(0)
	s_lshl_b64 s[12:13], s[6:7], 3
	s_delay_alu instid0(SALU_CYCLE_1)
	s_add_u32 s22, s4, s12
	s_addc_u32 s23, s5, s13
	s_add_i32 s24, s14, -1
	s_load_b64 s[10:11], s[18:19], 0x0
	s_lshl_b32 s4, s24, 12
	s_lshl_b32 s5, s14, 12
	s_add_i32 s4, s6, s4
	s_lshl_b32 s20, s15, 12
	s_sub_i32 s19, s2, s4
	s_add_u32 s4, s6, s5
	s_addc_u32 s5, s7, 0
	s_cmp_eq_u32 s15, s24
	v_cmp_ge_u64_e64 s2, s[4:5], s[2:3]
	s_cselect_b32 s14, -1, 0
	s_lshl_b64 s[4:5], s[20:21], 3
	s_delay_alu instid0(VALU_DEP_1) | instskip(NEXT) | instid1(SALU_CYCLE_1)
	s_and_b32 s3, s14, s2
	s_xor_b32 s18, s3, -1
	s_add_u32 s21, s22, s4
	s_addc_u32 s20, s23, s5
	s_and_b32 vcc_lo, exec_lo, s18
	s_mov_b32 s22, -1
	s_cbranch_vccz .LBB378_2
; %bb.1:
	v_add_co_u32 v1, s2, s21, v55
	s_delay_alu instid0(VALU_DEP_1) | instskip(SKIP_1) | instid1(VALU_DEP_3)
	v_add_co_ci_u32_e64 v2, null, s20, 0, s2
	v_lshrrev_b32_e32 v18, 2, v38
	v_add_co_u32 v3, vcc_lo, 0x1000, v1
	s_delay_alu instid0(VALU_DEP_3)
	v_add_co_ci_u32_e32 v4, vcc_lo, 0, v2, vcc_lo
	v_add_co_u32 v5, vcc_lo, 0x2000, v1
	v_add_co_ci_u32_e32 v6, vcc_lo, 0, v2, vcc_lo
	v_add_co_u32 v7, vcc_lo, 0x3000, v1
	;; [unrolled: 2-line block ×6, first 2 shown]
	v_add_co_ci_u32_e32 v16, vcc_lo, 0, v2, vcc_lo
	s_clause 0x7
	flat_load_b64 v[1:2], v[1:2]
	flat_load_b64 v[3:4], v[3:4]
	flat_load_b64 v[5:6], v[5:6]
	flat_load_b64 v[7:8], v[7:8]
	flat_load_b64 v[9:10], v[9:10]
	flat_load_b64 v[11:12], v[11:12]
	flat_load_b64 v[13:14], v[13:14]
	flat_load_b64 v[15:16], v[15:16]
	v_lshrrev_b32_e32 v19, 2, v36
	v_lshrrev_b32_e32 v20, 2, v40
	;; [unrolled: 1-line block ×3, first 2 shown]
	v_and_b32_e32 v17, 0x78, v33
	v_lshrrev_b32_e32 v22, 2, v37
	v_lshrrev_b32_e32 v23, 2, v34
	v_lshrrev_b32_e32 v24, 2, v35
	v_and_b32_e32 v18, 0xf8, v18
	v_and_b32_e32 v19, 0x178, v19
	;; [unrolled: 1-line block ×4, first 2 shown]
	v_add_nc_u32_e32 v17, v17, v55
	v_and_b32_e32 v22, 0x2f8, v22
	v_and_b32_e32 v23, 0x378, v23
	;; [unrolled: 1-line block ×3, first 2 shown]
	v_add_nc_u32_e32 v18, v18, v55
	v_add_nc_u32_e32 v19, v19, v55
	;; [unrolled: 1-line block ×4, first 2 shown]
	s_mov_b32 s22, 0
	v_add_nc_u32_e32 v22, v22, v55
	v_add_nc_u32_e32 v23, v23, v55
	;; [unrolled: 1-line block ×3, first 2 shown]
	s_waitcnt vmcnt(7) lgkmcnt(0)
	ds_store_b64 v17, v[1:2]
	s_waitcnt vmcnt(6)
	ds_store_b64 v18, v[3:4] offset:4096
	s_waitcnt vmcnt(5)
	ds_store_b64 v19, v[5:6] offset:8192
	;; [unrolled: 2-line block ×7, first 2 shown]
	s_waitcnt lgkmcnt(0)
	s_barrier
.LBB378_2:
	v_cmp_gt_u32_e64 s2, s19, v0
	s_and_not1_b32 vcc_lo, exec_lo, s22
	s_cbranch_vccnz .LBB378_20
; %bb.3:
                                        ; implicit-def: $vgpr1_vgpr2_vgpr3_vgpr4_vgpr5_vgpr6_vgpr7_vgpr8_vgpr9_vgpr10_vgpr11_vgpr12_vgpr13_vgpr14_vgpr15_vgpr16
	s_delay_alu instid0(VALU_DEP_1)
	s_and_saveexec_b32 s22, s2
	s_cbranch_execz .LBB378_11
; %bb.4:
	v_add_co_u32 v1, s2, s21, v55
	s_delay_alu instid0(VALU_DEP_1) | instskip(SKIP_2) | instid1(SALU_CYCLE_1)
	v_add_co_ci_u32_e64 v2, null, s20, 0, s2
	flat_load_b64 v[1:2], v[1:2]
	s_or_b32 exec_lo, exec_lo, s22
	s_mov_b32 s2, exec_lo
	v_cmpx_gt_u32_e64 s19, v38
	s_cbranch_execnz .LBB378_12
.LBB378_5:
	s_or_b32 exec_lo, exec_lo, s2
	s_delay_alu instid0(SALU_CYCLE_1)
	s_mov_b32 s2, exec_lo
	v_cmpx_gt_u32_e64 s19, v36
	s_cbranch_execz .LBB378_13
.LBB378_6:
	v_lshlrev_b32_e32 v5, 3, v36
	s_delay_alu instid0(VALU_DEP_1) | instskip(NEXT) | instid1(VALU_DEP_1)
	v_add_co_u32 v5, s22, s21, v5
	v_add_co_ci_u32_e64 v6, null, s20, 0, s22
	flat_load_b64 v[5:6], v[5:6]
	s_or_b32 exec_lo, exec_lo, s2
	s_delay_alu instid0(SALU_CYCLE_1)
	s_mov_b32 s2, exec_lo
	v_cmpx_gt_u32_e64 s19, v40
	s_cbranch_execnz .LBB378_14
.LBB378_7:
	s_or_b32 exec_lo, exec_lo, s2
	s_delay_alu instid0(SALU_CYCLE_1)
	s_mov_b32 s2, exec_lo
	v_cmpx_gt_u32_e64 s19, v39
	s_cbranch_execz .LBB378_15
.LBB378_8:
	v_lshlrev_b32_e32 v9, 3, v39
	s_delay_alu instid0(VALU_DEP_1) | instskip(NEXT) | instid1(VALU_DEP_1)
	v_add_co_u32 v9, s22, s21, v9
	v_add_co_ci_u32_e64 v10, null, s20, 0, s22
	flat_load_b64 v[9:10], v[9:10]
	s_or_b32 exec_lo, exec_lo, s2
	s_delay_alu instid0(SALU_CYCLE_1)
	s_mov_b32 s2, exec_lo
	v_cmpx_gt_u32_e64 s19, v37
	s_cbranch_execnz .LBB378_16
.LBB378_9:
	s_or_b32 exec_lo, exec_lo, s2
	s_delay_alu instid0(SALU_CYCLE_1)
	s_mov_b32 s2, exec_lo
	v_cmpx_gt_u32_e64 s19, v34
	s_cbranch_execz .LBB378_17
.LBB378_10:
	v_lshlrev_b32_e32 v13, 3, v34
	s_delay_alu instid0(VALU_DEP_1) | instskip(NEXT) | instid1(VALU_DEP_1)
	v_add_co_u32 v13, s22, s21, v13
	v_add_co_ci_u32_e64 v14, null, s20, 0, s22
	flat_load_b64 v[13:14], v[13:14]
	s_or_b32 exec_lo, exec_lo, s2
	s_delay_alu instid0(SALU_CYCLE_1)
	s_mov_b32 s2, exec_lo
	v_cmpx_gt_u32_e64 s19, v35
	s_cbranch_execnz .LBB378_18
	s_branch .LBB378_19
.LBB378_11:
	s_or_b32 exec_lo, exec_lo, s22
	s_delay_alu instid0(SALU_CYCLE_1)
	s_mov_b32 s2, exec_lo
	v_cmpx_gt_u32_e64 s19, v38
	s_cbranch_execz .LBB378_5
.LBB378_12:
	v_lshlrev_b32_e32 v3, 3, v38
	s_delay_alu instid0(VALU_DEP_1) | instskip(NEXT) | instid1(VALU_DEP_1)
	v_add_co_u32 v3, s22, s21, v3
	v_add_co_ci_u32_e64 v4, null, s20, 0, s22
	flat_load_b64 v[3:4], v[3:4]
	s_or_b32 exec_lo, exec_lo, s2
	s_delay_alu instid0(SALU_CYCLE_1)
	s_mov_b32 s2, exec_lo
	v_cmpx_gt_u32_e64 s19, v36
	s_cbranch_execnz .LBB378_6
.LBB378_13:
	s_or_b32 exec_lo, exec_lo, s2
	s_delay_alu instid0(SALU_CYCLE_1)
	s_mov_b32 s2, exec_lo
	v_cmpx_gt_u32_e64 s19, v40
	s_cbranch_execz .LBB378_7
.LBB378_14:
	v_lshlrev_b32_e32 v7, 3, v40
	s_delay_alu instid0(VALU_DEP_1) | instskip(NEXT) | instid1(VALU_DEP_1)
	v_add_co_u32 v7, s22, s21, v7
	v_add_co_ci_u32_e64 v8, null, s20, 0, s22
	flat_load_b64 v[7:8], v[7:8]
	s_or_b32 exec_lo, exec_lo, s2
	s_delay_alu instid0(SALU_CYCLE_1)
	s_mov_b32 s2, exec_lo
	v_cmpx_gt_u32_e64 s19, v39
	s_cbranch_execnz .LBB378_8
.LBB378_15:
	s_or_b32 exec_lo, exec_lo, s2
	s_delay_alu instid0(SALU_CYCLE_1)
	s_mov_b32 s2, exec_lo
	v_cmpx_gt_u32_e64 s19, v37
	s_cbranch_execz .LBB378_9
.LBB378_16:
	v_lshlrev_b32_e32 v11, 3, v37
	s_delay_alu instid0(VALU_DEP_1) | instskip(NEXT) | instid1(VALU_DEP_1)
	v_add_co_u32 v11, s22, s21, v11
	v_add_co_ci_u32_e64 v12, null, s20, 0, s22
	flat_load_b64 v[11:12], v[11:12]
	s_or_b32 exec_lo, exec_lo, s2
	s_delay_alu instid0(SALU_CYCLE_1)
	s_mov_b32 s2, exec_lo
	v_cmpx_gt_u32_e64 s19, v34
	s_cbranch_execnz .LBB378_10
.LBB378_17:
	s_or_b32 exec_lo, exec_lo, s2
	s_delay_alu instid0(SALU_CYCLE_1)
	s_mov_b32 s2, exec_lo
	v_cmpx_gt_u32_e64 s19, v35
	s_cbranch_execz .LBB378_19
.LBB378_18:
	v_lshlrev_b32_e32 v15, 3, v35
	s_delay_alu instid0(VALU_DEP_1) | instskip(NEXT) | instid1(VALU_DEP_1)
	v_add_co_u32 v15, s22, s21, v15
	v_add_co_ci_u32_e64 v16, null, s20, 0, s22
	flat_load_b64 v[15:16], v[15:16]
.LBB378_19:
	s_or_b32 exec_lo, exec_lo, s2
	v_lshrrev_b32_e32 v17, 2, v38
	v_lshrrev_b32_e32 v18, 2, v36
	;; [unrolled: 1-line block ×4, first 2 shown]
	v_and_b32_e32 v19, 0x78, v33
	v_lshrrev_b32_e32 v22, 2, v37
	v_lshrrev_b32_e32 v23, 2, v34
	;; [unrolled: 1-line block ×3, first 2 shown]
	v_and_b32_e32 v17, 0xf8, v17
	v_and_b32_e32 v18, 0x1f8, v18
	v_and_b32_e32 v20, 0x1f8, v20
	v_and_b32_e32 v21, 0x3f8, v21
	v_add_nc_u32_e32 v19, v19, v55
	v_and_b32_e32 v22, 0x3f8, v22
	v_and_b32_e32 v23, 0x3f8, v23
	;; [unrolled: 1-line block ×3, first 2 shown]
	v_add_nc_u32_e32 v17, v17, v55
	v_add_nc_u32_e32 v18, v18, v55
	;; [unrolled: 1-line block ×7, first 2 shown]
	s_waitcnt vmcnt(0) lgkmcnt(0)
	ds_store_b64 v19, v[1:2]
	ds_store_b64 v17, v[3:4] offset:4096
	ds_store_b64 v18, v[5:6] offset:8192
	;; [unrolled: 1-line block ×7, first 2 shown]
	s_waitcnt lgkmcnt(0)
	s_barrier
.LBB378_20:
	v_add_lshl_u32 v41, v33, v55, 3
	s_waitcnt lgkmcnt(0)
	buffer_gl0_inv
	s_add_u32 s2, s8, s12
	s_addc_u32 s8, s9, s13
	s_add_u32 s2, s2, s4
	ds_load_2addr_b64 v[29:32], v41 offset1:1
	ds_load_2addr_b64 v[25:28], v41 offset0:2 offset1:3
	ds_load_2addr_b64 v[21:24], v41 offset0:4 offset1:5
	;; [unrolled: 1-line block ×3, first 2 shown]
	s_addc_u32 s4, s8, s5
	s_and_b32 vcc_lo, exec_lo, s18
	s_mov_b32 s5, -1
	s_waitcnt lgkmcnt(0)
	s_barrier
	buffer_gl0_inv
	s_cbranch_vccz .LBB378_22
; %bb.21:
	v_add_co_u32 v1, s5, s2, v55
	s_delay_alu instid0(VALU_DEP_1) | instskip(SKIP_1) | instid1(VALU_DEP_3)
	v_add_co_ci_u32_e64 v2, null, s4, 0, s5
	v_lshrrev_b32_e32 v43, 2, v38
	v_add_co_u32 v3, vcc_lo, 0x1000, v1
	s_delay_alu instid0(VALU_DEP_3)
	v_add_co_ci_u32_e32 v4, vcc_lo, 0, v2, vcc_lo
	v_add_co_u32 v5, vcc_lo, 0x2000, v1
	v_add_co_ci_u32_e32 v6, vcc_lo, 0, v2, vcc_lo
	v_add_co_u32 v7, vcc_lo, 0x3000, v1
	;; [unrolled: 2-line block ×6, first 2 shown]
	v_add_co_ci_u32_e32 v16, vcc_lo, 0, v2, vcc_lo
	s_clause 0x7
	flat_load_b64 v[1:2], v[1:2]
	flat_load_b64 v[3:4], v[3:4]
	;; [unrolled: 1-line block ×8, first 2 shown]
	v_lshrrev_b32_e32 v44, 2, v36
	v_lshrrev_b32_e32 v45, 2, v40
	v_lshrrev_b32_e32 v46, 2, v39
	v_and_b32_e32 v42, 0x78, v33
	v_lshrrev_b32_e32 v47, 2, v37
	v_lshrrev_b32_e32 v48, 2, v34
	;; [unrolled: 1-line block ×3, first 2 shown]
	v_and_b32_e32 v43, 0xf8, v43
	v_and_b32_e32 v44, 0x178, v44
	;; [unrolled: 1-line block ×4, first 2 shown]
	v_add_nc_u32_e32 v42, v42, v55
	v_and_b32_e32 v47, 0x2f8, v47
	v_and_b32_e32 v48, 0x378, v48
	;; [unrolled: 1-line block ×3, first 2 shown]
	v_add_nc_u32_e32 v43, v43, v55
	v_add_nc_u32_e32 v44, v44, v55
	v_add_nc_u32_e32 v45, v45, v55
	v_add_nc_u32_e32 v46, v46, v55
	s_mov_b32 s5, 0
	v_add_nc_u32_e32 v47, v47, v55
	v_add_nc_u32_e32 v48, v48, v55
	;; [unrolled: 1-line block ×3, first 2 shown]
	s_waitcnt vmcnt(7) lgkmcnt(7)
	ds_store_b64 v42, v[1:2]
	s_waitcnt vmcnt(6) lgkmcnt(7)
	ds_store_b64 v43, v[3:4] offset:4096
	s_waitcnt vmcnt(5) lgkmcnt(7)
	ds_store_b64 v44, v[5:6] offset:8192
	;; [unrolled: 2-line block ×7, first 2 shown]
	s_waitcnt lgkmcnt(0)
	s_barrier
.LBB378_22:
	s_and_not1_b32 vcc_lo, exec_lo, s5
	s_cbranch_vccnz .LBB378_40
; %bb.23:
	s_mov_b32 s5, exec_lo
                                        ; implicit-def: $vgpr1_vgpr2
	v_cmpx_gt_u32_e64 s19, v0
	s_cbranch_execz .LBB378_25
; %bb.24:
	v_add_co_u32 v1, s8, s2, v55
	s_delay_alu instid0(VALU_DEP_1)
	v_add_co_ci_u32_e64 v2, null, s4, 0, s8
	flat_load_b64 v[1:2], v[1:2]
.LBB378_25:
	s_or_b32 exec_lo, exec_lo, s5
	s_delay_alu instid0(SALU_CYCLE_1)
	s_mov_b32 s5, exec_lo
                                        ; implicit-def: $vgpr3_vgpr4
	v_cmpx_gt_u32_e64 s19, v38
	s_cbranch_execz .LBB378_27
; %bb.26:
	v_lshlrev_b32_e32 v3, 3, v38
	s_delay_alu instid0(VALU_DEP_1) | instskip(NEXT) | instid1(VALU_DEP_1)
	v_add_co_u32 v3, s8, s2, v3
	v_add_co_ci_u32_e64 v4, null, s4, 0, s8
	flat_load_b64 v[3:4], v[3:4]
.LBB378_27:
	s_or_b32 exec_lo, exec_lo, s5
	s_delay_alu instid0(SALU_CYCLE_1)
	s_mov_b32 s5, exec_lo
                                        ; implicit-def: $vgpr5_vgpr6
	v_cmpx_gt_u32_e64 s19, v36
	s_cbranch_execz .LBB378_29
; %bb.28:
	v_lshlrev_b32_e32 v5, 3, v36
	s_delay_alu instid0(VALU_DEP_1) | instskip(NEXT) | instid1(VALU_DEP_1)
	v_add_co_u32 v5, s8, s2, v5
	v_add_co_ci_u32_e64 v6, null, s4, 0, s8
	flat_load_b64 v[5:6], v[5:6]
.LBB378_29:
	s_or_b32 exec_lo, exec_lo, s5
	s_delay_alu instid0(SALU_CYCLE_1)
	s_mov_b32 s5, exec_lo
                                        ; implicit-def: $vgpr7_vgpr8
	v_cmpx_gt_u32_e64 s19, v40
	s_cbranch_execz .LBB378_31
; %bb.30:
	v_lshlrev_b32_e32 v7, 3, v40
	s_delay_alu instid0(VALU_DEP_1) | instskip(NEXT) | instid1(VALU_DEP_1)
	v_add_co_u32 v7, s8, s2, v7
	v_add_co_ci_u32_e64 v8, null, s4, 0, s8
	flat_load_b64 v[7:8], v[7:8]
.LBB378_31:
	s_or_b32 exec_lo, exec_lo, s5
	s_delay_alu instid0(SALU_CYCLE_1)
	s_mov_b32 s5, exec_lo
                                        ; implicit-def: $vgpr9_vgpr10
	v_cmpx_gt_u32_e64 s19, v39
	s_cbranch_execz .LBB378_33
; %bb.32:
	v_lshlrev_b32_e32 v9, 3, v39
	s_delay_alu instid0(VALU_DEP_1) | instskip(NEXT) | instid1(VALU_DEP_1)
	v_add_co_u32 v9, s8, s2, v9
	v_add_co_ci_u32_e64 v10, null, s4, 0, s8
	flat_load_b64 v[9:10], v[9:10]
.LBB378_33:
	s_or_b32 exec_lo, exec_lo, s5
	s_delay_alu instid0(SALU_CYCLE_1)
	s_mov_b32 s5, exec_lo
                                        ; implicit-def: $vgpr11_vgpr12
	v_cmpx_gt_u32_e64 s19, v37
	s_cbranch_execz .LBB378_35
; %bb.34:
	v_lshlrev_b32_e32 v11, 3, v37
	s_delay_alu instid0(VALU_DEP_1) | instskip(NEXT) | instid1(VALU_DEP_1)
	v_add_co_u32 v11, s8, s2, v11
	v_add_co_ci_u32_e64 v12, null, s4, 0, s8
	flat_load_b64 v[11:12], v[11:12]
.LBB378_35:
	s_or_b32 exec_lo, exec_lo, s5
	s_delay_alu instid0(SALU_CYCLE_1)
	s_mov_b32 s5, exec_lo
                                        ; implicit-def: $vgpr13_vgpr14
	v_cmpx_gt_u32_e64 s19, v34
	s_cbranch_execz .LBB378_37
; %bb.36:
	v_lshlrev_b32_e32 v13, 3, v34
	s_delay_alu instid0(VALU_DEP_1) | instskip(NEXT) | instid1(VALU_DEP_1)
	v_add_co_u32 v13, s8, s2, v13
	v_add_co_ci_u32_e64 v14, null, s4, 0, s8
	flat_load_b64 v[13:14], v[13:14]
.LBB378_37:
	s_or_b32 exec_lo, exec_lo, s5
	s_delay_alu instid0(SALU_CYCLE_1)
	s_mov_b32 s5, exec_lo
                                        ; implicit-def: $vgpr15_vgpr16
	v_cmpx_gt_u32_e64 s19, v35
	s_cbranch_execz .LBB378_39
; %bb.38:
	v_lshlrev_b32_e32 v15, 3, v35
	s_delay_alu instid0(VALU_DEP_1) | instskip(NEXT) | instid1(VALU_DEP_1)
	v_add_co_u32 v15, s2, s2, v15
	v_add_co_ci_u32_e64 v16, null, s4, 0, s2
	flat_load_b64 v[15:16], v[15:16]
.LBB378_39:
	s_or_b32 exec_lo, exec_lo, s5
	v_lshrrev_b32_e32 v38, 2, v38
	v_lshrrev_b32_e32 v36, 2, v36
	;; [unrolled: 1-line block ×4, first 2 shown]
	v_and_b32_e32 v33, 0x78, v33
	v_lshrrev_b32_e32 v37, 2, v37
	v_lshrrev_b32_e32 v34, 2, v34
	;; [unrolled: 1-line block ×3, first 2 shown]
	v_and_b32_e32 v38, 0xf8, v38
	v_and_b32_e32 v36, 0x1f8, v36
	;; [unrolled: 1-line block ×4, first 2 shown]
	v_add_nc_u32_e32 v33, v33, v55
	v_and_b32_e32 v37, 0x3f8, v37
	v_and_b32_e32 v34, 0x3f8, v34
	;; [unrolled: 1-line block ×3, first 2 shown]
	v_add_nc_u32_e32 v38, v38, v55
	v_add_nc_u32_e32 v36, v36, v55
	v_add_nc_u32_e32 v40, v40, v55
	v_add_nc_u32_e32 v39, v39, v55
	v_add_nc_u32_e32 v37, v37, v55
	v_add_nc_u32_e32 v34, v34, v55
	v_add_nc_u32_e32 v35, v35, v55
	s_waitcnt vmcnt(0) lgkmcnt(0)
	ds_store_b64 v33, v[1:2]
	ds_store_b64 v38, v[3:4] offset:4096
	ds_store_b64 v36, v[5:6] offset:8192
	;; [unrolled: 1-line block ×7, first 2 shown]
	s_waitcnt lgkmcnt(0)
	s_barrier
.LBB378_40:
	buffer_gl0_inv
	ds_load_2addr_b64 v[13:16], v41 offset1:1
	ds_load_2addr_b64 v[9:12], v41 offset0:2 offset1:3
	ds_load_2addr_b64 v[5:8], v41 offset0:4 offset1:5
	;; [unrolled: 1-line block ×3, first 2 shown]
	s_cmp_lg_u32 s15, 0
	s_waitcnt lgkmcnt(0)
	s_cselect_b32 s8, -1, 0
	s_cmp_lg_u64 s[6:7], 0
	s_barrier
	s_cselect_b32 s2, -1, 0
	buffer_gl0_inv
	s_or_b32 s2, s8, s2
	s_delay_alu instid0(SALU_CYCLE_1)
	s_and_b32 vcc_lo, exec_lo, s2
	s_mov_b32 s2, 0
	s_cbranch_vccz .LBB378_45
; %bb.41:
	v_add_co_u32 v33, s2, -8, s21
	s_delay_alu instid0(VALU_DEP_1)
	v_add_co_ci_u32_e64 v34, null, -1, s20, s2
	s_mov_b32 s2, -1
	s_and_b32 vcc_lo, exec_lo, s18
	flat_load_b64 v[35:36], v[33:34]
	ds_store_b64 v55, v[19:20]
	s_cbranch_vccz .LBB378_46
; %bb.42:
	s_waitcnt vmcnt(0) lgkmcnt(1)
	v_dual_mov_b32 v33, v35 :: v_dual_mov_b32 v34, v36
	s_mov_b32 s2, 0
	s_mov_b32 s4, exec_lo
	s_waitcnt lgkmcnt(0)
	s_barrier
	buffer_gl0_inv
	v_cmpx_ne_u32_e32 0, v0
	s_cbranch_execz .LBB378_44
; %bb.43:
	v_add_nc_u32_e32 v33, -8, v55
	ds_load_b64 v[33:34], v33
.LBB378_44:
	s_or_b32 exec_lo, exec_lo, s4
	s_waitcnt lgkmcnt(0)
	v_mul_hi_i32 v34, 0x66666667, v17
	v_mul_hi_i32 v36, 0x66666667, v19
	;; [unrolled: 1-line block ×6, first 2 shown]
	v_lshrrev_b32_e32 v40, 31, v34
	v_ashrrev_i32_e32 v34, 2, v34
	v_lshrrev_b32_e32 v41, 31, v36
	v_ashrrev_i32_e32 v36, 2, v36
	;; [unrolled: 2-line block ×3, first 2 shown]
	v_add_nc_u32_e32 v34, v34, v40
	v_lshrrev_b32_e32 v43, 31, v38
	v_add_nc_u32_e32 v36, v36, v41
	v_ashrrev_i32_e32 v38, 2, v38
	v_add_nc_u32_e32 v37, v37, v42
	v_mul_hi_i32 v41, 0x66666667, v25
	v_lshrrev_b32_e32 v40, 31, v39
	v_cmp_ne_u32_e32 vcc_lo, v34, v36
	v_add_nc_u32_e32 v38, v38, v43
	v_ashrrev_i32_e32 v39, 2, v39
	v_mul_hi_i32 v42, 0x66666667, v31
	v_mul_hi_i32 v43, 0x66666667, v29
	v_cndmask_b32_e64 v36, 0, 1, vcc_lo
	v_cmp_ne_u32_e32 vcc_lo, v37, v34
	v_add_nc_u32_e32 v39, v39, v40
	v_lshrrev_b32_e32 v40, 31, v41
	v_ashrrev_i32_e32 v41, 2, v41
	v_lshlrev_b16 v36, 8, v36
	v_cndmask_b32_e64 v34, 0, 1, vcc_lo
	v_cmp_ne_u32_e32 vcc_lo, v38, v37
	v_lshrrev_b32_e32 v44, 31, v42
	v_ashrrev_i32_e32 v42, 2, v42
	v_add_nc_u32_e32 v40, v41, v40
	v_lshrrev_b32_e32 v45, 31, v43
	v_cndmask_b32_e64 v37, 0, 1, vcc_lo
	v_cmp_ne_u32_e32 vcc_lo, v39, v38
	v_ashrrev_i32_e32 v43, 2, v43
	v_add_nc_u32_e32 v41, v42, v44
	v_or_b32_e32 v34, v34, v36
	v_lshlrev_b16 v37, 8, v37
	v_cndmask_b32_e64 v38, 0, 1, vcc_lo
	v_cmp_ne_u32_e32 vcc_lo, v40, v39
	v_add_nc_u32_e32 v42, v43, v45
	v_lshrrev_b32_e32 v43, 31, v33
	v_ashrrev_i32_e32 v33, 2, v33
	v_or_b32_e32 v37, v38, v37
	v_cndmask_b32_e64 v39, 0, 1, vcc_lo
	v_cmp_ne_u32_e32 vcc_lo, v41, v40
	v_lshlrev_b32_e32 v34, 16, v34
	v_add_nc_u32_e32 v33, v33, v43
	v_and_b32_e32 v37, 0xffff, v37
	v_lshlrev_b16 v39, 8, v39
	v_cndmask_b32_e64 v40, 0, 1, vcc_lo
	v_cmp_ne_u32_e32 vcc_lo, v42, v41
	v_cmp_ne_u32_e64 s4, v33, v42
	v_or_b32_e32 v34, v37, v34
	s_delay_alu instid0(VALU_DEP_4) | instskip(SKIP_1) | instid1(VALU_DEP_2)
	v_or_b32_e32 v39, v40, v39
	v_cndmask_b32_e64 v41, 0, 1, vcc_lo
	v_lshlrev_b32_e32 v36, 16, v39
	s_delay_alu instid0(VALU_DEP_2) | instskip(NEXT) | instid1(VALU_DEP_1)
	v_lshlrev_b16 v40, 8, v41
	v_and_b32_e32 v38, 0xffff, v40
	s_delay_alu instid0(VALU_DEP_1)
	v_or_b32_e32 v33, v38, v36
	s_and_b32 vcc_lo, exec_lo, s2
	s_cbranch_vccnz .LBB378_47
	s_branch .LBB378_66
.LBB378_45:
                                        ; implicit-def: $sgpr4
                                        ; implicit-def: $vgpr34
	s_branch .LBB378_67
.LBB378_46:
                                        ; implicit-def: $sgpr4
                                        ; implicit-def: $vgpr34
	s_and_b32 vcc_lo, exec_lo, s2
	s_cbranch_vccz .LBB378_66
.LBB378_47:
	v_or_b32_e32 v33, 7, v55
	s_mov_b32 s2, 0
	s_mov_b32 s4, 0
	s_mov_b32 s5, exec_lo
	s_delay_alu instid0(VALU_DEP_1)
	v_cmpx_gt_u32_e64 s19, v33
	s_cbranch_execz .LBB378_49
; %bb.48:
	v_mul_hi_i32 v33, 0x66666667, v17
	v_mul_hi_i32 v34, 0x66666667, v19
	s_waitcnt vmcnt(0) lgkmcnt(1)
	s_delay_alu instid0(VALU_DEP_2) | instskip(SKIP_1) | instid1(VALU_DEP_3)
	v_lshrrev_b32_e32 v36, 31, v33
	v_ashrrev_i32_e32 v33, 2, v33
	v_lshrrev_b32_e32 v37, 31, v34
	v_ashrrev_i32_e32 v34, 2, v34
	s_delay_alu instid0(VALU_DEP_3) | instskip(NEXT) | instid1(VALU_DEP_2)
	v_add_nc_u32_e32 v33, v33, v36
	v_add_nc_u32_e32 v34, v34, v37
	s_delay_alu instid0(VALU_DEP_1)
	v_cmp_ne_u32_e32 vcc_lo, v33, v34
	s_and_b32 s4, vcc_lo, exec_lo
.LBB378_49:
	s_or_b32 exec_lo, exec_lo, s5
	v_or_b32_e32 v33, 6, v55
	s_mov_b32 s5, exec_lo
	s_delay_alu instid0(VALU_DEP_1)
	v_cmpx_gt_u32_e64 s19, v33
	s_cbranch_execz .LBB378_51
; %bb.50:
	v_mul_hi_i32 v33, 0x66666667, v23
	v_mul_hi_i32 v34, 0x66666667, v17
	s_waitcnt vmcnt(0) lgkmcnt(1)
	s_delay_alu instid0(VALU_DEP_2) | instskip(SKIP_1) | instid1(VALU_DEP_3)
	v_lshrrev_b32_e32 v36, 31, v33
	v_ashrrev_i32_e32 v33, 2, v33
	v_lshrrev_b32_e32 v37, 31, v34
	v_ashrrev_i32_e32 v34, 2, v34
	s_delay_alu instid0(VALU_DEP_3) | instskip(NEXT) | instid1(VALU_DEP_2)
	v_add_nc_u32_e32 v33, v33, v36
	v_add_nc_u32_e32 v34, v34, v37
	s_delay_alu instid0(VALU_DEP_1)
	v_cmp_ne_u32_e32 vcc_lo, v33, v34
	s_and_b32 s2, vcc_lo, exec_lo
.LBB378_51:
	s_or_b32 exec_lo, exec_lo, s5
	v_or_b32_e32 v33, 5, v55
	s_mov_b32 s6, 0
	s_mov_b32 s5, 0
	s_mov_b32 s7, exec_lo
	s_delay_alu instid0(VALU_DEP_1)
	v_cmpx_gt_u32_e64 s19, v33
	s_cbranch_execz .LBB378_53
; %bb.52:
	v_mul_hi_i32 v33, 0x66666667, v21
	v_mul_hi_i32 v34, 0x66666667, v23
	s_waitcnt vmcnt(0) lgkmcnt(1)
	s_delay_alu instid0(VALU_DEP_2) | instskip(SKIP_1) | instid1(VALU_DEP_3)
	v_lshrrev_b32_e32 v36, 31, v33
	v_ashrrev_i32_e32 v33, 2, v33
	v_lshrrev_b32_e32 v37, 31, v34
	v_ashrrev_i32_e32 v34, 2, v34
	s_delay_alu instid0(VALU_DEP_3) | instskip(NEXT) | instid1(VALU_DEP_2)
	v_add_nc_u32_e32 v33, v33, v36
	v_add_nc_u32_e32 v34, v34, v37
	s_delay_alu instid0(VALU_DEP_1)
	v_cmp_ne_u32_e32 vcc_lo, v33, v34
	s_and_b32 s5, vcc_lo, exec_lo
.LBB378_53:
	s_or_b32 exec_lo, exec_lo, s7
	v_or_b32_e32 v33, 4, v55
	s_mov_b32 s7, exec_lo
	s_delay_alu instid0(VALU_DEP_1)
	v_cmpx_gt_u32_e64 s19, v33
	s_cbranch_execz .LBB378_55
; %bb.54:
	v_mul_hi_i32 v33, 0x66666667, v27
	v_mul_hi_i32 v34, 0x66666667, v21
	s_waitcnt vmcnt(0) lgkmcnt(1)
	s_delay_alu instid0(VALU_DEP_2) | instskip(SKIP_1) | instid1(VALU_DEP_3)
	v_lshrrev_b32_e32 v36, 31, v33
	v_ashrrev_i32_e32 v33, 2, v33
	v_lshrrev_b32_e32 v37, 31, v34
	v_ashrrev_i32_e32 v34, 2, v34
	s_delay_alu instid0(VALU_DEP_3) | instskip(NEXT) | instid1(VALU_DEP_2)
	v_add_nc_u32_e32 v33, v33, v36
	v_add_nc_u32_e32 v34, v34, v37
	s_delay_alu instid0(VALU_DEP_1)
	v_cmp_ne_u32_e32 vcc_lo, v33, v34
	s_and_b32 s6, vcc_lo, exec_lo
.LBB378_55:
	s_or_b32 exec_lo, exec_lo, s7
	;; [unrolled: 46-line block ×3, first 2 shown]
	v_or_b32_e32 v33, 1, v55
	s_mov_b32 s12, 0
	s_mov_b32 s13, exec_lo
	s_delay_alu instid0(VALU_DEP_1)
	v_cmpx_gt_u32_e64 s19, v33
	s_cbranch_execz .LBB378_61
; %bb.60:
	v_mul_hi_i32 v33, 0x66666667, v29
	v_mul_hi_i32 v34, 0x66666667, v31
	s_waitcnt vmcnt(0) lgkmcnt(1)
	s_delay_alu instid0(VALU_DEP_2) | instskip(SKIP_1) | instid1(VALU_DEP_3)
	v_lshrrev_b32_e32 v36, 31, v33
	v_ashrrev_i32_e32 v33, 2, v33
	v_lshrrev_b32_e32 v37, 31, v34
	v_ashrrev_i32_e32 v34, 2, v34
	s_delay_alu instid0(VALU_DEP_3) | instskip(NEXT) | instid1(VALU_DEP_2)
	v_add_nc_u32_e32 v33, v33, v36
	v_add_nc_u32_e32 v34, v34, v37
	s_delay_alu instid0(VALU_DEP_1)
	v_cmp_ne_u32_e32 vcc_lo, v33, v34
	s_and_b32 s12, vcc_lo, exec_lo
.LBB378_61:
	s_or_b32 exec_lo, exec_lo, s13
	s_delay_alu instid0(SALU_CYCLE_1)
	s_mov_b32 s13, exec_lo
	s_waitcnt vmcnt(0) lgkmcnt(0)
	s_barrier
	buffer_gl0_inv
	v_cmpx_ne_u32_e32 0, v0
	s_cbranch_execz .LBB378_63
; %bb.62:
	v_add_nc_u32_e32 v33, -8, v55
	ds_load_b64 v[35:36], v33
.LBB378_63:
	s_or_b32 exec_lo, exec_lo, s13
	v_cndmask_b32_e64 v34, 0, 1, s7
	v_cndmask_b32_e64 v37, 0, 1, s5
	;; [unrolled: 1-line block ×4, first 2 shown]
	s_waitcnt lgkmcnt(0)
	v_cndmask_b32_e64 v36, 0, 1, s6
	v_cndmask_b32_e64 v39, 0, 1, s2
	;; [unrolled: 1-line block ×3, first 2 shown]
	v_lshlrev_b16 v34, 8, v34
	v_lshlrev_b16 v37, 8, v37
	v_lshlrev_b16 v38, 8, v38
	s_mov_b32 s4, 0
	v_lshlrev_b16 v40, 8, v40
	v_or_b32_e32 v34, v33, v34
	v_or_b32_e32 v36, v36, v37
	;; [unrolled: 1-line block ×3, first 2 shown]
	s_mov_b32 s2, exec_lo
	v_and_b32_e32 v33, 0xffff, v40
	v_lshlrev_b32_e32 v34, 16, v34
	v_and_b32_e32 v36, 0xffff, v36
	v_lshlrev_b32_e32 v37, 16, v37
	v_cmpx_gt_u32_e64 s19, v55
; %bb.64:
	v_mul_hi_i32 v35, 0x66666667, v35
	v_mul_hi_i32 v38, 0x66666667, v29
	s_delay_alu instid0(VALU_DEP_2) | instskip(SKIP_1) | instid1(VALU_DEP_3)
	v_lshrrev_b32_e32 v39, 31, v35
	v_ashrrev_i32_e32 v35, 2, v35
	v_lshrrev_b32_e32 v40, 31, v38
	v_ashrrev_i32_e32 v38, 2, v38
	s_delay_alu instid0(VALU_DEP_3) | instskip(NEXT) | instid1(VALU_DEP_2)
	v_add_nc_u32_e32 v35, v35, v39
	v_add_nc_u32_e32 v38, v38, v40
	s_delay_alu instid0(VALU_DEP_1)
	v_cmp_ne_u32_e32 vcc_lo, v35, v38
	s_and_b32 s4, vcc_lo, exec_lo
; %bb.65:
	s_or_b32 exec_lo, exec_lo, s2
	v_or_b32_e32 v33, v33, v34
	v_or_b32_e32 v34, v36, v37
.LBB378_66:
	s_mov_b32 s2, -1
	s_cbranch_execnz .LBB378_91
.LBB378_67:
	v_mul_hi_i32 v40, 0x66666667, v17
	v_mul_hi_i32 v39, 0x66666667, v23
	;; [unrolled: 1-line block ×4, first 2 shown]
	s_waitcnt vmcnt(0) lgkmcnt(1)
	v_mul_hi_i32 v36, 0x66666667, v25
	v_mul_hi_i32 v35, 0x66666667, v31
	s_and_b32 vcc_lo, exec_lo, s18
	ds_store_b64 v55, v[19:20]
	s_cbranch_vccz .LBB378_71
; %bb.68:
	v_mul_hi_i32 v33, 0x66666667, v19
	v_lshrrev_b32_e32 v34, 31, v40
	v_ashrrev_i32_e32 v41, 2, v40
	v_lshrrev_b32_e32 v42, 31, v39
	v_ashrrev_i32_e32 v43, 2, v39
	;; [unrolled: 2-line block ×3, first 2 shown]
	v_add_nc_u32_e32 v34, v41, v34
	v_lshrrev_b32_e32 v45, 31, v33
	v_ashrrev_i32_e32 v33, 2, v33
	v_add_nc_u32_e32 v41, v43, v42
	v_lshrrev_b32_e32 v42, 31, v37
	v_ashrrev_i32_e32 v43, 2, v37
	v_ashrrev_i32_e32 v48, 2, v35
	v_add_nc_u32_e32 v33, v33, v45
	v_cmp_ne_u32_e32 vcc_lo, v41, v34
	v_mul_hi_i32 v45, 0x66666667, v29
	v_add_nc_u32_e32 v42, v43, v42
	v_lshrrev_b32_e32 v43, 31, v36
	s_mov_b32 s5, 0
	v_cndmask_b32_e64 v47, 0, 1, vcc_lo
	v_cmp_ne_u32_e32 vcc_lo, v34, v33
	v_add_nc_u32_e32 v34, v46, v44
	v_ashrrev_i32_e32 v44, 2, v36
	v_lshrrev_b32_e32 v46, 31, v35
	v_lshrrev_b32_e32 v49, 31, v45
	v_cndmask_b32_e64 v33, 0, 1, vcc_lo
	v_cmp_ne_u32_e32 vcc_lo, v34, v41
	v_ashrrev_i32_e32 v45, 2, v45
	v_add_nc_u32_e32 v43, v44, v43
	v_add_nc_u32_e32 v44, v48, v46
	v_lshlrev_b16 v33, 8, v33
	v_cndmask_b32_e64 v50, 0, 1, vcc_lo
	v_cmp_ne_u32_e32 vcc_lo, v42, v34
	v_add_nc_u32_e32 v41, v45, v49
	s_mov_b32 s6, exec_lo
	v_or_b32_e32 v33, v47, v33
	s_waitcnt lgkmcnt(0)
	v_cndmask_b32_e64 v34, 0, 1, vcc_lo
	v_cmp_ne_u32_e32 vcc_lo, v43, v42
	s_barrier
	v_lshlrev_b32_e32 v33, 16, v33
	buffer_gl0_inv
                                        ; implicit-def: $sgpr4
	v_cndmask_b32_e64 v42, 0, 1, vcc_lo
	v_cmp_ne_u32_e32 vcc_lo, v41, v44
	s_delay_alu instid0(VALU_DEP_2) | instskip(SKIP_3) | instid1(VALU_DEP_3)
	v_lshlrev_b16 v42, 8, v42
	v_cndmask_b32_e64 v45, 0, 1, vcc_lo
	v_cmp_ne_u32_e32 vcc_lo, v44, v43
	v_lshlrev_b16 v44, 8, v50
	v_lshlrev_b16 v45, 8, v45
	v_cndmask_b32_e64 v43, 0, 1, vcc_lo
	s_delay_alu instid0(VALU_DEP_3) | instskip(NEXT) | instid1(VALU_DEP_2)
	v_or_b32_e32 v34, v34, v44
	v_or_b32_e32 v42, v43, v42
	s_delay_alu instid0(VALU_DEP_4) | instskip(NEXT) | instid1(VALU_DEP_3)
	v_or_b32_e32 v43, 1, v45
	v_and_b32_e32 v34, 0xffff, v34
	s_delay_alu instid0(VALU_DEP_3) | instskip(NEXT) | instid1(VALU_DEP_3)
	v_lshlrev_b32_e32 v42, 16, v42
	v_and_b32_e32 v43, 0xffff, v43
	s_delay_alu instid0(VALU_DEP_3) | instskip(NEXT) | instid1(VALU_DEP_2)
	v_or_b32_e32 v34, v34, v33
	v_or_b32_e32 v33, v43, v42
	v_cmpx_ne_u32_e32 0, v0
	s_xor_b32 s6, exec_lo, s6
	s_cbranch_execz .LBB378_70
; %bb.69:
	v_add_nc_u32_e32 v42, -8, v55
	s_or_b32 s2, s2, exec_lo
	ds_load_b32 v42, v42
	s_waitcnt lgkmcnt(0)
	v_mul_hi_i32 v42, 0x66666667, v42
	s_delay_alu instid0(VALU_DEP_1) | instskip(SKIP_1) | instid1(VALU_DEP_1)
	v_lshrrev_b32_e32 v43, 31, v42
	v_ashrrev_i32_e32 v42, 2, v42
	v_add_nc_u32_e32 v42, v42, v43
	s_delay_alu instid0(VALU_DEP_1)
	v_cmp_ne_u32_e32 vcc_lo, v42, v41
	s_and_b32 s4, vcc_lo, exec_lo
.LBB378_70:
	s_or_b32 exec_lo, exec_lo, s6
	s_delay_alu instid0(SALU_CYCLE_1)
	s_and_b32 vcc_lo, exec_lo, s5
	s_cbranch_vccnz .LBB378_72
	s_branch .LBB378_91
.LBB378_71:
                                        ; implicit-def: $sgpr4
                                        ; implicit-def: $vgpr34
	s_cbranch_execz .LBB378_91
.LBB378_72:
	v_or_b32_e32 v33, 7, v55
	s_mov_b32 s4, 0
	s_mov_b32 s5, 0
	s_mov_b32 s6, exec_lo
	s_delay_alu instid0(VALU_DEP_1)
	v_cmpx_gt_u32_e64 s19, v33
; %bb.73:
	v_mul_hi_i32 v33, 0x66666667, v19
	v_lshrrev_b32_e32 v34, 31, v40
	v_ashrrev_i32_e32 v41, 2, v40
	s_delay_alu instid0(VALU_DEP_1) | instskip(NEXT) | instid1(VALU_DEP_4)
	v_add_nc_u32_e32 v34, v41, v34
	v_lshrrev_b32_e32 v42, 31, v33
	v_ashrrev_i32_e32 v33, 2, v33
	s_delay_alu instid0(VALU_DEP_1) | instskip(NEXT) | instid1(VALU_DEP_1)
	v_add_nc_u32_e32 v33, v33, v42
	v_cmp_ne_u32_e32 vcc_lo, v34, v33
	s_and_b32 s5, vcc_lo, exec_lo
; %bb.74:
	s_or_b32 exec_lo, exec_lo, s6
	v_or_b32_e32 v33, 6, v55
	s_mov_b32 s6, exec_lo
	s_delay_alu instid0(VALU_DEP_1)
	v_cmpx_gt_u32_e64 s19, v33
; %bb.75:
	v_lshrrev_b32_e32 v33, 31, v39
	v_ashrrev_i32_e32 v34, 2, v39
	v_lshrrev_b32_e32 v41, 31, v40
	v_ashrrev_i32_e32 v40, 2, v40
	s_delay_alu instid0(VALU_DEP_3) | instskip(NEXT) | instid1(VALU_DEP_2)
	v_add_nc_u32_e32 v33, v34, v33
	v_add_nc_u32_e32 v34, v40, v41
	s_delay_alu instid0(VALU_DEP_1)
	v_cmp_ne_u32_e32 vcc_lo, v33, v34
	s_and_b32 s4, vcc_lo, exec_lo
; %bb.76:
	s_or_b32 exec_lo, exec_lo, s6
	v_or_b32_e32 v33, 5, v55
	s_mov_b32 s6, 0
	s_mov_b32 s7, 0
	s_mov_b32 s9, exec_lo
	s_delay_alu instid0(VALU_DEP_1)
	v_cmpx_gt_u32_e64 s19, v33
; %bb.77:
	v_lshrrev_b32_e32 v33, 31, v38
	v_ashrrev_i32_e32 v34, 2, v38
	v_lshrrev_b32_e32 v40, 31, v39
	v_ashrrev_i32_e32 v39, 2, v39
	s_delay_alu instid0(VALU_DEP_3) | instskip(NEXT) | instid1(VALU_DEP_2)
	v_add_nc_u32_e32 v33, v34, v33
	v_add_nc_u32_e32 v34, v39, v40
	s_delay_alu instid0(VALU_DEP_1)
	v_cmp_ne_u32_e32 vcc_lo, v33, v34
	s_and_b32 s7, vcc_lo, exec_lo
; %bb.78:
	s_or_b32 exec_lo, exec_lo, s9
	v_or_b32_e32 v33, 4, v55
	s_mov_b32 s9, exec_lo
	s_delay_alu instid0(VALU_DEP_1)
	v_cmpx_gt_u32_e64 s19, v33
; %bb.79:
	v_lshrrev_b32_e32 v33, 31, v37
	v_ashrrev_i32_e32 v34, 2, v37
	v_lshrrev_b32_e32 v39, 31, v38
	v_ashrrev_i32_e32 v38, 2, v38
	s_delay_alu instid0(VALU_DEP_3) | instskip(NEXT) | instid1(VALU_DEP_2)
	v_add_nc_u32_e32 v33, v34, v33
	v_add_nc_u32_e32 v34, v38, v39
	s_delay_alu instid0(VALU_DEP_1)
	v_cmp_ne_u32_e32 vcc_lo, v33, v34
	s_and_b32 s6, vcc_lo, exec_lo
; %bb.80:
	s_or_b32 exec_lo, exec_lo, s9
	v_or_b32_e32 v33, 3, v55
	s_mov_b32 s12, 0
	s_mov_b32 s9, 0
	s_mov_b32 s13, exec_lo
	s_delay_alu instid0(VALU_DEP_1)
	v_cmpx_gt_u32_e64 s19, v33
; %bb.81:
	v_lshrrev_b32_e32 v33, 31, v36
	v_ashrrev_i32_e32 v34, 2, v36
	v_lshrrev_b32_e32 v38, 31, v37
	v_ashrrev_i32_e32 v37, 2, v37
	s_delay_alu instid0(VALU_DEP_3) | instskip(NEXT) | instid1(VALU_DEP_2)
	v_add_nc_u32_e32 v33, v34, v33
	v_add_nc_u32_e32 v34, v37, v38
	s_delay_alu instid0(VALU_DEP_1)
	v_cmp_ne_u32_e32 vcc_lo, v33, v34
	s_and_b32 s9, vcc_lo, exec_lo
; %bb.82:
	s_or_b32 exec_lo, exec_lo, s13
	v_or_b32_e32 v33, 2, v55
	s_mov_b32 s13, exec_lo
	s_delay_alu instid0(VALU_DEP_1)
	v_cmpx_gt_u32_e64 s19, v33
; %bb.83:
	v_lshrrev_b32_e32 v33, 31, v35
	v_ashrrev_i32_e32 v34, 2, v35
	v_lshrrev_b32_e32 v37, 31, v36
	v_ashrrev_i32_e32 v36, 2, v36
	s_delay_alu instid0(VALU_DEP_3) | instskip(NEXT) | instid1(VALU_DEP_2)
	v_add_nc_u32_e32 v33, v34, v33
	v_add_nc_u32_e32 v34, v36, v37
	s_delay_alu instid0(VALU_DEP_1)
	v_cmp_ne_u32_e32 vcc_lo, v33, v34
	s_and_b32 s12, vcc_lo, exec_lo
; %bb.84:
	s_or_b32 exec_lo, exec_lo, s13
	v_or_b32_e32 v33, 1, v55
	s_mov_b32 s20, 0
	s_mov_b32 s13, exec_lo
	s_delay_alu instid0(VALU_DEP_1)
	v_cmpx_gt_u32_e64 s19, v33
; %bb.85:
	v_mul_hi_i32 v33, 0x66666667, v29
	v_lshrrev_b32_e32 v34, 31, v35
	v_ashrrev_i32_e32 v35, 2, v35
	s_delay_alu instid0(VALU_DEP_1) | instskip(NEXT) | instid1(VALU_DEP_4)
	v_add_nc_u32_e32 v34, v35, v34
	v_lshrrev_b32_e32 v36, 31, v33
	v_ashrrev_i32_e32 v33, 2, v33
	s_delay_alu instid0(VALU_DEP_1) | instskip(NEXT) | instid1(VALU_DEP_1)
	v_add_nc_u32_e32 v33, v33, v36
	v_cmp_ne_u32_e32 vcc_lo, v33, v34
	s_and_b32 s20, vcc_lo, exec_lo
; %bb.86:
	s_or_b32 exec_lo, exec_lo, s13
	v_cndmask_b32_e64 v34, 0, 1, s9
	v_cndmask_b32_e64 v35, 0, 1, s7
	;; [unrolled: 1-line block ×7, first 2 shown]
	v_lshlrev_b16 v35, 8, v35
	v_lshlrev_b16 v36, 8, v36
	;; [unrolled: 1-line block ×4, first 2 shown]
	s_mov_b32 s5, exec_lo
	v_or_b32_e32 v35, v38, v35
	v_or_b32_e32 v36, v39, v36
	;; [unrolled: 1-line block ×4, first 2 shown]
	s_waitcnt lgkmcnt(0)
	v_and_b32_e32 v34, 0xffff, v35
	v_lshlrev_b32_e32 v35, 16, v36
	v_and_b32_e32 v36, 0xffff, v37
	v_lshlrev_b32_e32 v33, 16, v33
	s_barrier
	buffer_gl0_inv
	v_or_b32_e32 v34, v34, v35
                                        ; implicit-def: $sgpr4
	v_or_b32_e32 v33, v36, v33
	v_cmpx_ne_u32_e32 0, v0
	s_cbranch_execz .LBB378_90
; %bb.87:
	s_mov_b32 s6, 0
	s_mov_b32 s4, exec_lo
	v_cmpx_gt_u32_e64 s19, v55
	s_cbranch_execz .LBB378_89
; %bb.88:
	v_add_nc_u32_e32 v35, -8, v55
	v_mul_hi_i32 v36, 0x66666667, v29
	ds_load_b32 v35, v35
	v_lshrrev_b32_e32 v37, 31, v36
	v_ashrrev_i32_e32 v36, 2, v36
	s_delay_alu instid0(VALU_DEP_1) | instskip(SKIP_2) | instid1(VALU_DEP_1)
	v_add_nc_u32_e32 v36, v36, v37
	s_waitcnt lgkmcnt(0)
	v_mul_hi_i32 v35, 0x66666667, v35
	v_lshrrev_b32_e32 v38, 31, v35
	v_ashrrev_i32_e32 v35, 2, v35
	s_delay_alu instid0(VALU_DEP_1) | instskip(NEXT) | instid1(VALU_DEP_1)
	v_add_nc_u32_e32 v35, v35, v38
	v_cmp_ne_u32_e32 vcc_lo, v35, v36
	s_and_b32 s6, vcc_lo, exec_lo
.LBB378_89:
	s_or_b32 exec_lo, exec_lo, s4
	s_delay_alu instid0(SALU_CYCLE_1)
	s_and_b32 s4, s6, exec_lo
	s_or_b32 s2, s2, exec_lo
.LBB378_90:
	s_or_b32 exec_lo, exec_lo, s5
.LBB378_91:
	s_and_saveexec_b32 s5, s2
	s_cbranch_execz .LBB378_93
; %bb.92:
	s_waitcnt vmcnt(0) lgkmcnt(1)
	v_and_b32_e32 v35, 0xffffff00, v33
	v_cndmask_b32_e64 v36, 0, 1, s4
	s_delay_alu instid0(VALU_DEP_1) | instskip(NEXT) | instid1(VALU_DEP_1)
	v_or_b32_e32 v35, v36, v35
	v_and_b32_e32 v35, 0xffff, v35
	s_delay_alu instid0(VALU_DEP_1)
	v_and_or_b32 v33, 0xffff0000, v33, v35
.LBB378_93:
	s_or_b32 exec_lo, exec_lo, s5
	s_load_b64 s[12:13], s[0:1], 0x60
	s_and_not1_b32 vcc_lo, exec_lo, s3
	s_cbranch_vccnz .LBB378_95
; %bb.94:
	v_cmp_gt_u32_e32 vcc_lo, s19, v55
	s_waitcnt vmcnt(0) lgkmcnt(0)
	v_or_b32_e32 v36, 1, v55
	v_and_b32_e32 v37, 0xffffff00, v34
	v_or_b32_e32 v38, 2, v55
	v_cndmask_b32_e32 v35, 0, v33, vcc_lo
	s_delay_alu instid0(VALU_DEP_4) | instskip(SKIP_1) | instid1(VALU_DEP_4)
	v_cmp_gt_u32_e32 vcc_lo, s19, v36
	v_or_b32_e32 v36, 4, v55
	v_cmp_gt_u32_e64 s2, s19, v38
	v_or_b32_e32 v38, 3, v55
	v_and_b32_e32 v35, 0xff, v35
	s_delay_alu instid0(VALU_DEP_2) | instskip(NEXT) | instid1(VALU_DEP_2)
	v_cmp_gt_u32_e64 s3, s19, v38
	v_cndmask_b32_e32 v35, v35, v33, vcc_lo
	v_cmp_gt_u32_e32 vcc_lo, s19, v36
	v_cndmask_b32_e32 v36, v37, v34, vcc_lo
	v_or_b32_e32 v37, 5, v55
	s_delay_alu instid0(VALU_DEP_2) | instskip(SKIP_1) | instid1(VALU_DEP_1)
	v_and_b32_e32 v36, 0xffff00ff, v36
	v_and_b32_e32 v35, 0xffff, v35
	v_cndmask_b32_e64 v35, v35, v33, s2
	s_delay_alu instid0(VALU_DEP_4) | instskip(SKIP_1) | instid1(VALU_DEP_3)
	v_cmp_gt_u32_e64 s2, s19, v37
	v_or_b32_e32 v37, 6, v55
	v_and_b32_e32 v35, 0xffffff, v35
	s_delay_alu instid0(VALU_DEP_3) | instskip(NEXT) | instid1(VALU_DEP_2)
	v_cndmask_b32_e64 v36, v36, v34, s2
	v_cndmask_b32_e64 v35, v35, v33, s3
	s_delay_alu instid0(VALU_DEP_1) | instskip(SKIP_2) | instid1(VALU_DEP_3)
	v_dual_cndmask_b32 v35, v35, v33 :: v_dual_and_b32 v36, 0xff00ffff, v36
	v_cmp_gt_u32_e32 vcc_lo, s19, v37
	v_or_b32_e32 v37, 7, v55
	v_cndmask_b32_e64 v35, v35, v33, s2
	s_delay_alu instid0(VALU_DEP_1) | instskip(NEXT) | instid1(VALU_DEP_1)
	v_dual_cndmask_b32 v36, v36, v34 :: v_dual_cndmask_b32 v35, v35, v33
	v_and_b32_e32 v36, 0xffffff, v36
	s_delay_alu instid0(VALU_DEP_4) | instskip(NEXT) | instid1(VALU_DEP_2)
	v_cmp_gt_u32_e32 vcc_lo, s19, v37
	v_dual_cndmask_b32 v34, v36, v34 :: v_dual_cndmask_b32 v33, v35, v33
.LBB378_95:
	s_delay_alu instid0(VALU_DEP_1) | instskip(SKIP_1) | instid1(VALU_DEP_2)
	v_and_b32_e32 v44, 0xff, v33
	s_waitcnt vmcnt(0) lgkmcnt(0)
	v_alignbit_b32 v35, v34, v33, 24
	v_bfe_u32 v46, v33, 8, 8
	v_bfe_u32 v48, v33, 16, 8
	v_and_b32_e32 v52, 0xff, v34
	v_bfe_u32 v54, v34, 8, 8
	v_and_b32_e32 v50, 0xff, v35
	v_add_nc_u32_e32 v35, v46, v44
	v_mbcnt_lo_u32_b32 v58, -1, 0
	v_bfe_u32 v57, v34, 16, 8
	v_lshrrev_b32_e32 v56, 24, v34
	v_lshrrev_b32_e32 v59, 5, v0
	v_add3_u32 v35, v35, v48, v50
	v_and_b32_e32 v36, 15, v58
	v_and_b32_e32 v37, 16, v58
	s_and_b32 vcc_lo, exec_lo, s8
	s_mov_b32 s9, -1
	v_add3_u32 v35, v35, v52, v54
	v_cmp_eq_u32_e64 s4, 0, v36
	v_cmp_lt_u32_e64 s2, 1, v36
	v_cmp_lt_u32_e64 s5, 3, v36
	;; [unrolled: 1-line block ×3, first 2 shown]
	v_add3_u32 v60, v35, v57, v56
	v_or_b32_e32 v35, 31, v0
	v_cmp_eq_u32_e64 s7, 0, v37
	s_barrier
	buffer_gl0_inv
	v_cmp_eq_u32_e64 s6, v35, v0
	s_cbranch_vccz .LBB378_121
; %bb.96:
	v_mov_b32_dpp v35, v60 row_shr:1 row_mask:0xf bank_mask:0xf
	s_delay_alu instid0(VALU_DEP_1) | instskip(NEXT) | instid1(VALU_DEP_1)
	v_cndmask_b32_e64 v35, v35, 0, s4
	v_add_nc_u32_e32 v35, v35, v60
	s_delay_alu instid0(VALU_DEP_1) | instskip(NEXT) | instid1(VALU_DEP_1)
	v_mov_b32_dpp v36, v35 row_shr:2 row_mask:0xf bank_mask:0xf
	v_cndmask_b32_e64 v36, 0, v36, s2
	s_delay_alu instid0(VALU_DEP_1) | instskip(NEXT) | instid1(VALU_DEP_1)
	v_add_nc_u32_e32 v35, v35, v36
	v_mov_b32_dpp v36, v35 row_shr:4 row_mask:0xf bank_mask:0xf
	s_delay_alu instid0(VALU_DEP_1) | instskip(NEXT) | instid1(VALU_DEP_1)
	v_cndmask_b32_e64 v36, 0, v36, s5
	v_add_nc_u32_e32 v35, v35, v36
	s_delay_alu instid0(VALU_DEP_1) | instskip(NEXT) | instid1(VALU_DEP_1)
	v_mov_b32_dpp v36, v35 row_shr:8 row_mask:0xf bank_mask:0xf
	v_cndmask_b32_e64 v36, 0, v36, s3
	s_delay_alu instid0(VALU_DEP_1) | instskip(SKIP_3) | instid1(VALU_DEP_1)
	v_add_nc_u32_e32 v35, v35, v36
	ds_swizzle_b32 v36, v35 offset:swizzle(BROADCAST,32,15)
	s_waitcnt lgkmcnt(0)
	v_cndmask_b32_e64 v36, v36, 0, s7
	v_add_nc_u32_e32 v35, v35, v36
	s_and_saveexec_b32 s8, s6
	s_cbranch_execz .LBB378_98
; %bb.97:
	v_lshlrev_b32_e32 v36, 2, v59
	ds_store_b32 v36, v35
.LBB378_98:
	s_or_b32 exec_lo, exec_lo, s8
	s_delay_alu instid0(SALU_CYCLE_1)
	s_mov_b32 s8, exec_lo
	s_waitcnt lgkmcnt(0)
	s_barrier
	buffer_gl0_inv
	v_cmpx_gt_u32_e32 16, v0
	s_cbranch_execz .LBB378_100
; %bb.99:
	v_lshlrev_b32_e32 v36, 2, v0
	ds_load_b32 v37, v36
	s_waitcnt lgkmcnt(0)
	v_mov_b32_dpp v38, v37 row_shr:1 row_mask:0xf bank_mask:0xf
	s_delay_alu instid0(VALU_DEP_1) | instskip(NEXT) | instid1(VALU_DEP_1)
	v_cndmask_b32_e64 v38, v38, 0, s4
	v_add_nc_u32_e32 v37, v38, v37
	s_delay_alu instid0(VALU_DEP_1) | instskip(NEXT) | instid1(VALU_DEP_1)
	v_mov_b32_dpp v38, v37 row_shr:2 row_mask:0xf bank_mask:0xf
	v_cndmask_b32_e64 v38, 0, v38, s2
	s_delay_alu instid0(VALU_DEP_1) | instskip(NEXT) | instid1(VALU_DEP_1)
	v_add_nc_u32_e32 v37, v37, v38
	v_mov_b32_dpp v38, v37 row_shr:4 row_mask:0xf bank_mask:0xf
	s_delay_alu instid0(VALU_DEP_1) | instskip(NEXT) | instid1(VALU_DEP_1)
	v_cndmask_b32_e64 v38, 0, v38, s5
	v_add_nc_u32_e32 v37, v37, v38
	s_delay_alu instid0(VALU_DEP_1) | instskip(NEXT) | instid1(VALU_DEP_1)
	v_mov_b32_dpp v38, v37 row_shr:8 row_mask:0xf bank_mask:0xf
	v_cndmask_b32_e64 v38, 0, v38, s3
	s_delay_alu instid0(VALU_DEP_1)
	v_add_nc_u32_e32 v37, v37, v38
	ds_store_b32 v36, v37
.LBB378_100:
	s_or_b32 exec_lo, exec_lo, s8
	v_cmp_gt_u32_e32 vcc_lo, 32, v0
	s_mov_b32 s9, exec_lo
	s_waitcnt lgkmcnt(0)
	s_barrier
	buffer_gl0_inv
                                        ; implicit-def: $vgpr43
	v_cmpx_lt_u32_e32 31, v0
	s_cbranch_execz .LBB378_102
; %bb.101:
	v_lshl_add_u32 v36, v59, 2, -4
	ds_load_b32 v43, v36
	s_waitcnt lgkmcnt(0)
	v_add_nc_u32_e32 v35, v43, v35
.LBB378_102:
	s_or_b32 exec_lo, exec_lo, s9
	v_add_nc_u32_e32 v36, -1, v58
	s_delay_alu instid0(VALU_DEP_1) | instskip(NEXT) | instid1(VALU_DEP_1)
	v_cmp_gt_i32_e64 s8, 0, v36
	v_cndmask_b32_e64 v36, v36, v58, s8
	v_cmp_eq_u32_e64 s8, 0, v58
	s_delay_alu instid0(VALU_DEP_2)
	v_lshlrev_b32_e32 v36, 2, v36
	ds_bpermute_b32 v45, v36, v35
	s_and_saveexec_b32 s9, vcc_lo
	s_cbranch_execz .LBB378_120
; %bb.103:
	v_mov_b32_e32 v39, 0
	ds_load_b32 v35, v39 offset:60
	s_and_saveexec_b32 s19, s8
	s_cbranch_execz .LBB378_105
; %bb.104:
	s_add_i32 s20, s15, 32
	s_mov_b32 s21, 0
	v_mov_b32_e32 v36, 1
	s_lshl_b64 s[20:21], s[20:21], 3
	s_delay_alu instid0(SALU_CYCLE_1)
	s_add_u32 s20, s12, s20
	s_addc_u32 s21, s13, s21
	s_waitcnt lgkmcnt(0)
	global_store_b64 v39, v[35:36], s[20:21]
.LBB378_105:
	s_or_b32 exec_lo, exec_lo, s19
	v_xad_u32 v37, v58, -1, s15
	s_mov_b32 s20, 0
	s_mov_b32 s19, exec_lo
	s_delay_alu instid0(VALU_DEP_1) | instskip(NEXT) | instid1(VALU_DEP_1)
	v_add_nc_u32_e32 v38, 32, v37
	v_lshlrev_b64 v[38:39], 3, v[38:39]
	s_delay_alu instid0(VALU_DEP_1) | instskip(NEXT) | instid1(VALU_DEP_2)
	v_add_co_u32 v41, vcc_lo, s12, v38
	v_add_co_ci_u32_e32 v42, vcc_lo, s13, v39, vcc_lo
	global_load_b64 v[39:40], v[41:42], off glc
	s_waitcnt vmcnt(0)
	v_and_b32_e32 v36, 0xff, v40
	s_delay_alu instid0(VALU_DEP_1)
	v_cmpx_eq_u16_e32 0, v36
	s_cbranch_execz .LBB378_108
.LBB378_106:                            ; =>This Inner Loop Header: Depth=1
	global_load_b64 v[39:40], v[41:42], off glc
	s_waitcnt vmcnt(0)
	v_and_b32_e32 v36, 0xff, v40
	s_delay_alu instid0(VALU_DEP_1) | instskip(SKIP_1) | instid1(SALU_CYCLE_1)
	v_cmp_ne_u16_e32 vcc_lo, 0, v36
	s_or_b32 s20, vcc_lo, s20
	s_and_not1_b32 exec_lo, exec_lo, s20
	s_cbranch_execnz .LBB378_106
; %bb.107:
	s_or_b32 exec_lo, exec_lo, s20
.LBB378_108:
	s_delay_alu instid0(SALU_CYCLE_1)
	s_or_b32 exec_lo, exec_lo, s19
	v_cmp_ne_u32_e32 vcc_lo, 31, v58
	v_lshlrev_b32_e64 v49, v58, -1
	v_add_nc_u32_e32 v53, 2, v58
	v_add_nc_u32_e32 v66, 16, v58
	v_add_co_ci_u32_e32 v36, vcc_lo, 0, v58, vcc_lo
	s_delay_alu instid0(VALU_DEP_1)
	v_lshlrev_b32_e32 v47, 2, v36
	v_and_b32_e32 v36, 0xff, v40
	ds_bpermute_b32 v38, v47, v39
	v_cmp_eq_u16_e32 vcc_lo, 2, v36
	v_and_or_b32 v36, vcc_lo, v49, 0x80000000
	v_cmp_gt_u32_e32 vcc_lo, 30, v58
	s_delay_alu instid0(VALU_DEP_2) | instskip(SKIP_1) | instid1(VALU_DEP_2)
	v_ctz_i32_b32_e32 v36, v36
	v_cndmask_b32_e64 v41, 0, 1, vcc_lo
	v_cmp_lt_u32_e32 vcc_lo, v58, v36
	s_waitcnt lgkmcnt(0)
	s_delay_alu instid0(VALU_DEP_2) | instskip(NEXT) | instid1(VALU_DEP_1)
	v_dual_cndmask_b32 v38, 0, v38 :: v_dual_lshlrev_b32 v41, 1, v41
	v_add_lshl_u32 v51, v41, v58, 2
	v_cmp_gt_u32_e32 vcc_lo, 28, v58
	s_delay_alu instid0(VALU_DEP_3) | instskip(SKIP_4) | instid1(VALU_DEP_1)
	v_add_nc_u32_e32 v38, v38, v39
	v_cndmask_b32_e64 v41, 0, 1, vcc_lo
	v_cmp_le_u32_e32 vcc_lo, v53, v36
	ds_bpermute_b32 v39, v51, v38
	v_lshlrev_b32_e32 v41, 2, v41
	v_add_lshl_u32 v61, v41, v58, 2
	s_waitcnt lgkmcnt(0)
	v_cndmask_b32_e32 v39, 0, v39, vcc_lo
	v_cmp_gt_u32_e32 vcc_lo, 24, v58
	s_delay_alu instid0(VALU_DEP_2) | instskip(SKIP_4) | instid1(VALU_DEP_2)
	v_add_nc_u32_e32 v38, v38, v39
	v_cndmask_b32_e64 v41, 0, 1, vcc_lo
	ds_bpermute_b32 v39, v61, v38
	v_add_nc_u32_e32 v62, 4, v58
	v_lshlrev_b32_e32 v41, 3, v41
	v_cmp_le_u32_e32 vcc_lo, v62, v36
	s_delay_alu instid0(VALU_DEP_2) | instskip(SKIP_3) | instid1(VALU_DEP_2)
	v_add_lshl_u32 v63, v41, v58, 2
	s_waitcnt lgkmcnt(0)
	v_cndmask_b32_e32 v39, 0, v39, vcc_lo
	v_cmp_gt_u32_e32 vcc_lo, 16, v58
	v_add_nc_u32_e32 v38, v38, v39
	v_cndmask_b32_e64 v41, 0, 1, vcc_lo
	ds_bpermute_b32 v39, v63, v38
	v_add_nc_u32_e32 v64, 8, v58
	v_lshlrev_b32_e32 v41, 4, v41
	s_delay_alu instid0(VALU_DEP_2) | instskip(NEXT) | instid1(VALU_DEP_2)
	v_cmp_le_u32_e32 vcc_lo, v64, v36
	v_add_lshl_u32 v65, v41, v58, 2
	s_waitcnt lgkmcnt(0)
	v_cndmask_b32_e32 v39, 0, v39, vcc_lo
	v_cmp_le_u32_e32 vcc_lo, v66, v36
	s_delay_alu instid0(VALU_DEP_2) | instskip(SKIP_3) | instid1(VALU_DEP_1)
	v_add_nc_u32_e32 v38, v38, v39
	ds_bpermute_b32 v39, v65, v38
	s_waitcnt lgkmcnt(0)
	v_cndmask_b32_e32 v36, 0, v39, vcc_lo
	v_dual_mov_b32 v38, 0 :: v_dual_add_nc_u32 v39, v38, v36
	s_branch .LBB378_110
.LBB378_109:                            ;   in Loop: Header=BB378_110 Depth=1
	s_or_b32 exec_lo, exec_lo, s19
	ds_bpermute_b32 v42, v47, v39
	v_and_b32_e32 v41, 0xff, v40
	v_subrev_nc_u32_e32 v37, 32, v37
	s_delay_alu instid0(VALU_DEP_2) | instskip(SKIP_1) | instid1(VALU_DEP_1)
	v_cmp_eq_u16_e32 vcc_lo, 2, v41
	v_and_or_b32 v41, vcc_lo, v49, 0x80000000
	v_ctz_i32_b32_e32 v41, v41
	s_delay_alu instid0(VALU_DEP_1) | instskip(SKIP_3) | instid1(VALU_DEP_2)
	v_cmp_lt_u32_e32 vcc_lo, v58, v41
	s_waitcnt lgkmcnt(0)
	v_cndmask_b32_e32 v42, 0, v42, vcc_lo
	v_cmp_le_u32_e32 vcc_lo, v53, v41
	v_add_nc_u32_e32 v39, v42, v39
	ds_bpermute_b32 v42, v51, v39
	s_waitcnt lgkmcnt(0)
	v_cndmask_b32_e32 v42, 0, v42, vcc_lo
	v_cmp_le_u32_e32 vcc_lo, v62, v41
	s_delay_alu instid0(VALU_DEP_2) | instskip(SKIP_4) | instid1(VALU_DEP_2)
	v_add_nc_u32_e32 v39, v39, v42
	ds_bpermute_b32 v42, v61, v39
	s_waitcnt lgkmcnt(0)
	v_cndmask_b32_e32 v42, 0, v42, vcc_lo
	v_cmp_le_u32_e32 vcc_lo, v64, v41
	v_add_nc_u32_e32 v39, v39, v42
	ds_bpermute_b32 v42, v63, v39
	s_waitcnt lgkmcnt(0)
	v_cndmask_b32_e32 v42, 0, v42, vcc_lo
	v_cmp_le_u32_e32 vcc_lo, v66, v41
	s_delay_alu instid0(VALU_DEP_2) | instskip(SKIP_3) | instid1(VALU_DEP_1)
	v_add_nc_u32_e32 v39, v39, v42
	ds_bpermute_b32 v42, v65, v39
	s_waitcnt lgkmcnt(0)
	v_cndmask_b32_e32 v41, 0, v42, vcc_lo
	v_add3_u32 v39, v41, v36, v39
.LBB378_110:                            ; =>This Loop Header: Depth=1
                                        ;     Child Loop BB378_113 Depth 2
	v_and_b32_e32 v36, 0xff, v40
	s_delay_alu instid0(VALU_DEP_1) | instskip(SKIP_2) | instid1(VALU_DEP_1)
	v_cmp_ne_u16_e32 vcc_lo, 2, v36
	v_cndmask_b32_e64 v36, 0, 1, vcc_lo
	;;#ASMSTART
	;;#ASMEND
	v_cmp_ne_u32_e32 vcc_lo, 0, v36
	v_mov_b32_e32 v36, v39
	s_cmp_lg_u32 vcc_lo, exec_lo
	s_cbranch_scc1 .LBB378_115
; %bb.111:                              ;   in Loop: Header=BB378_110 Depth=1
	v_lshlrev_b64 v[39:40], 3, v[37:38]
	s_mov_b32 s19, exec_lo
	s_delay_alu instid0(VALU_DEP_1) | instskip(NEXT) | instid1(VALU_DEP_2)
	v_add_co_u32 v41, vcc_lo, s12, v39
	v_add_co_ci_u32_e32 v42, vcc_lo, s13, v40, vcc_lo
	global_load_b64 v[39:40], v[41:42], off glc
	s_waitcnt vmcnt(0)
	v_and_b32_e32 v67, 0xff, v40
	s_delay_alu instid0(VALU_DEP_1)
	v_cmpx_eq_u16_e32 0, v67
	s_cbranch_execz .LBB378_109
; %bb.112:                              ;   in Loop: Header=BB378_110 Depth=1
	s_mov_b32 s20, 0
.LBB378_113:                            ;   Parent Loop BB378_110 Depth=1
                                        ; =>  This Inner Loop Header: Depth=2
	global_load_b64 v[39:40], v[41:42], off glc
	s_waitcnt vmcnt(0)
	v_and_b32_e32 v67, 0xff, v40
	s_delay_alu instid0(VALU_DEP_1) | instskip(SKIP_1) | instid1(SALU_CYCLE_1)
	v_cmp_ne_u16_e32 vcc_lo, 0, v67
	s_or_b32 s20, vcc_lo, s20
	s_and_not1_b32 exec_lo, exec_lo, s20
	s_cbranch_execnz .LBB378_113
; %bb.114:                              ;   in Loop: Header=BB378_110 Depth=1
	s_or_b32 exec_lo, exec_lo, s20
	s_branch .LBB378_109
.LBB378_115:                            ;   in Loop: Header=BB378_110 Depth=1
                                        ; implicit-def: $vgpr39
                                        ; implicit-def: $vgpr40
	s_cbranch_execz .LBB378_110
; %bb.116:
	s_and_saveexec_b32 s19, s8
	s_cbranch_execz .LBB378_118
; %bb.117:
	s_add_i32 s20, s15, 32
	s_mov_b32 s21, 0
	v_dual_mov_b32 v38, 2 :: v_dual_add_nc_u32 v37, v36, v35
	s_lshl_b64 s[20:21], s[20:21], 3
	v_mov_b32_e32 v39, 0
	s_add_u32 s20, s12, s20
	s_addc_u32 s21, s13, s21
	global_store_b64 v39, v[37:38], s[20:21]
	ds_store_b64 v39, v[35:36] offset:33792
.LBB378_118:
	s_or_b32 exec_lo, exec_lo, s19
	v_cmp_eq_u32_e32 vcc_lo, 0, v0
	s_and_b32 exec_lo, exec_lo, vcc_lo
	s_cbranch_execz .LBB378_120
; %bb.119:
	v_mov_b32_e32 v35, 0
	ds_store_b32 v35, v36 offset:60
.LBB378_120:
	s_or_b32 exec_lo, exec_lo, s9
	v_mov_b32_e32 v35, 0
	s_waitcnt lgkmcnt(0)
	s_waitcnt_vscnt null, 0x0
	s_barrier
	buffer_gl0_inv
	v_cndmask_b32_e64 v37, v45, v43, s8
	ds_load_b32 v36, v35 offset:60
	v_cmp_ne_u32_e32 vcc_lo, 0, v0
	s_waitcnt lgkmcnt(0)
	s_barrier
	buffer_gl0_inv
	v_cndmask_b32_e32 v37, 0, v37, vcc_lo
	s_delay_alu instid0(VALU_DEP_1) | instskip(SKIP_2) | instid1(VALU_DEP_1)
	v_add_nc_u32_e32 v53, v36, v37
	ds_load_b64 v[35:36], v35 offset:33792
	v_add_nc_u32_e32 v51, v53, v44
	v_add_nc_u32_e32 v49, v51, v46
	s_delay_alu instid0(VALU_DEP_1) | instskip(NEXT) | instid1(VALU_DEP_1)
	v_add_nc_u32_e32 v47, v49, v48
	v_add_nc_u32_e32 v45, v47, v50
	s_waitcnt lgkmcnt(0)
	v_readfirstlane_b32 s8, v36
	s_delay_alu instid0(VALU_DEP_2) | instskip(NEXT) | instid1(VALU_DEP_1)
	v_add_nc_u32_e32 v43, v45, v52
	v_add_nc_u32_e32 v41, v43, v54
	s_delay_alu instid0(VALU_DEP_1)
	v_add_nc_u32_e32 v39, v41, v57
	v_lshrrev_b64 v[37:38], 24, v[33:34]
	s_branch .LBB378_131
.LBB378_121:
                                        ; implicit-def: $vgpr39
                                        ; implicit-def: $vgpr41
                                        ; implicit-def: $vgpr43
                                        ; implicit-def: $vgpr45
                                        ; implicit-def: $vgpr47
                                        ; implicit-def: $vgpr49
                                        ; implicit-def: $vgpr51
                                        ; implicit-def: $vgpr53
                                        ; implicit-def: $sgpr8
                                        ; implicit-def: $vgpr35
	v_lshrrev_b64 v[37:38], 24, v[33:34]
	s_and_b32 vcc_lo, exec_lo, s9
	s_cbranch_vccz .LBB378_131
; %bb.122:
	v_mov_b32_dpp v35, v60 row_shr:1 row_mask:0xf bank_mask:0xf
	s_delay_alu instid0(VALU_DEP_1) | instskip(NEXT) | instid1(VALU_DEP_1)
	v_cndmask_b32_e64 v35, v35, 0, s4
	v_add_nc_u32_e32 v35, v35, v60
	s_delay_alu instid0(VALU_DEP_1) | instskip(NEXT) | instid1(VALU_DEP_1)
	v_mov_b32_dpp v36, v35 row_shr:2 row_mask:0xf bank_mask:0xf
	v_cndmask_b32_e64 v36, 0, v36, s2
	s_delay_alu instid0(VALU_DEP_1) | instskip(NEXT) | instid1(VALU_DEP_1)
	v_add_nc_u32_e32 v35, v35, v36
	v_mov_b32_dpp v36, v35 row_shr:4 row_mask:0xf bank_mask:0xf
	s_delay_alu instid0(VALU_DEP_1) | instskip(NEXT) | instid1(VALU_DEP_1)
	v_cndmask_b32_e64 v36, 0, v36, s5
	v_add_nc_u32_e32 v35, v35, v36
	s_delay_alu instid0(VALU_DEP_1) | instskip(NEXT) | instid1(VALU_DEP_1)
	v_mov_b32_dpp v36, v35 row_shr:8 row_mask:0xf bank_mask:0xf
	v_cndmask_b32_e64 v36, 0, v36, s3
	s_delay_alu instid0(VALU_DEP_1) | instskip(SKIP_3) | instid1(VALU_DEP_1)
	v_add_nc_u32_e32 v35, v35, v36
	ds_swizzle_b32 v36, v35 offset:swizzle(BROADCAST,32,15)
	s_waitcnt lgkmcnt(0)
	v_cndmask_b32_e64 v36, v36, 0, s7
	v_add_nc_u32_e32 v35, v35, v36
	s_and_saveexec_b32 s7, s6
	s_cbranch_execz .LBB378_124
; %bb.123:
	v_lshlrev_b32_e32 v36, 2, v59
	ds_store_b32 v36, v35
.LBB378_124:
	s_or_b32 exec_lo, exec_lo, s7
	s_delay_alu instid0(SALU_CYCLE_1)
	s_mov_b32 s6, exec_lo
	s_waitcnt lgkmcnt(0)
	s_barrier
	buffer_gl0_inv
	v_cmpx_gt_u32_e32 16, v0
	s_cbranch_execz .LBB378_126
; %bb.125:
	v_lshlrev_b32_e32 v36, 2, v0
	ds_load_b32 v38, v36
	s_waitcnt lgkmcnt(0)
	v_mov_b32_dpp v39, v38 row_shr:1 row_mask:0xf bank_mask:0xf
	s_delay_alu instid0(VALU_DEP_1) | instskip(NEXT) | instid1(VALU_DEP_1)
	v_cndmask_b32_e64 v39, v39, 0, s4
	v_add_nc_u32_e32 v38, v39, v38
	s_delay_alu instid0(VALU_DEP_1) | instskip(NEXT) | instid1(VALU_DEP_1)
	v_mov_b32_dpp v39, v38 row_shr:2 row_mask:0xf bank_mask:0xf
	v_cndmask_b32_e64 v39, 0, v39, s2
	s_delay_alu instid0(VALU_DEP_1) | instskip(NEXT) | instid1(VALU_DEP_1)
	v_add_nc_u32_e32 v38, v38, v39
	v_mov_b32_dpp v39, v38 row_shr:4 row_mask:0xf bank_mask:0xf
	s_delay_alu instid0(VALU_DEP_1) | instskip(NEXT) | instid1(VALU_DEP_1)
	v_cndmask_b32_e64 v39, 0, v39, s5
	v_add_nc_u32_e32 v38, v38, v39
	s_delay_alu instid0(VALU_DEP_1) | instskip(NEXT) | instid1(VALU_DEP_1)
	v_mov_b32_dpp v39, v38 row_shr:8 row_mask:0xf bank_mask:0xf
	v_cndmask_b32_e64 v39, 0, v39, s3
	s_delay_alu instid0(VALU_DEP_1)
	v_add_nc_u32_e32 v38, v38, v39
	ds_store_b32 v36, v38
.LBB378_126:
	s_or_b32 exec_lo, exec_lo, s6
	v_mov_b32_e32 v36, 0
	v_mov_b32_e32 v38, 0
	s_mov_b32 s2, exec_lo
	s_waitcnt lgkmcnt(0)
	s_barrier
	buffer_gl0_inv
	v_cmpx_lt_u32_e32 31, v0
	s_cbranch_execz .LBB378_128
; %bb.127:
	v_lshl_add_u32 v38, v59, 2, -4
	ds_load_b32 v38, v38
.LBB378_128:
	s_or_b32 exec_lo, exec_lo, s2
	v_add_nc_u32_e32 v39, -1, v58
	s_waitcnt lgkmcnt(0)
	v_add_nc_u32_e32 v35, v38, v35
	s_mov_b32 s8, 0
	s_delay_alu instid0(VALU_DEP_2) | instskip(SKIP_2) | instid1(VALU_DEP_2)
	v_cmp_gt_i32_e32 vcc_lo, 0, v39
	v_cndmask_b32_e32 v39, v39, v58, vcc_lo
	v_cmp_eq_u32_e32 vcc_lo, 0, v0
	v_lshlrev_b32_e32 v39, 2, v39
	ds_bpermute_b32 v39, v39, v35
	ds_load_b32 v35, v36 offset:60
	s_and_saveexec_b32 s2, vcc_lo
	s_cbranch_execz .LBB378_130
; %bb.129:
	v_mov_b32_e32 v40, 0
	v_mov_b32_e32 v36, 2
	s_waitcnt lgkmcnt(0)
	global_store_b64 v40, v[35:36], s[12:13] offset:256
.LBB378_130:
	s_or_b32 exec_lo, exec_lo, s2
	v_cmp_eq_u32_e64 s2, 0, v58
	s_waitcnt lgkmcnt(0)
	s_waitcnt_vscnt null, 0x0
	s_barrier
	buffer_gl0_inv
	v_cndmask_b32_e64 v36, v39, v38, s2
	s_delay_alu instid0(VALU_DEP_1) | instskip(NEXT) | instid1(VALU_DEP_1)
	v_cndmask_b32_e64 v53, v36, 0, vcc_lo
	v_add_nc_u32_e32 v51, v53, v44
	s_delay_alu instid0(VALU_DEP_1) | instskip(NEXT) | instid1(VALU_DEP_1)
	v_add_nc_u32_e32 v49, v51, v46
	v_add_nc_u32_e32 v47, v49, v48
	s_delay_alu instid0(VALU_DEP_1) | instskip(NEXT) | instid1(VALU_DEP_1)
	v_add_nc_u32_e32 v45, v47, v50
	v_add_nc_u32_e32 v43, v45, v52
	s_delay_alu instid0(VALU_DEP_1) | instskip(NEXT) | instid1(VALU_DEP_1)
	v_add_nc_u32_e32 v41, v43, v54
	v_add_nc_u32_e32 v39, v41, v57
.LBB378_131:
	s_load_b128 s[4:7], s[0:1], 0x28
	v_add_nc_u32_e32 v59, s8, v35
	v_cmp_gt_u32_e64 s0, 0x201, v35
	v_lshrrev_b32_e32 v58, 8, v33
	v_lshrrev_b32_e32 v57, 16, v33
	;; [unrolled: 1-line block ×4, first 2 shown]
	v_cmp_lt_u32_e64 s1, v53, v59
	s_and_b32 vcc_lo, exec_lo, s0
	s_mov_b32 s2, -1
	s_cbranch_vccz .LBB378_157
; %bb.132:
	s_lshl_b64 s[2:3], s[10:11], 3
	s_waitcnt lgkmcnt(0)
	s_add_u32 s2, s4, s2
	s_addc_u32 s3, s5, s3
	s_or_b32 s9, s18, s1
	s_delay_alu instid0(SALU_CYCLE_1)
	s_and_saveexec_b32 s1, s9
	s_cbranch_execz .LBB378_135
; %bb.133:
	v_and_b32_e32 v40, 1, v33
	s_delay_alu instid0(VALU_DEP_1)
	v_cmp_eq_u32_e32 vcc_lo, 1, v40
	s_and_b32 exec_lo, exec_lo, vcc_lo
	s_cbranch_execz .LBB378_135
; %bb.134:
	v_mov_b32_e32 v54, 0
	s_delay_alu instid0(VALU_DEP_1) | instskip(NEXT) | instid1(VALU_DEP_1)
	v_lshlrev_b64 v[60:61], 3, v[53:54]
	v_add_co_u32 v60, vcc_lo, s2, v60
	s_delay_alu instid0(VALU_DEP_2)
	v_add_co_ci_u32_e32 v61, vcc_lo, s3, v61, vcc_lo
	global_store_b64 v[60:61], v[29:30], off
.LBB378_135:
	s_or_b32 exec_lo, exec_lo, s1
	v_cmp_lt_u32_e32 vcc_lo, v51, v59
	s_or_b32 s9, s18, vcc_lo
	s_delay_alu instid0(SALU_CYCLE_1)
	s_and_saveexec_b32 s1, s9
	s_cbranch_execz .LBB378_138
; %bb.136:
	v_and_b32_e32 v40, 1, v58
	s_delay_alu instid0(VALU_DEP_1)
	v_cmp_eq_u32_e32 vcc_lo, 1, v40
	s_and_b32 exec_lo, exec_lo, vcc_lo
	s_cbranch_execz .LBB378_138
; %bb.137:
	v_mov_b32_e32 v52, 0
	s_delay_alu instid0(VALU_DEP_1) | instskip(NEXT) | instid1(VALU_DEP_1)
	v_lshlrev_b64 v[60:61], 3, v[51:52]
	v_add_co_u32 v60, vcc_lo, s2, v60
	s_delay_alu instid0(VALU_DEP_2)
	v_add_co_ci_u32_e32 v61, vcc_lo, s3, v61, vcc_lo
	global_store_b64 v[60:61], v[31:32], off
.LBB378_138:
	s_or_b32 exec_lo, exec_lo, s1
	v_cmp_lt_u32_e32 vcc_lo, v49, v59
	s_or_b32 s9, s18, vcc_lo
	;; [unrolled: 21-line block ×7, first 2 shown]
	s_delay_alu instid0(SALU_CYCLE_1)
	s_and_saveexec_b32 s1, s9
	s_cbranch_execz .LBB378_156
; %bb.154:
	v_and_b32_e32 v40, 1, v56
	s_delay_alu instid0(VALU_DEP_1)
	v_cmp_eq_u32_e32 vcc_lo, 1, v40
	s_and_b32 exec_lo, exec_lo, vcc_lo
	s_cbranch_execz .LBB378_156
; %bb.155:
	v_mov_b32_e32 v40, 0
	s_delay_alu instid0(VALU_DEP_1) | instskip(NEXT) | instid1(VALU_DEP_1)
	v_lshlrev_b64 v[60:61], 3, v[39:40]
	v_add_co_u32 v60, vcc_lo, s2, v60
	s_delay_alu instid0(VALU_DEP_2)
	v_add_co_ci_u32_e32 v61, vcc_lo, s3, v61, vcc_lo
	global_store_b64 v[60:61], v[19:20], off
.LBB378_156:
	s_or_b32 exec_lo, exec_lo, s1
	s_mov_b32 s2, 0
.LBB378_157:
	v_and_b32_e32 v33, 1, v33
	s_and_b32 vcc_lo, exec_lo, s2
	s_delay_alu instid0(VALU_DEP_1)
	v_cmp_eq_u32_e64 s1, 1, v33
	s_cbranch_vccz .LBB378_178
; %bb.158:
	s_delay_alu instid0(VALU_DEP_1)
	s_and_saveexec_b32 s2, s1
	s_cbranch_execz .LBB378_160
; %bb.159:
	v_subrev_nc_u32_e32 v40, s8, v53
	s_delay_alu instid0(VALU_DEP_1)
	v_lshlrev_b32_e32 v40, 3, v40
	ds_store_b64 v40, v[29:30]
.LBB378_160:
	s_or_b32 exec_lo, exec_lo, s2
	v_and_b32_e32 v29, 1, v58
	s_mov_b32 s1, exec_lo
	s_delay_alu instid0(VALU_DEP_1)
	v_cmpx_eq_u32_e32 1, v29
	s_cbranch_execz .LBB378_162
; %bb.161:
	v_subrev_nc_u32_e32 v29, s8, v51
	s_delay_alu instid0(VALU_DEP_1)
	v_lshlrev_b32_e32 v29, 3, v29
	ds_store_b64 v29, v[31:32]
.LBB378_162:
	s_or_b32 exec_lo, exec_lo, s1
	v_and_b32_e32 v29, 1, v57
	s_mov_b32 s1, exec_lo
	s_delay_alu instid0(VALU_DEP_1)
	v_cmpx_eq_u32_e32 1, v29
	;; [unrolled: 12-line block ×7, first 2 shown]
	s_cbranch_execz .LBB378_174
; %bb.173:
	v_subrev_nc_u32_e32 v17, s8, v39
	s_delay_alu instid0(VALU_DEP_1)
	v_lshlrev_b32_e32 v17, 3, v17
	ds_store_b64 v17, v[19:20]
.LBB378_174:
	s_or_b32 exec_lo, exec_lo, s1
	s_delay_alu instid0(SALU_CYCLE_1)
	s_mov_b32 s2, exec_lo
	s_waitcnt lgkmcnt(0)
	s_waitcnt_vscnt null, 0x0
	s_barrier
	buffer_gl0_inv
	v_cmpx_lt_u32_e64 v0, v35
	s_cbranch_execz .LBB378_177
; %bb.175:
	s_mov_b32 s9, 0
	s_lshl_b64 s[12:13], s[10:11], 3
	s_lshl_b64 s[20:21], s[8:9], 3
	v_dual_mov_b32 v19, v55 :: v_dual_mov_b32 v20, v0
	s_add_u32 s1, s12, s20
	s_addc_u32 s3, s13, s21
	s_add_u32 s1, s4, s1
	s_addc_u32 s3, s5, s3
	v_add_co_u32 v17, s1, s1, v55
	s_delay_alu instid0(VALU_DEP_1)
	v_add_co_ci_u32_e64 v18, null, s3, 0, s1
	.p2align	6
.LBB378_176:                            ; =>This Inner Loop Header: Depth=1
	ds_load_b64 v[21:22], v19
	v_add_nc_u32_e32 v20, 0x200, v20
	v_add_nc_u32_e32 v19, 0x1000, v19
	s_delay_alu instid0(VALU_DEP_2) | instskip(SKIP_4) | instid1(VALU_DEP_1)
	v_cmp_ge_u32_e32 vcc_lo, v20, v35
	s_or_b32 s9, vcc_lo, s9
	s_waitcnt lgkmcnt(0)
	global_store_b64 v[17:18], v[21:22], off
	v_add_co_u32 v17, s1, 0x1000, v17
	v_add_co_ci_u32_e64 v18, s1, 0, v18, s1
	s_and_not1_b32 exec_lo, exec_lo, s9
	s_cbranch_execnz .LBB378_176
.LBB378_177:
	s_or_b32 exec_lo, exec_lo, s2
.LBB378_178:
	s_delay_alu instid0(SALU_CYCLE_1)
	s_and_b32 vcc_lo, exec_lo, s0
	s_mov_b32 s0, -1
	s_waitcnt lgkmcnt(0)
	s_waitcnt_vscnt null, 0x0
	s_barrier
	buffer_gl0_inv
	s_cbranch_vccz .LBB378_206
; %bb.179:
	v_cmp_lt_u32_e32 vcc_lo, v53, v59
	s_lshl_b64 s[0:1], s[10:11], 3
	s_delay_alu instid0(SALU_CYCLE_1) | instskip(SKIP_2) | instid1(SALU_CYCLE_1)
	s_add_u32 s0, s6, s0
	s_addc_u32 s1, s7, s1
	s_or_b32 s3, s18, vcc_lo
	s_and_saveexec_b32 s2, s3
	s_cbranch_execz .LBB378_182
; %bb.180:
	v_cmp_eq_u32_e32 vcc_lo, 1, v33
	s_and_b32 exec_lo, exec_lo, vcc_lo
	s_cbranch_execz .LBB378_182
; %bb.181:
	v_mov_b32_e32 v54, 0
	s_delay_alu instid0(VALU_DEP_1) | instskip(NEXT) | instid1(VALU_DEP_1)
	v_lshlrev_b64 v[17:18], 3, v[53:54]
	v_add_co_u32 v17, vcc_lo, s0, v17
	s_delay_alu instid0(VALU_DEP_2)
	v_add_co_ci_u32_e32 v18, vcc_lo, s1, v18, vcc_lo
	global_store_b64 v[17:18], v[13:14], off
.LBB378_182:
	s_or_b32 exec_lo, exec_lo, s2
	v_cmp_lt_u32_e32 vcc_lo, v51, v59
	s_or_b32 s3, s18, vcc_lo
	s_delay_alu instid0(SALU_CYCLE_1)
	s_and_saveexec_b32 s2, s3
	s_cbranch_execz .LBB378_185
; %bb.183:
	v_and_b32_e32 v17, 1, v58
	s_delay_alu instid0(VALU_DEP_1)
	v_cmp_eq_u32_e32 vcc_lo, 1, v17
	s_and_b32 exec_lo, exec_lo, vcc_lo
	s_cbranch_execz .LBB378_185
; %bb.184:
	v_mov_b32_e32 v52, 0
	s_delay_alu instid0(VALU_DEP_1) | instskip(NEXT) | instid1(VALU_DEP_1)
	v_lshlrev_b64 v[17:18], 3, v[51:52]
	v_add_co_u32 v17, vcc_lo, s0, v17
	s_delay_alu instid0(VALU_DEP_2)
	v_add_co_ci_u32_e32 v18, vcc_lo, s1, v18, vcc_lo
	global_store_b64 v[17:18], v[15:16], off
.LBB378_185:
	s_or_b32 exec_lo, exec_lo, s2
	v_cmp_lt_u32_e32 vcc_lo, v49, v59
	s_or_b32 s3, s18, vcc_lo
	s_delay_alu instid0(SALU_CYCLE_1)
	s_and_saveexec_b32 s2, s3
	s_cbranch_execz .LBB378_188
; %bb.186:
	v_and_b32_e32 v17, 1, v57
	s_delay_alu instid0(VALU_DEP_1)
	v_cmp_eq_u32_e32 vcc_lo, 1, v17
	s_and_b32 exec_lo, exec_lo, vcc_lo
	s_cbranch_execz .LBB378_188
; %bb.187:
	v_mov_b32_e32 v50, 0
	s_delay_alu instid0(VALU_DEP_1) | instskip(NEXT) | instid1(VALU_DEP_1)
	v_lshlrev_b64 v[17:18], 3, v[49:50]
	v_add_co_u32 v17, vcc_lo, s0, v17
	s_delay_alu instid0(VALU_DEP_2)
	v_add_co_ci_u32_e32 v18, vcc_lo, s1, v18, vcc_lo
	global_store_b64 v[17:18], v[9:10], off
.LBB378_188:
	;; [unrolled: 21-line block ×7, first 2 shown]
	s_or_b32 exec_lo, exec_lo, s2
.LBB378_204:
	v_cmp_eq_u32_e32 vcc_lo, 0, v0
	s_and_b32 s0, vcc_lo, s14
	s_delay_alu instid0(SALU_CYCLE_1)
	s_and_saveexec_b32 s1, s0
	s_cbranch_execz .LBB378_227
.LBB378_205:
	v_add_co_u32 v0, s0, s10, v35
	s_delay_alu instid0(VALU_DEP_1) | instskip(SKIP_1) | instid1(VALU_DEP_3)
	v_add_co_ci_u32_e64 v1, null, s11, 0, s0
	v_mov_b32_e32 v2, 0
	v_add_co_u32 v0, vcc_lo, v0, s8
	s_delay_alu instid0(VALU_DEP_3)
	v_add_co_ci_u32_e32 v1, vcc_lo, 0, v1, vcc_lo
	global_store_b64 v2, v[0:1], s[16:17]
	s_nop 0
	s_sendmsg sendmsg(MSG_DEALLOC_VGPRS)
	s_endpgm
.LBB378_206:
	s_and_b32 vcc_lo, exec_lo, s0
	s_cbranch_vccz .LBB378_204
; %bb.207:
	s_mov_b32 s0, exec_lo
	v_cmpx_eq_u32_e32 1, v33
	s_cbranch_execz .LBB378_209
; %bb.208:
	v_subrev_nc_u32_e32 v17, s8, v53
	s_delay_alu instid0(VALU_DEP_1)
	v_lshlrev_b32_e32 v17, 3, v17
	ds_store_b64 v17, v[13:14]
.LBB378_209:
	s_or_b32 exec_lo, exec_lo, s0
	v_and_b32_e32 v13, 1, v58
	s_mov_b32 s0, exec_lo
	s_delay_alu instid0(VALU_DEP_1)
	v_cmpx_eq_u32_e32 1, v13
	s_cbranch_execz .LBB378_211
; %bb.210:
	v_subrev_nc_u32_e32 v13, s8, v51
	s_delay_alu instid0(VALU_DEP_1)
	v_lshlrev_b32_e32 v13, 3, v13
	ds_store_b64 v13, v[15:16]
.LBB378_211:
	s_or_b32 exec_lo, exec_lo, s0
	v_and_b32_e32 v13, 1, v57
	s_mov_b32 s0, exec_lo
	s_delay_alu instid0(VALU_DEP_1)
	v_cmpx_eq_u32_e32 1, v13
	s_cbranch_execz .LBB378_213
; %bb.212:
	v_subrev_nc_u32_e32 v13, s8, v49
	s_delay_alu instid0(VALU_DEP_1)
	v_lshlrev_b32_e32 v13, 3, v13
	ds_store_b64 v13, v[9:10]
.LBB378_213:
	s_or_b32 exec_lo, exec_lo, s0
	v_and_b32_e32 v9, 1, v37
	s_mov_b32 s0, exec_lo
	s_delay_alu instid0(VALU_DEP_1)
	v_cmpx_eq_u32_e32 1, v9
	s_cbranch_execz .LBB378_215
; %bb.214:
	v_subrev_nc_u32_e32 v9, s8, v47
	s_delay_alu instid0(VALU_DEP_1)
	v_lshlrev_b32_e32 v9, 3, v9
	ds_store_b64 v9, v[11:12]
.LBB378_215:
	s_or_b32 exec_lo, exec_lo, s0
	v_and_b32_e32 v9, 1, v34
	s_mov_b32 s0, exec_lo
	s_delay_alu instid0(VALU_DEP_1)
	v_cmpx_eq_u32_e32 1, v9
	s_cbranch_execz .LBB378_217
; %bb.216:
	v_subrev_nc_u32_e32 v9, s8, v45
	s_delay_alu instid0(VALU_DEP_1)
	v_lshlrev_b32_e32 v9, 3, v9
	ds_store_b64 v9, v[5:6]
.LBB378_217:
	s_or_b32 exec_lo, exec_lo, s0
	v_and_b32_e32 v5, 1, v38
	s_mov_b32 s0, exec_lo
	s_delay_alu instid0(VALU_DEP_1)
	v_cmpx_eq_u32_e32 1, v5
	s_cbranch_execz .LBB378_219
; %bb.218:
	v_subrev_nc_u32_e32 v5, s8, v43
	s_delay_alu instid0(VALU_DEP_1)
	v_lshlrev_b32_e32 v5, 3, v5
	ds_store_b64 v5, v[7:8]
.LBB378_219:
	s_or_b32 exec_lo, exec_lo, s0
	v_and_b32_e32 v5, 1, v36
	s_mov_b32 s0, exec_lo
	s_delay_alu instid0(VALU_DEP_1)
	v_cmpx_eq_u32_e32 1, v5
	s_cbranch_execz .LBB378_221
; %bb.220:
	v_subrev_nc_u32_e32 v5, s8, v41
	s_delay_alu instid0(VALU_DEP_1)
	v_lshlrev_b32_e32 v5, 3, v5
	ds_store_b64 v5, v[1:2]
.LBB378_221:
	s_or_b32 exec_lo, exec_lo, s0
	v_and_b32_e32 v1, 1, v56
	s_mov_b32 s0, exec_lo
	s_delay_alu instid0(VALU_DEP_1)
	v_cmpx_eq_u32_e32 1, v1
	s_cbranch_execz .LBB378_223
; %bb.222:
	v_subrev_nc_u32_e32 v1, s8, v39
	s_delay_alu instid0(VALU_DEP_1)
	v_lshlrev_b32_e32 v1, 3, v1
	ds_store_b64 v1, v[3:4]
.LBB378_223:
	s_or_b32 exec_lo, exec_lo, s0
	s_delay_alu instid0(SALU_CYCLE_1)
	s_mov_b32 s1, exec_lo
	s_waitcnt lgkmcnt(0)
	s_waitcnt_vscnt null, 0x0
	s_barrier
	buffer_gl0_inv
	v_cmpx_lt_u32_e64 v0, v35
	s_cbranch_execz .LBB378_226
; %bb.224:
	s_mov_b32 s9, 0
	s_lshl_b64 s[2:3], s[10:11], 3
	s_lshl_b64 s[4:5], s[8:9], 3
	v_mov_b32_e32 v3, v0
	s_add_u32 s0, s2, s4
	s_addc_u32 s2, s3, s5
	s_add_u32 s0, s6, s0
	s_addc_u32 s2, s7, s2
	v_add_co_u32 v1, s0, s0, v55
	s_delay_alu instid0(VALU_DEP_1)
	v_add_co_ci_u32_e64 v2, null, s2, 0, s0
	.p2align	6
.LBB378_225:                            ; =>This Inner Loop Header: Depth=1
	ds_load_b64 v[4:5], v55
	v_add_nc_u32_e32 v3, 0x200, v3
	v_add_nc_u32_e32 v55, 0x1000, v55
	s_delay_alu instid0(VALU_DEP_2) | instskip(SKIP_4) | instid1(VALU_DEP_1)
	v_cmp_ge_u32_e32 vcc_lo, v3, v35
	s_or_b32 s9, vcc_lo, s9
	s_waitcnt lgkmcnt(0)
	global_store_b64 v[1:2], v[4:5], off
	v_add_co_u32 v1, s0, 0x1000, v1
	v_add_co_ci_u32_e64 v2, s0, 0, v2, s0
	s_and_not1_b32 exec_lo, exec_lo, s9
	s_cbranch_execnz .LBB378_225
.LBB378_226:
	s_or_b32 exec_lo, exec_lo, s1
	v_cmp_eq_u32_e32 vcc_lo, 0, v0
	s_and_b32 s0, vcc_lo, s14
	s_delay_alu instid0(SALU_CYCLE_1)
	s_and_saveexec_b32 s1, s0
	s_cbranch_execnz .LBB378_205
.LBB378_227:
	s_nop 0
	s_sendmsg sendmsg(MSG_DEALLOC_VGPRS)
	s_endpgm
	.section	.rodata,"a",@progbits
	.p2align	6, 0x0
	.amdhsa_kernel _ZN7rocprim17ROCPRIM_400000_NS6detail17trampoline_kernelINS0_14default_configENS1_25partition_config_selectorILNS1_17partition_subalgoE9ExxbEEZZNS1_14partition_implILS5_9ELb0ES3_jN6thrust23THRUST_200600_302600_NS6detail15normal_iteratorINS9_10device_ptrIxEEEESE_PNS0_10empty_typeENS0_5tupleIJSE_SF_EEENSH_IJSE_SG_EEENS0_18inequality_wrapperI22is_equal_div_10_uniqueIxEEEPmJSF_EEE10hipError_tPvRmT3_T4_T5_T6_T7_T9_mT8_P12ihipStream_tbDpT10_ENKUlT_T0_E_clISt17integral_constantIbLb0EES18_EEDaS13_S14_EUlS13_E_NS1_11comp_targetILNS1_3genE9ELNS1_11target_archE1100ELNS1_3gpuE3ELNS1_3repE0EEENS1_30default_config_static_selectorELNS0_4arch9wavefront6targetE0EEEvT1_
		.amdhsa_group_segment_fixed_size 33800
		.amdhsa_private_segment_fixed_size 0
		.amdhsa_kernarg_size 112
		.amdhsa_user_sgpr_count 15
		.amdhsa_user_sgpr_dispatch_ptr 0
		.amdhsa_user_sgpr_queue_ptr 0
		.amdhsa_user_sgpr_kernarg_segment_ptr 1
		.amdhsa_user_sgpr_dispatch_id 0
		.amdhsa_user_sgpr_private_segment_size 0
		.amdhsa_wavefront_size32 1
		.amdhsa_uses_dynamic_stack 0
		.amdhsa_enable_private_segment 0
		.amdhsa_system_sgpr_workgroup_id_x 1
		.amdhsa_system_sgpr_workgroup_id_y 0
		.amdhsa_system_sgpr_workgroup_id_z 0
		.amdhsa_system_sgpr_workgroup_info 0
		.amdhsa_system_vgpr_workitem_id 0
		.amdhsa_next_free_vgpr 68
		.amdhsa_next_free_sgpr 25
		.amdhsa_reserve_vcc 1
		.amdhsa_float_round_mode_32 0
		.amdhsa_float_round_mode_16_64 0
		.amdhsa_float_denorm_mode_32 3
		.amdhsa_float_denorm_mode_16_64 3
		.amdhsa_dx10_clamp 1
		.amdhsa_ieee_mode 1
		.amdhsa_fp16_overflow 0
		.amdhsa_workgroup_processor_mode 1
		.amdhsa_memory_ordered 1
		.amdhsa_forward_progress 0
		.amdhsa_shared_vgpr_count 0
		.amdhsa_exception_fp_ieee_invalid_op 0
		.amdhsa_exception_fp_denorm_src 0
		.amdhsa_exception_fp_ieee_div_zero 0
		.amdhsa_exception_fp_ieee_overflow 0
		.amdhsa_exception_fp_ieee_underflow 0
		.amdhsa_exception_fp_ieee_inexact 0
		.amdhsa_exception_int_div_zero 0
	.end_amdhsa_kernel
	.section	.text._ZN7rocprim17ROCPRIM_400000_NS6detail17trampoline_kernelINS0_14default_configENS1_25partition_config_selectorILNS1_17partition_subalgoE9ExxbEEZZNS1_14partition_implILS5_9ELb0ES3_jN6thrust23THRUST_200600_302600_NS6detail15normal_iteratorINS9_10device_ptrIxEEEESE_PNS0_10empty_typeENS0_5tupleIJSE_SF_EEENSH_IJSE_SG_EEENS0_18inequality_wrapperI22is_equal_div_10_uniqueIxEEEPmJSF_EEE10hipError_tPvRmT3_T4_T5_T6_T7_T9_mT8_P12ihipStream_tbDpT10_ENKUlT_T0_E_clISt17integral_constantIbLb0EES18_EEDaS13_S14_EUlS13_E_NS1_11comp_targetILNS1_3genE9ELNS1_11target_archE1100ELNS1_3gpuE3ELNS1_3repE0EEENS1_30default_config_static_selectorELNS0_4arch9wavefront6targetE0EEEvT1_,"axG",@progbits,_ZN7rocprim17ROCPRIM_400000_NS6detail17trampoline_kernelINS0_14default_configENS1_25partition_config_selectorILNS1_17partition_subalgoE9ExxbEEZZNS1_14partition_implILS5_9ELb0ES3_jN6thrust23THRUST_200600_302600_NS6detail15normal_iteratorINS9_10device_ptrIxEEEESE_PNS0_10empty_typeENS0_5tupleIJSE_SF_EEENSH_IJSE_SG_EEENS0_18inequality_wrapperI22is_equal_div_10_uniqueIxEEEPmJSF_EEE10hipError_tPvRmT3_T4_T5_T6_T7_T9_mT8_P12ihipStream_tbDpT10_ENKUlT_T0_E_clISt17integral_constantIbLb0EES18_EEDaS13_S14_EUlS13_E_NS1_11comp_targetILNS1_3genE9ELNS1_11target_archE1100ELNS1_3gpuE3ELNS1_3repE0EEENS1_30default_config_static_selectorELNS0_4arch9wavefront6targetE0EEEvT1_,comdat
.Lfunc_end378:
	.size	_ZN7rocprim17ROCPRIM_400000_NS6detail17trampoline_kernelINS0_14default_configENS1_25partition_config_selectorILNS1_17partition_subalgoE9ExxbEEZZNS1_14partition_implILS5_9ELb0ES3_jN6thrust23THRUST_200600_302600_NS6detail15normal_iteratorINS9_10device_ptrIxEEEESE_PNS0_10empty_typeENS0_5tupleIJSE_SF_EEENSH_IJSE_SG_EEENS0_18inequality_wrapperI22is_equal_div_10_uniqueIxEEEPmJSF_EEE10hipError_tPvRmT3_T4_T5_T6_T7_T9_mT8_P12ihipStream_tbDpT10_ENKUlT_T0_E_clISt17integral_constantIbLb0EES18_EEDaS13_S14_EUlS13_E_NS1_11comp_targetILNS1_3genE9ELNS1_11target_archE1100ELNS1_3gpuE3ELNS1_3repE0EEENS1_30default_config_static_selectorELNS0_4arch9wavefront6targetE0EEEvT1_, .Lfunc_end378-_ZN7rocprim17ROCPRIM_400000_NS6detail17trampoline_kernelINS0_14default_configENS1_25partition_config_selectorILNS1_17partition_subalgoE9ExxbEEZZNS1_14partition_implILS5_9ELb0ES3_jN6thrust23THRUST_200600_302600_NS6detail15normal_iteratorINS9_10device_ptrIxEEEESE_PNS0_10empty_typeENS0_5tupleIJSE_SF_EEENSH_IJSE_SG_EEENS0_18inequality_wrapperI22is_equal_div_10_uniqueIxEEEPmJSF_EEE10hipError_tPvRmT3_T4_T5_T6_T7_T9_mT8_P12ihipStream_tbDpT10_ENKUlT_T0_E_clISt17integral_constantIbLb0EES18_EEDaS13_S14_EUlS13_E_NS1_11comp_targetILNS1_3genE9ELNS1_11target_archE1100ELNS1_3gpuE3ELNS1_3repE0EEENS1_30default_config_static_selectorELNS0_4arch9wavefront6targetE0EEEvT1_
                                        ; -- End function
	.section	.AMDGPU.csdata,"",@progbits
; Kernel info:
; codeLenInByte = 10808
; NumSgprs: 27
; NumVgprs: 68
; ScratchSize: 0
; MemoryBound: 0
; FloatMode: 240
; IeeeMode: 1
; LDSByteSize: 33800 bytes/workgroup (compile time only)
; SGPRBlocks: 3
; VGPRBlocks: 8
; NumSGPRsForWavesPerEU: 27
; NumVGPRsForWavesPerEU: 68
; Occupancy: 12
; WaveLimiterHint : 1
; COMPUTE_PGM_RSRC2:SCRATCH_EN: 0
; COMPUTE_PGM_RSRC2:USER_SGPR: 15
; COMPUTE_PGM_RSRC2:TRAP_HANDLER: 0
; COMPUTE_PGM_RSRC2:TGID_X_EN: 1
; COMPUTE_PGM_RSRC2:TGID_Y_EN: 0
; COMPUTE_PGM_RSRC2:TGID_Z_EN: 0
; COMPUTE_PGM_RSRC2:TIDIG_COMP_CNT: 0
	.section	.text._ZN7rocprim17ROCPRIM_400000_NS6detail17trampoline_kernelINS0_14default_configENS1_25partition_config_selectorILNS1_17partition_subalgoE9ExxbEEZZNS1_14partition_implILS5_9ELb0ES3_jN6thrust23THRUST_200600_302600_NS6detail15normal_iteratorINS9_10device_ptrIxEEEESE_PNS0_10empty_typeENS0_5tupleIJSE_SF_EEENSH_IJSE_SG_EEENS0_18inequality_wrapperI22is_equal_div_10_uniqueIxEEEPmJSF_EEE10hipError_tPvRmT3_T4_T5_T6_T7_T9_mT8_P12ihipStream_tbDpT10_ENKUlT_T0_E_clISt17integral_constantIbLb0EES18_EEDaS13_S14_EUlS13_E_NS1_11comp_targetILNS1_3genE8ELNS1_11target_archE1030ELNS1_3gpuE2ELNS1_3repE0EEENS1_30default_config_static_selectorELNS0_4arch9wavefront6targetE0EEEvT1_,"axG",@progbits,_ZN7rocprim17ROCPRIM_400000_NS6detail17trampoline_kernelINS0_14default_configENS1_25partition_config_selectorILNS1_17partition_subalgoE9ExxbEEZZNS1_14partition_implILS5_9ELb0ES3_jN6thrust23THRUST_200600_302600_NS6detail15normal_iteratorINS9_10device_ptrIxEEEESE_PNS0_10empty_typeENS0_5tupleIJSE_SF_EEENSH_IJSE_SG_EEENS0_18inequality_wrapperI22is_equal_div_10_uniqueIxEEEPmJSF_EEE10hipError_tPvRmT3_T4_T5_T6_T7_T9_mT8_P12ihipStream_tbDpT10_ENKUlT_T0_E_clISt17integral_constantIbLb0EES18_EEDaS13_S14_EUlS13_E_NS1_11comp_targetILNS1_3genE8ELNS1_11target_archE1030ELNS1_3gpuE2ELNS1_3repE0EEENS1_30default_config_static_selectorELNS0_4arch9wavefront6targetE0EEEvT1_,comdat
	.protected	_ZN7rocprim17ROCPRIM_400000_NS6detail17trampoline_kernelINS0_14default_configENS1_25partition_config_selectorILNS1_17partition_subalgoE9ExxbEEZZNS1_14partition_implILS5_9ELb0ES3_jN6thrust23THRUST_200600_302600_NS6detail15normal_iteratorINS9_10device_ptrIxEEEESE_PNS0_10empty_typeENS0_5tupleIJSE_SF_EEENSH_IJSE_SG_EEENS0_18inequality_wrapperI22is_equal_div_10_uniqueIxEEEPmJSF_EEE10hipError_tPvRmT3_T4_T5_T6_T7_T9_mT8_P12ihipStream_tbDpT10_ENKUlT_T0_E_clISt17integral_constantIbLb0EES18_EEDaS13_S14_EUlS13_E_NS1_11comp_targetILNS1_3genE8ELNS1_11target_archE1030ELNS1_3gpuE2ELNS1_3repE0EEENS1_30default_config_static_selectorELNS0_4arch9wavefront6targetE0EEEvT1_ ; -- Begin function _ZN7rocprim17ROCPRIM_400000_NS6detail17trampoline_kernelINS0_14default_configENS1_25partition_config_selectorILNS1_17partition_subalgoE9ExxbEEZZNS1_14partition_implILS5_9ELb0ES3_jN6thrust23THRUST_200600_302600_NS6detail15normal_iteratorINS9_10device_ptrIxEEEESE_PNS0_10empty_typeENS0_5tupleIJSE_SF_EEENSH_IJSE_SG_EEENS0_18inequality_wrapperI22is_equal_div_10_uniqueIxEEEPmJSF_EEE10hipError_tPvRmT3_T4_T5_T6_T7_T9_mT8_P12ihipStream_tbDpT10_ENKUlT_T0_E_clISt17integral_constantIbLb0EES18_EEDaS13_S14_EUlS13_E_NS1_11comp_targetILNS1_3genE8ELNS1_11target_archE1030ELNS1_3gpuE2ELNS1_3repE0EEENS1_30default_config_static_selectorELNS0_4arch9wavefront6targetE0EEEvT1_
	.globl	_ZN7rocprim17ROCPRIM_400000_NS6detail17trampoline_kernelINS0_14default_configENS1_25partition_config_selectorILNS1_17partition_subalgoE9ExxbEEZZNS1_14partition_implILS5_9ELb0ES3_jN6thrust23THRUST_200600_302600_NS6detail15normal_iteratorINS9_10device_ptrIxEEEESE_PNS0_10empty_typeENS0_5tupleIJSE_SF_EEENSH_IJSE_SG_EEENS0_18inequality_wrapperI22is_equal_div_10_uniqueIxEEEPmJSF_EEE10hipError_tPvRmT3_T4_T5_T6_T7_T9_mT8_P12ihipStream_tbDpT10_ENKUlT_T0_E_clISt17integral_constantIbLb0EES18_EEDaS13_S14_EUlS13_E_NS1_11comp_targetILNS1_3genE8ELNS1_11target_archE1030ELNS1_3gpuE2ELNS1_3repE0EEENS1_30default_config_static_selectorELNS0_4arch9wavefront6targetE0EEEvT1_
	.p2align	8
	.type	_ZN7rocprim17ROCPRIM_400000_NS6detail17trampoline_kernelINS0_14default_configENS1_25partition_config_selectorILNS1_17partition_subalgoE9ExxbEEZZNS1_14partition_implILS5_9ELb0ES3_jN6thrust23THRUST_200600_302600_NS6detail15normal_iteratorINS9_10device_ptrIxEEEESE_PNS0_10empty_typeENS0_5tupleIJSE_SF_EEENSH_IJSE_SG_EEENS0_18inequality_wrapperI22is_equal_div_10_uniqueIxEEEPmJSF_EEE10hipError_tPvRmT3_T4_T5_T6_T7_T9_mT8_P12ihipStream_tbDpT10_ENKUlT_T0_E_clISt17integral_constantIbLb0EES18_EEDaS13_S14_EUlS13_E_NS1_11comp_targetILNS1_3genE8ELNS1_11target_archE1030ELNS1_3gpuE2ELNS1_3repE0EEENS1_30default_config_static_selectorELNS0_4arch9wavefront6targetE0EEEvT1_,@function
_ZN7rocprim17ROCPRIM_400000_NS6detail17trampoline_kernelINS0_14default_configENS1_25partition_config_selectorILNS1_17partition_subalgoE9ExxbEEZZNS1_14partition_implILS5_9ELb0ES3_jN6thrust23THRUST_200600_302600_NS6detail15normal_iteratorINS9_10device_ptrIxEEEESE_PNS0_10empty_typeENS0_5tupleIJSE_SF_EEENSH_IJSE_SG_EEENS0_18inequality_wrapperI22is_equal_div_10_uniqueIxEEEPmJSF_EEE10hipError_tPvRmT3_T4_T5_T6_T7_T9_mT8_P12ihipStream_tbDpT10_ENKUlT_T0_E_clISt17integral_constantIbLb0EES18_EEDaS13_S14_EUlS13_E_NS1_11comp_targetILNS1_3genE8ELNS1_11target_archE1030ELNS1_3gpuE2ELNS1_3repE0EEENS1_30default_config_static_selectorELNS0_4arch9wavefront6targetE0EEEvT1_: ; @_ZN7rocprim17ROCPRIM_400000_NS6detail17trampoline_kernelINS0_14default_configENS1_25partition_config_selectorILNS1_17partition_subalgoE9ExxbEEZZNS1_14partition_implILS5_9ELb0ES3_jN6thrust23THRUST_200600_302600_NS6detail15normal_iteratorINS9_10device_ptrIxEEEESE_PNS0_10empty_typeENS0_5tupleIJSE_SF_EEENSH_IJSE_SG_EEENS0_18inequality_wrapperI22is_equal_div_10_uniqueIxEEEPmJSF_EEE10hipError_tPvRmT3_T4_T5_T6_T7_T9_mT8_P12ihipStream_tbDpT10_ENKUlT_T0_E_clISt17integral_constantIbLb0EES18_EEDaS13_S14_EUlS13_E_NS1_11comp_targetILNS1_3genE8ELNS1_11target_archE1030ELNS1_3gpuE2ELNS1_3repE0EEENS1_30default_config_static_selectorELNS0_4arch9wavefront6targetE0EEEvT1_
; %bb.0:
	.section	.rodata,"a",@progbits
	.p2align	6, 0x0
	.amdhsa_kernel _ZN7rocprim17ROCPRIM_400000_NS6detail17trampoline_kernelINS0_14default_configENS1_25partition_config_selectorILNS1_17partition_subalgoE9ExxbEEZZNS1_14partition_implILS5_9ELb0ES3_jN6thrust23THRUST_200600_302600_NS6detail15normal_iteratorINS9_10device_ptrIxEEEESE_PNS0_10empty_typeENS0_5tupleIJSE_SF_EEENSH_IJSE_SG_EEENS0_18inequality_wrapperI22is_equal_div_10_uniqueIxEEEPmJSF_EEE10hipError_tPvRmT3_T4_T5_T6_T7_T9_mT8_P12ihipStream_tbDpT10_ENKUlT_T0_E_clISt17integral_constantIbLb0EES18_EEDaS13_S14_EUlS13_E_NS1_11comp_targetILNS1_3genE8ELNS1_11target_archE1030ELNS1_3gpuE2ELNS1_3repE0EEENS1_30default_config_static_selectorELNS0_4arch9wavefront6targetE0EEEvT1_
		.amdhsa_group_segment_fixed_size 0
		.amdhsa_private_segment_fixed_size 0
		.amdhsa_kernarg_size 112
		.amdhsa_user_sgpr_count 15
		.amdhsa_user_sgpr_dispatch_ptr 0
		.amdhsa_user_sgpr_queue_ptr 0
		.amdhsa_user_sgpr_kernarg_segment_ptr 1
		.amdhsa_user_sgpr_dispatch_id 0
		.amdhsa_user_sgpr_private_segment_size 0
		.amdhsa_wavefront_size32 1
		.amdhsa_uses_dynamic_stack 0
		.amdhsa_enable_private_segment 0
		.amdhsa_system_sgpr_workgroup_id_x 1
		.amdhsa_system_sgpr_workgroup_id_y 0
		.amdhsa_system_sgpr_workgroup_id_z 0
		.amdhsa_system_sgpr_workgroup_info 0
		.amdhsa_system_vgpr_workitem_id 0
		.amdhsa_next_free_vgpr 1
		.amdhsa_next_free_sgpr 1
		.amdhsa_reserve_vcc 0
		.amdhsa_float_round_mode_32 0
		.amdhsa_float_round_mode_16_64 0
		.amdhsa_float_denorm_mode_32 3
		.amdhsa_float_denorm_mode_16_64 3
		.amdhsa_dx10_clamp 1
		.amdhsa_ieee_mode 1
		.amdhsa_fp16_overflow 0
		.amdhsa_workgroup_processor_mode 1
		.amdhsa_memory_ordered 1
		.amdhsa_forward_progress 0
		.amdhsa_shared_vgpr_count 0
		.amdhsa_exception_fp_ieee_invalid_op 0
		.amdhsa_exception_fp_denorm_src 0
		.amdhsa_exception_fp_ieee_div_zero 0
		.amdhsa_exception_fp_ieee_overflow 0
		.amdhsa_exception_fp_ieee_underflow 0
		.amdhsa_exception_fp_ieee_inexact 0
		.amdhsa_exception_int_div_zero 0
	.end_amdhsa_kernel
	.section	.text._ZN7rocprim17ROCPRIM_400000_NS6detail17trampoline_kernelINS0_14default_configENS1_25partition_config_selectorILNS1_17partition_subalgoE9ExxbEEZZNS1_14partition_implILS5_9ELb0ES3_jN6thrust23THRUST_200600_302600_NS6detail15normal_iteratorINS9_10device_ptrIxEEEESE_PNS0_10empty_typeENS0_5tupleIJSE_SF_EEENSH_IJSE_SG_EEENS0_18inequality_wrapperI22is_equal_div_10_uniqueIxEEEPmJSF_EEE10hipError_tPvRmT3_T4_T5_T6_T7_T9_mT8_P12ihipStream_tbDpT10_ENKUlT_T0_E_clISt17integral_constantIbLb0EES18_EEDaS13_S14_EUlS13_E_NS1_11comp_targetILNS1_3genE8ELNS1_11target_archE1030ELNS1_3gpuE2ELNS1_3repE0EEENS1_30default_config_static_selectorELNS0_4arch9wavefront6targetE0EEEvT1_,"axG",@progbits,_ZN7rocprim17ROCPRIM_400000_NS6detail17trampoline_kernelINS0_14default_configENS1_25partition_config_selectorILNS1_17partition_subalgoE9ExxbEEZZNS1_14partition_implILS5_9ELb0ES3_jN6thrust23THRUST_200600_302600_NS6detail15normal_iteratorINS9_10device_ptrIxEEEESE_PNS0_10empty_typeENS0_5tupleIJSE_SF_EEENSH_IJSE_SG_EEENS0_18inequality_wrapperI22is_equal_div_10_uniqueIxEEEPmJSF_EEE10hipError_tPvRmT3_T4_T5_T6_T7_T9_mT8_P12ihipStream_tbDpT10_ENKUlT_T0_E_clISt17integral_constantIbLb0EES18_EEDaS13_S14_EUlS13_E_NS1_11comp_targetILNS1_3genE8ELNS1_11target_archE1030ELNS1_3gpuE2ELNS1_3repE0EEENS1_30default_config_static_selectorELNS0_4arch9wavefront6targetE0EEEvT1_,comdat
.Lfunc_end379:
	.size	_ZN7rocprim17ROCPRIM_400000_NS6detail17trampoline_kernelINS0_14default_configENS1_25partition_config_selectorILNS1_17partition_subalgoE9ExxbEEZZNS1_14partition_implILS5_9ELb0ES3_jN6thrust23THRUST_200600_302600_NS6detail15normal_iteratorINS9_10device_ptrIxEEEESE_PNS0_10empty_typeENS0_5tupleIJSE_SF_EEENSH_IJSE_SG_EEENS0_18inequality_wrapperI22is_equal_div_10_uniqueIxEEEPmJSF_EEE10hipError_tPvRmT3_T4_T5_T6_T7_T9_mT8_P12ihipStream_tbDpT10_ENKUlT_T0_E_clISt17integral_constantIbLb0EES18_EEDaS13_S14_EUlS13_E_NS1_11comp_targetILNS1_3genE8ELNS1_11target_archE1030ELNS1_3gpuE2ELNS1_3repE0EEENS1_30default_config_static_selectorELNS0_4arch9wavefront6targetE0EEEvT1_, .Lfunc_end379-_ZN7rocprim17ROCPRIM_400000_NS6detail17trampoline_kernelINS0_14default_configENS1_25partition_config_selectorILNS1_17partition_subalgoE9ExxbEEZZNS1_14partition_implILS5_9ELb0ES3_jN6thrust23THRUST_200600_302600_NS6detail15normal_iteratorINS9_10device_ptrIxEEEESE_PNS0_10empty_typeENS0_5tupleIJSE_SF_EEENSH_IJSE_SG_EEENS0_18inequality_wrapperI22is_equal_div_10_uniqueIxEEEPmJSF_EEE10hipError_tPvRmT3_T4_T5_T6_T7_T9_mT8_P12ihipStream_tbDpT10_ENKUlT_T0_E_clISt17integral_constantIbLb0EES18_EEDaS13_S14_EUlS13_E_NS1_11comp_targetILNS1_3genE8ELNS1_11target_archE1030ELNS1_3gpuE2ELNS1_3repE0EEENS1_30default_config_static_selectorELNS0_4arch9wavefront6targetE0EEEvT1_
                                        ; -- End function
	.section	.AMDGPU.csdata,"",@progbits
; Kernel info:
; codeLenInByte = 0
; NumSgprs: 0
; NumVgprs: 0
; ScratchSize: 0
; MemoryBound: 0
; FloatMode: 240
; IeeeMode: 1
; LDSByteSize: 0 bytes/workgroup (compile time only)
; SGPRBlocks: 0
; VGPRBlocks: 0
; NumSGPRsForWavesPerEU: 1
; NumVGPRsForWavesPerEU: 1
; Occupancy: 16
; WaveLimiterHint : 0
; COMPUTE_PGM_RSRC2:SCRATCH_EN: 0
; COMPUTE_PGM_RSRC2:USER_SGPR: 15
; COMPUTE_PGM_RSRC2:TRAP_HANDLER: 0
; COMPUTE_PGM_RSRC2:TGID_X_EN: 1
; COMPUTE_PGM_RSRC2:TGID_Y_EN: 0
; COMPUTE_PGM_RSRC2:TGID_Z_EN: 0
; COMPUTE_PGM_RSRC2:TIDIG_COMP_CNT: 0
	.section	.text._ZN7rocprim17ROCPRIM_400000_NS6detail17trampoline_kernelINS0_14default_configENS1_25partition_config_selectorILNS1_17partition_subalgoE9ExxbEEZZNS1_14partition_implILS5_9ELb0ES3_jN6thrust23THRUST_200600_302600_NS6detail15normal_iteratorINS9_10device_ptrIxEEEESE_PNS0_10empty_typeENS0_5tupleIJSE_SF_EEENSH_IJSE_SG_EEENS0_18inequality_wrapperI22is_equal_div_10_uniqueIxEEEPmJSF_EEE10hipError_tPvRmT3_T4_T5_T6_T7_T9_mT8_P12ihipStream_tbDpT10_ENKUlT_T0_E_clISt17integral_constantIbLb1EES18_EEDaS13_S14_EUlS13_E_NS1_11comp_targetILNS1_3genE0ELNS1_11target_archE4294967295ELNS1_3gpuE0ELNS1_3repE0EEENS1_30default_config_static_selectorELNS0_4arch9wavefront6targetE0EEEvT1_,"axG",@progbits,_ZN7rocprim17ROCPRIM_400000_NS6detail17trampoline_kernelINS0_14default_configENS1_25partition_config_selectorILNS1_17partition_subalgoE9ExxbEEZZNS1_14partition_implILS5_9ELb0ES3_jN6thrust23THRUST_200600_302600_NS6detail15normal_iteratorINS9_10device_ptrIxEEEESE_PNS0_10empty_typeENS0_5tupleIJSE_SF_EEENSH_IJSE_SG_EEENS0_18inequality_wrapperI22is_equal_div_10_uniqueIxEEEPmJSF_EEE10hipError_tPvRmT3_T4_T5_T6_T7_T9_mT8_P12ihipStream_tbDpT10_ENKUlT_T0_E_clISt17integral_constantIbLb1EES18_EEDaS13_S14_EUlS13_E_NS1_11comp_targetILNS1_3genE0ELNS1_11target_archE4294967295ELNS1_3gpuE0ELNS1_3repE0EEENS1_30default_config_static_selectorELNS0_4arch9wavefront6targetE0EEEvT1_,comdat
	.protected	_ZN7rocprim17ROCPRIM_400000_NS6detail17trampoline_kernelINS0_14default_configENS1_25partition_config_selectorILNS1_17partition_subalgoE9ExxbEEZZNS1_14partition_implILS5_9ELb0ES3_jN6thrust23THRUST_200600_302600_NS6detail15normal_iteratorINS9_10device_ptrIxEEEESE_PNS0_10empty_typeENS0_5tupleIJSE_SF_EEENSH_IJSE_SG_EEENS0_18inequality_wrapperI22is_equal_div_10_uniqueIxEEEPmJSF_EEE10hipError_tPvRmT3_T4_T5_T6_T7_T9_mT8_P12ihipStream_tbDpT10_ENKUlT_T0_E_clISt17integral_constantIbLb1EES18_EEDaS13_S14_EUlS13_E_NS1_11comp_targetILNS1_3genE0ELNS1_11target_archE4294967295ELNS1_3gpuE0ELNS1_3repE0EEENS1_30default_config_static_selectorELNS0_4arch9wavefront6targetE0EEEvT1_ ; -- Begin function _ZN7rocprim17ROCPRIM_400000_NS6detail17trampoline_kernelINS0_14default_configENS1_25partition_config_selectorILNS1_17partition_subalgoE9ExxbEEZZNS1_14partition_implILS5_9ELb0ES3_jN6thrust23THRUST_200600_302600_NS6detail15normal_iteratorINS9_10device_ptrIxEEEESE_PNS0_10empty_typeENS0_5tupleIJSE_SF_EEENSH_IJSE_SG_EEENS0_18inequality_wrapperI22is_equal_div_10_uniqueIxEEEPmJSF_EEE10hipError_tPvRmT3_T4_T5_T6_T7_T9_mT8_P12ihipStream_tbDpT10_ENKUlT_T0_E_clISt17integral_constantIbLb1EES18_EEDaS13_S14_EUlS13_E_NS1_11comp_targetILNS1_3genE0ELNS1_11target_archE4294967295ELNS1_3gpuE0ELNS1_3repE0EEENS1_30default_config_static_selectorELNS0_4arch9wavefront6targetE0EEEvT1_
	.globl	_ZN7rocprim17ROCPRIM_400000_NS6detail17trampoline_kernelINS0_14default_configENS1_25partition_config_selectorILNS1_17partition_subalgoE9ExxbEEZZNS1_14partition_implILS5_9ELb0ES3_jN6thrust23THRUST_200600_302600_NS6detail15normal_iteratorINS9_10device_ptrIxEEEESE_PNS0_10empty_typeENS0_5tupleIJSE_SF_EEENSH_IJSE_SG_EEENS0_18inequality_wrapperI22is_equal_div_10_uniqueIxEEEPmJSF_EEE10hipError_tPvRmT3_T4_T5_T6_T7_T9_mT8_P12ihipStream_tbDpT10_ENKUlT_T0_E_clISt17integral_constantIbLb1EES18_EEDaS13_S14_EUlS13_E_NS1_11comp_targetILNS1_3genE0ELNS1_11target_archE4294967295ELNS1_3gpuE0ELNS1_3repE0EEENS1_30default_config_static_selectorELNS0_4arch9wavefront6targetE0EEEvT1_
	.p2align	8
	.type	_ZN7rocprim17ROCPRIM_400000_NS6detail17trampoline_kernelINS0_14default_configENS1_25partition_config_selectorILNS1_17partition_subalgoE9ExxbEEZZNS1_14partition_implILS5_9ELb0ES3_jN6thrust23THRUST_200600_302600_NS6detail15normal_iteratorINS9_10device_ptrIxEEEESE_PNS0_10empty_typeENS0_5tupleIJSE_SF_EEENSH_IJSE_SG_EEENS0_18inequality_wrapperI22is_equal_div_10_uniqueIxEEEPmJSF_EEE10hipError_tPvRmT3_T4_T5_T6_T7_T9_mT8_P12ihipStream_tbDpT10_ENKUlT_T0_E_clISt17integral_constantIbLb1EES18_EEDaS13_S14_EUlS13_E_NS1_11comp_targetILNS1_3genE0ELNS1_11target_archE4294967295ELNS1_3gpuE0ELNS1_3repE0EEENS1_30default_config_static_selectorELNS0_4arch9wavefront6targetE0EEEvT1_,@function
_ZN7rocprim17ROCPRIM_400000_NS6detail17trampoline_kernelINS0_14default_configENS1_25partition_config_selectorILNS1_17partition_subalgoE9ExxbEEZZNS1_14partition_implILS5_9ELb0ES3_jN6thrust23THRUST_200600_302600_NS6detail15normal_iteratorINS9_10device_ptrIxEEEESE_PNS0_10empty_typeENS0_5tupleIJSE_SF_EEENSH_IJSE_SG_EEENS0_18inequality_wrapperI22is_equal_div_10_uniqueIxEEEPmJSF_EEE10hipError_tPvRmT3_T4_T5_T6_T7_T9_mT8_P12ihipStream_tbDpT10_ENKUlT_T0_E_clISt17integral_constantIbLb1EES18_EEDaS13_S14_EUlS13_E_NS1_11comp_targetILNS1_3genE0ELNS1_11target_archE4294967295ELNS1_3gpuE0ELNS1_3repE0EEENS1_30default_config_static_selectorELNS0_4arch9wavefront6targetE0EEEvT1_: ; @_ZN7rocprim17ROCPRIM_400000_NS6detail17trampoline_kernelINS0_14default_configENS1_25partition_config_selectorILNS1_17partition_subalgoE9ExxbEEZZNS1_14partition_implILS5_9ELb0ES3_jN6thrust23THRUST_200600_302600_NS6detail15normal_iteratorINS9_10device_ptrIxEEEESE_PNS0_10empty_typeENS0_5tupleIJSE_SF_EEENSH_IJSE_SG_EEENS0_18inequality_wrapperI22is_equal_div_10_uniqueIxEEEPmJSF_EEE10hipError_tPvRmT3_T4_T5_T6_T7_T9_mT8_P12ihipStream_tbDpT10_ENKUlT_T0_E_clISt17integral_constantIbLb1EES18_EEDaS13_S14_EUlS13_E_NS1_11comp_targetILNS1_3genE0ELNS1_11target_archE4294967295ELNS1_3gpuE0ELNS1_3repE0EEENS1_30default_config_static_selectorELNS0_4arch9wavefront6targetE0EEEvT1_
; %bb.0:
	.section	.rodata,"a",@progbits
	.p2align	6, 0x0
	.amdhsa_kernel _ZN7rocprim17ROCPRIM_400000_NS6detail17trampoline_kernelINS0_14default_configENS1_25partition_config_selectorILNS1_17partition_subalgoE9ExxbEEZZNS1_14partition_implILS5_9ELb0ES3_jN6thrust23THRUST_200600_302600_NS6detail15normal_iteratorINS9_10device_ptrIxEEEESE_PNS0_10empty_typeENS0_5tupleIJSE_SF_EEENSH_IJSE_SG_EEENS0_18inequality_wrapperI22is_equal_div_10_uniqueIxEEEPmJSF_EEE10hipError_tPvRmT3_T4_T5_T6_T7_T9_mT8_P12ihipStream_tbDpT10_ENKUlT_T0_E_clISt17integral_constantIbLb1EES18_EEDaS13_S14_EUlS13_E_NS1_11comp_targetILNS1_3genE0ELNS1_11target_archE4294967295ELNS1_3gpuE0ELNS1_3repE0EEENS1_30default_config_static_selectorELNS0_4arch9wavefront6targetE0EEEvT1_
		.amdhsa_group_segment_fixed_size 0
		.amdhsa_private_segment_fixed_size 0
		.amdhsa_kernarg_size 128
		.amdhsa_user_sgpr_count 15
		.amdhsa_user_sgpr_dispatch_ptr 0
		.amdhsa_user_sgpr_queue_ptr 0
		.amdhsa_user_sgpr_kernarg_segment_ptr 1
		.amdhsa_user_sgpr_dispatch_id 0
		.amdhsa_user_sgpr_private_segment_size 0
		.amdhsa_wavefront_size32 1
		.amdhsa_uses_dynamic_stack 0
		.amdhsa_enable_private_segment 0
		.amdhsa_system_sgpr_workgroup_id_x 1
		.amdhsa_system_sgpr_workgroup_id_y 0
		.amdhsa_system_sgpr_workgroup_id_z 0
		.amdhsa_system_sgpr_workgroup_info 0
		.amdhsa_system_vgpr_workitem_id 0
		.amdhsa_next_free_vgpr 1
		.amdhsa_next_free_sgpr 1
		.amdhsa_reserve_vcc 0
		.amdhsa_float_round_mode_32 0
		.amdhsa_float_round_mode_16_64 0
		.amdhsa_float_denorm_mode_32 3
		.amdhsa_float_denorm_mode_16_64 3
		.amdhsa_dx10_clamp 1
		.amdhsa_ieee_mode 1
		.amdhsa_fp16_overflow 0
		.amdhsa_workgroup_processor_mode 1
		.amdhsa_memory_ordered 1
		.amdhsa_forward_progress 0
		.amdhsa_shared_vgpr_count 0
		.amdhsa_exception_fp_ieee_invalid_op 0
		.amdhsa_exception_fp_denorm_src 0
		.amdhsa_exception_fp_ieee_div_zero 0
		.amdhsa_exception_fp_ieee_overflow 0
		.amdhsa_exception_fp_ieee_underflow 0
		.amdhsa_exception_fp_ieee_inexact 0
		.amdhsa_exception_int_div_zero 0
	.end_amdhsa_kernel
	.section	.text._ZN7rocprim17ROCPRIM_400000_NS6detail17trampoline_kernelINS0_14default_configENS1_25partition_config_selectorILNS1_17partition_subalgoE9ExxbEEZZNS1_14partition_implILS5_9ELb0ES3_jN6thrust23THRUST_200600_302600_NS6detail15normal_iteratorINS9_10device_ptrIxEEEESE_PNS0_10empty_typeENS0_5tupleIJSE_SF_EEENSH_IJSE_SG_EEENS0_18inequality_wrapperI22is_equal_div_10_uniqueIxEEEPmJSF_EEE10hipError_tPvRmT3_T4_T5_T6_T7_T9_mT8_P12ihipStream_tbDpT10_ENKUlT_T0_E_clISt17integral_constantIbLb1EES18_EEDaS13_S14_EUlS13_E_NS1_11comp_targetILNS1_3genE0ELNS1_11target_archE4294967295ELNS1_3gpuE0ELNS1_3repE0EEENS1_30default_config_static_selectorELNS0_4arch9wavefront6targetE0EEEvT1_,"axG",@progbits,_ZN7rocprim17ROCPRIM_400000_NS6detail17trampoline_kernelINS0_14default_configENS1_25partition_config_selectorILNS1_17partition_subalgoE9ExxbEEZZNS1_14partition_implILS5_9ELb0ES3_jN6thrust23THRUST_200600_302600_NS6detail15normal_iteratorINS9_10device_ptrIxEEEESE_PNS0_10empty_typeENS0_5tupleIJSE_SF_EEENSH_IJSE_SG_EEENS0_18inequality_wrapperI22is_equal_div_10_uniqueIxEEEPmJSF_EEE10hipError_tPvRmT3_T4_T5_T6_T7_T9_mT8_P12ihipStream_tbDpT10_ENKUlT_T0_E_clISt17integral_constantIbLb1EES18_EEDaS13_S14_EUlS13_E_NS1_11comp_targetILNS1_3genE0ELNS1_11target_archE4294967295ELNS1_3gpuE0ELNS1_3repE0EEENS1_30default_config_static_selectorELNS0_4arch9wavefront6targetE0EEEvT1_,comdat
.Lfunc_end380:
	.size	_ZN7rocprim17ROCPRIM_400000_NS6detail17trampoline_kernelINS0_14default_configENS1_25partition_config_selectorILNS1_17partition_subalgoE9ExxbEEZZNS1_14partition_implILS5_9ELb0ES3_jN6thrust23THRUST_200600_302600_NS6detail15normal_iteratorINS9_10device_ptrIxEEEESE_PNS0_10empty_typeENS0_5tupleIJSE_SF_EEENSH_IJSE_SG_EEENS0_18inequality_wrapperI22is_equal_div_10_uniqueIxEEEPmJSF_EEE10hipError_tPvRmT3_T4_T5_T6_T7_T9_mT8_P12ihipStream_tbDpT10_ENKUlT_T0_E_clISt17integral_constantIbLb1EES18_EEDaS13_S14_EUlS13_E_NS1_11comp_targetILNS1_3genE0ELNS1_11target_archE4294967295ELNS1_3gpuE0ELNS1_3repE0EEENS1_30default_config_static_selectorELNS0_4arch9wavefront6targetE0EEEvT1_, .Lfunc_end380-_ZN7rocprim17ROCPRIM_400000_NS6detail17trampoline_kernelINS0_14default_configENS1_25partition_config_selectorILNS1_17partition_subalgoE9ExxbEEZZNS1_14partition_implILS5_9ELb0ES3_jN6thrust23THRUST_200600_302600_NS6detail15normal_iteratorINS9_10device_ptrIxEEEESE_PNS0_10empty_typeENS0_5tupleIJSE_SF_EEENSH_IJSE_SG_EEENS0_18inequality_wrapperI22is_equal_div_10_uniqueIxEEEPmJSF_EEE10hipError_tPvRmT3_T4_T5_T6_T7_T9_mT8_P12ihipStream_tbDpT10_ENKUlT_T0_E_clISt17integral_constantIbLb1EES18_EEDaS13_S14_EUlS13_E_NS1_11comp_targetILNS1_3genE0ELNS1_11target_archE4294967295ELNS1_3gpuE0ELNS1_3repE0EEENS1_30default_config_static_selectorELNS0_4arch9wavefront6targetE0EEEvT1_
                                        ; -- End function
	.section	.AMDGPU.csdata,"",@progbits
; Kernel info:
; codeLenInByte = 0
; NumSgprs: 0
; NumVgprs: 0
; ScratchSize: 0
; MemoryBound: 0
; FloatMode: 240
; IeeeMode: 1
; LDSByteSize: 0 bytes/workgroup (compile time only)
; SGPRBlocks: 0
; VGPRBlocks: 0
; NumSGPRsForWavesPerEU: 1
; NumVGPRsForWavesPerEU: 1
; Occupancy: 16
; WaveLimiterHint : 0
; COMPUTE_PGM_RSRC2:SCRATCH_EN: 0
; COMPUTE_PGM_RSRC2:USER_SGPR: 15
; COMPUTE_PGM_RSRC2:TRAP_HANDLER: 0
; COMPUTE_PGM_RSRC2:TGID_X_EN: 1
; COMPUTE_PGM_RSRC2:TGID_Y_EN: 0
; COMPUTE_PGM_RSRC2:TGID_Z_EN: 0
; COMPUTE_PGM_RSRC2:TIDIG_COMP_CNT: 0
	.section	.text._ZN7rocprim17ROCPRIM_400000_NS6detail17trampoline_kernelINS0_14default_configENS1_25partition_config_selectorILNS1_17partition_subalgoE9ExxbEEZZNS1_14partition_implILS5_9ELb0ES3_jN6thrust23THRUST_200600_302600_NS6detail15normal_iteratorINS9_10device_ptrIxEEEESE_PNS0_10empty_typeENS0_5tupleIJSE_SF_EEENSH_IJSE_SG_EEENS0_18inequality_wrapperI22is_equal_div_10_uniqueIxEEEPmJSF_EEE10hipError_tPvRmT3_T4_T5_T6_T7_T9_mT8_P12ihipStream_tbDpT10_ENKUlT_T0_E_clISt17integral_constantIbLb1EES18_EEDaS13_S14_EUlS13_E_NS1_11comp_targetILNS1_3genE5ELNS1_11target_archE942ELNS1_3gpuE9ELNS1_3repE0EEENS1_30default_config_static_selectorELNS0_4arch9wavefront6targetE0EEEvT1_,"axG",@progbits,_ZN7rocprim17ROCPRIM_400000_NS6detail17trampoline_kernelINS0_14default_configENS1_25partition_config_selectorILNS1_17partition_subalgoE9ExxbEEZZNS1_14partition_implILS5_9ELb0ES3_jN6thrust23THRUST_200600_302600_NS6detail15normal_iteratorINS9_10device_ptrIxEEEESE_PNS0_10empty_typeENS0_5tupleIJSE_SF_EEENSH_IJSE_SG_EEENS0_18inequality_wrapperI22is_equal_div_10_uniqueIxEEEPmJSF_EEE10hipError_tPvRmT3_T4_T5_T6_T7_T9_mT8_P12ihipStream_tbDpT10_ENKUlT_T0_E_clISt17integral_constantIbLb1EES18_EEDaS13_S14_EUlS13_E_NS1_11comp_targetILNS1_3genE5ELNS1_11target_archE942ELNS1_3gpuE9ELNS1_3repE0EEENS1_30default_config_static_selectorELNS0_4arch9wavefront6targetE0EEEvT1_,comdat
	.protected	_ZN7rocprim17ROCPRIM_400000_NS6detail17trampoline_kernelINS0_14default_configENS1_25partition_config_selectorILNS1_17partition_subalgoE9ExxbEEZZNS1_14partition_implILS5_9ELb0ES3_jN6thrust23THRUST_200600_302600_NS6detail15normal_iteratorINS9_10device_ptrIxEEEESE_PNS0_10empty_typeENS0_5tupleIJSE_SF_EEENSH_IJSE_SG_EEENS0_18inequality_wrapperI22is_equal_div_10_uniqueIxEEEPmJSF_EEE10hipError_tPvRmT3_T4_T5_T6_T7_T9_mT8_P12ihipStream_tbDpT10_ENKUlT_T0_E_clISt17integral_constantIbLb1EES18_EEDaS13_S14_EUlS13_E_NS1_11comp_targetILNS1_3genE5ELNS1_11target_archE942ELNS1_3gpuE9ELNS1_3repE0EEENS1_30default_config_static_selectorELNS0_4arch9wavefront6targetE0EEEvT1_ ; -- Begin function _ZN7rocprim17ROCPRIM_400000_NS6detail17trampoline_kernelINS0_14default_configENS1_25partition_config_selectorILNS1_17partition_subalgoE9ExxbEEZZNS1_14partition_implILS5_9ELb0ES3_jN6thrust23THRUST_200600_302600_NS6detail15normal_iteratorINS9_10device_ptrIxEEEESE_PNS0_10empty_typeENS0_5tupleIJSE_SF_EEENSH_IJSE_SG_EEENS0_18inequality_wrapperI22is_equal_div_10_uniqueIxEEEPmJSF_EEE10hipError_tPvRmT3_T4_T5_T6_T7_T9_mT8_P12ihipStream_tbDpT10_ENKUlT_T0_E_clISt17integral_constantIbLb1EES18_EEDaS13_S14_EUlS13_E_NS1_11comp_targetILNS1_3genE5ELNS1_11target_archE942ELNS1_3gpuE9ELNS1_3repE0EEENS1_30default_config_static_selectorELNS0_4arch9wavefront6targetE0EEEvT1_
	.globl	_ZN7rocprim17ROCPRIM_400000_NS6detail17trampoline_kernelINS0_14default_configENS1_25partition_config_selectorILNS1_17partition_subalgoE9ExxbEEZZNS1_14partition_implILS5_9ELb0ES3_jN6thrust23THRUST_200600_302600_NS6detail15normal_iteratorINS9_10device_ptrIxEEEESE_PNS0_10empty_typeENS0_5tupleIJSE_SF_EEENSH_IJSE_SG_EEENS0_18inequality_wrapperI22is_equal_div_10_uniqueIxEEEPmJSF_EEE10hipError_tPvRmT3_T4_T5_T6_T7_T9_mT8_P12ihipStream_tbDpT10_ENKUlT_T0_E_clISt17integral_constantIbLb1EES18_EEDaS13_S14_EUlS13_E_NS1_11comp_targetILNS1_3genE5ELNS1_11target_archE942ELNS1_3gpuE9ELNS1_3repE0EEENS1_30default_config_static_selectorELNS0_4arch9wavefront6targetE0EEEvT1_
	.p2align	8
	.type	_ZN7rocprim17ROCPRIM_400000_NS6detail17trampoline_kernelINS0_14default_configENS1_25partition_config_selectorILNS1_17partition_subalgoE9ExxbEEZZNS1_14partition_implILS5_9ELb0ES3_jN6thrust23THRUST_200600_302600_NS6detail15normal_iteratorINS9_10device_ptrIxEEEESE_PNS0_10empty_typeENS0_5tupleIJSE_SF_EEENSH_IJSE_SG_EEENS0_18inequality_wrapperI22is_equal_div_10_uniqueIxEEEPmJSF_EEE10hipError_tPvRmT3_T4_T5_T6_T7_T9_mT8_P12ihipStream_tbDpT10_ENKUlT_T0_E_clISt17integral_constantIbLb1EES18_EEDaS13_S14_EUlS13_E_NS1_11comp_targetILNS1_3genE5ELNS1_11target_archE942ELNS1_3gpuE9ELNS1_3repE0EEENS1_30default_config_static_selectorELNS0_4arch9wavefront6targetE0EEEvT1_,@function
_ZN7rocprim17ROCPRIM_400000_NS6detail17trampoline_kernelINS0_14default_configENS1_25partition_config_selectorILNS1_17partition_subalgoE9ExxbEEZZNS1_14partition_implILS5_9ELb0ES3_jN6thrust23THRUST_200600_302600_NS6detail15normal_iteratorINS9_10device_ptrIxEEEESE_PNS0_10empty_typeENS0_5tupleIJSE_SF_EEENSH_IJSE_SG_EEENS0_18inequality_wrapperI22is_equal_div_10_uniqueIxEEEPmJSF_EEE10hipError_tPvRmT3_T4_T5_T6_T7_T9_mT8_P12ihipStream_tbDpT10_ENKUlT_T0_E_clISt17integral_constantIbLb1EES18_EEDaS13_S14_EUlS13_E_NS1_11comp_targetILNS1_3genE5ELNS1_11target_archE942ELNS1_3gpuE9ELNS1_3repE0EEENS1_30default_config_static_selectorELNS0_4arch9wavefront6targetE0EEEvT1_: ; @_ZN7rocprim17ROCPRIM_400000_NS6detail17trampoline_kernelINS0_14default_configENS1_25partition_config_selectorILNS1_17partition_subalgoE9ExxbEEZZNS1_14partition_implILS5_9ELb0ES3_jN6thrust23THRUST_200600_302600_NS6detail15normal_iteratorINS9_10device_ptrIxEEEESE_PNS0_10empty_typeENS0_5tupleIJSE_SF_EEENSH_IJSE_SG_EEENS0_18inequality_wrapperI22is_equal_div_10_uniqueIxEEEPmJSF_EEE10hipError_tPvRmT3_T4_T5_T6_T7_T9_mT8_P12ihipStream_tbDpT10_ENKUlT_T0_E_clISt17integral_constantIbLb1EES18_EEDaS13_S14_EUlS13_E_NS1_11comp_targetILNS1_3genE5ELNS1_11target_archE942ELNS1_3gpuE9ELNS1_3repE0EEENS1_30default_config_static_selectorELNS0_4arch9wavefront6targetE0EEEvT1_
; %bb.0:
	.section	.rodata,"a",@progbits
	.p2align	6, 0x0
	.amdhsa_kernel _ZN7rocprim17ROCPRIM_400000_NS6detail17trampoline_kernelINS0_14default_configENS1_25partition_config_selectorILNS1_17partition_subalgoE9ExxbEEZZNS1_14partition_implILS5_9ELb0ES3_jN6thrust23THRUST_200600_302600_NS6detail15normal_iteratorINS9_10device_ptrIxEEEESE_PNS0_10empty_typeENS0_5tupleIJSE_SF_EEENSH_IJSE_SG_EEENS0_18inequality_wrapperI22is_equal_div_10_uniqueIxEEEPmJSF_EEE10hipError_tPvRmT3_T4_T5_T6_T7_T9_mT8_P12ihipStream_tbDpT10_ENKUlT_T0_E_clISt17integral_constantIbLb1EES18_EEDaS13_S14_EUlS13_E_NS1_11comp_targetILNS1_3genE5ELNS1_11target_archE942ELNS1_3gpuE9ELNS1_3repE0EEENS1_30default_config_static_selectorELNS0_4arch9wavefront6targetE0EEEvT1_
		.amdhsa_group_segment_fixed_size 0
		.amdhsa_private_segment_fixed_size 0
		.amdhsa_kernarg_size 128
		.amdhsa_user_sgpr_count 15
		.amdhsa_user_sgpr_dispatch_ptr 0
		.amdhsa_user_sgpr_queue_ptr 0
		.amdhsa_user_sgpr_kernarg_segment_ptr 1
		.amdhsa_user_sgpr_dispatch_id 0
		.amdhsa_user_sgpr_private_segment_size 0
		.amdhsa_wavefront_size32 1
		.amdhsa_uses_dynamic_stack 0
		.amdhsa_enable_private_segment 0
		.amdhsa_system_sgpr_workgroup_id_x 1
		.amdhsa_system_sgpr_workgroup_id_y 0
		.amdhsa_system_sgpr_workgroup_id_z 0
		.amdhsa_system_sgpr_workgroup_info 0
		.amdhsa_system_vgpr_workitem_id 0
		.amdhsa_next_free_vgpr 1
		.amdhsa_next_free_sgpr 1
		.amdhsa_reserve_vcc 0
		.amdhsa_float_round_mode_32 0
		.amdhsa_float_round_mode_16_64 0
		.amdhsa_float_denorm_mode_32 3
		.amdhsa_float_denorm_mode_16_64 3
		.amdhsa_dx10_clamp 1
		.amdhsa_ieee_mode 1
		.amdhsa_fp16_overflow 0
		.amdhsa_workgroup_processor_mode 1
		.amdhsa_memory_ordered 1
		.amdhsa_forward_progress 0
		.amdhsa_shared_vgpr_count 0
		.amdhsa_exception_fp_ieee_invalid_op 0
		.amdhsa_exception_fp_denorm_src 0
		.amdhsa_exception_fp_ieee_div_zero 0
		.amdhsa_exception_fp_ieee_overflow 0
		.amdhsa_exception_fp_ieee_underflow 0
		.amdhsa_exception_fp_ieee_inexact 0
		.amdhsa_exception_int_div_zero 0
	.end_amdhsa_kernel
	.section	.text._ZN7rocprim17ROCPRIM_400000_NS6detail17trampoline_kernelINS0_14default_configENS1_25partition_config_selectorILNS1_17partition_subalgoE9ExxbEEZZNS1_14partition_implILS5_9ELb0ES3_jN6thrust23THRUST_200600_302600_NS6detail15normal_iteratorINS9_10device_ptrIxEEEESE_PNS0_10empty_typeENS0_5tupleIJSE_SF_EEENSH_IJSE_SG_EEENS0_18inequality_wrapperI22is_equal_div_10_uniqueIxEEEPmJSF_EEE10hipError_tPvRmT3_T4_T5_T6_T7_T9_mT8_P12ihipStream_tbDpT10_ENKUlT_T0_E_clISt17integral_constantIbLb1EES18_EEDaS13_S14_EUlS13_E_NS1_11comp_targetILNS1_3genE5ELNS1_11target_archE942ELNS1_3gpuE9ELNS1_3repE0EEENS1_30default_config_static_selectorELNS0_4arch9wavefront6targetE0EEEvT1_,"axG",@progbits,_ZN7rocprim17ROCPRIM_400000_NS6detail17trampoline_kernelINS0_14default_configENS1_25partition_config_selectorILNS1_17partition_subalgoE9ExxbEEZZNS1_14partition_implILS5_9ELb0ES3_jN6thrust23THRUST_200600_302600_NS6detail15normal_iteratorINS9_10device_ptrIxEEEESE_PNS0_10empty_typeENS0_5tupleIJSE_SF_EEENSH_IJSE_SG_EEENS0_18inequality_wrapperI22is_equal_div_10_uniqueIxEEEPmJSF_EEE10hipError_tPvRmT3_T4_T5_T6_T7_T9_mT8_P12ihipStream_tbDpT10_ENKUlT_T0_E_clISt17integral_constantIbLb1EES18_EEDaS13_S14_EUlS13_E_NS1_11comp_targetILNS1_3genE5ELNS1_11target_archE942ELNS1_3gpuE9ELNS1_3repE0EEENS1_30default_config_static_selectorELNS0_4arch9wavefront6targetE0EEEvT1_,comdat
.Lfunc_end381:
	.size	_ZN7rocprim17ROCPRIM_400000_NS6detail17trampoline_kernelINS0_14default_configENS1_25partition_config_selectorILNS1_17partition_subalgoE9ExxbEEZZNS1_14partition_implILS5_9ELb0ES3_jN6thrust23THRUST_200600_302600_NS6detail15normal_iteratorINS9_10device_ptrIxEEEESE_PNS0_10empty_typeENS0_5tupleIJSE_SF_EEENSH_IJSE_SG_EEENS0_18inequality_wrapperI22is_equal_div_10_uniqueIxEEEPmJSF_EEE10hipError_tPvRmT3_T4_T5_T6_T7_T9_mT8_P12ihipStream_tbDpT10_ENKUlT_T0_E_clISt17integral_constantIbLb1EES18_EEDaS13_S14_EUlS13_E_NS1_11comp_targetILNS1_3genE5ELNS1_11target_archE942ELNS1_3gpuE9ELNS1_3repE0EEENS1_30default_config_static_selectorELNS0_4arch9wavefront6targetE0EEEvT1_, .Lfunc_end381-_ZN7rocprim17ROCPRIM_400000_NS6detail17trampoline_kernelINS0_14default_configENS1_25partition_config_selectorILNS1_17partition_subalgoE9ExxbEEZZNS1_14partition_implILS5_9ELb0ES3_jN6thrust23THRUST_200600_302600_NS6detail15normal_iteratorINS9_10device_ptrIxEEEESE_PNS0_10empty_typeENS0_5tupleIJSE_SF_EEENSH_IJSE_SG_EEENS0_18inequality_wrapperI22is_equal_div_10_uniqueIxEEEPmJSF_EEE10hipError_tPvRmT3_T4_T5_T6_T7_T9_mT8_P12ihipStream_tbDpT10_ENKUlT_T0_E_clISt17integral_constantIbLb1EES18_EEDaS13_S14_EUlS13_E_NS1_11comp_targetILNS1_3genE5ELNS1_11target_archE942ELNS1_3gpuE9ELNS1_3repE0EEENS1_30default_config_static_selectorELNS0_4arch9wavefront6targetE0EEEvT1_
                                        ; -- End function
	.section	.AMDGPU.csdata,"",@progbits
; Kernel info:
; codeLenInByte = 0
; NumSgprs: 0
; NumVgprs: 0
; ScratchSize: 0
; MemoryBound: 0
; FloatMode: 240
; IeeeMode: 1
; LDSByteSize: 0 bytes/workgroup (compile time only)
; SGPRBlocks: 0
; VGPRBlocks: 0
; NumSGPRsForWavesPerEU: 1
; NumVGPRsForWavesPerEU: 1
; Occupancy: 16
; WaveLimiterHint : 0
; COMPUTE_PGM_RSRC2:SCRATCH_EN: 0
; COMPUTE_PGM_RSRC2:USER_SGPR: 15
; COMPUTE_PGM_RSRC2:TRAP_HANDLER: 0
; COMPUTE_PGM_RSRC2:TGID_X_EN: 1
; COMPUTE_PGM_RSRC2:TGID_Y_EN: 0
; COMPUTE_PGM_RSRC2:TGID_Z_EN: 0
; COMPUTE_PGM_RSRC2:TIDIG_COMP_CNT: 0
	.section	.text._ZN7rocprim17ROCPRIM_400000_NS6detail17trampoline_kernelINS0_14default_configENS1_25partition_config_selectorILNS1_17partition_subalgoE9ExxbEEZZNS1_14partition_implILS5_9ELb0ES3_jN6thrust23THRUST_200600_302600_NS6detail15normal_iteratorINS9_10device_ptrIxEEEESE_PNS0_10empty_typeENS0_5tupleIJSE_SF_EEENSH_IJSE_SG_EEENS0_18inequality_wrapperI22is_equal_div_10_uniqueIxEEEPmJSF_EEE10hipError_tPvRmT3_T4_T5_T6_T7_T9_mT8_P12ihipStream_tbDpT10_ENKUlT_T0_E_clISt17integral_constantIbLb1EES18_EEDaS13_S14_EUlS13_E_NS1_11comp_targetILNS1_3genE4ELNS1_11target_archE910ELNS1_3gpuE8ELNS1_3repE0EEENS1_30default_config_static_selectorELNS0_4arch9wavefront6targetE0EEEvT1_,"axG",@progbits,_ZN7rocprim17ROCPRIM_400000_NS6detail17trampoline_kernelINS0_14default_configENS1_25partition_config_selectorILNS1_17partition_subalgoE9ExxbEEZZNS1_14partition_implILS5_9ELb0ES3_jN6thrust23THRUST_200600_302600_NS6detail15normal_iteratorINS9_10device_ptrIxEEEESE_PNS0_10empty_typeENS0_5tupleIJSE_SF_EEENSH_IJSE_SG_EEENS0_18inequality_wrapperI22is_equal_div_10_uniqueIxEEEPmJSF_EEE10hipError_tPvRmT3_T4_T5_T6_T7_T9_mT8_P12ihipStream_tbDpT10_ENKUlT_T0_E_clISt17integral_constantIbLb1EES18_EEDaS13_S14_EUlS13_E_NS1_11comp_targetILNS1_3genE4ELNS1_11target_archE910ELNS1_3gpuE8ELNS1_3repE0EEENS1_30default_config_static_selectorELNS0_4arch9wavefront6targetE0EEEvT1_,comdat
	.protected	_ZN7rocprim17ROCPRIM_400000_NS6detail17trampoline_kernelINS0_14default_configENS1_25partition_config_selectorILNS1_17partition_subalgoE9ExxbEEZZNS1_14partition_implILS5_9ELb0ES3_jN6thrust23THRUST_200600_302600_NS6detail15normal_iteratorINS9_10device_ptrIxEEEESE_PNS0_10empty_typeENS0_5tupleIJSE_SF_EEENSH_IJSE_SG_EEENS0_18inequality_wrapperI22is_equal_div_10_uniqueIxEEEPmJSF_EEE10hipError_tPvRmT3_T4_T5_T6_T7_T9_mT8_P12ihipStream_tbDpT10_ENKUlT_T0_E_clISt17integral_constantIbLb1EES18_EEDaS13_S14_EUlS13_E_NS1_11comp_targetILNS1_3genE4ELNS1_11target_archE910ELNS1_3gpuE8ELNS1_3repE0EEENS1_30default_config_static_selectorELNS0_4arch9wavefront6targetE0EEEvT1_ ; -- Begin function _ZN7rocprim17ROCPRIM_400000_NS6detail17trampoline_kernelINS0_14default_configENS1_25partition_config_selectorILNS1_17partition_subalgoE9ExxbEEZZNS1_14partition_implILS5_9ELb0ES3_jN6thrust23THRUST_200600_302600_NS6detail15normal_iteratorINS9_10device_ptrIxEEEESE_PNS0_10empty_typeENS0_5tupleIJSE_SF_EEENSH_IJSE_SG_EEENS0_18inequality_wrapperI22is_equal_div_10_uniqueIxEEEPmJSF_EEE10hipError_tPvRmT3_T4_T5_T6_T7_T9_mT8_P12ihipStream_tbDpT10_ENKUlT_T0_E_clISt17integral_constantIbLb1EES18_EEDaS13_S14_EUlS13_E_NS1_11comp_targetILNS1_3genE4ELNS1_11target_archE910ELNS1_3gpuE8ELNS1_3repE0EEENS1_30default_config_static_selectorELNS0_4arch9wavefront6targetE0EEEvT1_
	.globl	_ZN7rocprim17ROCPRIM_400000_NS6detail17trampoline_kernelINS0_14default_configENS1_25partition_config_selectorILNS1_17partition_subalgoE9ExxbEEZZNS1_14partition_implILS5_9ELb0ES3_jN6thrust23THRUST_200600_302600_NS6detail15normal_iteratorINS9_10device_ptrIxEEEESE_PNS0_10empty_typeENS0_5tupleIJSE_SF_EEENSH_IJSE_SG_EEENS0_18inequality_wrapperI22is_equal_div_10_uniqueIxEEEPmJSF_EEE10hipError_tPvRmT3_T4_T5_T6_T7_T9_mT8_P12ihipStream_tbDpT10_ENKUlT_T0_E_clISt17integral_constantIbLb1EES18_EEDaS13_S14_EUlS13_E_NS1_11comp_targetILNS1_3genE4ELNS1_11target_archE910ELNS1_3gpuE8ELNS1_3repE0EEENS1_30default_config_static_selectorELNS0_4arch9wavefront6targetE0EEEvT1_
	.p2align	8
	.type	_ZN7rocprim17ROCPRIM_400000_NS6detail17trampoline_kernelINS0_14default_configENS1_25partition_config_selectorILNS1_17partition_subalgoE9ExxbEEZZNS1_14partition_implILS5_9ELb0ES3_jN6thrust23THRUST_200600_302600_NS6detail15normal_iteratorINS9_10device_ptrIxEEEESE_PNS0_10empty_typeENS0_5tupleIJSE_SF_EEENSH_IJSE_SG_EEENS0_18inequality_wrapperI22is_equal_div_10_uniqueIxEEEPmJSF_EEE10hipError_tPvRmT3_T4_T5_T6_T7_T9_mT8_P12ihipStream_tbDpT10_ENKUlT_T0_E_clISt17integral_constantIbLb1EES18_EEDaS13_S14_EUlS13_E_NS1_11comp_targetILNS1_3genE4ELNS1_11target_archE910ELNS1_3gpuE8ELNS1_3repE0EEENS1_30default_config_static_selectorELNS0_4arch9wavefront6targetE0EEEvT1_,@function
_ZN7rocprim17ROCPRIM_400000_NS6detail17trampoline_kernelINS0_14default_configENS1_25partition_config_selectorILNS1_17partition_subalgoE9ExxbEEZZNS1_14partition_implILS5_9ELb0ES3_jN6thrust23THRUST_200600_302600_NS6detail15normal_iteratorINS9_10device_ptrIxEEEESE_PNS0_10empty_typeENS0_5tupleIJSE_SF_EEENSH_IJSE_SG_EEENS0_18inequality_wrapperI22is_equal_div_10_uniqueIxEEEPmJSF_EEE10hipError_tPvRmT3_T4_T5_T6_T7_T9_mT8_P12ihipStream_tbDpT10_ENKUlT_T0_E_clISt17integral_constantIbLb1EES18_EEDaS13_S14_EUlS13_E_NS1_11comp_targetILNS1_3genE4ELNS1_11target_archE910ELNS1_3gpuE8ELNS1_3repE0EEENS1_30default_config_static_selectorELNS0_4arch9wavefront6targetE0EEEvT1_: ; @_ZN7rocprim17ROCPRIM_400000_NS6detail17trampoline_kernelINS0_14default_configENS1_25partition_config_selectorILNS1_17partition_subalgoE9ExxbEEZZNS1_14partition_implILS5_9ELb0ES3_jN6thrust23THRUST_200600_302600_NS6detail15normal_iteratorINS9_10device_ptrIxEEEESE_PNS0_10empty_typeENS0_5tupleIJSE_SF_EEENSH_IJSE_SG_EEENS0_18inequality_wrapperI22is_equal_div_10_uniqueIxEEEPmJSF_EEE10hipError_tPvRmT3_T4_T5_T6_T7_T9_mT8_P12ihipStream_tbDpT10_ENKUlT_T0_E_clISt17integral_constantIbLb1EES18_EEDaS13_S14_EUlS13_E_NS1_11comp_targetILNS1_3genE4ELNS1_11target_archE910ELNS1_3gpuE8ELNS1_3repE0EEENS1_30default_config_static_selectorELNS0_4arch9wavefront6targetE0EEEvT1_
; %bb.0:
	.section	.rodata,"a",@progbits
	.p2align	6, 0x0
	.amdhsa_kernel _ZN7rocprim17ROCPRIM_400000_NS6detail17trampoline_kernelINS0_14default_configENS1_25partition_config_selectorILNS1_17partition_subalgoE9ExxbEEZZNS1_14partition_implILS5_9ELb0ES3_jN6thrust23THRUST_200600_302600_NS6detail15normal_iteratorINS9_10device_ptrIxEEEESE_PNS0_10empty_typeENS0_5tupleIJSE_SF_EEENSH_IJSE_SG_EEENS0_18inequality_wrapperI22is_equal_div_10_uniqueIxEEEPmJSF_EEE10hipError_tPvRmT3_T4_T5_T6_T7_T9_mT8_P12ihipStream_tbDpT10_ENKUlT_T0_E_clISt17integral_constantIbLb1EES18_EEDaS13_S14_EUlS13_E_NS1_11comp_targetILNS1_3genE4ELNS1_11target_archE910ELNS1_3gpuE8ELNS1_3repE0EEENS1_30default_config_static_selectorELNS0_4arch9wavefront6targetE0EEEvT1_
		.amdhsa_group_segment_fixed_size 0
		.amdhsa_private_segment_fixed_size 0
		.amdhsa_kernarg_size 128
		.amdhsa_user_sgpr_count 15
		.amdhsa_user_sgpr_dispatch_ptr 0
		.amdhsa_user_sgpr_queue_ptr 0
		.amdhsa_user_sgpr_kernarg_segment_ptr 1
		.amdhsa_user_sgpr_dispatch_id 0
		.amdhsa_user_sgpr_private_segment_size 0
		.amdhsa_wavefront_size32 1
		.amdhsa_uses_dynamic_stack 0
		.amdhsa_enable_private_segment 0
		.amdhsa_system_sgpr_workgroup_id_x 1
		.amdhsa_system_sgpr_workgroup_id_y 0
		.amdhsa_system_sgpr_workgroup_id_z 0
		.amdhsa_system_sgpr_workgroup_info 0
		.amdhsa_system_vgpr_workitem_id 0
		.amdhsa_next_free_vgpr 1
		.amdhsa_next_free_sgpr 1
		.amdhsa_reserve_vcc 0
		.amdhsa_float_round_mode_32 0
		.amdhsa_float_round_mode_16_64 0
		.amdhsa_float_denorm_mode_32 3
		.amdhsa_float_denorm_mode_16_64 3
		.amdhsa_dx10_clamp 1
		.amdhsa_ieee_mode 1
		.amdhsa_fp16_overflow 0
		.amdhsa_workgroup_processor_mode 1
		.amdhsa_memory_ordered 1
		.amdhsa_forward_progress 0
		.amdhsa_shared_vgpr_count 0
		.amdhsa_exception_fp_ieee_invalid_op 0
		.amdhsa_exception_fp_denorm_src 0
		.amdhsa_exception_fp_ieee_div_zero 0
		.amdhsa_exception_fp_ieee_overflow 0
		.amdhsa_exception_fp_ieee_underflow 0
		.amdhsa_exception_fp_ieee_inexact 0
		.amdhsa_exception_int_div_zero 0
	.end_amdhsa_kernel
	.section	.text._ZN7rocprim17ROCPRIM_400000_NS6detail17trampoline_kernelINS0_14default_configENS1_25partition_config_selectorILNS1_17partition_subalgoE9ExxbEEZZNS1_14partition_implILS5_9ELb0ES3_jN6thrust23THRUST_200600_302600_NS6detail15normal_iteratorINS9_10device_ptrIxEEEESE_PNS0_10empty_typeENS0_5tupleIJSE_SF_EEENSH_IJSE_SG_EEENS0_18inequality_wrapperI22is_equal_div_10_uniqueIxEEEPmJSF_EEE10hipError_tPvRmT3_T4_T5_T6_T7_T9_mT8_P12ihipStream_tbDpT10_ENKUlT_T0_E_clISt17integral_constantIbLb1EES18_EEDaS13_S14_EUlS13_E_NS1_11comp_targetILNS1_3genE4ELNS1_11target_archE910ELNS1_3gpuE8ELNS1_3repE0EEENS1_30default_config_static_selectorELNS0_4arch9wavefront6targetE0EEEvT1_,"axG",@progbits,_ZN7rocprim17ROCPRIM_400000_NS6detail17trampoline_kernelINS0_14default_configENS1_25partition_config_selectorILNS1_17partition_subalgoE9ExxbEEZZNS1_14partition_implILS5_9ELb0ES3_jN6thrust23THRUST_200600_302600_NS6detail15normal_iteratorINS9_10device_ptrIxEEEESE_PNS0_10empty_typeENS0_5tupleIJSE_SF_EEENSH_IJSE_SG_EEENS0_18inequality_wrapperI22is_equal_div_10_uniqueIxEEEPmJSF_EEE10hipError_tPvRmT3_T4_T5_T6_T7_T9_mT8_P12ihipStream_tbDpT10_ENKUlT_T0_E_clISt17integral_constantIbLb1EES18_EEDaS13_S14_EUlS13_E_NS1_11comp_targetILNS1_3genE4ELNS1_11target_archE910ELNS1_3gpuE8ELNS1_3repE0EEENS1_30default_config_static_selectorELNS0_4arch9wavefront6targetE0EEEvT1_,comdat
.Lfunc_end382:
	.size	_ZN7rocprim17ROCPRIM_400000_NS6detail17trampoline_kernelINS0_14default_configENS1_25partition_config_selectorILNS1_17partition_subalgoE9ExxbEEZZNS1_14partition_implILS5_9ELb0ES3_jN6thrust23THRUST_200600_302600_NS6detail15normal_iteratorINS9_10device_ptrIxEEEESE_PNS0_10empty_typeENS0_5tupleIJSE_SF_EEENSH_IJSE_SG_EEENS0_18inequality_wrapperI22is_equal_div_10_uniqueIxEEEPmJSF_EEE10hipError_tPvRmT3_T4_T5_T6_T7_T9_mT8_P12ihipStream_tbDpT10_ENKUlT_T0_E_clISt17integral_constantIbLb1EES18_EEDaS13_S14_EUlS13_E_NS1_11comp_targetILNS1_3genE4ELNS1_11target_archE910ELNS1_3gpuE8ELNS1_3repE0EEENS1_30default_config_static_selectorELNS0_4arch9wavefront6targetE0EEEvT1_, .Lfunc_end382-_ZN7rocprim17ROCPRIM_400000_NS6detail17trampoline_kernelINS0_14default_configENS1_25partition_config_selectorILNS1_17partition_subalgoE9ExxbEEZZNS1_14partition_implILS5_9ELb0ES3_jN6thrust23THRUST_200600_302600_NS6detail15normal_iteratorINS9_10device_ptrIxEEEESE_PNS0_10empty_typeENS0_5tupleIJSE_SF_EEENSH_IJSE_SG_EEENS0_18inequality_wrapperI22is_equal_div_10_uniqueIxEEEPmJSF_EEE10hipError_tPvRmT3_T4_T5_T6_T7_T9_mT8_P12ihipStream_tbDpT10_ENKUlT_T0_E_clISt17integral_constantIbLb1EES18_EEDaS13_S14_EUlS13_E_NS1_11comp_targetILNS1_3genE4ELNS1_11target_archE910ELNS1_3gpuE8ELNS1_3repE0EEENS1_30default_config_static_selectorELNS0_4arch9wavefront6targetE0EEEvT1_
                                        ; -- End function
	.section	.AMDGPU.csdata,"",@progbits
; Kernel info:
; codeLenInByte = 0
; NumSgprs: 0
; NumVgprs: 0
; ScratchSize: 0
; MemoryBound: 0
; FloatMode: 240
; IeeeMode: 1
; LDSByteSize: 0 bytes/workgroup (compile time only)
; SGPRBlocks: 0
; VGPRBlocks: 0
; NumSGPRsForWavesPerEU: 1
; NumVGPRsForWavesPerEU: 1
; Occupancy: 16
; WaveLimiterHint : 0
; COMPUTE_PGM_RSRC2:SCRATCH_EN: 0
; COMPUTE_PGM_RSRC2:USER_SGPR: 15
; COMPUTE_PGM_RSRC2:TRAP_HANDLER: 0
; COMPUTE_PGM_RSRC2:TGID_X_EN: 1
; COMPUTE_PGM_RSRC2:TGID_Y_EN: 0
; COMPUTE_PGM_RSRC2:TGID_Z_EN: 0
; COMPUTE_PGM_RSRC2:TIDIG_COMP_CNT: 0
	.section	.text._ZN7rocprim17ROCPRIM_400000_NS6detail17trampoline_kernelINS0_14default_configENS1_25partition_config_selectorILNS1_17partition_subalgoE9ExxbEEZZNS1_14partition_implILS5_9ELb0ES3_jN6thrust23THRUST_200600_302600_NS6detail15normal_iteratorINS9_10device_ptrIxEEEESE_PNS0_10empty_typeENS0_5tupleIJSE_SF_EEENSH_IJSE_SG_EEENS0_18inequality_wrapperI22is_equal_div_10_uniqueIxEEEPmJSF_EEE10hipError_tPvRmT3_T4_T5_T6_T7_T9_mT8_P12ihipStream_tbDpT10_ENKUlT_T0_E_clISt17integral_constantIbLb1EES18_EEDaS13_S14_EUlS13_E_NS1_11comp_targetILNS1_3genE3ELNS1_11target_archE908ELNS1_3gpuE7ELNS1_3repE0EEENS1_30default_config_static_selectorELNS0_4arch9wavefront6targetE0EEEvT1_,"axG",@progbits,_ZN7rocprim17ROCPRIM_400000_NS6detail17trampoline_kernelINS0_14default_configENS1_25partition_config_selectorILNS1_17partition_subalgoE9ExxbEEZZNS1_14partition_implILS5_9ELb0ES3_jN6thrust23THRUST_200600_302600_NS6detail15normal_iteratorINS9_10device_ptrIxEEEESE_PNS0_10empty_typeENS0_5tupleIJSE_SF_EEENSH_IJSE_SG_EEENS0_18inequality_wrapperI22is_equal_div_10_uniqueIxEEEPmJSF_EEE10hipError_tPvRmT3_T4_T5_T6_T7_T9_mT8_P12ihipStream_tbDpT10_ENKUlT_T0_E_clISt17integral_constantIbLb1EES18_EEDaS13_S14_EUlS13_E_NS1_11comp_targetILNS1_3genE3ELNS1_11target_archE908ELNS1_3gpuE7ELNS1_3repE0EEENS1_30default_config_static_selectorELNS0_4arch9wavefront6targetE0EEEvT1_,comdat
	.protected	_ZN7rocprim17ROCPRIM_400000_NS6detail17trampoline_kernelINS0_14default_configENS1_25partition_config_selectorILNS1_17partition_subalgoE9ExxbEEZZNS1_14partition_implILS5_9ELb0ES3_jN6thrust23THRUST_200600_302600_NS6detail15normal_iteratorINS9_10device_ptrIxEEEESE_PNS0_10empty_typeENS0_5tupleIJSE_SF_EEENSH_IJSE_SG_EEENS0_18inequality_wrapperI22is_equal_div_10_uniqueIxEEEPmJSF_EEE10hipError_tPvRmT3_T4_T5_T6_T7_T9_mT8_P12ihipStream_tbDpT10_ENKUlT_T0_E_clISt17integral_constantIbLb1EES18_EEDaS13_S14_EUlS13_E_NS1_11comp_targetILNS1_3genE3ELNS1_11target_archE908ELNS1_3gpuE7ELNS1_3repE0EEENS1_30default_config_static_selectorELNS0_4arch9wavefront6targetE0EEEvT1_ ; -- Begin function _ZN7rocprim17ROCPRIM_400000_NS6detail17trampoline_kernelINS0_14default_configENS1_25partition_config_selectorILNS1_17partition_subalgoE9ExxbEEZZNS1_14partition_implILS5_9ELb0ES3_jN6thrust23THRUST_200600_302600_NS6detail15normal_iteratorINS9_10device_ptrIxEEEESE_PNS0_10empty_typeENS0_5tupleIJSE_SF_EEENSH_IJSE_SG_EEENS0_18inequality_wrapperI22is_equal_div_10_uniqueIxEEEPmJSF_EEE10hipError_tPvRmT3_T4_T5_T6_T7_T9_mT8_P12ihipStream_tbDpT10_ENKUlT_T0_E_clISt17integral_constantIbLb1EES18_EEDaS13_S14_EUlS13_E_NS1_11comp_targetILNS1_3genE3ELNS1_11target_archE908ELNS1_3gpuE7ELNS1_3repE0EEENS1_30default_config_static_selectorELNS0_4arch9wavefront6targetE0EEEvT1_
	.globl	_ZN7rocprim17ROCPRIM_400000_NS6detail17trampoline_kernelINS0_14default_configENS1_25partition_config_selectorILNS1_17partition_subalgoE9ExxbEEZZNS1_14partition_implILS5_9ELb0ES3_jN6thrust23THRUST_200600_302600_NS6detail15normal_iteratorINS9_10device_ptrIxEEEESE_PNS0_10empty_typeENS0_5tupleIJSE_SF_EEENSH_IJSE_SG_EEENS0_18inequality_wrapperI22is_equal_div_10_uniqueIxEEEPmJSF_EEE10hipError_tPvRmT3_T4_T5_T6_T7_T9_mT8_P12ihipStream_tbDpT10_ENKUlT_T0_E_clISt17integral_constantIbLb1EES18_EEDaS13_S14_EUlS13_E_NS1_11comp_targetILNS1_3genE3ELNS1_11target_archE908ELNS1_3gpuE7ELNS1_3repE0EEENS1_30default_config_static_selectorELNS0_4arch9wavefront6targetE0EEEvT1_
	.p2align	8
	.type	_ZN7rocprim17ROCPRIM_400000_NS6detail17trampoline_kernelINS0_14default_configENS1_25partition_config_selectorILNS1_17partition_subalgoE9ExxbEEZZNS1_14partition_implILS5_9ELb0ES3_jN6thrust23THRUST_200600_302600_NS6detail15normal_iteratorINS9_10device_ptrIxEEEESE_PNS0_10empty_typeENS0_5tupleIJSE_SF_EEENSH_IJSE_SG_EEENS0_18inequality_wrapperI22is_equal_div_10_uniqueIxEEEPmJSF_EEE10hipError_tPvRmT3_T4_T5_T6_T7_T9_mT8_P12ihipStream_tbDpT10_ENKUlT_T0_E_clISt17integral_constantIbLb1EES18_EEDaS13_S14_EUlS13_E_NS1_11comp_targetILNS1_3genE3ELNS1_11target_archE908ELNS1_3gpuE7ELNS1_3repE0EEENS1_30default_config_static_selectorELNS0_4arch9wavefront6targetE0EEEvT1_,@function
_ZN7rocprim17ROCPRIM_400000_NS6detail17trampoline_kernelINS0_14default_configENS1_25partition_config_selectorILNS1_17partition_subalgoE9ExxbEEZZNS1_14partition_implILS5_9ELb0ES3_jN6thrust23THRUST_200600_302600_NS6detail15normal_iteratorINS9_10device_ptrIxEEEESE_PNS0_10empty_typeENS0_5tupleIJSE_SF_EEENSH_IJSE_SG_EEENS0_18inequality_wrapperI22is_equal_div_10_uniqueIxEEEPmJSF_EEE10hipError_tPvRmT3_T4_T5_T6_T7_T9_mT8_P12ihipStream_tbDpT10_ENKUlT_T0_E_clISt17integral_constantIbLb1EES18_EEDaS13_S14_EUlS13_E_NS1_11comp_targetILNS1_3genE3ELNS1_11target_archE908ELNS1_3gpuE7ELNS1_3repE0EEENS1_30default_config_static_selectorELNS0_4arch9wavefront6targetE0EEEvT1_: ; @_ZN7rocprim17ROCPRIM_400000_NS6detail17trampoline_kernelINS0_14default_configENS1_25partition_config_selectorILNS1_17partition_subalgoE9ExxbEEZZNS1_14partition_implILS5_9ELb0ES3_jN6thrust23THRUST_200600_302600_NS6detail15normal_iteratorINS9_10device_ptrIxEEEESE_PNS0_10empty_typeENS0_5tupleIJSE_SF_EEENSH_IJSE_SG_EEENS0_18inequality_wrapperI22is_equal_div_10_uniqueIxEEEPmJSF_EEE10hipError_tPvRmT3_T4_T5_T6_T7_T9_mT8_P12ihipStream_tbDpT10_ENKUlT_T0_E_clISt17integral_constantIbLb1EES18_EEDaS13_S14_EUlS13_E_NS1_11comp_targetILNS1_3genE3ELNS1_11target_archE908ELNS1_3gpuE7ELNS1_3repE0EEENS1_30default_config_static_selectorELNS0_4arch9wavefront6targetE0EEEvT1_
; %bb.0:
	.section	.rodata,"a",@progbits
	.p2align	6, 0x0
	.amdhsa_kernel _ZN7rocprim17ROCPRIM_400000_NS6detail17trampoline_kernelINS0_14default_configENS1_25partition_config_selectorILNS1_17partition_subalgoE9ExxbEEZZNS1_14partition_implILS5_9ELb0ES3_jN6thrust23THRUST_200600_302600_NS6detail15normal_iteratorINS9_10device_ptrIxEEEESE_PNS0_10empty_typeENS0_5tupleIJSE_SF_EEENSH_IJSE_SG_EEENS0_18inequality_wrapperI22is_equal_div_10_uniqueIxEEEPmJSF_EEE10hipError_tPvRmT3_T4_T5_T6_T7_T9_mT8_P12ihipStream_tbDpT10_ENKUlT_T0_E_clISt17integral_constantIbLb1EES18_EEDaS13_S14_EUlS13_E_NS1_11comp_targetILNS1_3genE3ELNS1_11target_archE908ELNS1_3gpuE7ELNS1_3repE0EEENS1_30default_config_static_selectorELNS0_4arch9wavefront6targetE0EEEvT1_
		.amdhsa_group_segment_fixed_size 0
		.amdhsa_private_segment_fixed_size 0
		.amdhsa_kernarg_size 128
		.amdhsa_user_sgpr_count 15
		.amdhsa_user_sgpr_dispatch_ptr 0
		.amdhsa_user_sgpr_queue_ptr 0
		.amdhsa_user_sgpr_kernarg_segment_ptr 1
		.amdhsa_user_sgpr_dispatch_id 0
		.amdhsa_user_sgpr_private_segment_size 0
		.amdhsa_wavefront_size32 1
		.amdhsa_uses_dynamic_stack 0
		.amdhsa_enable_private_segment 0
		.amdhsa_system_sgpr_workgroup_id_x 1
		.amdhsa_system_sgpr_workgroup_id_y 0
		.amdhsa_system_sgpr_workgroup_id_z 0
		.amdhsa_system_sgpr_workgroup_info 0
		.amdhsa_system_vgpr_workitem_id 0
		.amdhsa_next_free_vgpr 1
		.amdhsa_next_free_sgpr 1
		.amdhsa_reserve_vcc 0
		.amdhsa_float_round_mode_32 0
		.amdhsa_float_round_mode_16_64 0
		.amdhsa_float_denorm_mode_32 3
		.amdhsa_float_denorm_mode_16_64 3
		.amdhsa_dx10_clamp 1
		.amdhsa_ieee_mode 1
		.amdhsa_fp16_overflow 0
		.amdhsa_workgroup_processor_mode 1
		.amdhsa_memory_ordered 1
		.amdhsa_forward_progress 0
		.amdhsa_shared_vgpr_count 0
		.amdhsa_exception_fp_ieee_invalid_op 0
		.amdhsa_exception_fp_denorm_src 0
		.amdhsa_exception_fp_ieee_div_zero 0
		.amdhsa_exception_fp_ieee_overflow 0
		.amdhsa_exception_fp_ieee_underflow 0
		.amdhsa_exception_fp_ieee_inexact 0
		.amdhsa_exception_int_div_zero 0
	.end_amdhsa_kernel
	.section	.text._ZN7rocprim17ROCPRIM_400000_NS6detail17trampoline_kernelINS0_14default_configENS1_25partition_config_selectorILNS1_17partition_subalgoE9ExxbEEZZNS1_14partition_implILS5_9ELb0ES3_jN6thrust23THRUST_200600_302600_NS6detail15normal_iteratorINS9_10device_ptrIxEEEESE_PNS0_10empty_typeENS0_5tupleIJSE_SF_EEENSH_IJSE_SG_EEENS0_18inequality_wrapperI22is_equal_div_10_uniqueIxEEEPmJSF_EEE10hipError_tPvRmT3_T4_T5_T6_T7_T9_mT8_P12ihipStream_tbDpT10_ENKUlT_T0_E_clISt17integral_constantIbLb1EES18_EEDaS13_S14_EUlS13_E_NS1_11comp_targetILNS1_3genE3ELNS1_11target_archE908ELNS1_3gpuE7ELNS1_3repE0EEENS1_30default_config_static_selectorELNS0_4arch9wavefront6targetE0EEEvT1_,"axG",@progbits,_ZN7rocprim17ROCPRIM_400000_NS6detail17trampoline_kernelINS0_14default_configENS1_25partition_config_selectorILNS1_17partition_subalgoE9ExxbEEZZNS1_14partition_implILS5_9ELb0ES3_jN6thrust23THRUST_200600_302600_NS6detail15normal_iteratorINS9_10device_ptrIxEEEESE_PNS0_10empty_typeENS0_5tupleIJSE_SF_EEENSH_IJSE_SG_EEENS0_18inequality_wrapperI22is_equal_div_10_uniqueIxEEEPmJSF_EEE10hipError_tPvRmT3_T4_T5_T6_T7_T9_mT8_P12ihipStream_tbDpT10_ENKUlT_T0_E_clISt17integral_constantIbLb1EES18_EEDaS13_S14_EUlS13_E_NS1_11comp_targetILNS1_3genE3ELNS1_11target_archE908ELNS1_3gpuE7ELNS1_3repE0EEENS1_30default_config_static_selectorELNS0_4arch9wavefront6targetE0EEEvT1_,comdat
.Lfunc_end383:
	.size	_ZN7rocprim17ROCPRIM_400000_NS6detail17trampoline_kernelINS0_14default_configENS1_25partition_config_selectorILNS1_17partition_subalgoE9ExxbEEZZNS1_14partition_implILS5_9ELb0ES3_jN6thrust23THRUST_200600_302600_NS6detail15normal_iteratorINS9_10device_ptrIxEEEESE_PNS0_10empty_typeENS0_5tupleIJSE_SF_EEENSH_IJSE_SG_EEENS0_18inequality_wrapperI22is_equal_div_10_uniqueIxEEEPmJSF_EEE10hipError_tPvRmT3_T4_T5_T6_T7_T9_mT8_P12ihipStream_tbDpT10_ENKUlT_T0_E_clISt17integral_constantIbLb1EES18_EEDaS13_S14_EUlS13_E_NS1_11comp_targetILNS1_3genE3ELNS1_11target_archE908ELNS1_3gpuE7ELNS1_3repE0EEENS1_30default_config_static_selectorELNS0_4arch9wavefront6targetE0EEEvT1_, .Lfunc_end383-_ZN7rocprim17ROCPRIM_400000_NS6detail17trampoline_kernelINS0_14default_configENS1_25partition_config_selectorILNS1_17partition_subalgoE9ExxbEEZZNS1_14partition_implILS5_9ELb0ES3_jN6thrust23THRUST_200600_302600_NS6detail15normal_iteratorINS9_10device_ptrIxEEEESE_PNS0_10empty_typeENS0_5tupleIJSE_SF_EEENSH_IJSE_SG_EEENS0_18inequality_wrapperI22is_equal_div_10_uniqueIxEEEPmJSF_EEE10hipError_tPvRmT3_T4_T5_T6_T7_T9_mT8_P12ihipStream_tbDpT10_ENKUlT_T0_E_clISt17integral_constantIbLb1EES18_EEDaS13_S14_EUlS13_E_NS1_11comp_targetILNS1_3genE3ELNS1_11target_archE908ELNS1_3gpuE7ELNS1_3repE0EEENS1_30default_config_static_selectorELNS0_4arch9wavefront6targetE0EEEvT1_
                                        ; -- End function
	.section	.AMDGPU.csdata,"",@progbits
; Kernel info:
; codeLenInByte = 0
; NumSgprs: 0
; NumVgprs: 0
; ScratchSize: 0
; MemoryBound: 0
; FloatMode: 240
; IeeeMode: 1
; LDSByteSize: 0 bytes/workgroup (compile time only)
; SGPRBlocks: 0
; VGPRBlocks: 0
; NumSGPRsForWavesPerEU: 1
; NumVGPRsForWavesPerEU: 1
; Occupancy: 16
; WaveLimiterHint : 0
; COMPUTE_PGM_RSRC2:SCRATCH_EN: 0
; COMPUTE_PGM_RSRC2:USER_SGPR: 15
; COMPUTE_PGM_RSRC2:TRAP_HANDLER: 0
; COMPUTE_PGM_RSRC2:TGID_X_EN: 1
; COMPUTE_PGM_RSRC2:TGID_Y_EN: 0
; COMPUTE_PGM_RSRC2:TGID_Z_EN: 0
; COMPUTE_PGM_RSRC2:TIDIG_COMP_CNT: 0
	.section	.text._ZN7rocprim17ROCPRIM_400000_NS6detail17trampoline_kernelINS0_14default_configENS1_25partition_config_selectorILNS1_17partition_subalgoE9ExxbEEZZNS1_14partition_implILS5_9ELb0ES3_jN6thrust23THRUST_200600_302600_NS6detail15normal_iteratorINS9_10device_ptrIxEEEESE_PNS0_10empty_typeENS0_5tupleIJSE_SF_EEENSH_IJSE_SG_EEENS0_18inequality_wrapperI22is_equal_div_10_uniqueIxEEEPmJSF_EEE10hipError_tPvRmT3_T4_T5_T6_T7_T9_mT8_P12ihipStream_tbDpT10_ENKUlT_T0_E_clISt17integral_constantIbLb1EES18_EEDaS13_S14_EUlS13_E_NS1_11comp_targetILNS1_3genE2ELNS1_11target_archE906ELNS1_3gpuE6ELNS1_3repE0EEENS1_30default_config_static_selectorELNS0_4arch9wavefront6targetE0EEEvT1_,"axG",@progbits,_ZN7rocprim17ROCPRIM_400000_NS6detail17trampoline_kernelINS0_14default_configENS1_25partition_config_selectorILNS1_17partition_subalgoE9ExxbEEZZNS1_14partition_implILS5_9ELb0ES3_jN6thrust23THRUST_200600_302600_NS6detail15normal_iteratorINS9_10device_ptrIxEEEESE_PNS0_10empty_typeENS0_5tupleIJSE_SF_EEENSH_IJSE_SG_EEENS0_18inequality_wrapperI22is_equal_div_10_uniqueIxEEEPmJSF_EEE10hipError_tPvRmT3_T4_T5_T6_T7_T9_mT8_P12ihipStream_tbDpT10_ENKUlT_T0_E_clISt17integral_constantIbLb1EES18_EEDaS13_S14_EUlS13_E_NS1_11comp_targetILNS1_3genE2ELNS1_11target_archE906ELNS1_3gpuE6ELNS1_3repE0EEENS1_30default_config_static_selectorELNS0_4arch9wavefront6targetE0EEEvT1_,comdat
	.protected	_ZN7rocprim17ROCPRIM_400000_NS6detail17trampoline_kernelINS0_14default_configENS1_25partition_config_selectorILNS1_17partition_subalgoE9ExxbEEZZNS1_14partition_implILS5_9ELb0ES3_jN6thrust23THRUST_200600_302600_NS6detail15normal_iteratorINS9_10device_ptrIxEEEESE_PNS0_10empty_typeENS0_5tupleIJSE_SF_EEENSH_IJSE_SG_EEENS0_18inequality_wrapperI22is_equal_div_10_uniqueIxEEEPmJSF_EEE10hipError_tPvRmT3_T4_T5_T6_T7_T9_mT8_P12ihipStream_tbDpT10_ENKUlT_T0_E_clISt17integral_constantIbLb1EES18_EEDaS13_S14_EUlS13_E_NS1_11comp_targetILNS1_3genE2ELNS1_11target_archE906ELNS1_3gpuE6ELNS1_3repE0EEENS1_30default_config_static_selectorELNS0_4arch9wavefront6targetE0EEEvT1_ ; -- Begin function _ZN7rocprim17ROCPRIM_400000_NS6detail17trampoline_kernelINS0_14default_configENS1_25partition_config_selectorILNS1_17partition_subalgoE9ExxbEEZZNS1_14partition_implILS5_9ELb0ES3_jN6thrust23THRUST_200600_302600_NS6detail15normal_iteratorINS9_10device_ptrIxEEEESE_PNS0_10empty_typeENS0_5tupleIJSE_SF_EEENSH_IJSE_SG_EEENS0_18inequality_wrapperI22is_equal_div_10_uniqueIxEEEPmJSF_EEE10hipError_tPvRmT3_T4_T5_T6_T7_T9_mT8_P12ihipStream_tbDpT10_ENKUlT_T0_E_clISt17integral_constantIbLb1EES18_EEDaS13_S14_EUlS13_E_NS1_11comp_targetILNS1_3genE2ELNS1_11target_archE906ELNS1_3gpuE6ELNS1_3repE0EEENS1_30default_config_static_selectorELNS0_4arch9wavefront6targetE0EEEvT1_
	.globl	_ZN7rocprim17ROCPRIM_400000_NS6detail17trampoline_kernelINS0_14default_configENS1_25partition_config_selectorILNS1_17partition_subalgoE9ExxbEEZZNS1_14partition_implILS5_9ELb0ES3_jN6thrust23THRUST_200600_302600_NS6detail15normal_iteratorINS9_10device_ptrIxEEEESE_PNS0_10empty_typeENS0_5tupleIJSE_SF_EEENSH_IJSE_SG_EEENS0_18inequality_wrapperI22is_equal_div_10_uniqueIxEEEPmJSF_EEE10hipError_tPvRmT3_T4_T5_T6_T7_T9_mT8_P12ihipStream_tbDpT10_ENKUlT_T0_E_clISt17integral_constantIbLb1EES18_EEDaS13_S14_EUlS13_E_NS1_11comp_targetILNS1_3genE2ELNS1_11target_archE906ELNS1_3gpuE6ELNS1_3repE0EEENS1_30default_config_static_selectorELNS0_4arch9wavefront6targetE0EEEvT1_
	.p2align	8
	.type	_ZN7rocprim17ROCPRIM_400000_NS6detail17trampoline_kernelINS0_14default_configENS1_25partition_config_selectorILNS1_17partition_subalgoE9ExxbEEZZNS1_14partition_implILS5_9ELb0ES3_jN6thrust23THRUST_200600_302600_NS6detail15normal_iteratorINS9_10device_ptrIxEEEESE_PNS0_10empty_typeENS0_5tupleIJSE_SF_EEENSH_IJSE_SG_EEENS0_18inequality_wrapperI22is_equal_div_10_uniqueIxEEEPmJSF_EEE10hipError_tPvRmT3_T4_T5_T6_T7_T9_mT8_P12ihipStream_tbDpT10_ENKUlT_T0_E_clISt17integral_constantIbLb1EES18_EEDaS13_S14_EUlS13_E_NS1_11comp_targetILNS1_3genE2ELNS1_11target_archE906ELNS1_3gpuE6ELNS1_3repE0EEENS1_30default_config_static_selectorELNS0_4arch9wavefront6targetE0EEEvT1_,@function
_ZN7rocprim17ROCPRIM_400000_NS6detail17trampoline_kernelINS0_14default_configENS1_25partition_config_selectorILNS1_17partition_subalgoE9ExxbEEZZNS1_14partition_implILS5_9ELb0ES3_jN6thrust23THRUST_200600_302600_NS6detail15normal_iteratorINS9_10device_ptrIxEEEESE_PNS0_10empty_typeENS0_5tupleIJSE_SF_EEENSH_IJSE_SG_EEENS0_18inequality_wrapperI22is_equal_div_10_uniqueIxEEEPmJSF_EEE10hipError_tPvRmT3_T4_T5_T6_T7_T9_mT8_P12ihipStream_tbDpT10_ENKUlT_T0_E_clISt17integral_constantIbLb1EES18_EEDaS13_S14_EUlS13_E_NS1_11comp_targetILNS1_3genE2ELNS1_11target_archE906ELNS1_3gpuE6ELNS1_3repE0EEENS1_30default_config_static_selectorELNS0_4arch9wavefront6targetE0EEEvT1_: ; @_ZN7rocprim17ROCPRIM_400000_NS6detail17trampoline_kernelINS0_14default_configENS1_25partition_config_selectorILNS1_17partition_subalgoE9ExxbEEZZNS1_14partition_implILS5_9ELb0ES3_jN6thrust23THRUST_200600_302600_NS6detail15normal_iteratorINS9_10device_ptrIxEEEESE_PNS0_10empty_typeENS0_5tupleIJSE_SF_EEENSH_IJSE_SG_EEENS0_18inequality_wrapperI22is_equal_div_10_uniqueIxEEEPmJSF_EEE10hipError_tPvRmT3_T4_T5_T6_T7_T9_mT8_P12ihipStream_tbDpT10_ENKUlT_T0_E_clISt17integral_constantIbLb1EES18_EEDaS13_S14_EUlS13_E_NS1_11comp_targetILNS1_3genE2ELNS1_11target_archE906ELNS1_3gpuE6ELNS1_3repE0EEENS1_30default_config_static_selectorELNS0_4arch9wavefront6targetE0EEEvT1_
; %bb.0:
	.section	.rodata,"a",@progbits
	.p2align	6, 0x0
	.amdhsa_kernel _ZN7rocprim17ROCPRIM_400000_NS6detail17trampoline_kernelINS0_14default_configENS1_25partition_config_selectorILNS1_17partition_subalgoE9ExxbEEZZNS1_14partition_implILS5_9ELb0ES3_jN6thrust23THRUST_200600_302600_NS6detail15normal_iteratorINS9_10device_ptrIxEEEESE_PNS0_10empty_typeENS0_5tupleIJSE_SF_EEENSH_IJSE_SG_EEENS0_18inequality_wrapperI22is_equal_div_10_uniqueIxEEEPmJSF_EEE10hipError_tPvRmT3_T4_T5_T6_T7_T9_mT8_P12ihipStream_tbDpT10_ENKUlT_T0_E_clISt17integral_constantIbLb1EES18_EEDaS13_S14_EUlS13_E_NS1_11comp_targetILNS1_3genE2ELNS1_11target_archE906ELNS1_3gpuE6ELNS1_3repE0EEENS1_30default_config_static_selectorELNS0_4arch9wavefront6targetE0EEEvT1_
		.amdhsa_group_segment_fixed_size 0
		.amdhsa_private_segment_fixed_size 0
		.amdhsa_kernarg_size 128
		.amdhsa_user_sgpr_count 15
		.amdhsa_user_sgpr_dispatch_ptr 0
		.amdhsa_user_sgpr_queue_ptr 0
		.amdhsa_user_sgpr_kernarg_segment_ptr 1
		.amdhsa_user_sgpr_dispatch_id 0
		.amdhsa_user_sgpr_private_segment_size 0
		.amdhsa_wavefront_size32 1
		.amdhsa_uses_dynamic_stack 0
		.amdhsa_enable_private_segment 0
		.amdhsa_system_sgpr_workgroup_id_x 1
		.amdhsa_system_sgpr_workgroup_id_y 0
		.amdhsa_system_sgpr_workgroup_id_z 0
		.amdhsa_system_sgpr_workgroup_info 0
		.amdhsa_system_vgpr_workitem_id 0
		.amdhsa_next_free_vgpr 1
		.amdhsa_next_free_sgpr 1
		.amdhsa_reserve_vcc 0
		.amdhsa_float_round_mode_32 0
		.amdhsa_float_round_mode_16_64 0
		.amdhsa_float_denorm_mode_32 3
		.amdhsa_float_denorm_mode_16_64 3
		.amdhsa_dx10_clamp 1
		.amdhsa_ieee_mode 1
		.amdhsa_fp16_overflow 0
		.amdhsa_workgroup_processor_mode 1
		.amdhsa_memory_ordered 1
		.amdhsa_forward_progress 0
		.amdhsa_shared_vgpr_count 0
		.amdhsa_exception_fp_ieee_invalid_op 0
		.amdhsa_exception_fp_denorm_src 0
		.amdhsa_exception_fp_ieee_div_zero 0
		.amdhsa_exception_fp_ieee_overflow 0
		.amdhsa_exception_fp_ieee_underflow 0
		.amdhsa_exception_fp_ieee_inexact 0
		.amdhsa_exception_int_div_zero 0
	.end_amdhsa_kernel
	.section	.text._ZN7rocprim17ROCPRIM_400000_NS6detail17trampoline_kernelINS0_14default_configENS1_25partition_config_selectorILNS1_17partition_subalgoE9ExxbEEZZNS1_14partition_implILS5_9ELb0ES3_jN6thrust23THRUST_200600_302600_NS6detail15normal_iteratorINS9_10device_ptrIxEEEESE_PNS0_10empty_typeENS0_5tupleIJSE_SF_EEENSH_IJSE_SG_EEENS0_18inequality_wrapperI22is_equal_div_10_uniqueIxEEEPmJSF_EEE10hipError_tPvRmT3_T4_T5_T6_T7_T9_mT8_P12ihipStream_tbDpT10_ENKUlT_T0_E_clISt17integral_constantIbLb1EES18_EEDaS13_S14_EUlS13_E_NS1_11comp_targetILNS1_3genE2ELNS1_11target_archE906ELNS1_3gpuE6ELNS1_3repE0EEENS1_30default_config_static_selectorELNS0_4arch9wavefront6targetE0EEEvT1_,"axG",@progbits,_ZN7rocprim17ROCPRIM_400000_NS6detail17trampoline_kernelINS0_14default_configENS1_25partition_config_selectorILNS1_17partition_subalgoE9ExxbEEZZNS1_14partition_implILS5_9ELb0ES3_jN6thrust23THRUST_200600_302600_NS6detail15normal_iteratorINS9_10device_ptrIxEEEESE_PNS0_10empty_typeENS0_5tupleIJSE_SF_EEENSH_IJSE_SG_EEENS0_18inequality_wrapperI22is_equal_div_10_uniqueIxEEEPmJSF_EEE10hipError_tPvRmT3_T4_T5_T6_T7_T9_mT8_P12ihipStream_tbDpT10_ENKUlT_T0_E_clISt17integral_constantIbLb1EES18_EEDaS13_S14_EUlS13_E_NS1_11comp_targetILNS1_3genE2ELNS1_11target_archE906ELNS1_3gpuE6ELNS1_3repE0EEENS1_30default_config_static_selectorELNS0_4arch9wavefront6targetE0EEEvT1_,comdat
.Lfunc_end384:
	.size	_ZN7rocprim17ROCPRIM_400000_NS6detail17trampoline_kernelINS0_14default_configENS1_25partition_config_selectorILNS1_17partition_subalgoE9ExxbEEZZNS1_14partition_implILS5_9ELb0ES3_jN6thrust23THRUST_200600_302600_NS6detail15normal_iteratorINS9_10device_ptrIxEEEESE_PNS0_10empty_typeENS0_5tupleIJSE_SF_EEENSH_IJSE_SG_EEENS0_18inequality_wrapperI22is_equal_div_10_uniqueIxEEEPmJSF_EEE10hipError_tPvRmT3_T4_T5_T6_T7_T9_mT8_P12ihipStream_tbDpT10_ENKUlT_T0_E_clISt17integral_constantIbLb1EES18_EEDaS13_S14_EUlS13_E_NS1_11comp_targetILNS1_3genE2ELNS1_11target_archE906ELNS1_3gpuE6ELNS1_3repE0EEENS1_30default_config_static_selectorELNS0_4arch9wavefront6targetE0EEEvT1_, .Lfunc_end384-_ZN7rocprim17ROCPRIM_400000_NS6detail17trampoline_kernelINS0_14default_configENS1_25partition_config_selectorILNS1_17partition_subalgoE9ExxbEEZZNS1_14partition_implILS5_9ELb0ES3_jN6thrust23THRUST_200600_302600_NS6detail15normal_iteratorINS9_10device_ptrIxEEEESE_PNS0_10empty_typeENS0_5tupleIJSE_SF_EEENSH_IJSE_SG_EEENS0_18inequality_wrapperI22is_equal_div_10_uniqueIxEEEPmJSF_EEE10hipError_tPvRmT3_T4_T5_T6_T7_T9_mT8_P12ihipStream_tbDpT10_ENKUlT_T0_E_clISt17integral_constantIbLb1EES18_EEDaS13_S14_EUlS13_E_NS1_11comp_targetILNS1_3genE2ELNS1_11target_archE906ELNS1_3gpuE6ELNS1_3repE0EEENS1_30default_config_static_selectorELNS0_4arch9wavefront6targetE0EEEvT1_
                                        ; -- End function
	.section	.AMDGPU.csdata,"",@progbits
; Kernel info:
; codeLenInByte = 0
; NumSgprs: 0
; NumVgprs: 0
; ScratchSize: 0
; MemoryBound: 0
; FloatMode: 240
; IeeeMode: 1
; LDSByteSize: 0 bytes/workgroup (compile time only)
; SGPRBlocks: 0
; VGPRBlocks: 0
; NumSGPRsForWavesPerEU: 1
; NumVGPRsForWavesPerEU: 1
; Occupancy: 15
; WaveLimiterHint : 0
; COMPUTE_PGM_RSRC2:SCRATCH_EN: 0
; COMPUTE_PGM_RSRC2:USER_SGPR: 15
; COMPUTE_PGM_RSRC2:TRAP_HANDLER: 0
; COMPUTE_PGM_RSRC2:TGID_X_EN: 1
; COMPUTE_PGM_RSRC2:TGID_Y_EN: 0
; COMPUTE_PGM_RSRC2:TGID_Z_EN: 0
; COMPUTE_PGM_RSRC2:TIDIG_COMP_CNT: 0
	.section	.text._ZN7rocprim17ROCPRIM_400000_NS6detail17trampoline_kernelINS0_14default_configENS1_25partition_config_selectorILNS1_17partition_subalgoE9ExxbEEZZNS1_14partition_implILS5_9ELb0ES3_jN6thrust23THRUST_200600_302600_NS6detail15normal_iteratorINS9_10device_ptrIxEEEESE_PNS0_10empty_typeENS0_5tupleIJSE_SF_EEENSH_IJSE_SG_EEENS0_18inequality_wrapperI22is_equal_div_10_uniqueIxEEEPmJSF_EEE10hipError_tPvRmT3_T4_T5_T6_T7_T9_mT8_P12ihipStream_tbDpT10_ENKUlT_T0_E_clISt17integral_constantIbLb1EES18_EEDaS13_S14_EUlS13_E_NS1_11comp_targetILNS1_3genE10ELNS1_11target_archE1200ELNS1_3gpuE4ELNS1_3repE0EEENS1_30default_config_static_selectorELNS0_4arch9wavefront6targetE0EEEvT1_,"axG",@progbits,_ZN7rocprim17ROCPRIM_400000_NS6detail17trampoline_kernelINS0_14default_configENS1_25partition_config_selectorILNS1_17partition_subalgoE9ExxbEEZZNS1_14partition_implILS5_9ELb0ES3_jN6thrust23THRUST_200600_302600_NS6detail15normal_iteratorINS9_10device_ptrIxEEEESE_PNS0_10empty_typeENS0_5tupleIJSE_SF_EEENSH_IJSE_SG_EEENS0_18inequality_wrapperI22is_equal_div_10_uniqueIxEEEPmJSF_EEE10hipError_tPvRmT3_T4_T5_T6_T7_T9_mT8_P12ihipStream_tbDpT10_ENKUlT_T0_E_clISt17integral_constantIbLb1EES18_EEDaS13_S14_EUlS13_E_NS1_11comp_targetILNS1_3genE10ELNS1_11target_archE1200ELNS1_3gpuE4ELNS1_3repE0EEENS1_30default_config_static_selectorELNS0_4arch9wavefront6targetE0EEEvT1_,comdat
	.protected	_ZN7rocprim17ROCPRIM_400000_NS6detail17trampoline_kernelINS0_14default_configENS1_25partition_config_selectorILNS1_17partition_subalgoE9ExxbEEZZNS1_14partition_implILS5_9ELb0ES3_jN6thrust23THRUST_200600_302600_NS6detail15normal_iteratorINS9_10device_ptrIxEEEESE_PNS0_10empty_typeENS0_5tupleIJSE_SF_EEENSH_IJSE_SG_EEENS0_18inequality_wrapperI22is_equal_div_10_uniqueIxEEEPmJSF_EEE10hipError_tPvRmT3_T4_T5_T6_T7_T9_mT8_P12ihipStream_tbDpT10_ENKUlT_T0_E_clISt17integral_constantIbLb1EES18_EEDaS13_S14_EUlS13_E_NS1_11comp_targetILNS1_3genE10ELNS1_11target_archE1200ELNS1_3gpuE4ELNS1_3repE0EEENS1_30default_config_static_selectorELNS0_4arch9wavefront6targetE0EEEvT1_ ; -- Begin function _ZN7rocprim17ROCPRIM_400000_NS6detail17trampoline_kernelINS0_14default_configENS1_25partition_config_selectorILNS1_17partition_subalgoE9ExxbEEZZNS1_14partition_implILS5_9ELb0ES3_jN6thrust23THRUST_200600_302600_NS6detail15normal_iteratorINS9_10device_ptrIxEEEESE_PNS0_10empty_typeENS0_5tupleIJSE_SF_EEENSH_IJSE_SG_EEENS0_18inequality_wrapperI22is_equal_div_10_uniqueIxEEEPmJSF_EEE10hipError_tPvRmT3_T4_T5_T6_T7_T9_mT8_P12ihipStream_tbDpT10_ENKUlT_T0_E_clISt17integral_constantIbLb1EES18_EEDaS13_S14_EUlS13_E_NS1_11comp_targetILNS1_3genE10ELNS1_11target_archE1200ELNS1_3gpuE4ELNS1_3repE0EEENS1_30default_config_static_selectorELNS0_4arch9wavefront6targetE0EEEvT1_
	.globl	_ZN7rocprim17ROCPRIM_400000_NS6detail17trampoline_kernelINS0_14default_configENS1_25partition_config_selectorILNS1_17partition_subalgoE9ExxbEEZZNS1_14partition_implILS5_9ELb0ES3_jN6thrust23THRUST_200600_302600_NS6detail15normal_iteratorINS9_10device_ptrIxEEEESE_PNS0_10empty_typeENS0_5tupleIJSE_SF_EEENSH_IJSE_SG_EEENS0_18inequality_wrapperI22is_equal_div_10_uniqueIxEEEPmJSF_EEE10hipError_tPvRmT3_T4_T5_T6_T7_T9_mT8_P12ihipStream_tbDpT10_ENKUlT_T0_E_clISt17integral_constantIbLb1EES18_EEDaS13_S14_EUlS13_E_NS1_11comp_targetILNS1_3genE10ELNS1_11target_archE1200ELNS1_3gpuE4ELNS1_3repE0EEENS1_30default_config_static_selectorELNS0_4arch9wavefront6targetE0EEEvT1_
	.p2align	8
	.type	_ZN7rocprim17ROCPRIM_400000_NS6detail17trampoline_kernelINS0_14default_configENS1_25partition_config_selectorILNS1_17partition_subalgoE9ExxbEEZZNS1_14partition_implILS5_9ELb0ES3_jN6thrust23THRUST_200600_302600_NS6detail15normal_iteratorINS9_10device_ptrIxEEEESE_PNS0_10empty_typeENS0_5tupleIJSE_SF_EEENSH_IJSE_SG_EEENS0_18inequality_wrapperI22is_equal_div_10_uniqueIxEEEPmJSF_EEE10hipError_tPvRmT3_T4_T5_T6_T7_T9_mT8_P12ihipStream_tbDpT10_ENKUlT_T0_E_clISt17integral_constantIbLb1EES18_EEDaS13_S14_EUlS13_E_NS1_11comp_targetILNS1_3genE10ELNS1_11target_archE1200ELNS1_3gpuE4ELNS1_3repE0EEENS1_30default_config_static_selectorELNS0_4arch9wavefront6targetE0EEEvT1_,@function
_ZN7rocprim17ROCPRIM_400000_NS6detail17trampoline_kernelINS0_14default_configENS1_25partition_config_selectorILNS1_17partition_subalgoE9ExxbEEZZNS1_14partition_implILS5_9ELb0ES3_jN6thrust23THRUST_200600_302600_NS6detail15normal_iteratorINS9_10device_ptrIxEEEESE_PNS0_10empty_typeENS0_5tupleIJSE_SF_EEENSH_IJSE_SG_EEENS0_18inequality_wrapperI22is_equal_div_10_uniqueIxEEEPmJSF_EEE10hipError_tPvRmT3_T4_T5_T6_T7_T9_mT8_P12ihipStream_tbDpT10_ENKUlT_T0_E_clISt17integral_constantIbLb1EES18_EEDaS13_S14_EUlS13_E_NS1_11comp_targetILNS1_3genE10ELNS1_11target_archE1200ELNS1_3gpuE4ELNS1_3repE0EEENS1_30default_config_static_selectorELNS0_4arch9wavefront6targetE0EEEvT1_: ; @_ZN7rocprim17ROCPRIM_400000_NS6detail17trampoline_kernelINS0_14default_configENS1_25partition_config_selectorILNS1_17partition_subalgoE9ExxbEEZZNS1_14partition_implILS5_9ELb0ES3_jN6thrust23THRUST_200600_302600_NS6detail15normal_iteratorINS9_10device_ptrIxEEEESE_PNS0_10empty_typeENS0_5tupleIJSE_SF_EEENSH_IJSE_SG_EEENS0_18inequality_wrapperI22is_equal_div_10_uniqueIxEEEPmJSF_EEE10hipError_tPvRmT3_T4_T5_T6_T7_T9_mT8_P12ihipStream_tbDpT10_ENKUlT_T0_E_clISt17integral_constantIbLb1EES18_EEDaS13_S14_EUlS13_E_NS1_11comp_targetILNS1_3genE10ELNS1_11target_archE1200ELNS1_3gpuE4ELNS1_3repE0EEENS1_30default_config_static_selectorELNS0_4arch9wavefront6targetE0EEEvT1_
; %bb.0:
	.section	.rodata,"a",@progbits
	.p2align	6, 0x0
	.amdhsa_kernel _ZN7rocprim17ROCPRIM_400000_NS6detail17trampoline_kernelINS0_14default_configENS1_25partition_config_selectorILNS1_17partition_subalgoE9ExxbEEZZNS1_14partition_implILS5_9ELb0ES3_jN6thrust23THRUST_200600_302600_NS6detail15normal_iteratorINS9_10device_ptrIxEEEESE_PNS0_10empty_typeENS0_5tupleIJSE_SF_EEENSH_IJSE_SG_EEENS0_18inequality_wrapperI22is_equal_div_10_uniqueIxEEEPmJSF_EEE10hipError_tPvRmT3_T4_T5_T6_T7_T9_mT8_P12ihipStream_tbDpT10_ENKUlT_T0_E_clISt17integral_constantIbLb1EES18_EEDaS13_S14_EUlS13_E_NS1_11comp_targetILNS1_3genE10ELNS1_11target_archE1200ELNS1_3gpuE4ELNS1_3repE0EEENS1_30default_config_static_selectorELNS0_4arch9wavefront6targetE0EEEvT1_
		.amdhsa_group_segment_fixed_size 0
		.amdhsa_private_segment_fixed_size 0
		.amdhsa_kernarg_size 128
		.amdhsa_user_sgpr_count 15
		.amdhsa_user_sgpr_dispatch_ptr 0
		.amdhsa_user_sgpr_queue_ptr 0
		.amdhsa_user_sgpr_kernarg_segment_ptr 1
		.amdhsa_user_sgpr_dispatch_id 0
		.amdhsa_user_sgpr_private_segment_size 0
		.amdhsa_wavefront_size32 1
		.amdhsa_uses_dynamic_stack 0
		.amdhsa_enable_private_segment 0
		.amdhsa_system_sgpr_workgroup_id_x 1
		.amdhsa_system_sgpr_workgroup_id_y 0
		.amdhsa_system_sgpr_workgroup_id_z 0
		.amdhsa_system_sgpr_workgroup_info 0
		.amdhsa_system_vgpr_workitem_id 0
		.amdhsa_next_free_vgpr 1
		.amdhsa_next_free_sgpr 1
		.amdhsa_reserve_vcc 0
		.amdhsa_float_round_mode_32 0
		.amdhsa_float_round_mode_16_64 0
		.amdhsa_float_denorm_mode_32 3
		.amdhsa_float_denorm_mode_16_64 3
		.amdhsa_dx10_clamp 1
		.amdhsa_ieee_mode 1
		.amdhsa_fp16_overflow 0
		.amdhsa_workgroup_processor_mode 1
		.amdhsa_memory_ordered 1
		.amdhsa_forward_progress 0
		.amdhsa_shared_vgpr_count 0
		.amdhsa_exception_fp_ieee_invalid_op 0
		.amdhsa_exception_fp_denorm_src 0
		.amdhsa_exception_fp_ieee_div_zero 0
		.amdhsa_exception_fp_ieee_overflow 0
		.amdhsa_exception_fp_ieee_underflow 0
		.amdhsa_exception_fp_ieee_inexact 0
		.amdhsa_exception_int_div_zero 0
	.end_amdhsa_kernel
	.section	.text._ZN7rocprim17ROCPRIM_400000_NS6detail17trampoline_kernelINS0_14default_configENS1_25partition_config_selectorILNS1_17partition_subalgoE9ExxbEEZZNS1_14partition_implILS5_9ELb0ES3_jN6thrust23THRUST_200600_302600_NS6detail15normal_iteratorINS9_10device_ptrIxEEEESE_PNS0_10empty_typeENS0_5tupleIJSE_SF_EEENSH_IJSE_SG_EEENS0_18inequality_wrapperI22is_equal_div_10_uniqueIxEEEPmJSF_EEE10hipError_tPvRmT3_T4_T5_T6_T7_T9_mT8_P12ihipStream_tbDpT10_ENKUlT_T0_E_clISt17integral_constantIbLb1EES18_EEDaS13_S14_EUlS13_E_NS1_11comp_targetILNS1_3genE10ELNS1_11target_archE1200ELNS1_3gpuE4ELNS1_3repE0EEENS1_30default_config_static_selectorELNS0_4arch9wavefront6targetE0EEEvT1_,"axG",@progbits,_ZN7rocprim17ROCPRIM_400000_NS6detail17trampoline_kernelINS0_14default_configENS1_25partition_config_selectorILNS1_17partition_subalgoE9ExxbEEZZNS1_14partition_implILS5_9ELb0ES3_jN6thrust23THRUST_200600_302600_NS6detail15normal_iteratorINS9_10device_ptrIxEEEESE_PNS0_10empty_typeENS0_5tupleIJSE_SF_EEENSH_IJSE_SG_EEENS0_18inequality_wrapperI22is_equal_div_10_uniqueIxEEEPmJSF_EEE10hipError_tPvRmT3_T4_T5_T6_T7_T9_mT8_P12ihipStream_tbDpT10_ENKUlT_T0_E_clISt17integral_constantIbLb1EES18_EEDaS13_S14_EUlS13_E_NS1_11comp_targetILNS1_3genE10ELNS1_11target_archE1200ELNS1_3gpuE4ELNS1_3repE0EEENS1_30default_config_static_selectorELNS0_4arch9wavefront6targetE0EEEvT1_,comdat
.Lfunc_end385:
	.size	_ZN7rocprim17ROCPRIM_400000_NS6detail17trampoline_kernelINS0_14default_configENS1_25partition_config_selectorILNS1_17partition_subalgoE9ExxbEEZZNS1_14partition_implILS5_9ELb0ES3_jN6thrust23THRUST_200600_302600_NS6detail15normal_iteratorINS9_10device_ptrIxEEEESE_PNS0_10empty_typeENS0_5tupleIJSE_SF_EEENSH_IJSE_SG_EEENS0_18inequality_wrapperI22is_equal_div_10_uniqueIxEEEPmJSF_EEE10hipError_tPvRmT3_T4_T5_T6_T7_T9_mT8_P12ihipStream_tbDpT10_ENKUlT_T0_E_clISt17integral_constantIbLb1EES18_EEDaS13_S14_EUlS13_E_NS1_11comp_targetILNS1_3genE10ELNS1_11target_archE1200ELNS1_3gpuE4ELNS1_3repE0EEENS1_30default_config_static_selectorELNS0_4arch9wavefront6targetE0EEEvT1_, .Lfunc_end385-_ZN7rocprim17ROCPRIM_400000_NS6detail17trampoline_kernelINS0_14default_configENS1_25partition_config_selectorILNS1_17partition_subalgoE9ExxbEEZZNS1_14partition_implILS5_9ELb0ES3_jN6thrust23THRUST_200600_302600_NS6detail15normal_iteratorINS9_10device_ptrIxEEEESE_PNS0_10empty_typeENS0_5tupleIJSE_SF_EEENSH_IJSE_SG_EEENS0_18inequality_wrapperI22is_equal_div_10_uniqueIxEEEPmJSF_EEE10hipError_tPvRmT3_T4_T5_T6_T7_T9_mT8_P12ihipStream_tbDpT10_ENKUlT_T0_E_clISt17integral_constantIbLb1EES18_EEDaS13_S14_EUlS13_E_NS1_11comp_targetILNS1_3genE10ELNS1_11target_archE1200ELNS1_3gpuE4ELNS1_3repE0EEENS1_30default_config_static_selectorELNS0_4arch9wavefront6targetE0EEEvT1_
                                        ; -- End function
	.section	.AMDGPU.csdata,"",@progbits
; Kernel info:
; codeLenInByte = 0
; NumSgprs: 0
; NumVgprs: 0
; ScratchSize: 0
; MemoryBound: 0
; FloatMode: 240
; IeeeMode: 1
; LDSByteSize: 0 bytes/workgroup (compile time only)
; SGPRBlocks: 0
; VGPRBlocks: 0
; NumSGPRsForWavesPerEU: 1
; NumVGPRsForWavesPerEU: 1
; Occupancy: 15
; WaveLimiterHint : 0
; COMPUTE_PGM_RSRC2:SCRATCH_EN: 0
; COMPUTE_PGM_RSRC2:USER_SGPR: 15
; COMPUTE_PGM_RSRC2:TRAP_HANDLER: 0
; COMPUTE_PGM_RSRC2:TGID_X_EN: 1
; COMPUTE_PGM_RSRC2:TGID_Y_EN: 0
; COMPUTE_PGM_RSRC2:TGID_Z_EN: 0
; COMPUTE_PGM_RSRC2:TIDIG_COMP_CNT: 0
	.section	.text._ZN7rocprim17ROCPRIM_400000_NS6detail17trampoline_kernelINS0_14default_configENS1_25partition_config_selectorILNS1_17partition_subalgoE9ExxbEEZZNS1_14partition_implILS5_9ELb0ES3_jN6thrust23THRUST_200600_302600_NS6detail15normal_iteratorINS9_10device_ptrIxEEEESE_PNS0_10empty_typeENS0_5tupleIJSE_SF_EEENSH_IJSE_SG_EEENS0_18inequality_wrapperI22is_equal_div_10_uniqueIxEEEPmJSF_EEE10hipError_tPvRmT3_T4_T5_T6_T7_T9_mT8_P12ihipStream_tbDpT10_ENKUlT_T0_E_clISt17integral_constantIbLb1EES18_EEDaS13_S14_EUlS13_E_NS1_11comp_targetILNS1_3genE9ELNS1_11target_archE1100ELNS1_3gpuE3ELNS1_3repE0EEENS1_30default_config_static_selectorELNS0_4arch9wavefront6targetE0EEEvT1_,"axG",@progbits,_ZN7rocprim17ROCPRIM_400000_NS6detail17trampoline_kernelINS0_14default_configENS1_25partition_config_selectorILNS1_17partition_subalgoE9ExxbEEZZNS1_14partition_implILS5_9ELb0ES3_jN6thrust23THRUST_200600_302600_NS6detail15normal_iteratorINS9_10device_ptrIxEEEESE_PNS0_10empty_typeENS0_5tupleIJSE_SF_EEENSH_IJSE_SG_EEENS0_18inequality_wrapperI22is_equal_div_10_uniqueIxEEEPmJSF_EEE10hipError_tPvRmT3_T4_T5_T6_T7_T9_mT8_P12ihipStream_tbDpT10_ENKUlT_T0_E_clISt17integral_constantIbLb1EES18_EEDaS13_S14_EUlS13_E_NS1_11comp_targetILNS1_3genE9ELNS1_11target_archE1100ELNS1_3gpuE3ELNS1_3repE0EEENS1_30default_config_static_selectorELNS0_4arch9wavefront6targetE0EEEvT1_,comdat
	.protected	_ZN7rocprim17ROCPRIM_400000_NS6detail17trampoline_kernelINS0_14default_configENS1_25partition_config_selectorILNS1_17partition_subalgoE9ExxbEEZZNS1_14partition_implILS5_9ELb0ES3_jN6thrust23THRUST_200600_302600_NS6detail15normal_iteratorINS9_10device_ptrIxEEEESE_PNS0_10empty_typeENS0_5tupleIJSE_SF_EEENSH_IJSE_SG_EEENS0_18inequality_wrapperI22is_equal_div_10_uniqueIxEEEPmJSF_EEE10hipError_tPvRmT3_T4_T5_T6_T7_T9_mT8_P12ihipStream_tbDpT10_ENKUlT_T0_E_clISt17integral_constantIbLb1EES18_EEDaS13_S14_EUlS13_E_NS1_11comp_targetILNS1_3genE9ELNS1_11target_archE1100ELNS1_3gpuE3ELNS1_3repE0EEENS1_30default_config_static_selectorELNS0_4arch9wavefront6targetE0EEEvT1_ ; -- Begin function _ZN7rocprim17ROCPRIM_400000_NS6detail17trampoline_kernelINS0_14default_configENS1_25partition_config_selectorILNS1_17partition_subalgoE9ExxbEEZZNS1_14partition_implILS5_9ELb0ES3_jN6thrust23THRUST_200600_302600_NS6detail15normal_iteratorINS9_10device_ptrIxEEEESE_PNS0_10empty_typeENS0_5tupleIJSE_SF_EEENSH_IJSE_SG_EEENS0_18inequality_wrapperI22is_equal_div_10_uniqueIxEEEPmJSF_EEE10hipError_tPvRmT3_T4_T5_T6_T7_T9_mT8_P12ihipStream_tbDpT10_ENKUlT_T0_E_clISt17integral_constantIbLb1EES18_EEDaS13_S14_EUlS13_E_NS1_11comp_targetILNS1_3genE9ELNS1_11target_archE1100ELNS1_3gpuE3ELNS1_3repE0EEENS1_30default_config_static_selectorELNS0_4arch9wavefront6targetE0EEEvT1_
	.globl	_ZN7rocprim17ROCPRIM_400000_NS6detail17trampoline_kernelINS0_14default_configENS1_25partition_config_selectorILNS1_17partition_subalgoE9ExxbEEZZNS1_14partition_implILS5_9ELb0ES3_jN6thrust23THRUST_200600_302600_NS6detail15normal_iteratorINS9_10device_ptrIxEEEESE_PNS0_10empty_typeENS0_5tupleIJSE_SF_EEENSH_IJSE_SG_EEENS0_18inequality_wrapperI22is_equal_div_10_uniqueIxEEEPmJSF_EEE10hipError_tPvRmT3_T4_T5_T6_T7_T9_mT8_P12ihipStream_tbDpT10_ENKUlT_T0_E_clISt17integral_constantIbLb1EES18_EEDaS13_S14_EUlS13_E_NS1_11comp_targetILNS1_3genE9ELNS1_11target_archE1100ELNS1_3gpuE3ELNS1_3repE0EEENS1_30default_config_static_selectorELNS0_4arch9wavefront6targetE0EEEvT1_
	.p2align	8
	.type	_ZN7rocprim17ROCPRIM_400000_NS6detail17trampoline_kernelINS0_14default_configENS1_25partition_config_selectorILNS1_17partition_subalgoE9ExxbEEZZNS1_14partition_implILS5_9ELb0ES3_jN6thrust23THRUST_200600_302600_NS6detail15normal_iteratorINS9_10device_ptrIxEEEESE_PNS0_10empty_typeENS0_5tupleIJSE_SF_EEENSH_IJSE_SG_EEENS0_18inequality_wrapperI22is_equal_div_10_uniqueIxEEEPmJSF_EEE10hipError_tPvRmT3_T4_T5_T6_T7_T9_mT8_P12ihipStream_tbDpT10_ENKUlT_T0_E_clISt17integral_constantIbLb1EES18_EEDaS13_S14_EUlS13_E_NS1_11comp_targetILNS1_3genE9ELNS1_11target_archE1100ELNS1_3gpuE3ELNS1_3repE0EEENS1_30default_config_static_selectorELNS0_4arch9wavefront6targetE0EEEvT1_,@function
_ZN7rocprim17ROCPRIM_400000_NS6detail17trampoline_kernelINS0_14default_configENS1_25partition_config_selectorILNS1_17partition_subalgoE9ExxbEEZZNS1_14partition_implILS5_9ELb0ES3_jN6thrust23THRUST_200600_302600_NS6detail15normal_iteratorINS9_10device_ptrIxEEEESE_PNS0_10empty_typeENS0_5tupleIJSE_SF_EEENSH_IJSE_SG_EEENS0_18inequality_wrapperI22is_equal_div_10_uniqueIxEEEPmJSF_EEE10hipError_tPvRmT3_T4_T5_T6_T7_T9_mT8_P12ihipStream_tbDpT10_ENKUlT_T0_E_clISt17integral_constantIbLb1EES18_EEDaS13_S14_EUlS13_E_NS1_11comp_targetILNS1_3genE9ELNS1_11target_archE1100ELNS1_3gpuE3ELNS1_3repE0EEENS1_30default_config_static_selectorELNS0_4arch9wavefront6targetE0EEEvT1_: ; @_ZN7rocprim17ROCPRIM_400000_NS6detail17trampoline_kernelINS0_14default_configENS1_25partition_config_selectorILNS1_17partition_subalgoE9ExxbEEZZNS1_14partition_implILS5_9ELb0ES3_jN6thrust23THRUST_200600_302600_NS6detail15normal_iteratorINS9_10device_ptrIxEEEESE_PNS0_10empty_typeENS0_5tupleIJSE_SF_EEENSH_IJSE_SG_EEENS0_18inequality_wrapperI22is_equal_div_10_uniqueIxEEEPmJSF_EEE10hipError_tPvRmT3_T4_T5_T6_T7_T9_mT8_P12ihipStream_tbDpT10_ENKUlT_T0_E_clISt17integral_constantIbLb1EES18_EEDaS13_S14_EUlS13_E_NS1_11comp_targetILNS1_3genE9ELNS1_11target_archE1100ELNS1_3gpuE3ELNS1_3repE0EEENS1_30default_config_static_selectorELNS0_4arch9wavefront6targetE0EEEvT1_
; %bb.0:
	s_clause 0x4
	s_load_b128 s[4:7], s[0:1], 0x8
	s_load_b64 s[18:19], s[0:1], 0x18
	s_load_b128 s[8:11], s[0:1], 0x40
	s_load_b64 s[22:23], s[0:1], 0x50
	s_load_b64 s[16:17], s[0:1], 0x60
	v_cmp_ne_u32_e64 s3, 0, v0
	v_cmp_eq_u32_e64 s2, 0, v0
	s_delay_alu instid0(VALU_DEP_1)
	s_and_saveexec_b32 s12, s2
	s_cbranch_execz .LBB386_4
; %bb.1:
	s_mov_b32 s14, exec_lo
	s_mov_b32 s13, exec_lo
	v_mbcnt_lo_u32_b32 v1, s14, 0
                                        ; implicit-def: $vgpr2
	s_delay_alu instid0(VALU_DEP_1)
	v_cmpx_eq_u32_e32 0, v1
	s_cbranch_execz .LBB386_3
; %bb.2:
	s_load_b64 s[20:21], s[0:1], 0x70
	s_bcnt1_i32_b32 s14, s14
	s_delay_alu instid0(SALU_CYCLE_1)
	v_dual_mov_b32 v2, 0 :: v_dual_mov_b32 v3, s14
	s_waitcnt lgkmcnt(0)
	global_atomic_add_u32 v2, v2, v3, s[20:21] glc
.LBB386_3:
	s_or_b32 exec_lo, exec_lo, s13
	s_waitcnt vmcnt(0)
	v_readfirstlane_b32 s13, v2
	s_delay_alu instid0(VALU_DEP_1)
	v_dual_mov_b32 v2, 0 :: v_dual_add_nc_u32 v1, s13, v1
	ds_store_b32 v2, v1
.LBB386_4:
	s_or_b32 exec_lo, exec_lo, s12
	v_mov_b32_e32 v1, 0
	s_clause 0x1
	s_load_b128 s[12:15], s[0:1], 0x28
	s_load_b32 s0, s[0:1], 0x68
	s_waitcnt lgkmcnt(0)
	s_barrier
	buffer_gl0_inv
	ds_load_b32 v3, v1
	s_waitcnt lgkmcnt(0)
	s_barrier
	buffer_gl0_inv
	global_load_b64 v[1:2], v1, s[10:11]
	s_lshl_b64 s[20:21], s[6:7], 3
	s_mov_b32 s11, 0
	s_add_u32 s26, s4, s20
	s_addc_u32 s28, s5, s21
	v_lshlrev_b32_e32 v55, 3, v0
	v_lshrrev_b32_e32 v34, 2, v0
	v_or_b32_e32 v39, 0x200, v0
	v_or_b32_e32 v38, 0x400, v0
	;; [unrolled: 1-line block ×5, first 2 shown]
	s_add_i32 s4, s0, -1
	s_lshl_b32 s0, s0, 12
	s_lshl_b32 s1, s4, 12
	v_or_b32_e32 v33, 0xc00, v0
	v_readfirstlane_b32 s24, v3
	s_add_i32 s1, s6, s1
	v_or_b32_e32 v36, 0xe00, v0
	s_sub_i32 s25, s22, s1
	s_delay_alu instid0(VALU_DEP_2)
	s_lshl_b32 s10, s24, 12
	s_add_u32 s0, s6, s0
	s_addc_u32 s1, s7, 0
	s_cmp_eq_u32 s24, s4
	v_cmp_ge_u64_e64 s0, s[0:1], s[22:23]
	s_cselect_b32 s22, -1, 0
	s_lshl_b64 s[4:5], s[10:11], 3
	s_delay_alu instid0(VALU_DEP_1) | instskip(NEXT) | instid1(SALU_CYCLE_1)
	s_and_b32 s1, s0, s22
	s_xor_b32 s23, s1, -1
	s_add_u32 s27, s26, s4
	s_addc_u32 s26, s28, s5
	s_and_b32 vcc_lo, exec_lo, s23
	s_mov_b32 s28, -1
	s_waitcnt vmcnt(0)
	v_readfirstlane_b32 s10, v1
	v_readfirstlane_b32 s11, v2
	s_cbranch_vccz .LBB386_6
; %bb.5:
	v_add_co_u32 v1, s0, s27, v55
	s_delay_alu instid0(VALU_DEP_1) | instskip(SKIP_1) | instid1(VALU_DEP_3)
	v_add_co_ci_u32_e64 v2, null, s26, 0, s0
	v_lshrrev_b32_e32 v18, 2, v39
	v_add_co_u32 v3, vcc_lo, 0x1000, v1
	s_delay_alu instid0(VALU_DEP_3)
	v_add_co_ci_u32_e32 v4, vcc_lo, 0, v2, vcc_lo
	v_add_co_u32 v5, vcc_lo, 0x2000, v1
	v_add_co_ci_u32_e32 v6, vcc_lo, 0, v2, vcc_lo
	v_add_co_u32 v7, vcc_lo, 0x3000, v1
	;; [unrolled: 2-line block ×6, first 2 shown]
	v_add_co_ci_u32_e32 v16, vcc_lo, 0, v2, vcc_lo
	s_clause 0x7
	flat_load_b64 v[1:2], v[1:2]
	flat_load_b64 v[3:4], v[3:4]
	;; [unrolled: 1-line block ×8, first 2 shown]
	v_lshrrev_b32_e32 v19, 2, v38
	v_lshrrev_b32_e32 v20, 2, v40
	v_lshrrev_b32_e32 v21, 2, v37
	v_and_b32_e32 v17, 0x78, v34
	v_lshrrev_b32_e32 v22, 2, v35
	v_lshrrev_b32_e32 v23, 2, v33
	;; [unrolled: 1-line block ×3, first 2 shown]
	v_and_b32_e32 v18, 0xf8, v18
	v_and_b32_e32 v19, 0x178, v19
	;; [unrolled: 1-line block ×4, first 2 shown]
	v_add_nc_u32_e32 v17, v17, v55
	v_and_b32_e32 v22, 0x2f8, v22
	v_and_b32_e32 v23, 0x378, v23
	;; [unrolled: 1-line block ×3, first 2 shown]
	v_add_nc_u32_e32 v18, v18, v55
	v_add_nc_u32_e32 v19, v19, v55
	;; [unrolled: 1-line block ×4, first 2 shown]
	s_mov_b32 s28, 0
	v_add_nc_u32_e32 v22, v22, v55
	v_add_nc_u32_e32 v23, v23, v55
	v_add_nc_u32_e32 v24, v24, v55
	s_waitcnt vmcnt(7) lgkmcnt(7)
	ds_store_b64 v17, v[1:2]
	s_waitcnt vmcnt(6) lgkmcnt(7)
	ds_store_b64 v18, v[3:4] offset:4096
	s_waitcnt vmcnt(5) lgkmcnt(7)
	ds_store_b64 v19, v[5:6] offset:8192
	;; [unrolled: 2-line block ×7, first 2 shown]
	s_waitcnt lgkmcnt(0)
	s_barrier
.LBB386_6:
	v_cmp_gt_u32_e64 s0, s25, v0
	s_and_not1_b32 vcc_lo, exec_lo, s28
	s_cbranch_vccnz .LBB386_24
; %bb.7:
                                        ; implicit-def: $vgpr1_vgpr2_vgpr3_vgpr4_vgpr5_vgpr6_vgpr7_vgpr8_vgpr9_vgpr10_vgpr11_vgpr12_vgpr13_vgpr14_vgpr15_vgpr16
	s_delay_alu instid0(VALU_DEP_1)
	s_and_saveexec_b32 s28, s0
	s_cbranch_execz .LBB386_15
; %bb.8:
	v_add_co_u32 v1, s0, s27, v55
	s_delay_alu instid0(VALU_DEP_1) | instskip(SKIP_2) | instid1(SALU_CYCLE_1)
	v_add_co_ci_u32_e64 v2, null, s26, 0, s0
	flat_load_b64 v[1:2], v[1:2]
	s_or_b32 exec_lo, exec_lo, s28
	s_mov_b32 s0, exec_lo
	v_cmpx_gt_u32_e64 s25, v39
	s_cbranch_execnz .LBB386_16
.LBB386_9:
	s_or_b32 exec_lo, exec_lo, s0
	s_delay_alu instid0(SALU_CYCLE_1)
	s_mov_b32 s0, exec_lo
	v_cmpx_gt_u32_e64 s25, v38
	s_cbranch_execz .LBB386_17
.LBB386_10:
	v_lshlrev_b32_e32 v5, 3, v38
	s_delay_alu instid0(VALU_DEP_1) | instskip(NEXT) | instid1(VALU_DEP_1)
	v_add_co_u32 v5, s28, s27, v5
	v_add_co_ci_u32_e64 v6, null, s26, 0, s28
	flat_load_b64 v[5:6], v[5:6]
	s_or_b32 exec_lo, exec_lo, s0
	s_delay_alu instid0(SALU_CYCLE_1)
	s_mov_b32 s0, exec_lo
	v_cmpx_gt_u32_e64 s25, v40
	s_cbranch_execnz .LBB386_18
.LBB386_11:
	s_or_b32 exec_lo, exec_lo, s0
	s_delay_alu instid0(SALU_CYCLE_1)
	s_mov_b32 s0, exec_lo
	v_cmpx_gt_u32_e64 s25, v37
	s_cbranch_execz .LBB386_19
.LBB386_12:
	v_lshlrev_b32_e32 v9, 3, v37
	s_delay_alu instid0(VALU_DEP_1) | instskip(NEXT) | instid1(VALU_DEP_1)
	v_add_co_u32 v9, s28, s27, v9
	v_add_co_ci_u32_e64 v10, null, s26, 0, s28
	flat_load_b64 v[9:10], v[9:10]
	s_or_b32 exec_lo, exec_lo, s0
	s_delay_alu instid0(SALU_CYCLE_1)
	s_mov_b32 s0, exec_lo
	v_cmpx_gt_u32_e64 s25, v35
	s_cbranch_execnz .LBB386_20
.LBB386_13:
	s_or_b32 exec_lo, exec_lo, s0
	s_delay_alu instid0(SALU_CYCLE_1)
	s_mov_b32 s0, exec_lo
	v_cmpx_gt_u32_e64 s25, v33
	s_cbranch_execz .LBB386_21
.LBB386_14:
	v_lshlrev_b32_e32 v13, 3, v33
	s_delay_alu instid0(VALU_DEP_1) | instskip(NEXT) | instid1(VALU_DEP_1)
	v_add_co_u32 v13, s28, s27, v13
	v_add_co_ci_u32_e64 v14, null, s26, 0, s28
	flat_load_b64 v[13:14], v[13:14]
	s_or_b32 exec_lo, exec_lo, s0
	s_delay_alu instid0(SALU_CYCLE_1)
	s_mov_b32 s0, exec_lo
	v_cmpx_gt_u32_e64 s25, v36
	s_cbranch_execnz .LBB386_22
	s_branch .LBB386_23
.LBB386_15:
	s_or_b32 exec_lo, exec_lo, s28
	s_delay_alu instid0(SALU_CYCLE_1)
	s_mov_b32 s0, exec_lo
	v_cmpx_gt_u32_e64 s25, v39
	s_cbranch_execz .LBB386_9
.LBB386_16:
	v_lshlrev_b32_e32 v3, 3, v39
	s_delay_alu instid0(VALU_DEP_1) | instskip(NEXT) | instid1(VALU_DEP_1)
	v_add_co_u32 v3, s28, s27, v3
	v_add_co_ci_u32_e64 v4, null, s26, 0, s28
	flat_load_b64 v[3:4], v[3:4]
	s_or_b32 exec_lo, exec_lo, s0
	s_delay_alu instid0(SALU_CYCLE_1)
	s_mov_b32 s0, exec_lo
	v_cmpx_gt_u32_e64 s25, v38
	s_cbranch_execnz .LBB386_10
.LBB386_17:
	s_or_b32 exec_lo, exec_lo, s0
	s_delay_alu instid0(SALU_CYCLE_1)
	s_mov_b32 s0, exec_lo
	v_cmpx_gt_u32_e64 s25, v40
	s_cbranch_execz .LBB386_11
.LBB386_18:
	v_lshlrev_b32_e32 v7, 3, v40
	s_delay_alu instid0(VALU_DEP_1) | instskip(NEXT) | instid1(VALU_DEP_1)
	v_add_co_u32 v7, s28, s27, v7
	v_add_co_ci_u32_e64 v8, null, s26, 0, s28
	flat_load_b64 v[7:8], v[7:8]
	s_or_b32 exec_lo, exec_lo, s0
	s_delay_alu instid0(SALU_CYCLE_1)
	s_mov_b32 s0, exec_lo
	v_cmpx_gt_u32_e64 s25, v37
	s_cbranch_execnz .LBB386_12
.LBB386_19:
	s_or_b32 exec_lo, exec_lo, s0
	s_delay_alu instid0(SALU_CYCLE_1)
	s_mov_b32 s0, exec_lo
	v_cmpx_gt_u32_e64 s25, v35
	s_cbranch_execz .LBB386_13
.LBB386_20:
	v_lshlrev_b32_e32 v11, 3, v35
	s_delay_alu instid0(VALU_DEP_1) | instskip(NEXT) | instid1(VALU_DEP_1)
	v_add_co_u32 v11, s28, s27, v11
	v_add_co_ci_u32_e64 v12, null, s26, 0, s28
	flat_load_b64 v[11:12], v[11:12]
	s_or_b32 exec_lo, exec_lo, s0
	s_delay_alu instid0(SALU_CYCLE_1)
	s_mov_b32 s0, exec_lo
	v_cmpx_gt_u32_e64 s25, v33
	s_cbranch_execnz .LBB386_14
.LBB386_21:
	s_or_b32 exec_lo, exec_lo, s0
	s_delay_alu instid0(SALU_CYCLE_1)
	s_mov_b32 s0, exec_lo
	v_cmpx_gt_u32_e64 s25, v36
	s_cbranch_execz .LBB386_23
.LBB386_22:
	v_lshlrev_b32_e32 v15, 3, v36
	s_delay_alu instid0(VALU_DEP_1) | instskip(NEXT) | instid1(VALU_DEP_1)
	v_add_co_u32 v15, s28, s27, v15
	v_add_co_ci_u32_e64 v16, null, s26, 0, s28
	flat_load_b64 v[15:16], v[15:16]
.LBB386_23:
	s_or_b32 exec_lo, exec_lo, s0
	v_lshrrev_b32_e32 v17, 2, v39
	v_lshrrev_b32_e32 v18, 2, v38
	;; [unrolled: 1-line block ×4, first 2 shown]
	v_and_b32_e32 v19, 0x78, v34
	v_lshrrev_b32_e32 v22, 2, v35
	v_lshrrev_b32_e32 v23, 2, v33
	;; [unrolled: 1-line block ×3, first 2 shown]
	v_and_b32_e32 v17, 0xf8, v17
	v_and_b32_e32 v18, 0x1f8, v18
	;; [unrolled: 1-line block ×4, first 2 shown]
	v_add_nc_u32_e32 v19, v19, v55
	v_and_b32_e32 v22, 0x3f8, v22
	v_and_b32_e32 v23, 0x3f8, v23
	;; [unrolled: 1-line block ×3, first 2 shown]
	v_add_nc_u32_e32 v17, v17, v55
	v_add_nc_u32_e32 v18, v18, v55
	;; [unrolled: 1-line block ×7, first 2 shown]
	s_waitcnt vmcnt(0) lgkmcnt(0)
	ds_store_b64 v19, v[1:2]
	ds_store_b64 v17, v[3:4] offset:4096
	ds_store_b64 v18, v[5:6] offset:8192
	;; [unrolled: 1-line block ×7, first 2 shown]
	s_waitcnt lgkmcnt(0)
	s_barrier
.LBB386_24:
	v_add_lshl_u32 v41, v34, v55, 3
	buffer_gl0_inv
	s_add_u32 s0, s18, s20
	s_addc_u32 s18, s19, s21
	s_add_u32 s0, s0, s4
	ds_load_2addr_b64 v[29:32], v41 offset1:1
	ds_load_2addr_b64 v[25:28], v41 offset0:2 offset1:3
	ds_load_2addr_b64 v[21:24], v41 offset0:4 offset1:5
	;; [unrolled: 1-line block ×3, first 2 shown]
	s_addc_u32 s4, s18, s5
	s_and_b32 vcc_lo, exec_lo, s23
	s_mov_b32 s5, -1
	s_waitcnt lgkmcnt(0)
	s_barrier
	buffer_gl0_inv
	s_cbranch_vccz .LBB386_26
; %bb.25:
	v_add_co_u32 v1, s5, s0, v55
	s_delay_alu instid0(VALU_DEP_1) | instskip(SKIP_1) | instid1(VALU_DEP_3)
	v_add_co_ci_u32_e64 v2, null, s4, 0, s5
	v_lshrrev_b32_e32 v43, 2, v39
	v_add_co_u32 v3, vcc_lo, 0x1000, v1
	s_delay_alu instid0(VALU_DEP_3)
	v_add_co_ci_u32_e32 v4, vcc_lo, 0, v2, vcc_lo
	v_add_co_u32 v5, vcc_lo, 0x2000, v1
	v_add_co_ci_u32_e32 v6, vcc_lo, 0, v2, vcc_lo
	v_add_co_u32 v7, vcc_lo, 0x3000, v1
	;; [unrolled: 2-line block ×6, first 2 shown]
	v_add_co_ci_u32_e32 v16, vcc_lo, 0, v2, vcc_lo
	s_clause 0x7
	flat_load_b64 v[1:2], v[1:2]
	flat_load_b64 v[3:4], v[3:4]
	;; [unrolled: 1-line block ×8, first 2 shown]
	v_lshrrev_b32_e32 v44, 2, v38
	v_lshrrev_b32_e32 v45, 2, v40
	;; [unrolled: 1-line block ×3, first 2 shown]
	v_and_b32_e32 v42, 0x78, v34
	v_lshrrev_b32_e32 v47, 2, v35
	v_lshrrev_b32_e32 v48, 2, v33
	v_lshrrev_b32_e32 v49, 2, v36
	v_and_b32_e32 v43, 0xf8, v43
	v_and_b32_e32 v44, 0x178, v44
	;; [unrolled: 1-line block ×4, first 2 shown]
	v_add_nc_u32_e32 v42, v42, v55
	v_and_b32_e32 v47, 0x2f8, v47
	v_and_b32_e32 v48, 0x378, v48
	;; [unrolled: 1-line block ×3, first 2 shown]
	v_add_nc_u32_e32 v43, v43, v55
	v_add_nc_u32_e32 v44, v44, v55
	;; [unrolled: 1-line block ×4, first 2 shown]
	s_mov_b32 s5, 0
	v_add_nc_u32_e32 v47, v47, v55
	v_add_nc_u32_e32 v48, v48, v55
	;; [unrolled: 1-line block ×3, first 2 shown]
	s_waitcnt vmcnt(7) lgkmcnt(7)
	ds_store_b64 v42, v[1:2]
	s_waitcnt vmcnt(6) lgkmcnt(7)
	ds_store_b64 v43, v[3:4] offset:4096
	s_waitcnt vmcnt(5) lgkmcnt(7)
	ds_store_b64 v44, v[5:6] offset:8192
	;; [unrolled: 2-line block ×7, first 2 shown]
	s_waitcnt lgkmcnt(0)
	s_barrier
.LBB386_26:
	s_and_not1_b32 vcc_lo, exec_lo, s5
	s_cbranch_vccnz .LBB386_44
; %bb.27:
	s_mov_b32 s5, exec_lo
                                        ; implicit-def: $vgpr1_vgpr2
	v_cmpx_gt_u32_e64 s25, v0
	s_cbranch_execz .LBB386_29
; %bb.28:
	v_add_co_u32 v1, s18, s0, v55
	s_delay_alu instid0(VALU_DEP_1)
	v_add_co_ci_u32_e64 v2, null, s4, 0, s18
	flat_load_b64 v[1:2], v[1:2]
.LBB386_29:
	s_or_b32 exec_lo, exec_lo, s5
	s_delay_alu instid0(SALU_CYCLE_1)
	s_mov_b32 s5, exec_lo
                                        ; implicit-def: $vgpr3_vgpr4
	v_cmpx_gt_u32_e64 s25, v39
	s_cbranch_execz .LBB386_31
; %bb.30:
	v_lshlrev_b32_e32 v3, 3, v39
	s_delay_alu instid0(VALU_DEP_1) | instskip(NEXT) | instid1(VALU_DEP_1)
	v_add_co_u32 v3, s18, s0, v3
	v_add_co_ci_u32_e64 v4, null, s4, 0, s18
	flat_load_b64 v[3:4], v[3:4]
.LBB386_31:
	s_or_b32 exec_lo, exec_lo, s5
	s_delay_alu instid0(SALU_CYCLE_1)
	s_mov_b32 s5, exec_lo
                                        ; implicit-def: $vgpr5_vgpr6
	v_cmpx_gt_u32_e64 s25, v38
	s_cbranch_execz .LBB386_33
; %bb.32:
	v_lshlrev_b32_e32 v5, 3, v38
	s_delay_alu instid0(VALU_DEP_1) | instskip(NEXT) | instid1(VALU_DEP_1)
	v_add_co_u32 v5, s18, s0, v5
	v_add_co_ci_u32_e64 v6, null, s4, 0, s18
	flat_load_b64 v[5:6], v[5:6]
.LBB386_33:
	s_or_b32 exec_lo, exec_lo, s5
	s_delay_alu instid0(SALU_CYCLE_1)
	s_mov_b32 s5, exec_lo
                                        ; implicit-def: $vgpr7_vgpr8
	v_cmpx_gt_u32_e64 s25, v40
	s_cbranch_execz .LBB386_35
; %bb.34:
	v_lshlrev_b32_e32 v7, 3, v40
	s_delay_alu instid0(VALU_DEP_1) | instskip(NEXT) | instid1(VALU_DEP_1)
	v_add_co_u32 v7, s18, s0, v7
	v_add_co_ci_u32_e64 v8, null, s4, 0, s18
	flat_load_b64 v[7:8], v[7:8]
.LBB386_35:
	s_or_b32 exec_lo, exec_lo, s5
	s_delay_alu instid0(SALU_CYCLE_1)
	s_mov_b32 s5, exec_lo
                                        ; implicit-def: $vgpr9_vgpr10
	v_cmpx_gt_u32_e64 s25, v37
	s_cbranch_execz .LBB386_37
; %bb.36:
	v_lshlrev_b32_e32 v9, 3, v37
	s_delay_alu instid0(VALU_DEP_1) | instskip(NEXT) | instid1(VALU_DEP_1)
	v_add_co_u32 v9, s18, s0, v9
	v_add_co_ci_u32_e64 v10, null, s4, 0, s18
	flat_load_b64 v[9:10], v[9:10]
.LBB386_37:
	s_or_b32 exec_lo, exec_lo, s5
	s_delay_alu instid0(SALU_CYCLE_1)
	s_mov_b32 s5, exec_lo
                                        ; implicit-def: $vgpr11_vgpr12
	v_cmpx_gt_u32_e64 s25, v35
	s_cbranch_execz .LBB386_39
; %bb.38:
	v_lshlrev_b32_e32 v11, 3, v35
	s_delay_alu instid0(VALU_DEP_1) | instskip(NEXT) | instid1(VALU_DEP_1)
	v_add_co_u32 v11, s18, s0, v11
	v_add_co_ci_u32_e64 v12, null, s4, 0, s18
	flat_load_b64 v[11:12], v[11:12]
.LBB386_39:
	s_or_b32 exec_lo, exec_lo, s5
	s_delay_alu instid0(SALU_CYCLE_1)
	s_mov_b32 s5, exec_lo
                                        ; implicit-def: $vgpr13_vgpr14
	v_cmpx_gt_u32_e64 s25, v33
	s_cbranch_execz .LBB386_41
; %bb.40:
	v_lshlrev_b32_e32 v13, 3, v33
	s_delay_alu instid0(VALU_DEP_1) | instskip(NEXT) | instid1(VALU_DEP_1)
	v_add_co_u32 v13, s18, s0, v13
	v_add_co_ci_u32_e64 v14, null, s4, 0, s18
	flat_load_b64 v[13:14], v[13:14]
.LBB386_41:
	s_or_b32 exec_lo, exec_lo, s5
	s_delay_alu instid0(SALU_CYCLE_1)
	s_mov_b32 s5, exec_lo
                                        ; implicit-def: $vgpr15_vgpr16
	v_cmpx_gt_u32_e64 s25, v36
	s_cbranch_execz .LBB386_43
; %bb.42:
	v_lshlrev_b32_e32 v15, 3, v36
	s_delay_alu instid0(VALU_DEP_1) | instskip(NEXT) | instid1(VALU_DEP_1)
	v_add_co_u32 v15, s0, s0, v15
	v_add_co_ci_u32_e64 v16, null, s4, 0, s0
	flat_load_b64 v[15:16], v[15:16]
.LBB386_43:
	s_or_b32 exec_lo, exec_lo, s5
	v_lshrrev_b32_e32 v39, 2, v39
	v_lshrrev_b32_e32 v38, 2, v38
	;; [unrolled: 1-line block ×4, first 2 shown]
	v_and_b32_e32 v34, 0x78, v34
	v_lshrrev_b32_e32 v35, 2, v35
	v_lshrrev_b32_e32 v33, 2, v33
	;; [unrolled: 1-line block ×3, first 2 shown]
	v_and_b32_e32 v39, 0xf8, v39
	v_and_b32_e32 v38, 0x1f8, v38
	;; [unrolled: 1-line block ×4, first 2 shown]
	v_add_nc_u32_e32 v34, v34, v55
	v_and_b32_e32 v35, 0x3f8, v35
	v_and_b32_e32 v33, 0x3f8, v33
	;; [unrolled: 1-line block ×3, first 2 shown]
	v_add_nc_u32_e32 v39, v39, v55
	v_add_nc_u32_e32 v38, v38, v55
	;; [unrolled: 1-line block ×7, first 2 shown]
	s_waitcnt vmcnt(0) lgkmcnt(0)
	ds_store_b64 v34, v[1:2]
	ds_store_b64 v39, v[3:4] offset:4096
	ds_store_b64 v38, v[5:6] offset:8192
	;; [unrolled: 1-line block ×7, first 2 shown]
	s_waitcnt lgkmcnt(0)
	s_barrier
.LBB386_44:
	buffer_gl0_inv
	ds_load_2addr_b64 v[13:16], v41 offset1:1
	ds_load_2addr_b64 v[9:12], v41 offset0:2 offset1:3
	ds_load_2addr_b64 v[5:8], v41 offset0:4 offset1:5
	ds_load_2addr_b64 v[1:4], v41 offset0:6 offset1:7
	s_cmp_lg_u32 s24, 0
	s_waitcnt lgkmcnt(0)
	s_cselect_b32 s18, -1, 0
	s_cmp_lg_u64 s[6:7], 0
	s_barrier
	s_cselect_b32 s0, -1, 0
	buffer_gl0_inv
	s_or_b32 s0, s0, s18
	s_delay_alu instid0(SALU_CYCLE_1)
	s_and_b32 vcc_lo, exec_lo, s0
	s_mov_b32 s0, 0
	s_cbranch_vccz .LBB386_49
; %bb.45:
	v_add_co_u32 v33, s0, -8, s27
	s_delay_alu instid0(VALU_DEP_1)
	v_add_co_ci_u32_e64 v34, null, -1, s26, s0
	s_mov_b32 s0, -1
	s_and_b32 vcc_lo, exec_lo, s23
	flat_load_b64 v[35:36], v[33:34]
	ds_store_b64 v55, v[19:20]
	s_cbranch_vccz .LBB386_50
; %bb.46:
	s_waitcnt vmcnt(0) lgkmcnt(1)
	v_dual_mov_b32 v33, v35 :: v_dual_mov_b32 v34, v36
	s_waitcnt lgkmcnt(0)
	s_barrier
	buffer_gl0_inv
	s_and_saveexec_b32 s0, s3
	s_cbranch_execz .LBB386_48
; %bb.47:
	v_add_nc_u32_e32 v33, -8, v55
	ds_load_b64 v[33:34], v33
.LBB386_48:
	s_or_b32 exec_lo, exec_lo, s0
	s_waitcnt lgkmcnt(0)
	v_mul_hi_i32 v34, 0x66666667, v17
	v_mul_hi_i32 v36, 0x66666667, v19
	;; [unrolled: 1-line block ×6, first 2 shown]
	v_lshrrev_b32_e32 v40, 31, v34
	v_ashrrev_i32_e32 v34, 2, v34
	v_lshrrev_b32_e32 v41, 31, v36
	v_ashrrev_i32_e32 v36, 2, v36
	;; [unrolled: 2-line block ×3, first 2 shown]
	v_add_nc_u32_e32 v34, v34, v40
	v_lshrrev_b32_e32 v43, 31, v38
	v_add_nc_u32_e32 v36, v36, v41
	v_ashrrev_i32_e32 v38, 2, v38
	v_add_nc_u32_e32 v37, v37, v42
	v_mul_hi_i32 v41, 0x66666667, v25
	v_lshrrev_b32_e32 v40, 31, v39
	v_cmp_ne_u32_e32 vcc_lo, v34, v36
	v_add_nc_u32_e32 v38, v38, v43
	v_ashrrev_i32_e32 v39, 2, v39
	v_mul_hi_i32 v42, 0x66666667, v31
	v_mul_hi_i32 v43, 0x66666667, v29
	v_cndmask_b32_e64 v36, 0, 1, vcc_lo
	v_cmp_ne_u32_e32 vcc_lo, v37, v34
	v_add_nc_u32_e32 v39, v39, v40
	v_lshrrev_b32_e32 v40, 31, v41
	v_ashrrev_i32_e32 v41, 2, v41
	v_lshlrev_b16 v36, 8, v36
	v_cndmask_b32_e64 v34, 0, 1, vcc_lo
	v_cmp_ne_u32_e32 vcc_lo, v38, v37
	v_lshrrev_b32_e32 v44, 31, v42
	v_ashrrev_i32_e32 v42, 2, v42
	v_add_nc_u32_e32 v40, v41, v40
	v_lshrrev_b32_e32 v45, 31, v43
	v_cndmask_b32_e64 v37, 0, 1, vcc_lo
	v_cmp_ne_u32_e32 vcc_lo, v39, v38
	v_ashrrev_i32_e32 v43, 2, v43
	v_add_nc_u32_e32 v41, v42, v44
	v_or_b32_e32 v34, v34, v36
	v_lshlrev_b16 v37, 8, v37
	v_cndmask_b32_e64 v38, 0, 1, vcc_lo
	v_cmp_ne_u32_e32 vcc_lo, v40, v39
	v_add_nc_u32_e32 v42, v43, v45
	v_lshrrev_b32_e32 v43, 31, v33
	v_ashrrev_i32_e32 v33, 2, v33
	v_or_b32_e32 v37, v38, v37
	v_cndmask_b32_e64 v39, 0, 1, vcc_lo
	v_cmp_ne_u32_e32 vcc_lo, v41, v40
	v_lshlrev_b32_e32 v34, 16, v34
	v_add_nc_u32_e32 v33, v33, v43
	v_and_b32_e32 v37, 0xffff, v37
	v_lshlrev_b16 v39, 8, v39
	v_cndmask_b32_e64 v40, 0, 1, vcc_lo
	v_cmp_ne_u32_e32 vcc_lo, v42, v41
	v_cmp_ne_u32_e64 s4, v33, v42
	v_or_b32_e32 v34, v37, v34
	s_delay_alu instid0(VALU_DEP_4) | instskip(SKIP_1) | instid1(VALU_DEP_2)
	v_or_b32_e32 v39, v40, v39
	v_cndmask_b32_e64 v41, 0, 1, vcc_lo
	v_lshlrev_b32_e32 v36, 16, v39
	s_delay_alu instid0(VALU_DEP_2) | instskip(NEXT) | instid1(VALU_DEP_1)
	v_lshlrev_b16 v40, 8, v41
	v_and_b32_e32 v38, 0xffff, v40
	s_delay_alu instid0(VALU_DEP_1)
	v_or_b32_e32 v33, v38, v36
	s_branch .LBB386_70
.LBB386_49:
                                        ; implicit-def: $sgpr4
                                        ; implicit-def: $vgpr34
	s_branch .LBB386_71
.LBB386_50:
                                        ; implicit-def: $sgpr4
                                        ; implicit-def: $vgpr34
	s_and_b32 vcc_lo, exec_lo, s0
	s_cbranch_vccz .LBB386_70
; %bb.51:
	v_or_b32_e32 v33, 7, v55
	s_mov_b32 s0, 0
	s_mov_b32 s4, 0
	s_mov_b32 s5, exec_lo
	s_delay_alu instid0(VALU_DEP_1)
	v_cmpx_gt_u32_e64 s25, v33
	s_cbranch_execz .LBB386_53
; %bb.52:
	v_mul_hi_i32 v33, 0x66666667, v17
	v_mul_hi_i32 v34, 0x66666667, v19
	s_waitcnt vmcnt(0) lgkmcnt(1)
	s_delay_alu instid0(VALU_DEP_2) | instskip(SKIP_1) | instid1(VALU_DEP_3)
	v_lshrrev_b32_e32 v36, 31, v33
	v_ashrrev_i32_e32 v33, 2, v33
	v_lshrrev_b32_e32 v37, 31, v34
	v_ashrrev_i32_e32 v34, 2, v34
	s_delay_alu instid0(VALU_DEP_3) | instskip(NEXT) | instid1(VALU_DEP_2)
	v_add_nc_u32_e32 v33, v33, v36
	v_add_nc_u32_e32 v34, v34, v37
	s_delay_alu instid0(VALU_DEP_1)
	v_cmp_ne_u32_e32 vcc_lo, v33, v34
	s_and_b32 s4, vcc_lo, exec_lo
.LBB386_53:
	s_or_b32 exec_lo, exec_lo, s5
	v_or_b32_e32 v33, 6, v55
	s_mov_b32 s5, exec_lo
	s_delay_alu instid0(VALU_DEP_1)
	v_cmpx_gt_u32_e64 s25, v33
	s_cbranch_execz .LBB386_55
; %bb.54:
	v_mul_hi_i32 v33, 0x66666667, v23
	v_mul_hi_i32 v34, 0x66666667, v17
	s_waitcnt vmcnt(0) lgkmcnt(1)
	s_delay_alu instid0(VALU_DEP_2) | instskip(SKIP_1) | instid1(VALU_DEP_3)
	v_lshrrev_b32_e32 v36, 31, v33
	v_ashrrev_i32_e32 v33, 2, v33
	v_lshrrev_b32_e32 v37, 31, v34
	v_ashrrev_i32_e32 v34, 2, v34
	s_delay_alu instid0(VALU_DEP_3) | instskip(NEXT) | instid1(VALU_DEP_2)
	v_add_nc_u32_e32 v33, v33, v36
	v_add_nc_u32_e32 v34, v34, v37
	s_delay_alu instid0(VALU_DEP_1)
	v_cmp_ne_u32_e32 vcc_lo, v33, v34
	s_and_b32 s0, vcc_lo, exec_lo
.LBB386_55:
	s_or_b32 exec_lo, exec_lo, s5
	v_or_b32_e32 v33, 5, v55
	s_mov_b32 s6, 0
	s_mov_b32 s5, 0
	s_mov_b32 s7, exec_lo
	s_delay_alu instid0(VALU_DEP_1)
	v_cmpx_gt_u32_e64 s25, v33
	s_cbranch_execz .LBB386_57
; %bb.56:
	v_mul_hi_i32 v33, 0x66666667, v21
	v_mul_hi_i32 v34, 0x66666667, v23
	s_waitcnt vmcnt(0) lgkmcnt(1)
	s_delay_alu instid0(VALU_DEP_2) | instskip(SKIP_1) | instid1(VALU_DEP_3)
	v_lshrrev_b32_e32 v36, 31, v33
	v_ashrrev_i32_e32 v33, 2, v33
	v_lshrrev_b32_e32 v37, 31, v34
	v_ashrrev_i32_e32 v34, 2, v34
	s_delay_alu instid0(VALU_DEP_3) | instskip(NEXT) | instid1(VALU_DEP_2)
	v_add_nc_u32_e32 v33, v33, v36
	v_add_nc_u32_e32 v34, v34, v37
	s_delay_alu instid0(VALU_DEP_1)
	v_cmp_ne_u32_e32 vcc_lo, v33, v34
	s_and_b32 s5, vcc_lo, exec_lo
.LBB386_57:
	s_or_b32 exec_lo, exec_lo, s7
	v_or_b32_e32 v33, 4, v55
	s_mov_b32 s7, exec_lo
	s_delay_alu instid0(VALU_DEP_1)
	v_cmpx_gt_u32_e64 s25, v33
	s_cbranch_execz .LBB386_59
; %bb.58:
	v_mul_hi_i32 v33, 0x66666667, v27
	v_mul_hi_i32 v34, 0x66666667, v21
	s_waitcnt vmcnt(0) lgkmcnt(1)
	s_delay_alu instid0(VALU_DEP_2) | instskip(SKIP_1) | instid1(VALU_DEP_3)
	v_lshrrev_b32_e32 v36, 31, v33
	v_ashrrev_i32_e32 v33, 2, v33
	v_lshrrev_b32_e32 v37, 31, v34
	v_ashrrev_i32_e32 v34, 2, v34
	s_delay_alu instid0(VALU_DEP_3) | instskip(NEXT) | instid1(VALU_DEP_2)
	v_add_nc_u32_e32 v33, v33, v36
	v_add_nc_u32_e32 v34, v34, v37
	s_delay_alu instid0(VALU_DEP_1)
	v_cmp_ne_u32_e32 vcc_lo, v33, v34
	s_and_b32 s6, vcc_lo, exec_lo
.LBB386_59:
	s_or_b32 exec_lo, exec_lo, s7
	;; [unrolled: 46-line block ×3, first 2 shown]
	v_or_b32_e32 v33, 1, v55
	s_mov_b32 s20, 0
	s_mov_b32 s21, exec_lo
	s_delay_alu instid0(VALU_DEP_1)
	v_cmpx_gt_u32_e64 s25, v33
	s_cbranch_execz .LBB386_65
; %bb.64:
	v_mul_hi_i32 v33, 0x66666667, v29
	v_mul_hi_i32 v34, 0x66666667, v31
	s_waitcnt vmcnt(0) lgkmcnt(1)
	s_delay_alu instid0(VALU_DEP_2) | instskip(SKIP_1) | instid1(VALU_DEP_3)
	v_lshrrev_b32_e32 v36, 31, v33
	v_ashrrev_i32_e32 v33, 2, v33
	v_lshrrev_b32_e32 v37, 31, v34
	v_ashrrev_i32_e32 v34, 2, v34
	s_delay_alu instid0(VALU_DEP_3) | instskip(NEXT) | instid1(VALU_DEP_2)
	v_add_nc_u32_e32 v33, v33, v36
	v_add_nc_u32_e32 v34, v34, v37
	s_delay_alu instid0(VALU_DEP_1)
	v_cmp_ne_u32_e32 vcc_lo, v33, v34
	s_and_b32 s20, vcc_lo, exec_lo
.LBB386_65:
	s_or_b32 exec_lo, exec_lo, s21
	s_waitcnt vmcnt(0) lgkmcnt(0)
	s_barrier
	buffer_gl0_inv
	s_and_saveexec_b32 s21, s3
	s_cbranch_execz .LBB386_67
; %bb.66:
	v_add_nc_u32_e32 v33, -8, v55
	ds_load_b64 v[35:36], v33
.LBB386_67:
	s_or_b32 exec_lo, exec_lo, s21
	v_cndmask_b32_e64 v34, 0, 1, s7
	v_cndmask_b32_e64 v37, 0, 1, s5
	;; [unrolled: 1-line block ×4, first 2 shown]
	s_waitcnt lgkmcnt(0)
	v_cndmask_b32_e64 v36, 0, 1, s6
	v_cndmask_b32_e64 v39, 0, 1, s0
	;; [unrolled: 1-line block ×3, first 2 shown]
	v_lshlrev_b16 v34, 8, v34
	v_lshlrev_b16 v37, 8, v37
	;; [unrolled: 1-line block ×3, first 2 shown]
	s_mov_b32 s4, 0
	v_lshlrev_b16 v40, 8, v40
	v_or_b32_e32 v34, v33, v34
	v_or_b32_e32 v36, v36, v37
	;; [unrolled: 1-line block ×3, first 2 shown]
	s_mov_b32 s0, exec_lo
	v_and_b32_e32 v33, 0xffff, v40
	v_lshlrev_b32_e32 v34, 16, v34
	v_and_b32_e32 v36, 0xffff, v36
	v_lshlrev_b32_e32 v37, 16, v37
	v_cmpx_gt_u32_e64 s25, v55
; %bb.68:
	v_mul_hi_i32 v35, 0x66666667, v35
	v_mul_hi_i32 v38, 0x66666667, v29
	s_delay_alu instid0(VALU_DEP_2) | instskip(SKIP_1) | instid1(VALU_DEP_3)
	v_lshrrev_b32_e32 v39, 31, v35
	v_ashrrev_i32_e32 v35, 2, v35
	v_lshrrev_b32_e32 v40, 31, v38
	v_ashrrev_i32_e32 v38, 2, v38
	s_delay_alu instid0(VALU_DEP_3) | instskip(NEXT) | instid1(VALU_DEP_2)
	v_add_nc_u32_e32 v35, v35, v39
	v_add_nc_u32_e32 v38, v38, v40
	s_delay_alu instid0(VALU_DEP_1)
	v_cmp_ne_u32_e32 vcc_lo, v35, v38
	s_and_b32 s4, vcc_lo, exec_lo
; %bb.69:
	s_or_b32 exec_lo, exec_lo, s0
	v_or_b32_e32 v33, v33, v34
	v_or_b32_e32 v34, v36, v37
.LBB386_70:
	s_mov_b32 s0, -1
	s_cbranch_execnz .LBB386_95
.LBB386_71:
	v_mul_hi_i32 v40, 0x66666667, v17
	v_mul_hi_i32 v39, 0x66666667, v23
	;; [unrolled: 1-line block ×4, first 2 shown]
	s_waitcnt vmcnt(0) lgkmcnt(1)
	v_mul_hi_i32 v36, 0x66666667, v25
	v_mul_hi_i32 v35, 0x66666667, v31
	s_and_b32 vcc_lo, exec_lo, s23
	ds_store_b64 v55, v[19:20]
	s_cbranch_vccz .LBB386_75
; %bb.72:
	v_mul_hi_i32 v33, 0x66666667, v19
	v_lshrrev_b32_e32 v34, 31, v40
	v_ashrrev_i32_e32 v41, 2, v40
	v_lshrrev_b32_e32 v42, 31, v39
	v_ashrrev_i32_e32 v43, 2, v39
	;; [unrolled: 2-line block ×3, first 2 shown]
	v_add_nc_u32_e32 v34, v41, v34
	v_lshrrev_b32_e32 v45, 31, v33
	v_ashrrev_i32_e32 v33, 2, v33
	v_add_nc_u32_e32 v41, v43, v42
	v_lshrrev_b32_e32 v42, 31, v37
	v_ashrrev_i32_e32 v43, 2, v37
	v_ashrrev_i32_e32 v48, 2, v35
	v_add_nc_u32_e32 v33, v33, v45
	v_cmp_ne_u32_e32 vcc_lo, v41, v34
	v_mul_hi_i32 v45, 0x66666667, v29
	v_add_nc_u32_e32 v42, v43, v42
	v_lshrrev_b32_e32 v43, 31, v36
	s_waitcnt lgkmcnt(0)
	v_cndmask_b32_e64 v47, 0, 1, vcc_lo
	v_cmp_ne_u32_e32 vcc_lo, v34, v33
	v_add_nc_u32_e32 v34, v46, v44
	v_ashrrev_i32_e32 v44, 2, v36
	v_lshrrev_b32_e32 v46, 31, v35
	v_lshrrev_b32_e32 v49, 31, v45
	v_cndmask_b32_e64 v33, 0, 1, vcc_lo
	v_cmp_ne_u32_e32 vcc_lo, v34, v41
	v_ashrrev_i32_e32 v45, 2, v45
	v_add_nc_u32_e32 v43, v44, v43
	v_add_nc_u32_e32 v44, v48, v46
	v_lshlrev_b16 v33, 8, v33
	v_cndmask_b32_e64 v50, 0, 1, vcc_lo
	v_cmp_ne_u32_e32 vcc_lo, v42, v34
	v_add_nc_u32_e32 v41, v45, v49
	s_barrier
	v_or_b32_e32 v33, v47, v33
	buffer_gl0_inv
	v_cndmask_b32_e64 v34, 0, 1, vcc_lo
	v_cmp_ne_u32_e32 vcc_lo, v43, v42
                                        ; implicit-def: $sgpr4
	v_lshlrev_b32_e32 v33, 16, v33
	v_cndmask_b32_e64 v42, 0, 1, vcc_lo
	v_cmp_ne_u32_e32 vcc_lo, v41, v44
	s_delay_alu instid0(VALU_DEP_2) | instskip(SKIP_3) | instid1(VALU_DEP_3)
	v_lshlrev_b16 v42, 8, v42
	v_cndmask_b32_e64 v45, 0, 1, vcc_lo
	v_cmp_ne_u32_e32 vcc_lo, v44, v43
	v_lshlrev_b16 v44, 8, v50
	v_lshlrev_b16 v45, 8, v45
	v_cndmask_b32_e64 v43, 0, 1, vcc_lo
	s_delay_alu instid0(VALU_DEP_3) | instskip(NEXT) | instid1(VALU_DEP_2)
	v_or_b32_e32 v34, v34, v44
	v_or_b32_e32 v42, v43, v42
	s_delay_alu instid0(VALU_DEP_4) | instskip(NEXT) | instid1(VALU_DEP_3)
	v_or_b32_e32 v43, 1, v45
	v_and_b32_e32 v34, 0xffff, v34
	s_delay_alu instid0(VALU_DEP_3) | instskip(NEXT) | instid1(VALU_DEP_3)
	v_lshlrev_b32_e32 v42, 16, v42
	v_and_b32_e32 v43, 0xffff, v43
	s_delay_alu instid0(VALU_DEP_3) | instskip(NEXT) | instid1(VALU_DEP_2)
	v_or_b32_e32 v34, v34, v33
	v_or_b32_e32 v33, v43, v42
	s_and_saveexec_b32 s5, s3
	s_delay_alu instid0(SALU_CYCLE_1)
	s_xor_b32 s5, exec_lo, s5
	s_cbranch_execz .LBB386_74
; %bb.73:
	v_add_nc_u32_e32 v42, -8, v55
	s_or_b32 s0, s0, exec_lo
	ds_load_b32 v42, v42
	s_waitcnt lgkmcnt(0)
	v_mul_hi_i32 v42, 0x66666667, v42
	s_delay_alu instid0(VALU_DEP_1) | instskip(SKIP_1) | instid1(VALU_DEP_1)
	v_lshrrev_b32_e32 v43, 31, v42
	v_ashrrev_i32_e32 v42, 2, v42
	v_add_nc_u32_e32 v42, v42, v43
	s_delay_alu instid0(VALU_DEP_1)
	v_cmp_ne_u32_e32 vcc_lo, v42, v41
	s_and_b32 s4, vcc_lo, exec_lo
.LBB386_74:
	s_or_b32 exec_lo, exec_lo, s5
	s_branch .LBB386_95
.LBB386_75:
                                        ; implicit-def: $sgpr4
                                        ; implicit-def: $vgpr34
	s_cbranch_execz .LBB386_95
; %bb.76:
	v_or_b32_e32 v33, 7, v55
	s_mov_b32 s4, 0
	s_mov_b32 s5, 0
	s_mov_b32 s6, exec_lo
	s_delay_alu instid0(VALU_DEP_1)
	v_cmpx_gt_u32_e64 s25, v33
; %bb.77:
	v_mul_hi_i32 v33, 0x66666667, v19
	v_lshrrev_b32_e32 v34, 31, v40
	v_ashrrev_i32_e32 v41, 2, v40
	s_delay_alu instid0(VALU_DEP_1) | instskip(NEXT) | instid1(VALU_DEP_4)
	v_add_nc_u32_e32 v34, v41, v34
	v_lshrrev_b32_e32 v42, 31, v33
	v_ashrrev_i32_e32 v33, 2, v33
	s_delay_alu instid0(VALU_DEP_1) | instskip(NEXT) | instid1(VALU_DEP_1)
	v_add_nc_u32_e32 v33, v33, v42
	v_cmp_ne_u32_e32 vcc_lo, v34, v33
	s_and_b32 s5, vcc_lo, exec_lo
; %bb.78:
	s_or_b32 exec_lo, exec_lo, s6
	v_or_b32_e32 v33, 6, v55
	s_mov_b32 s6, exec_lo
	s_delay_alu instid0(VALU_DEP_1)
	v_cmpx_gt_u32_e64 s25, v33
; %bb.79:
	v_lshrrev_b32_e32 v33, 31, v39
	v_ashrrev_i32_e32 v34, 2, v39
	v_lshrrev_b32_e32 v41, 31, v40
	v_ashrrev_i32_e32 v40, 2, v40
	s_delay_alu instid0(VALU_DEP_3) | instskip(NEXT) | instid1(VALU_DEP_2)
	v_add_nc_u32_e32 v33, v34, v33
	v_add_nc_u32_e32 v34, v40, v41
	s_delay_alu instid0(VALU_DEP_1)
	v_cmp_ne_u32_e32 vcc_lo, v33, v34
	s_and_b32 s4, vcc_lo, exec_lo
; %bb.80:
	s_or_b32 exec_lo, exec_lo, s6
	v_or_b32_e32 v33, 5, v55
	s_mov_b32 s6, 0
	s_mov_b32 s7, 0
	s_mov_b32 s19, exec_lo
	s_delay_alu instid0(VALU_DEP_1)
	v_cmpx_gt_u32_e64 s25, v33
; %bb.81:
	v_lshrrev_b32_e32 v33, 31, v38
	v_ashrrev_i32_e32 v34, 2, v38
	v_lshrrev_b32_e32 v40, 31, v39
	v_ashrrev_i32_e32 v39, 2, v39
	s_delay_alu instid0(VALU_DEP_3) | instskip(NEXT) | instid1(VALU_DEP_2)
	v_add_nc_u32_e32 v33, v34, v33
	v_add_nc_u32_e32 v34, v39, v40
	s_delay_alu instid0(VALU_DEP_1)
	v_cmp_ne_u32_e32 vcc_lo, v33, v34
	s_and_b32 s7, vcc_lo, exec_lo
; %bb.82:
	s_or_b32 exec_lo, exec_lo, s19
	v_or_b32_e32 v33, 4, v55
	s_mov_b32 s19, exec_lo
	s_delay_alu instid0(VALU_DEP_1)
	v_cmpx_gt_u32_e64 s25, v33
; %bb.83:
	v_lshrrev_b32_e32 v33, 31, v37
	v_ashrrev_i32_e32 v34, 2, v37
	v_lshrrev_b32_e32 v39, 31, v38
	v_ashrrev_i32_e32 v38, 2, v38
	s_delay_alu instid0(VALU_DEP_3) | instskip(NEXT) | instid1(VALU_DEP_2)
	v_add_nc_u32_e32 v33, v34, v33
	v_add_nc_u32_e32 v34, v38, v39
	s_delay_alu instid0(VALU_DEP_1)
	v_cmp_ne_u32_e32 vcc_lo, v33, v34
	s_and_b32 s6, vcc_lo, exec_lo
; %bb.84:
	s_or_b32 exec_lo, exec_lo, s19
	v_or_b32_e32 v33, 3, v55
	s_mov_b32 s20, 0
	s_mov_b32 s19, 0
	s_mov_b32 s21, exec_lo
	s_delay_alu instid0(VALU_DEP_1)
	v_cmpx_gt_u32_e64 s25, v33
; %bb.85:
	v_lshrrev_b32_e32 v33, 31, v36
	v_ashrrev_i32_e32 v34, 2, v36
	v_lshrrev_b32_e32 v38, 31, v37
	v_ashrrev_i32_e32 v37, 2, v37
	s_delay_alu instid0(VALU_DEP_3) | instskip(NEXT) | instid1(VALU_DEP_2)
	v_add_nc_u32_e32 v33, v34, v33
	v_add_nc_u32_e32 v34, v37, v38
	s_delay_alu instid0(VALU_DEP_1)
	v_cmp_ne_u32_e32 vcc_lo, v33, v34
	s_and_b32 s19, vcc_lo, exec_lo
; %bb.86:
	s_or_b32 exec_lo, exec_lo, s21
	v_or_b32_e32 v33, 2, v55
	s_mov_b32 s21, exec_lo
	s_delay_alu instid0(VALU_DEP_1)
	v_cmpx_gt_u32_e64 s25, v33
; %bb.87:
	v_lshrrev_b32_e32 v33, 31, v35
	v_ashrrev_i32_e32 v34, 2, v35
	v_lshrrev_b32_e32 v37, 31, v36
	v_ashrrev_i32_e32 v36, 2, v36
	s_delay_alu instid0(VALU_DEP_3) | instskip(NEXT) | instid1(VALU_DEP_2)
	v_add_nc_u32_e32 v33, v34, v33
	v_add_nc_u32_e32 v34, v36, v37
	s_delay_alu instid0(VALU_DEP_1)
	v_cmp_ne_u32_e32 vcc_lo, v33, v34
	s_and_b32 s20, vcc_lo, exec_lo
; %bb.88:
	s_or_b32 exec_lo, exec_lo, s21
	v_or_b32_e32 v33, 1, v55
	s_mov_b32 s26, 0
	s_mov_b32 s21, exec_lo
	s_delay_alu instid0(VALU_DEP_1)
	v_cmpx_gt_u32_e64 s25, v33
; %bb.89:
	v_mul_hi_i32 v33, 0x66666667, v29
	v_lshrrev_b32_e32 v34, 31, v35
	v_ashrrev_i32_e32 v35, 2, v35
	s_delay_alu instid0(VALU_DEP_1) | instskip(NEXT) | instid1(VALU_DEP_4)
	v_add_nc_u32_e32 v34, v35, v34
	v_lshrrev_b32_e32 v36, 31, v33
	v_ashrrev_i32_e32 v33, 2, v33
	s_delay_alu instid0(VALU_DEP_1) | instskip(NEXT) | instid1(VALU_DEP_1)
	v_add_nc_u32_e32 v33, v33, v36
	v_cmp_ne_u32_e32 vcc_lo, v33, v34
	s_and_b32 s26, vcc_lo, exec_lo
; %bb.90:
	s_or_b32 exec_lo, exec_lo, s21
	v_cndmask_b32_e64 v34, 0, 1, s19
	v_cndmask_b32_e64 v35, 0, 1, s7
	;; [unrolled: 1-line block ×7, first 2 shown]
	v_lshlrev_b16 v35, 8, v35
	v_lshlrev_b16 v36, 8, v36
	;; [unrolled: 1-line block ×4, first 2 shown]
	s_waitcnt lgkmcnt(0)
	v_or_b32_e32 v35, v38, v35
	v_or_b32_e32 v36, v39, v36
	;; [unrolled: 1-line block ×4, first 2 shown]
	s_barrier
	v_and_b32_e32 v34, 0xffff, v35
	v_lshlrev_b32_e32 v35, 16, v36
	v_and_b32_e32 v36, 0xffff, v37
	v_lshlrev_b32_e32 v33, 16, v33
	buffer_gl0_inv
                                        ; implicit-def: $sgpr4
	v_or_b32_e32 v34, v34, v35
	v_or_b32_e32 v33, v36, v33
	s_and_saveexec_b32 s5, s3
	s_cbranch_execz .LBB386_94
; %bb.91:
	s_mov_b32 s4, 0
	s_mov_b32 s3, exec_lo
	v_cmpx_gt_u32_e64 s25, v55
	s_cbranch_execz .LBB386_93
; %bb.92:
	v_add_nc_u32_e32 v35, -8, v55
	v_mul_hi_i32 v36, 0x66666667, v29
	ds_load_b32 v35, v35
	v_lshrrev_b32_e32 v37, 31, v36
	v_ashrrev_i32_e32 v36, 2, v36
	s_delay_alu instid0(VALU_DEP_1) | instskip(SKIP_2) | instid1(VALU_DEP_1)
	v_add_nc_u32_e32 v36, v36, v37
	s_waitcnt lgkmcnt(0)
	v_mul_hi_i32 v35, 0x66666667, v35
	v_lshrrev_b32_e32 v38, 31, v35
	v_ashrrev_i32_e32 v35, 2, v35
	s_delay_alu instid0(VALU_DEP_1) | instskip(NEXT) | instid1(VALU_DEP_1)
	v_add_nc_u32_e32 v35, v35, v38
	v_cmp_ne_u32_e32 vcc_lo, v35, v36
	s_and_b32 s4, vcc_lo, exec_lo
.LBB386_93:
	s_or_b32 exec_lo, exec_lo, s3
	s_delay_alu instid0(SALU_CYCLE_1)
	s_and_b32 s4, s4, exec_lo
	s_or_b32 s0, s0, exec_lo
.LBB386_94:
	s_or_b32 exec_lo, exec_lo, s5
.LBB386_95:
	s_and_saveexec_b32 s3, s0
	s_cbranch_execz .LBB386_97
; %bb.96:
	s_waitcnt vmcnt(0) lgkmcnt(1)
	v_and_b32_e32 v35, 0xffffff00, v33
	v_cndmask_b32_e64 v36, 0, 1, s4
	s_delay_alu instid0(VALU_DEP_1) | instskip(NEXT) | instid1(VALU_DEP_1)
	v_or_b32_e32 v35, v36, v35
	v_and_b32_e32 v35, 0xffff, v35
	s_delay_alu instid0(VALU_DEP_1)
	v_and_or_b32 v33, 0xffff0000, v33, v35
.LBB386_97:
	s_or_b32 exec_lo, exec_lo, s3
	s_delay_alu instid0(SALU_CYCLE_1)
	s_and_not1_b32 vcc_lo, exec_lo, s1
	s_cbranch_vccnz .LBB386_99
; %bb.98:
	v_cmp_gt_u32_e32 vcc_lo, s25, v55
	s_waitcnt vmcnt(0) lgkmcnt(1)
	v_or_b32_e32 v36, 1, v55
	v_and_b32_e32 v37, 0xffffff00, v34
	v_or_b32_e32 v38, 2, v55
	v_cndmask_b32_e32 v35, 0, v33, vcc_lo
	s_delay_alu instid0(VALU_DEP_4) | instskip(SKIP_1) | instid1(VALU_DEP_4)
	v_cmp_gt_u32_e32 vcc_lo, s25, v36
	v_or_b32_e32 v36, 4, v55
	v_cmp_gt_u32_e64 s0, s25, v38
	v_or_b32_e32 v38, 3, v55
	v_and_b32_e32 v35, 0xff, v35
	s_delay_alu instid0(VALU_DEP_2) | instskip(NEXT) | instid1(VALU_DEP_2)
	v_cmp_gt_u32_e64 s1, s25, v38
	v_cndmask_b32_e32 v35, v35, v33, vcc_lo
	v_cmp_gt_u32_e32 vcc_lo, s25, v36
	v_cndmask_b32_e32 v36, v37, v34, vcc_lo
	v_or_b32_e32 v37, 5, v55
	s_delay_alu instid0(VALU_DEP_2) | instskip(SKIP_1) | instid1(VALU_DEP_1)
	v_and_b32_e32 v36, 0xffff00ff, v36
	v_and_b32_e32 v35, 0xffff, v35
	v_cndmask_b32_e64 v35, v35, v33, s0
	s_delay_alu instid0(VALU_DEP_4) | instskip(SKIP_1) | instid1(VALU_DEP_3)
	v_cmp_gt_u32_e64 s0, s25, v37
	v_or_b32_e32 v37, 6, v55
	v_and_b32_e32 v35, 0xffffff, v35
	s_delay_alu instid0(VALU_DEP_3) | instskip(NEXT) | instid1(VALU_DEP_2)
	v_cndmask_b32_e64 v36, v36, v34, s0
	v_cndmask_b32_e64 v35, v35, v33, s1
	s_delay_alu instid0(VALU_DEP_1) | instskip(SKIP_2) | instid1(VALU_DEP_3)
	v_dual_cndmask_b32 v35, v35, v33 :: v_dual_and_b32 v36, 0xff00ffff, v36
	v_cmp_gt_u32_e32 vcc_lo, s25, v37
	v_or_b32_e32 v37, 7, v55
	v_cndmask_b32_e64 v35, v35, v33, s0
	s_delay_alu instid0(VALU_DEP_1) | instskip(NEXT) | instid1(VALU_DEP_1)
	v_dual_cndmask_b32 v36, v36, v34 :: v_dual_cndmask_b32 v35, v35, v33
	v_and_b32_e32 v36, 0xffffff, v36
	s_delay_alu instid0(VALU_DEP_4) | instskip(NEXT) | instid1(VALU_DEP_2)
	v_cmp_gt_u32_e32 vcc_lo, s25, v37
	v_dual_cndmask_b32 v34, v36, v34 :: v_dual_cndmask_b32 v33, v35, v33
.LBB386_99:
	s_delay_alu instid0(VALU_DEP_1) | instskip(SKIP_1) | instid1(VALU_DEP_2)
	v_and_b32_e32 v44, 0xff, v33
	s_waitcnt vmcnt(0) lgkmcnt(1)
	v_alignbit_b32 v35, v34, v33, 24
	v_bfe_u32 v46, v33, 8, 8
	v_bfe_u32 v48, v33, 16, 8
	v_and_b32_e32 v52, 0xff, v34
	v_bfe_u32 v54, v34, 8, 8
	v_and_b32_e32 v50, 0xff, v35
	v_add_nc_u32_e32 v35, v46, v44
	v_mbcnt_lo_u32_b32 v58, -1, 0
	v_bfe_u32 v57, v34, 16, 8
	v_lshrrev_b32_e32 v56, 24, v34
	v_lshrrev_b32_e32 v59, 5, v0
	v_add3_u32 v35, v35, v48, v50
	v_and_b32_e32 v36, 15, v58
	v_and_b32_e32 v37, 16, v58
	s_and_b32 vcc_lo, exec_lo, s18
	s_mov_b32 s7, -1
	v_add3_u32 v35, v35, v52, v54
	v_cmp_eq_u32_e64 s3, 0, v36
	v_cmp_lt_u32_e64 s0, 1, v36
	v_cmp_lt_u32_e64 s4, 3, v36
	;; [unrolled: 1-line block ×3, first 2 shown]
	v_add3_u32 v60, v35, v57, v56
	v_or_b32_e32 v35, 31, v0
	v_cmp_eq_u32_e64 s6, 0, v37
	s_waitcnt lgkmcnt(0)
	s_barrier
	buffer_gl0_inv
	v_cmp_eq_u32_e64 s5, v35, v0
	s_cbranch_vccz .LBB386_130
; %bb.100:
	v_mov_b32_dpp v35, v60 row_shr:1 row_mask:0xf bank_mask:0xf
	s_delay_alu instid0(VALU_DEP_1) | instskip(NEXT) | instid1(VALU_DEP_1)
	v_cndmask_b32_e64 v35, v35, 0, s3
	v_add_nc_u32_e32 v35, v35, v60
	s_delay_alu instid0(VALU_DEP_1) | instskip(NEXT) | instid1(VALU_DEP_1)
	v_mov_b32_dpp v36, v35 row_shr:2 row_mask:0xf bank_mask:0xf
	v_cndmask_b32_e64 v36, 0, v36, s0
	s_delay_alu instid0(VALU_DEP_1) | instskip(NEXT) | instid1(VALU_DEP_1)
	v_add_nc_u32_e32 v35, v35, v36
	v_mov_b32_dpp v36, v35 row_shr:4 row_mask:0xf bank_mask:0xf
	s_delay_alu instid0(VALU_DEP_1) | instskip(NEXT) | instid1(VALU_DEP_1)
	v_cndmask_b32_e64 v36, 0, v36, s4
	v_add_nc_u32_e32 v35, v35, v36
	s_delay_alu instid0(VALU_DEP_1) | instskip(NEXT) | instid1(VALU_DEP_1)
	v_mov_b32_dpp v36, v35 row_shr:8 row_mask:0xf bank_mask:0xf
	v_cndmask_b32_e64 v36, 0, v36, s1
	s_delay_alu instid0(VALU_DEP_1) | instskip(SKIP_3) | instid1(VALU_DEP_1)
	v_add_nc_u32_e32 v35, v35, v36
	ds_swizzle_b32 v36, v35 offset:swizzle(BROADCAST,32,15)
	s_waitcnt lgkmcnt(0)
	v_cndmask_b32_e64 v36, v36, 0, s6
	v_add_nc_u32_e32 v35, v35, v36
	s_and_saveexec_b32 s7, s5
	s_cbranch_execz .LBB386_102
; %bb.101:
	v_lshlrev_b32_e32 v36, 2, v59
	ds_store_b32 v36, v35
.LBB386_102:
	s_or_b32 exec_lo, exec_lo, s7
	s_delay_alu instid0(SALU_CYCLE_1)
	s_mov_b32 s7, exec_lo
	s_waitcnt lgkmcnt(0)
	s_barrier
	buffer_gl0_inv
	v_cmpx_gt_u32_e32 16, v0
	s_cbranch_execz .LBB386_104
; %bb.103:
	v_lshlrev_b32_e32 v36, 2, v0
	ds_load_b32 v37, v36
	s_waitcnt lgkmcnt(0)
	v_mov_b32_dpp v38, v37 row_shr:1 row_mask:0xf bank_mask:0xf
	s_delay_alu instid0(VALU_DEP_1) | instskip(NEXT) | instid1(VALU_DEP_1)
	v_cndmask_b32_e64 v38, v38, 0, s3
	v_add_nc_u32_e32 v37, v38, v37
	s_delay_alu instid0(VALU_DEP_1) | instskip(NEXT) | instid1(VALU_DEP_1)
	v_mov_b32_dpp v38, v37 row_shr:2 row_mask:0xf bank_mask:0xf
	v_cndmask_b32_e64 v38, 0, v38, s0
	s_delay_alu instid0(VALU_DEP_1) | instskip(NEXT) | instid1(VALU_DEP_1)
	v_add_nc_u32_e32 v37, v37, v38
	v_mov_b32_dpp v38, v37 row_shr:4 row_mask:0xf bank_mask:0xf
	s_delay_alu instid0(VALU_DEP_1) | instskip(NEXT) | instid1(VALU_DEP_1)
	v_cndmask_b32_e64 v38, 0, v38, s4
	v_add_nc_u32_e32 v37, v37, v38
	s_delay_alu instid0(VALU_DEP_1) | instskip(NEXT) | instid1(VALU_DEP_1)
	v_mov_b32_dpp v38, v37 row_shr:8 row_mask:0xf bank_mask:0xf
	v_cndmask_b32_e64 v38, 0, v38, s1
	s_delay_alu instid0(VALU_DEP_1)
	v_add_nc_u32_e32 v37, v37, v38
	ds_store_b32 v36, v37
.LBB386_104:
	s_or_b32 exec_lo, exec_lo, s7
	v_cmp_gt_u32_e32 vcc_lo, 32, v0
	s_mov_b32 s18, exec_lo
	s_waitcnt lgkmcnt(0)
	s_barrier
	buffer_gl0_inv
                                        ; implicit-def: $vgpr43
	v_cmpx_lt_u32_e32 31, v0
	s_cbranch_execz .LBB386_106
; %bb.105:
	v_lshl_add_u32 v36, v59, 2, -4
	ds_load_b32 v43, v36
	s_waitcnt lgkmcnt(0)
	v_add_nc_u32_e32 v35, v43, v35
.LBB386_106:
	s_or_b32 exec_lo, exec_lo, s18
	v_add_nc_u32_e32 v36, -1, v58
	s_delay_alu instid0(VALU_DEP_1) | instskip(NEXT) | instid1(VALU_DEP_1)
	v_cmp_gt_i32_e64 s7, 0, v36
	v_cndmask_b32_e64 v36, v36, v58, s7
	v_cmp_eq_u32_e64 s7, 0, v58
	s_delay_alu instid0(VALU_DEP_2)
	v_lshlrev_b32_e32 v36, 2, v36
	ds_bpermute_b32 v45, v36, v35
	s_and_saveexec_b32 s18, vcc_lo
	s_cbranch_execz .LBB386_129
; %bb.107:
	v_mov_b32_e32 v39, 0
	ds_load_b32 v35, v39 offset:60
	s_and_saveexec_b32 s19, s7
	s_cbranch_execz .LBB386_109
; %bb.108:
	s_add_i32 s20, s24, 32
	s_mov_b32 s21, 0
	v_mov_b32_e32 v36, 1
	s_lshl_b64 s[20:21], s[20:21], 3
	s_delay_alu instid0(SALU_CYCLE_1)
	s_add_u32 s20, s16, s20
	s_addc_u32 s21, s17, s21
	s_waitcnt lgkmcnt(0)
	global_store_b64 v39, v[35:36], s[20:21]
.LBB386_109:
	s_or_b32 exec_lo, exec_lo, s19
	v_xad_u32 v37, v58, -1, s24
	s_mov_b32 s20, 0
	s_mov_b32 s19, exec_lo
	s_delay_alu instid0(VALU_DEP_1) | instskip(NEXT) | instid1(VALU_DEP_1)
	v_add_nc_u32_e32 v38, 32, v37
	v_lshlrev_b64 v[38:39], 3, v[38:39]
	s_delay_alu instid0(VALU_DEP_1) | instskip(NEXT) | instid1(VALU_DEP_2)
	v_add_co_u32 v41, vcc_lo, s16, v38
	v_add_co_ci_u32_e32 v42, vcc_lo, s17, v39, vcc_lo
	global_load_b64 v[39:40], v[41:42], off glc
	s_waitcnt vmcnt(0)
	v_and_b32_e32 v36, 0xff, v40
	s_delay_alu instid0(VALU_DEP_1)
	v_cmpx_eq_u16_e32 0, v36
	s_cbranch_execz .LBB386_115
; %bb.110:
	s_mov_b32 s21, 1
	.p2align	6
.LBB386_111:                            ; =>This Loop Header: Depth=1
                                        ;     Child Loop BB386_112 Depth 2
	s_delay_alu instid0(SALU_CYCLE_1)
	s_max_u32 s25, s21, 1
.LBB386_112:                            ;   Parent Loop BB386_111 Depth=1
                                        ; =>  This Inner Loop Header: Depth=2
	s_delay_alu instid0(SALU_CYCLE_1)
	s_add_i32 s25, s25, -1
	s_sleep 1
	s_cmp_eq_u32 s25, 0
	s_cbranch_scc0 .LBB386_112
; %bb.113:                              ;   in Loop: Header=BB386_111 Depth=1
	global_load_b64 v[39:40], v[41:42], off glc
	s_cmp_lt_u32 s21, 32
	s_cselect_b32 s25, -1, 0
	s_delay_alu instid0(SALU_CYCLE_1) | instskip(SKIP_3) | instid1(VALU_DEP_1)
	s_cmp_lg_u32 s25, 0
	s_addc_u32 s21, s21, 0
	s_waitcnt vmcnt(0)
	v_and_b32_e32 v36, 0xff, v40
	v_cmp_ne_u16_e32 vcc_lo, 0, v36
	s_or_b32 s20, vcc_lo, s20
	s_delay_alu instid0(SALU_CYCLE_1)
	s_and_not1_b32 exec_lo, exec_lo, s20
	s_cbranch_execnz .LBB386_111
; %bb.114:
	s_or_b32 exec_lo, exec_lo, s20
.LBB386_115:
	s_delay_alu instid0(SALU_CYCLE_1)
	s_or_b32 exec_lo, exec_lo, s19
	v_cmp_ne_u32_e32 vcc_lo, 31, v58
	v_lshlrev_b32_e64 v49, v58, -1
	v_add_nc_u32_e32 v53, 2, v58
	v_add_nc_u32_e32 v66, 16, v58
	v_add_co_ci_u32_e32 v36, vcc_lo, 0, v58, vcc_lo
	s_delay_alu instid0(VALU_DEP_1)
	v_lshlrev_b32_e32 v47, 2, v36
	v_and_b32_e32 v36, 0xff, v40
	ds_bpermute_b32 v38, v47, v39
	v_cmp_eq_u16_e32 vcc_lo, 2, v36
	v_and_or_b32 v36, vcc_lo, v49, 0x80000000
	v_cmp_gt_u32_e32 vcc_lo, 30, v58
	s_delay_alu instid0(VALU_DEP_2) | instskip(SKIP_1) | instid1(VALU_DEP_2)
	v_ctz_i32_b32_e32 v36, v36
	v_cndmask_b32_e64 v41, 0, 1, vcc_lo
	v_cmp_lt_u32_e32 vcc_lo, v58, v36
	s_waitcnt lgkmcnt(0)
	s_delay_alu instid0(VALU_DEP_2) | instskip(NEXT) | instid1(VALU_DEP_1)
	v_dual_cndmask_b32 v38, 0, v38 :: v_dual_lshlrev_b32 v41, 1, v41
	v_add_lshl_u32 v51, v41, v58, 2
	v_cmp_gt_u32_e32 vcc_lo, 28, v58
	s_delay_alu instid0(VALU_DEP_3) | instskip(SKIP_4) | instid1(VALU_DEP_1)
	v_add_nc_u32_e32 v38, v38, v39
	v_cndmask_b32_e64 v41, 0, 1, vcc_lo
	v_cmp_le_u32_e32 vcc_lo, v53, v36
	ds_bpermute_b32 v39, v51, v38
	v_lshlrev_b32_e32 v41, 2, v41
	v_add_lshl_u32 v61, v41, v58, 2
	s_waitcnt lgkmcnt(0)
	v_cndmask_b32_e32 v39, 0, v39, vcc_lo
	v_cmp_gt_u32_e32 vcc_lo, 24, v58
	s_delay_alu instid0(VALU_DEP_2) | instskip(SKIP_4) | instid1(VALU_DEP_2)
	v_add_nc_u32_e32 v38, v38, v39
	v_cndmask_b32_e64 v41, 0, 1, vcc_lo
	ds_bpermute_b32 v39, v61, v38
	v_add_nc_u32_e32 v62, 4, v58
	v_lshlrev_b32_e32 v41, 3, v41
	v_cmp_le_u32_e32 vcc_lo, v62, v36
	s_delay_alu instid0(VALU_DEP_2) | instskip(SKIP_3) | instid1(VALU_DEP_2)
	v_add_lshl_u32 v63, v41, v58, 2
	s_waitcnt lgkmcnt(0)
	v_cndmask_b32_e32 v39, 0, v39, vcc_lo
	v_cmp_gt_u32_e32 vcc_lo, 16, v58
	v_add_nc_u32_e32 v38, v38, v39
	v_cndmask_b32_e64 v41, 0, 1, vcc_lo
	ds_bpermute_b32 v39, v63, v38
	v_add_nc_u32_e32 v64, 8, v58
	v_lshlrev_b32_e32 v41, 4, v41
	s_delay_alu instid0(VALU_DEP_2) | instskip(NEXT) | instid1(VALU_DEP_2)
	v_cmp_le_u32_e32 vcc_lo, v64, v36
	v_add_lshl_u32 v65, v41, v58, 2
	s_waitcnt lgkmcnt(0)
	v_cndmask_b32_e32 v39, 0, v39, vcc_lo
	v_cmp_le_u32_e32 vcc_lo, v66, v36
	s_delay_alu instid0(VALU_DEP_2) | instskip(SKIP_3) | instid1(VALU_DEP_1)
	v_add_nc_u32_e32 v38, v38, v39
	ds_bpermute_b32 v39, v65, v38
	s_waitcnt lgkmcnt(0)
	v_cndmask_b32_e32 v36, 0, v39, vcc_lo
	v_dual_mov_b32 v38, 0 :: v_dual_add_nc_u32 v39, v38, v36
	s_branch .LBB386_117
.LBB386_116:                            ;   in Loop: Header=BB386_117 Depth=1
	s_or_b32 exec_lo, exec_lo, s19
	ds_bpermute_b32 v42, v47, v39
	v_and_b32_e32 v41, 0xff, v40
	v_subrev_nc_u32_e32 v37, 32, v37
	s_delay_alu instid0(VALU_DEP_2) | instskip(SKIP_1) | instid1(VALU_DEP_1)
	v_cmp_eq_u16_e32 vcc_lo, 2, v41
	v_and_or_b32 v41, vcc_lo, v49, 0x80000000
	v_ctz_i32_b32_e32 v41, v41
	s_delay_alu instid0(VALU_DEP_1) | instskip(SKIP_3) | instid1(VALU_DEP_2)
	v_cmp_lt_u32_e32 vcc_lo, v58, v41
	s_waitcnt lgkmcnt(0)
	v_cndmask_b32_e32 v42, 0, v42, vcc_lo
	v_cmp_le_u32_e32 vcc_lo, v53, v41
	v_add_nc_u32_e32 v39, v42, v39
	ds_bpermute_b32 v42, v51, v39
	s_waitcnt lgkmcnt(0)
	v_cndmask_b32_e32 v42, 0, v42, vcc_lo
	v_cmp_le_u32_e32 vcc_lo, v62, v41
	s_delay_alu instid0(VALU_DEP_2) | instskip(SKIP_4) | instid1(VALU_DEP_2)
	v_add_nc_u32_e32 v39, v39, v42
	ds_bpermute_b32 v42, v61, v39
	s_waitcnt lgkmcnt(0)
	v_cndmask_b32_e32 v42, 0, v42, vcc_lo
	v_cmp_le_u32_e32 vcc_lo, v64, v41
	v_add_nc_u32_e32 v39, v39, v42
	ds_bpermute_b32 v42, v63, v39
	s_waitcnt lgkmcnt(0)
	v_cndmask_b32_e32 v42, 0, v42, vcc_lo
	v_cmp_le_u32_e32 vcc_lo, v66, v41
	s_delay_alu instid0(VALU_DEP_2) | instskip(SKIP_3) | instid1(VALU_DEP_1)
	v_add_nc_u32_e32 v39, v39, v42
	ds_bpermute_b32 v42, v65, v39
	s_waitcnt lgkmcnt(0)
	v_cndmask_b32_e32 v41, 0, v42, vcc_lo
	v_add3_u32 v39, v41, v36, v39
.LBB386_117:                            ; =>This Loop Header: Depth=1
                                        ;     Child Loop BB386_120 Depth 2
                                        ;       Child Loop BB386_121 Depth 3
	v_and_b32_e32 v36, 0xff, v40
	s_delay_alu instid0(VALU_DEP_1) | instskip(SKIP_2) | instid1(VALU_DEP_1)
	v_cmp_ne_u16_e32 vcc_lo, 2, v36
	v_cndmask_b32_e64 v36, 0, 1, vcc_lo
	;;#ASMSTART
	;;#ASMEND
	v_cmp_ne_u32_e32 vcc_lo, 0, v36
	v_mov_b32_e32 v36, v39
	s_cmp_lg_u32 vcc_lo, exec_lo
	s_cbranch_scc1 .LBB386_124
; %bb.118:                              ;   in Loop: Header=BB386_117 Depth=1
	v_lshlrev_b64 v[39:40], 3, v[37:38]
	s_mov_b32 s19, exec_lo
	s_delay_alu instid0(VALU_DEP_1) | instskip(NEXT) | instid1(VALU_DEP_2)
	v_add_co_u32 v41, vcc_lo, s16, v39
	v_add_co_ci_u32_e32 v42, vcc_lo, s17, v40, vcc_lo
	global_load_b64 v[39:40], v[41:42], off glc
	s_waitcnt vmcnt(0)
	v_and_b32_e32 v67, 0xff, v40
	s_delay_alu instid0(VALU_DEP_1)
	v_cmpx_eq_u16_e32 0, v67
	s_cbranch_execz .LBB386_116
; %bb.119:                              ;   in Loop: Header=BB386_117 Depth=1
	s_mov_b32 s21, 1
	s_mov_b32 s20, 0
	.p2align	6
.LBB386_120:                            ;   Parent Loop BB386_117 Depth=1
                                        ; =>  This Loop Header: Depth=2
                                        ;       Child Loop BB386_121 Depth 3
	s_max_u32 s25, s21, 1
.LBB386_121:                            ;   Parent Loop BB386_117 Depth=1
                                        ;     Parent Loop BB386_120 Depth=2
                                        ; =>    This Inner Loop Header: Depth=3
	s_delay_alu instid0(SALU_CYCLE_1)
	s_add_i32 s25, s25, -1
	s_sleep 1
	s_cmp_eq_u32 s25, 0
	s_cbranch_scc0 .LBB386_121
; %bb.122:                              ;   in Loop: Header=BB386_120 Depth=2
	global_load_b64 v[39:40], v[41:42], off glc
	s_cmp_lt_u32 s21, 32
	s_cselect_b32 s25, -1, 0
	s_delay_alu instid0(SALU_CYCLE_1) | instskip(SKIP_3) | instid1(VALU_DEP_1)
	s_cmp_lg_u32 s25, 0
	s_addc_u32 s21, s21, 0
	s_waitcnt vmcnt(0)
	v_and_b32_e32 v67, 0xff, v40
	v_cmp_ne_u16_e32 vcc_lo, 0, v67
	s_or_b32 s20, vcc_lo, s20
	s_delay_alu instid0(SALU_CYCLE_1)
	s_and_not1_b32 exec_lo, exec_lo, s20
	s_cbranch_execnz .LBB386_120
; %bb.123:                              ;   in Loop: Header=BB386_117 Depth=1
	s_or_b32 exec_lo, exec_lo, s20
	s_branch .LBB386_116
.LBB386_124:                            ;   in Loop: Header=BB386_117 Depth=1
                                        ; implicit-def: $vgpr39
                                        ; implicit-def: $vgpr40
	s_cbranch_execz .LBB386_117
; %bb.125:
	s_and_saveexec_b32 s19, s7
	s_cbranch_execz .LBB386_127
; %bb.126:
	s_add_i32 s20, s24, 32
	s_mov_b32 s21, 0
	v_dual_mov_b32 v38, 2 :: v_dual_add_nc_u32 v37, v36, v35
	s_lshl_b64 s[20:21], s[20:21], 3
	v_mov_b32_e32 v39, 0
	s_add_u32 s20, s16, s20
	s_addc_u32 s21, s17, s21
	global_store_b64 v39, v[37:38], s[20:21]
	ds_store_b64 v39, v[35:36] offset:33792
.LBB386_127:
	s_or_b32 exec_lo, exec_lo, s19
	s_delay_alu instid0(SALU_CYCLE_1)
	s_and_b32 exec_lo, exec_lo, s2
	s_cbranch_execz .LBB386_129
; %bb.128:
	v_mov_b32_e32 v35, 0
	ds_store_b32 v35, v36 offset:60
.LBB386_129:
	s_or_b32 exec_lo, exec_lo, s18
	v_mov_b32_e32 v35, 0
	s_waitcnt lgkmcnt(0)
	s_waitcnt_vscnt null, 0x0
	s_barrier
	buffer_gl0_inv
	v_cndmask_b32_e64 v37, v45, v43, s7
	ds_load_b32 v36, v35 offset:60
	s_waitcnt lgkmcnt(0)
	s_barrier
	buffer_gl0_inv
	v_cndmask_b32_e64 v37, v37, 0, s2
	s_delay_alu instid0(VALU_DEP_1) | instskip(SKIP_2) | instid1(VALU_DEP_1)
	v_add_nc_u32_e32 v53, v36, v37
	ds_load_b64 v[35:36], v35 offset:33792
	v_add_nc_u32_e32 v51, v53, v44
	v_add_nc_u32_e32 v49, v51, v46
	s_delay_alu instid0(VALU_DEP_1) | instskip(NEXT) | instid1(VALU_DEP_1)
	v_add_nc_u32_e32 v47, v49, v48
	v_add_nc_u32_e32 v45, v47, v50
	s_waitcnt lgkmcnt(0)
	v_readfirstlane_b32 s18, v36
	s_delay_alu instid0(VALU_DEP_2) | instskip(NEXT) | instid1(VALU_DEP_1)
	v_add_nc_u32_e32 v43, v45, v52
	v_add_nc_u32_e32 v41, v43, v54
	s_delay_alu instid0(VALU_DEP_1)
	v_add_nc_u32_e32 v39, v41, v57
	v_lshrrev_b64 v[37:38], 24, v[33:34]
	s_branch .LBB386_140
.LBB386_130:
                                        ; implicit-def: $vgpr39
                                        ; implicit-def: $vgpr41
                                        ; implicit-def: $vgpr43
                                        ; implicit-def: $vgpr45
                                        ; implicit-def: $vgpr47
                                        ; implicit-def: $vgpr49
                                        ; implicit-def: $vgpr51
                                        ; implicit-def: $vgpr53
                                        ; implicit-def: $sgpr18
                                        ; implicit-def: $vgpr35
	v_lshrrev_b64 v[37:38], 24, v[33:34]
	s_and_b32 vcc_lo, exec_lo, s7
	s_cbranch_vccz .LBB386_140
; %bb.131:
	v_mov_b32_dpp v35, v60 row_shr:1 row_mask:0xf bank_mask:0xf
	s_delay_alu instid0(VALU_DEP_1) | instskip(NEXT) | instid1(VALU_DEP_1)
	v_cndmask_b32_e64 v35, v35, 0, s3
	v_add_nc_u32_e32 v35, v35, v60
	s_delay_alu instid0(VALU_DEP_1) | instskip(NEXT) | instid1(VALU_DEP_1)
	v_mov_b32_dpp v36, v35 row_shr:2 row_mask:0xf bank_mask:0xf
	v_cndmask_b32_e64 v36, 0, v36, s0
	s_delay_alu instid0(VALU_DEP_1) | instskip(NEXT) | instid1(VALU_DEP_1)
	v_add_nc_u32_e32 v35, v35, v36
	v_mov_b32_dpp v36, v35 row_shr:4 row_mask:0xf bank_mask:0xf
	s_delay_alu instid0(VALU_DEP_1) | instskip(NEXT) | instid1(VALU_DEP_1)
	v_cndmask_b32_e64 v36, 0, v36, s4
	v_add_nc_u32_e32 v35, v35, v36
	s_delay_alu instid0(VALU_DEP_1) | instskip(NEXT) | instid1(VALU_DEP_1)
	v_mov_b32_dpp v36, v35 row_shr:8 row_mask:0xf bank_mask:0xf
	v_cndmask_b32_e64 v36, 0, v36, s1
	s_delay_alu instid0(VALU_DEP_1) | instskip(SKIP_3) | instid1(VALU_DEP_1)
	v_add_nc_u32_e32 v35, v35, v36
	ds_swizzle_b32 v36, v35 offset:swizzle(BROADCAST,32,15)
	s_waitcnt lgkmcnt(0)
	v_cndmask_b32_e64 v36, v36, 0, s6
	v_add_nc_u32_e32 v35, v35, v36
	s_and_saveexec_b32 s6, s5
	s_cbranch_execz .LBB386_133
; %bb.132:
	v_lshlrev_b32_e32 v36, 2, v59
	ds_store_b32 v36, v35
.LBB386_133:
	s_or_b32 exec_lo, exec_lo, s6
	s_delay_alu instid0(SALU_CYCLE_1)
	s_mov_b32 s5, exec_lo
	s_waitcnt lgkmcnt(0)
	s_barrier
	buffer_gl0_inv
	v_cmpx_gt_u32_e32 16, v0
	s_cbranch_execz .LBB386_135
; %bb.134:
	v_lshlrev_b32_e32 v36, 2, v0
	ds_load_b32 v38, v36
	s_waitcnt lgkmcnt(0)
	v_mov_b32_dpp v39, v38 row_shr:1 row_mask:0xf bank_mask:0xf
	s_delay_alu instid0(VALU_DEP_1) | instskip(NEXT) | instid1(VALU_DEP_1)
	v_cndmask_b32_e64 v39, v39, 0, s3
	v_add_nc_u32_e32 v38, v39, v38
	s_delay_alu instid0(VALU_DEP_1) | instskip(NEXT) | instid1(VALU_DEP_1)
	v_mov_b32_dpp v39, v38 row_shr:2 row_mask:0xf bank_mask:0xf
	v_cndmask_b32_e64 v39, 0, v39, s0
	s_delay_alu instid0(VALU_DEP_1) | instskip(NEXT) | instid1(VALU_DEP_1)
	v_add_nc_u32_e32 v38, v38, v39
	v_mov_b32_dpp v39, v38 row_shr:4 row_mask:0xf bank_mask:0xf
	s_delay_alu instid0(VALU_DEP_1) | instskip(NEXT) | instid1(VALU_DEP_1)
	v_cndmask_b32_e64 v39, 0, v39, s4
	v_add_nc_u32_e32 v38, v38, v39
	s_delay_alu instid0(VALU_DEP_1) | instskip(NEXT) | instid1(VALU_DEP_1)
	v_mov_b32_dpp v39, v38 row_shr:8 row_mask:0xf bank_mask:0xf
	v_cndmask_b32_e64 v39, 0, v39, s1
	s_delay_alu instid0(VALU_DEP_1)
	v_add_nc_u32_e32 v38, v38, v39
	ds_store_b32 v36, v38
.LBB386_135:
	s_or_b32 exec_lo, exec_lo, s5
	v_mov_b32_e32 v36, 0
	v_mov_b32_e32 v38, 0
	s_mov_b32 s0, exec_lo
	s_waitcnt lgkmcnt(0)
	s_barrier
	buffer_gl0_inv
	v_cmpx_lt_u32_e32 31, v0
	s_cbranch_execz .LBB386_137
; %bb.136:
	v_lshl_add_u32 v38, v59, 2, -4
	ds_load_b32 v38, v38
.LBB386_137:
	s_or_b32 exec_lo, exec_lo, s0
	v_add_nc_u32_e32 v39, -1, v58
	s_waitcnt lgkmcnt(0)
	v_add_nc_u32_e32 v35, v38, v35
	s_mov_b32 s18, 0
	s_delay_alu instid0(VALU_DEP_2) | instskip(SKIP_1) | instid1(VALU_DEP_1)
	v_cmp_gt_i32_e32 vcc_lo, 0, v39
	v_cndmask_b32_e32 v39, v39, v58, vcc_lo
	v_lshlrev_b32_e32 v39, 2, v39
	ds_bpermute_b32 v39, v39, v35
	ds_load_b32 v35, v36 offset:60
	s_and_saveexec_b32 s0, s2
	s_cbranch_execz .LBB386_139
; %bb.138:
	v_mov_b32_e32 v40, 0
	v_mov_b32_e32 v36, 2
	s_waitcnt lgkmcnt(0)
	global_store_b64 v40, v[35:36], s[16:17] offset:256
.LBB386_139:
	s_or_b32 exec_lo, exec_lo, s0
	v_cmp_eq_u32_e32 vcc_lo, 0, v58
	s_waitcnt lgkmcnt(0)
	s_waitcnt_vscnt null, 0x0
	s_barrier
	buffer_gl0_inv
	v_cndmask_b32_e32 v36, v39, v38, vcc_lo
	s_delay_alu instid0(VALU_DEP_1) | instskip(NEXT) | instid1(VALU_DEP_1)
	v_cndmask_b32_e64 v53, v36, 0, s2
	v_add_nc_u32_e32 v51, v53, v44
	s_delay_alu instid0(VALU_DEP_1) | instskip(NEXT) | instid1(VALU_DEP_1)
	v_add_nc_u32_e32 v49, v51, v46
	v_add_nc_u32_e32 v47, v49, v48
	s_delay_alu instid0(VALU_DEP_1) | instskip(NEXT) | instid1(VALU_DEP_1)
	v_add_nc_u32_e32 v45, v47, v50
	;; [unrolled: 3-line block ×3, first 2 shown]
	v_add_nc_u32_e32 v39, v41, v57
.LBB386_140:
	v_add_nc_u32_e32 v59, s18, v35
	v_cmp_gt_u32_e64 s0, 0x201, v35
	v_lshrrev_b32_e32 v58, 8, v33
	v_lshrrev_b32_e32 v57, 16, v33
	;; [unrolled: 1-line block ×4, first 2 shown]
	v_cmp_lt_u32_e64 s1, v53, v59
	s_and_b32 vcc_lo, exec_lo, s0
	s_mov_b32 s3, -1
	s_cbranch_vccz .LBB386_166
; %bb.141:
	s_lshl_b64 s[4:5], s[10:11], 3
	s_delay_alu instid0(SALU_CYCLE_1) | instskip(SKIP_2) | instid1(SALU_CYCLE_1)
	s_add_u32 s3, s12, s4
	s_addc_u32 s4, s13, s5
	s_or_b32 s5, s23, s1
	s_and_saveexec_b32 s1, s5
	s_cbranch_execz .LBB386_144
; %bb.142:
	v_and_b32_e32 v40, 1, v33
	s_delay_alu instid0(VALU_DEP_1)
	v_cmp_eq_u32_e32 vcc_lo, 1, v40
	s_and_b32 exec_lo, exec_lo, vcc_lo
	s_cbranch_execz .LBB386_144
; %bb.143:
	v_mov_b32_e32 v54, 0
	s_delay_alu instid0(VALU_DEP_1) | instskip(NEXT) | instid1(VALU_DEP_1)
	v_lshlrev_b64 v[60:61], 3, v[53:54]
	v_add_co_u32 v60, vcc_lo, s3, v60
	s_delay_alu instid0(VALU_DEP_2)
	v_add_co_ci_u32_e32 v61, vcc_lo, s4, v61, vcc_lo
	global_store_b64 v[60:61], v[29:30], off
.LBB386_144:
	s_or_b32 exec_lo, exec_lo, s1
	v_cmp_lt_u32_e32 vcc_lo, v51, v59
	s_or_b32 s5, s23, vcc_lo
	s_delay_alu instid0(SALU_CYCLE_1)
	s_and_saveexec_b32 s1, s5
	s_cbranch_execz .LBB386_147
; %bb.145:
	v_and_b32_e32 v40, 1, v58
	s_delay_alu instid0(VALU_DEP_1)
	v_cmp_eq_u32_e32 vcc_lo, 1, v40
	s_and_b32 exec_lo, exec_lo, vcc_lo
	s_cbranch_execz .LBB386_147
; %bb.146:
	v_mov_b32_e32 v52, 0
	s_delay_alu instid0(VALU_DEP_1) | instskip(NEXT) | instid1(VALU_DEP_1)
	v_lshlrev_b64 v[60:61], 3, v[51:52]
	v_add_co_u32 v60, vcc_lo, s3, v60
	s_delay_alu instid0(VALU_DEP_2)
	v_add_co_ci_u32_e32 v61, vcc_lo, s4, v61, vcc_lo
	global_store_b64 v[60:61], v[31:32], off
.LBB386_147:
	s_or_b32 exec_lo, exec_lo, s1
	v_cmp_lt_u32_e32 vcc_lo, v49, v59
	s_or_b32 s5, s23, vcc_lo
	s_delay_alu instid0(SALU_CYCLE_1)
	;; [unrolled: 21-line block ×7, first 2 shown]
	s_and_saveexec_b32 s1, s5
	s_cbranch_execz .LBB386_165
; %bb.163:
	v_and_b32_e32 v40, 1, v56
	s_delay_alu instid0(VALU_DEP_1)
	v_cmp_eq_u32_e32 vcc_lo, 1, v40
	s_and_b32 exec_lo, exec_lo, vcc_lo
	s_cbranch_execz .LBB386_165
; %bb.164:
	v_mov_b32_e32 v40, 0
	s_delay_alu instid0(VALU_DEP_1) | instskip(NEXT) | instid1(VALU_DEP_1)
	v_lshlrev_b64 v[60:61], 3, v[39:40]
	v_add_co_u32 v60, vcc_lo, s3, v60
	s_delay_alu instid0(VALU_DEP_2)
	v_add_co_ci_u32_e32 v61, vcc_lo, s4, v61, vcc_lo
	global_store_b64 v[60:61], v[19:20], off
.LBB386_165:
	s_or_b32 exec_lo, exec_lo, s1
	s_mov_b32 s3, 0
.LBB386_166:
	v_and_b32_e32 v33, 1, v33
	s_and_b32 vcc_lo, exec_lo, s3
	s_delay_alu instid0(VALU_DEP_1)
	v_cmp_eq_u32_e64 s1, 1, v33
	s_cbranch_vccz .LBB386_187
; %bb.167:
	s_delay_alu instid0(VALU_DEP_1)
	s_and_saveexec_b32 s3, s1
	s_cbranch_execz .LBB386_169
; %bb.168:
	v_subrev_nc_u32_e32 v40, s18, v53
	s_delay_alu instid0(VALU_DEP_1)
	v_lshlrev_b32_e32 v40, 3, v40
	ds_store_b64 v40, v[29:30]
.LBB386_169:
	s_or_b32 exec_lo, exec_lo, s3
	v_and_b32_e32 v29, 1, v58
	s_mov_b32 s1, exec_lo
	s_delay_alu instid0(VALU_DEP_1)
	v_cmpx_eq_u32_e32 1, v29
	s_cbranch_execz .LBB386_171
; %bb.170:
	v_subrev_nc_u32_e32 v29, s18, v51
	s_delay_alu instid0(VALU_DEP_1)
	v_lshlrev_b32_e32 v29, 3, v29
	ds_store_b64 v29, v[31:32]
.LBB386_171:
	s_or_b32 exec_lo, exec_lo, s1
	v_and_b32_e32 v29, 1, v57
	s_mov_b32 s1, exec_lo
	s_delay_alu instid0(VALU_DEP_1)
	v_cmpx_eq_u32_e32 1, v29
	;; [unrolled: 12-line block ×7, first 2 shown]
	s_cbranch_execz .LBB386_183
; %bb.182:
	v_subrev_nc_u32_e32 v17, s18, v39
	s_delay_alu instid0(VALU_DEP_1)
	v_lshlrev_b32_e32 v17, 3, v17
	ds_store_b64 v17, v[19:20]
.LBB386_183:
	s_or_b32 exec_lo, exec_lo, s1
	s_delay_alu instid0(SALU_CYCLE_1)
	s_mov_b32 s3, exec_lo
	s_waitcnt lgkmcnt(0)
	s_waitcnt_vscnt null, 0x0
	s_barrier
	buffer_gl0_inv
	v_cmpx_lt_u32_e64 v0, v35
	s_cbranch_execz .LBB386_186
; %bb.184:
	s_mov_b32 s19, 0
	s_lshl_b64 s[4:5], s[10:11], 3
	s_lshl_b64 s[6:7], s[18:19], 3
	v_dual_mov_b32 v19, v55 :: v_dual_mov_b32 v20, v0
	s_add_u32 s1, s4, s6
	s_addc_u32 s4, s5, s7
	s_add_u32 s1, s12, s1
	s_addc_u32 s4, s13, s4
	v_add_co_u32 v17, s1, s1, v55
	s_delay_alu instid0(VALU_DEP_1)
	v_add_co_ci_u32_e64 v18, null, s4, 0, s1
	.p2align	6
.LBB386_185:                            ; =>This Inner Loop Header: Depth=1
	ds_load_b64 v[21:22], v19
	v_add_nc_u32_e32 v20, 0x200, v20
	v_add_nc_u32_e32 v19, 0x1000, v19
	s_delay_alu instid0(VALU_DEP_2) | instskip(SKIP_4) | instid1(VALU_DEP_1)
	v_cmp_ge_u32_e32 vcc_lo, v20, v35
	s_or_b32 s19, vcc_lo, s19
	s_waitcnt lgkmcnt(0)
	global_store_b64 v[17:18], v[21:22], off
	v_add_co_u32 v17, s1, 0x1000, v17
	v_add_co_ci_u32_e64 v18, s1, 0, v18, s1
	s_and_not1_b32 exec_lo, exec_lo, s19
	s_cbranch_execnz .LBB386_185
.LBB386_186:
	s_or_b32 exec_lo, exec_lo, s3
.LBB386_187:
	s_delay_alu instid0(SALU_CYCLE_1)
	s_and_b32 vcc_lo, exec_lo, s0
	s_mov_b32 s0, -1
	s_waitcnt_vscnt null, 0x0
	s_barrier
	buffer_gl0_inv
	s_cbranch_vccz .LBB386_215
; %bb.188:
	v_cmp_lt_u32_e32 vcc_lo, v53, v59
	s_lshl_b64 s[0:1], s[10:11], 3
	s_delay_alu instid0(SALU_CYCLE_1) | instskip(SKIP_2) | instid1(SALU_CYCLE_1)
	s_add_u32 s0, s14, s0
	s_addc_u32 s1, s15, s1
	s_or_b32 s4, s23, vcc_lo
	s_and_saveexec_b32 s3, s4
	s_cbranch_execz .LBB386_191
; %bb.189:
	v_cmp_eq_u32_e32 vcc_lo, 1, v33
	s_and_b32 exec_lo, exec_lo, vcc_lo
	s_cbranch_execz .LBB386_191
; %bb.190:
	v_mov_b32_e32 v54, 0
	s_delay_alu instid0(VALU_DEP_1) | instskip(NEXT) | instid1(VALU_DEP_1)
	v_lshlrev_b64 v[17:18], 3, v[53:54]
	v_add_co_u32 v17, vcc_lo, s0, v17
	s_delay_alu instid0(VALU_DEP_2)
	v_add_co_ci_u32_e32 v18, vcc_lo, s1, v18, vcc_lo
	global_store_b64 v[17:18], v[13:14], off
.LBB386_191:
	s_or_b32 exec_lo, exec_lo, s3
	v_cmp_lt_u32_e32 vcc_lo, v51, v59
	s_or_b32 s4, s23, vcc_lo
	s_delay_alu instid0(SALU_CYCLE_1)
	s_and_saveexec_b32 s3, s4
	s_cbranch_execz .LBB386_194
; %bb.192:
	v_and_b32_e32 v17, 1, v58
	s_delay_alu instid0(VALU_DEP_1)
	v_cmp_eq_u32_e32 vcc_lo, 1, v17
	s_and_b32 exec_lo, exec_lo, vcc_lo
	s_cbranch_execz .LBB386_194
; %bb.193:
	v_mov_b32_e32 v52, 0
	s_delay_alu instid0(VALU_DEP_1) | instskip(NEXT) | instid1(VALU_DEP_1)
	v_lshlrev_b64 v[17:18], 3, v[51:52]
	v_add_co_u32 v17, vcc_lo, s0, v17
	s_delay_alu instid0(VALU_DEP_2)
	v_add_co_ci_u32_e32 v18, vcc_lo, s1, v18, vcc_lo
	global_store_b64 v[17:18], v[15:16], off
.LBB386_194:
	s_or_b32 exec_lo, exec_lo, s3
	v_cmp_lt_u32_e32 vcc_lo, v49, v59
	s_or_b32 s4, s23, vcc_lo
	s_delay_alu instid0(SALU_CYCLE_1)
	s_and_saveexec_b32 s3, s4
	s_cbranch_execz .LBB386_197
; %bb.195:
	v_and_b32_e32 v17, 1, v57
	s_delay_alu instid0(VALU_DEP_1)
	v_cmp_eq_u32_e32 vcc_lo, 1, v17
	s_and_b32 exec_lo, exec_lo, vcc_lo
	s_cbranch_execz .LBB386_197
; %bb.196:
	v_mov_b32_e32 v50, 0
	s_delay_alu instid0(VALU_DEP_1) | instskip(NEXT) | instid1(VALU_DEP_1)
	v_lshlrev_b64 v[17:18], 3, v[49:50]
	v_add_co_u32 v17, vcc_lo, s0, v17
	s_delay_alu instid0(VALU_DEP_2)
	v_add_co_ci_u32_e32 v18, vcc_lo, s1, v18, vcc_lo
	global_store_b64 v[17:18], v[9:10], off
.LBB386_197:
	s_or_b32 exec_lo, exec_lo, s3
	v_cmp_lt_u32_e32 vcc_lo, v47, v59
	s_or_b32 s4, s23, vcc_lo
	s_delay_alu instid0(SALU_CYCLE_1)
	s_and_saveexec_b32 s3, s4
	s_cbranch_execz .LBB386_200
; %bb.198:
	v_and_b32_e32 v17, 1, v37
	s_delay_alu instid0(VALU_DEP_1)
	v_cmp_eq_u32_e32 vcc_lo, 1, v17
	s_and_b32 exec_lo, exec_lo, vcc_lo
	s_cbranch_execz .LBB386_200
; %bb.199:
	v_mov_b32_e32 v48, 0
	s_delay_alu instid0(VALU_DEP_1) | instskip(NEXT) | instid1(VALU_DEP_1)
	v_lshlrev_b64 v[17:18], 3, v[47:48]
	v_add_co_u32 v17, vcc_lo, s0, v17
	s_delay_alu instid0(VALU_DEP_2)
	v_add_co_ci_u32_e32 v18, vcc_lo, s1, v18, vcc_lo
	global_store_b64 v[17:18], v[11:12], off
.LBB386_200:
	s_or_b32 exec_lo, exec_lo, s3
	v_cmp_lt_u32_e32 vcc_lo, v45, v59
	s_or_b32 s4, s23, vcc_lo
	s_delay_alu instid0(SALU_CYCLE_1)
	s_and_saveexec_b32 s3, s4
	s_cbranch_execz .LBB386_203
; %bb.201:
	v_and_b32_e32 v17, 1, v34
	s_delay_alu instid0(VALU_DEP_1)
	v_cmp_eq_u32_e32 vcc_lo, 1, v17
	s_and_b32 exec_lo, exec_lo, vcc_lo
	s_cbranch_execz .LBB386_203
; %bb.202:
	v_mov_b32_e32 v46, 0
	s_delay_alu instid0(VALU_DEP_1) | instskip(NEXT) | instid1(VALU_DEP_1)
	v_lshlrev_b64 v[17:18], 3, v[45:46]
	v_add_co_u32 v17, vcc_lo, s0, v17
	s_delay_alu instid0(VALU_DEP_2)
	v_add_co_ci_u32_e32 v18, vcc_lo, s1, v18, vcc_lo
	global_store_b64 v[17:18], v[5:6], off
.LBB386_203:
	s_or_b32 exec_lo, exec_lo, s3
	v_cmp_lt_u32_e32 vcc_lo, v43, v59
	s_or_b32 s4, s23, vcc_lo
	s_delay_alu instid0(SALU_CYCLE_1)
	s_and_saveexec_b32 s3, s4
	s_cbranch_execz .LBB386_206
; %bb.204:
	v_and_b32_e32 v17, 1, v38
	s_delay_alu instid0(VALU_DEP_1)
	v_cmp_eq_u32_e32 vcc_lo, 1, v17
	s_and_b32 exec_lo, exec_lo, vcc_lo
	s_cbranch_execz .LBB386_206
; %bb.205:
	v_mov_b32_e32 v44, 0
	s_delay_alu instid0(VALU_DEP_1) | instskip(NEXT) | instid1(VALU_DEP_1)
	v_lshlrev_b64 v[17:18], 3, v[43:44]
	v_add_co_u32 v17, vcc_lo, s0, v17
	s_delay_alu instid0(VALU_DEP_2)
	v_add_co_ci_u32_e32 v18, vcc_lo, s1, v18, vcc_lo
	global_store_b64 v[17:18], v[7:8], off
.LBB386_206:
	s_or_b32 exec_lo, exec_lo, s3
	v_cmp_lt_u32_e32 vcc_lo, v41, v59
	s_or_b32 s4, s23, vcc_lo
	s_delay_alu instid0(SALU_CYCLE_1)
	s_and_saveexec_b32 s3, s4
	s_cbranch_execz .LBB386_209
; %bb.207:
	v_and_b32_e32 v17, 1, v36
	s_delay_alu instid0(VALU_DEP_1)
	v_cmp_eq_u32_e32 vcc_lo, 1, v17
	s_and_b32 exec_lo, exec_lo, vcc_lo
	s_cbranch_execz .LBB386_209
; %bb.208:
	v_mov_b32_e32 v42, 0
	s_delay_alu instid0(VALU_DEP_1) | instskip(NEXT) | instid1(VALU_DEP_1)
	v_lshlrev_b64 v[17:18], 3, v[41:42]
	v_add_co_u32 v17, vcc_lo, s0, v17
	s_delay_alu instid0(VALU_DEP_2)
	v_add_co_ci_u32_e32 v18, vcc_lo, s1, v18, vcc_lo
	global_store_b64 v[17:18], v[1:2], off
.LBB386_209:
	s_or_b32 exec_lo, exec_lo, s3
	v_cmp_lt_u32_e32 vcc_lo, v39, v59
	s_or_b32 s4, s23, vcc_lo
	s_delay_alu instid0(SALU_CYCLE_1)
	s_and_saveexec_b32 s3, s4
	s_cbranch_execz .LBB386_212
; %bb.210:
	v_and_b32_e32 v17, 1, v56
	s_delay_alu instid0(VALU_DEP_1)
	v_cmp_eq_u32_e32 vcc_lo, 1, v17
	s_and_b32 exec_lo, exec_lo, vcc_lo
	s_cbranch_execz .LBB386_212
; %bb.211:
	v_mov_b32_e32 v40, 0
	s_delay_alu instid0(VALU_DEP_1) | instskip(NEXT) | instid1(VALU_DEP_1)
	v_lshlrev_b64 v[17:18], 3, v[39:40]
	v_add_co_u32 v17, vcc_lo, s0, v17
	s_delay_alu instid0(VALU_DEP_2)
	v_add_co_ci_u32_e32 v18, vcc_lo, s1, v18, vcc_lo
	global_store_b64 v[17:18], v[3:4], off
.LBB386_212:
	s_or_b32 exec_lo, exec_lo, s3
.LBB386_213:
	s_and_b32 s0, s2, s22
	s_delay_alu instid0(SALU_CYCLE_1)
	s_and_saveexec_b32 s1, s0
	s_cbranch_execz .LBB386_236
.LBB386_214:
	v_add_co_u32 v0, s0, s10, v35
	s_delay_alu instid0(VALU_DEP_1) | instskip(SKIP_1) | instid1(VALU_DEP_3)
	v_add_co_ci_u32_e64 v1, null, s11, 0, s0
	v_mov_b32_e32 v2, 0
	v_add_co_u32 v0, vcc_lo, v0, s18
	s_delay_alu instid0(VALU_DEP_3)
	v_add_co_ci_u32_e32 v1, vcc_lo, 0, v1, vcc_lo
	global_store_b64 v2, v[0:1], s[8:9]
	s_nop 0
	s_sendmsg sendmsg(MSG_DEALLOC_VGPRS)
	s_endpgm
.LBB386_215:
	s_and_b32 vcc_lo, exec_lo, s0
	s_cbranch_vccz .LBB386_213
; %bb.216:
	s_mov_b32 s0, exec_lo
	v_cmpx_eq_u32_e32 1, v33
	s_cbranch_execz .LBB386_218
; %bb.217:
	v_subrev_nc_u32_e32 v17, s18, v53
	s_delay_alu instid0(VALU_DEP_1)
	v_lshlrev_b32_e32 v17, 3, v17
	ds_store_b64 v17, v[13:14]
.LBB386_218:
	s_or_b32 exec_lo, exec_lo, s0
	v_and_b32_e32 v13, 1, v58
	s_mov_b32 s0, exec_lo
	s_delay_alu instid0(VALU_DEP_1)
	v_cmpx_eq_u32_e32 1, v13
	s_cbranch_execz .LBB386_220
; %bb.219:
	v_subrev_nc_u32_e32 v13, s18, v51
	s_delay_alu instid0(VALU_DEP_1)
	v_lshlrev_b32_e32 v13, 3, v13
	ds_store_b64 v13, v[15:16]
.LBB386_220:
	s_or_b32 exec_lo, exec_lo, s0
	v_and_b32_e32 v13, 1, v57
	s_mov_b32 s0, exec_lo
	s_delay_alu instid0(VALU_DEP_1)
	;; [unrolled: 12-line block ×7, first 2 shown]
	v_cmpx_eq_u32_e32 1, v1
	s_cbranch_execz .LBB386_232
; %bb.231:
	v_subrev_nc_u32_e32 v1, s18, v39
	s_delay_alu instid0(VALU_DEP_1)
	v_lshlrev_b32_e32 v1, 3, v1
	ds_store_b64 v1, v[3:4]
.LBB386_232:
	s_or_b32 exec_lo, exec_lo, s0
	s_delay_alu instid0(SALU_CYCLE_1)
	s_mov_b32 s1, exec_lo
	s_waitcnt lgkmcnt(0)
	s_waitcnt_vscnt null, 0x0
	s_barrier
	buffer_gl0_inv
	v_cmpx_lt_u32_e64 v0, v35
	s_cbranch_execz .LBB386_235
; %bb.233:
	s_mov_b32 s19, 0
	s_lshl_b64 s[4:5], s[10:11], 3
	s_lshl_b64 s[6:7], s[18:19], 3
	s_delay_alu instid0(SALU_CYCLE_1) | instskip(SKIP_4) | instid1(VALU_DEP_1)
	s_add_u32 s0, s4, s6
	s_addc_u32 s3, s5, s7
	s_add_u32 s0, s14, s0
	s_addc_u32 s3, s15, s3
	v_add_co_u32 v1, s0, s0, v55
	v_add_co_ci_u32_e64 v2, null, s3, 0, s0
	.p2align	6
.LBB386_234:                            ; =>This Inner Loop Header: Depth=1
	ds_load_b64 v[3:4], v55
	v_add_nc_u32_e32 v0, 0x200, v0
	v_add_nc_u32_e32 v55, 0x1000, v55
	s_delay_alu instid0(VALU_DEP_2) | instskip(SKIP_4) | instid1(VALU_DEP_1)
	v_cmp_ge_u32_e32 vcc_lo, v0, v35
	s_or_b32 s19, vcc_lo, s19
	s_waitcnt lgkmcnt(0)
	global_store_b64 v[1:2], v[3:4], off
	v_add_co_u32 v1, s0, 0x1000, v1
	v_add_co_ci_u32_e64 v2, s0, 0, v2, s0
	s_and_not1_b32 exec_lo, exec_lo, s19
	s_cbranch_execnz .LBB386_234
.LBB386_235:
	s_or_b32 exec_lo, exec_lo, s1
	s_and_b32 s0, s2, s22
	s_delay_alu instid0(SALU_CYCLE_1)
	s_and_saveexec_b32 s1, s0
	s_cbranch_execnz .LBB386_214
.LBB386_236:
	s_nop 0
	s_sendmsg sendmsg(MSG_DEALLOC_VGPRS)
	s_endpgm
	.section	.rodata,"a",@progbits
	.p2align	6, 0x0
	.amdhsa_kernel _ZN7rocprim17ROCPRIM_400000_NS6detail17trampoline_kernelINS0_14default_configENS1_25partition_config_selectorILNS1_17partition_subalgoE9ExxbEEZZNS1_14partition_implILS5_9ELb0ES3_jN6thrust23THRUST_200600_302600_NS6detail15normal_iteratorINS9_10device_ptrIxEEEESE_PNS0_10empty_typeENS0_5tupleIJSE_SF_EEENSH_IJSE_SG_EEENS0_18inequality_wrapperI22is_equal_div_10_uniqueIxEEEPmJSF_EEE10hipError_tPvRmT3_T4_T5_T6_T7_T9_mT8_P12ihipStream_tbDpT10_ENKUlT_T0_E_clISt17integral_constantIbLb1EES18_EEDaS13_S14_EUlS13_E_NS1_11comp_targetILNS1_3genE9ELNS1_11target_archE1100ELNS1_3gpuE3ELNS1_3repE0EEENS1_30default_config_static_selectorELNS0_4arch9wavefront6targetE0EEEvT1_
		.amdhsa_group_segment_fixed_size 33800
		.amdhsa_private_segment_fixed_size 0
		.amdhsa_kernarg_size 128
		.amdhsa_user_sgpr_count 15
		.amdhsa_user_sgpr_dispatch_ptr 0
		.amdhsa_user_sgpr_queue_ptr 0
		.amdhsa_user_sgpr_kernarg_segment_ptr 1
		.amdhsa_user_sgpr_dispatch_id 0
		.amdhsa_user_sgpr_private_segment_size 0
		.amdhsa_wavefront_size32 1
		.amdhsa_uses_dynamic_stack 0
		.amdhsa_enable_private_segment 0
		.amdhsa_system_sgpr_workgroup_id_x 1
		.amdhsa_system_sgpr_workgroup_id_y 0
		.amdhsa_system_sgpr_workgroup_id_z 0
		.amdhsa_system_sgpr_workgroup_info 0
		.amdhsa_system_vgpr_workitem_id 0
		.amdhsa_next_free_vgpr 68
		.amdhsa_next_free_sgpr 29
		.amdhsa_reserve_vcc 1
		.amdhsa_float_round_mode_32 0
		.amdhsa_float_round_mode_16_64 0
		.amdhsa_float_denorm_mode_32 3
		.amdhsa_float_denorm_mode_16_64 3
		.amdhsa_dx10_clamp 1
		.amdhsa_ieee_mode 1
		.amdhsa_fp16_overflow 0
		.amdhsa_workgroup_processor_mode 1
		.amdhsa_memory_ordered 1
		.amdhsa_forward_progress 0
		.amdhsa_shared_vgpr_count 0
		.amdhsa_exception_fp_ieee_invalid_op 0
		.amdhsa_exception_fp_denorm_src 0
		.amdhsa_exception_fp_ieee_div_zero 0
		.amdhsa_exception_fp_ieee_overflow 0
		.amdhsa_exception_fp_ieee_underflow 0
		.amdhsa_exception_fp_ieee_inexact 0
		.amdhsa_exception_int_div_zero 0
	.end_amdhsa_kernel
	.section	.text._ZN7rocprim17ROCPRIM_400000_NS6detail17trampoline_kernelINS0_14default_configENS1_25partition_config_selectorILNS1_17partition_subalgoE9ExxbEEZZNS1_14partition_implILS5_9ELb0ES3_jN6thrust23THRUST_200600_302600_NS6detail15normal_iteratorINS9_10device_ptrIxEEEESE_PNS0_10empty_typeENS0_5tupleIJSE_SF_EEENSH_IJSE_SG_EEENS0_18inequality_wrapperI22is_equal_div_10_uniqueIxEEEPmJSF_EEE10hipError_tPvRmT3_T4_T5_T6_T7_T9_mT8_P12ihipStream_tbDpT10_ENKUlT_T0_E_clISt17integral_constantIbLb1EES18_EEDaS13_S14_EUlS13_E_NS1_11comp_targetILNS1_3genE9ELNS1_11target_archE1100ELNS1_3gpuE3ELNS1_3repE0EEENS1_30default_config_static_selectorELNS0_4arch9wavefront6targetE0EEEvT1_,"axG",@progbits,_ZN7rocprim17ROCPRIM_400000_NS6detail17trampoline_kernelINS0_14default_configENS1_25partition_config_selectorILNS1_17partition_subalgoE9ExxbEEZZNS1_14partition_implILS5_9ELb0ES3_jN6thrust23THRUST_200600_302600_NS6detail15normal_iteratorINS9_10device_ptrIxEEEESE_PNS0_10empty_typeENS0_5tupleIJSE_SF_EEENSH_IJSE_SG_EEENS0_18inequality_wrapperI22is_equal_div_10_uniqueIxEEEPmJSF_EEE10hipError_tPvRmT3_T4_T5_T6_T7_T9_mT8_P12ihipStream_tbDpT10_ENKUlT_T0_E_clISt17integral_constantIbLb1EES18_EEDaS13_S14_EUlS13_E_NS1_11comp_targetILNS1_3genE9ELNS1_11target_archE1100ELNS1_3gpuE3ELNS1_3repE0EEENS1_30default_config_static_selectorELNS0_4arch9wavefront6targetE0EEEvT1_,comdat
.Lfunc_end386:
	.size	_ZN7rocprim17ROCPRIM_400000_NS6detail17trampoline_kernelINS0_14default_configENS1_25partition_config_selectorILNS1_17partition_subalgoE9ExxbEEZZNS1_14partition_implILS5_9ELb0ES3_jN6thrust23THRUST_200600_302600_NS6detail15normal_iteratorINS9_10device_ptrIxEEEESE_PNS0_10empty_typeENS0_5tupleIJSE_SF_EEENSH_IJSE_SG_EEENS0_18inequality_wrapperI22is_equal_div_10_uniqueIxEEEPmJSF_EEE10hipError_tPvRmT3_T4_T5_T6_T7_T9_mT8_P12ihipStream_tbDpT10_ENKUlT_T0_E_clISt17integral_constantIbLb1EES18_EEDaS13_S14_EUlS13_E_NS1_11comp_targetILNS1_3genE9ELNS1_11target_archE1100ELNS1_3gpuE3ELNS1_3repE0EEENS1_30default_config_static_selectorELNS0_4arch9wavefront6targetE0EEEvT1_, .Lfunc_end386-_ZN7rocprim17ROCPRIM_400000_NS6detail17trampoline_kernelINS0_14default_configENS1_25partition_config_selectorILNS1_17partition_subalgoE9ExxbEEZZNS1_14partition_implILS5_9ELb0ES3_jN6thrust23THRUST_200600_302600_NS6detail15normal_iteratorINS9_10device_ptrIxEEEESE_PNS0_10empty_typeENS0_5tupleIJSE_SF_EEENSH_IJSE_SG_EEENS0_18inequality_wrapperI22is_equal_div_10_uniqueIxEEEPmJSF_EEE10hipError_tPvRmT3_T4_T5_T6_T7_T9_mT8_P12ihipStream_tbDpT10_ENKUlT_T0_E_clISt17integral_constantIbLb1EES18_EEDaS13_S14_EUlS13_E_NS1_11comp_targetILNS1_3genE9ELNS1_11target_archE1100ELNS1_3gpuE3ELNS1_3repE0EEENS1_30default_config_static_selectorELNS0_4arch9wavefront6targetE0EEEvT1_
                                        ; -- End function
	.section	.AMDGPU.csdata,"",@progbits
; Kernel info:
; codeLenInByte = 11024
; NumSgprs: 31
; NumVgprs: 68
; ScratchSize: 0
; MemoryBound: 0
; FloatMode: 240
; IeeeMode: 1
; LDSByteSize: 33800 bytes/workgroup (compile time only)
; SGPRBlocks: 3
; VGPRBlocks: 8
; NumSGPRsForWavesPerEU: 31
; NumVGPRsForWavesPerEU: 68
; Occupancy: 12
; WaveLimiterHint : 1
; COMPUTE_PGM_RSRC2:SCRATCH_EN: 0
; COMPUTE_PGM_RSRC2:USER_SGPR: 15
; COMPUTE_PGM_RSRC2:TRAP_HANDLER: 0
; COMPUTE_PGM_RSRC2:TGID_X_EN: 1
; COMPUTE_PGM_RSRC2:TGID_Y_EN: 0
; COMPUTE_PGM_RSRC2:TGID_Z_EN: 0
; COMPUTE_PGM_RSRC2:TIDIG_COMP_CNT: 0
	.section	.text._ZN7rocprim17ROCPRIM_400000_NS6detail17trampoline_kernelINS0_14default_configENS1_25partition_config_selectorILNS1_17partition_subalgoE9ExxbEEZZNS1_14partition_implILS5_9ELb0ES3_jN6thrust23THRUST_200600_302600_NS6detail15normal_iteratorINS9_10device_ptrIxEEEESE_PNS0_10empty_typeENS0_5tupleIJSE_SF_EEENSH_IJSE_SG_EEENS0_18inequality_wrapperI22is_equal_div_10_uniqueIxEEEPmJSF_EEE10hipError_tPvRmT3_T4_T5_T6_T7_T9_mT8_P12ihipStream_tbDpT10_ENKUlT_T0_E_clISt17integral_constantIbLb1EES18_EEDaS13_S14_EUlS13_E_NS1_11comp_targetILNS1_3genE8ELNS1_11target_archE1030ELNS1_3gpuE2ELNS1_3repE0EEENS1_30default_config_static_selectorELNS0_4arch9wavefront6targetE0EEEvT1_,"axG",@progbits,_ZN7rocprim17ROCPRIM_400000_NS6detail17trampoline_kernelINS0_14default_configENS1_25partition_config_selectorILNS1_17partition_subalgoE9ExxbEEZZNS1_14partition_implILS5_9ELb0ES3_jN6thrust23THRUST_200600_302600_NS6detail15normal_iteratorINS9_10device_ptrIxEEEESE_PNS0_10empty_typeENS0_5tupleIJSE_SF_EEENSH_IJSE_SG_EEENS0_18inequality_wrapperI22is_equal_div_10_uniqueIxEEEPmJSF_EEE10hipError_tPvRmT3_T4_T5_T6_T7_T9_mT8_P12ihipStream_tbDpT10_ENKUlT_T0_E_clISt17integral_constantIbLb1EES18_EEDaS13_S14_EUlS13_E_NS1_11comp_targetILNS1_3genE8ELNS1_11target_archE1030ELNS1_3gpuE2ELNS1_3repE0EEENS1_30default_config_static_selectorELNS0_4arch9wavefront6targetE0EEEvT1_,comdat
	.protected	_ZN7rocprim17ROCPRIM_400000_NS6detail17trampoline_kernelINS0_14default_configENS1_25partition_config_selectorILNS1_17partition_subalgoE9ExxbEEZZNS1_14partition_implILS5_9ELb0ES3_jN6thrust23THRUST_200600_302600_NS6detail15normal_iteratorINS9_10device_ptrIxEEEESE_PNS0_10empty_typeENS0_5tupleIJSE_SF_EEENSH_IJSE_SG_EEENS0_18inequality_wrapperI22is_equal_div_10_uniqueIxEEEPmJSF_EEE10hipError_tPvRmT3_T4_T5_T6_T7_T9_mT8_P12ihipStream_tbDpT10_ENKUlT_T0_E_clISt17integral_constantIbLb1EES18_EEDaS13_S14_EUlS13_E_NS1_11comp_targetILNS1_3genE8ELNS1_11target_archE1030ELNS1_3gpuE2ELNS1_3repE0EEENS1_30default_config_static_selectorELNS0_4arch9wavefront6targetE0EEEvT1_ ; -- Begin function _ZN7rocprim17ROCPRIM_400000_NS6detail17trampoline_kernelINS0_14default_configENS1_25partition_config_selectorILNS1_17partition_subalgoE9ExxbEEZZNS1_14partition_implILS5_9ELb0ES3_jN6thrust23THRUST_200600_302600_NS6detail15normal_iteratorINS9_10device_ptrIxEEEESE_PNS0_10empty_typeENS0_5tupleIJSE_SF_EEENSH_IJSE_SG_EEENS0_18inequality_wrapperI22is_equal_div_10_uniqueIxEEEPmJSF_EEE10hipError_tPvRmT3_T4_T5_T6_T7_T9_mT8_P12ihipStream_tbDpT10_ENKUlT_T0_E_clISt17integral_constantIbLb1EES18_EEDaS13_S14_EUlS13_E_NS1_11comp_targetILNS1_3genE8ELNS1_11target_archE1030ELNS1_3gpuE2ELNS1_3repE0EEENS1_30default_config_static_selectorELNS0_4arch9wavefront6targetE0EEEvT1_
	.globl	_ZN7rocprim17ROCPRIM_400000_NS6detail17trampoline_kernelINS0_14default_configENS1_25partition_config_selectorILNS1_17partition_subalgoE9ExxbEEZZNS1_14partition_implILS5_9ELb0ES3_jN6thrust23THRUST_200600_302600_NS6detail15normal_iteratorINS9_10device_ptrIxEEEESE_PNS0_10empty_typeENS0_5tupleIJSE_SF_EEENSH_IJSE_SG_EEENS0_18inequality_wrapperI22is_equal_div_10_uniqueIxEEEPmJSF_EEE10hipError_tPvRmT3_T4_T5_T6_T7_T9_mT8_P12ihipStream_tbDpT10_ENKUlT_T0_E_clISt17integral_constantIbLb1EES18_EEDaS13_S14_EUlS13_E_NS1_11comp_targetILNS1_3genE8ELNS1_11target_archE1030ELNS1_3gpuE2ELNS1_3repE0EEENS1_30default_config_static_selectorELNS0_4arch9wavefront6targetE0EEEvT1_
	.p2align	8
	.type	_ZN7rocprim17ROCPRIM_400000_NS6detail17trampoline_kernelINS0_14default_configENS1_25partition_config_selectorILNS1_17partition_subalgoE9ExxbEEZZNS1_14partition_implILS5_9ELb0ES3_jN6thrust23THRUST_200600_302600_NS6detail15normal_iteratorINS9_10device_ptrIxEEEESE_PNS0_10empty_typeENS0_5tupleIJSE_SF_EEENSH_IJSE_SG_EEENS0_18inequality_wrapperI22is_equal_div_10_uniqueIxEEEPmJSF_EEE10hipError_tPvRmT3_T4_T5_T6_T7_T9_mT8_P12ihipStream_tbDpT10_ENKUlT_T0_E_clISt17integral_constantIbLb1EES18_EEDaS13_S14_EUlS13_E_NS1_11comp_targetILNS1_3genE8ELNS1_11target_archE1030ELNS1_3gpuE2ELNS1_3repE0EEENS1_30default_config_static_selectorELNS0_4arch9wavefront6targetE0EEEvT1_,@function
_ZN7rocprim17ROCPRIM_400000_NS6detail17trampoline_kernelINS0_14default_configENS1_25partition_config_selectorILNS1_17partition_subalgoE9ExxbEEZZNS1_14partition_implILS5_9ELb0ES3_jN6thrust23THRUST_200600_302600_NS6detail15normal_iteratorINS9_10device_ptrIxEEEESE_PNS0_10empty_typeENS0_5tupleIJSE_SF_EEENSH_IJSE_SG_EEENS0_18inequality_wrapperI22is_equal_div_10_uniqueIxEEEPmJSF_EEE10hipError_tPvRmT3_T4_T5_T6_T7_T9_mT8_P12ihipStream_tbDpT10_ENKUlT_T0_E_clISt17integral_constantIbLb1EES18_EEDaS13_S14_EUlS13_E_NS1_11comp_targetILNS1_3genE8ELNS1_11target_archE1030ELNS1_3gpuE2ELNS1_3repE0EEENS1_30default_config_static_selectorELNS0_4arch9wavefront6targetE0EEEvT1_: ; @_ZN7rocprim17ROCPRIM_400000_NS6detail17trampoline_kernelINS0_14default_configENS1_25partition_config_selectorILNS1_17partition_subalgoE9ExxbEEZZNS1_14partition_implILS5_9ELb0ES3_jN6thrust23THRUST_200600_302600_NS6detail15normal_iteratorINS9_10device_ptrIxEEEESE_PNS0_10empty_typeENS0_5tupleIJSE_SF_EEENSH_IJSE_SG_EEENS0_18inequality_wrapperI22is_equal_div_10_uniqueIxEEEPmJSF_EEE10hipError_tPvRmT3_T4_T5_T6_T7_T9_mT8_P12ihipStream_tbDpT10_ENKUlT_T0_E_clISt17integral_constantIbLb1EES18_EEDaS13_S14_EUlS13_E_NS1_11comp_targetILNS1_3genE8ELNS1_11target_archE1030ELNS1_3gpuE2ELNS1_3repE0EEENS1_30default_config_static_selectorELNS0_4arch9wavefront6targetE0EEEvT1_
; %bb.0:
	.section	.rodata,"a",@progbits
	.p2align	6, 0x0
	.amdhsa_kernel _ZN7rocprim17ROCPRIM_400000_NS6detail17trampoline_kernelINS0_14default_configENS1_25partition_config_selectorILNS1_17partition_subalgoE9ExxbEEZZNS1_14partition_implILS5_9ELb0ES3_jN6thrust23THRUST_200600_302600_NS6detail15normal_iteratorINS9_10device_ptrIxEEEESE_PNS0_10empty_typeENS0_5tupleIJSE_SF_EEENSH_IJSE_SG_EEENS0_18inequality_wrapperI22is_equal_div_10_uniqueIxEEEPmJSF_EEE10hipError_tPvRmT3_T4_T5_T6_T7_T9_mT8_P12ihipStream_tbDpT10_ENKUlT_T0_E_clISt17integral_constantIbLb1EES18_EEDaS13_S14_EUlS13_E_NS1_11comp_targetILNS1_3genE8ELNS1_11target_archE1030ELNS1_3gpuE2ELNS1_3repE0EEENS1_30default_config_static_selectorELNS0_4arch9wavefront6targetE0EEEvT1_
		.amdhsa_group_segment_fixed_size 0
		.amdhsa_private_segment_fixed_size 0
		.amdhsa_kernarg_size 128
		.amdhsa_user_sgpr_count 15
		.amdhsa_user_sgpr_dispatch_ptr 0
		.amdhsa_user_sgpr_queue_ptr 0
		.amdhsa_user_sgpr_kernarg_segment_ptr 1
		.amdhsa_user_sgpr_dispatch_id 0
		.amdhsa_user_sgpr_private_segment_size 0
		.amdhsa_wavefront_size32 1
		.amdhsa_uses_dynamic_stack 0
		.amdhsa_enable_private_segment 0
		.amdhsa_system_sgpr_workgroup_id_x 1
		.amdhsa_system_sgpr_workgroup_id_y 0
		.amdhsa_system_sgpr_workgroup_id_z 0
		.amdhsa_system_sgpr_workgroup_info 0
		.amdhsa_system_vgpr_workitem_id 0
		.amdhsa_next_free_vgpr 1
		.amdhsa_next_free_sgpr 1
		.amdhsa_reserve_vcc 0
		.amdhsa_float_round_mode_32 0
		.amdhsa_float_round_mode_16_64 0
		.amdhsa_float_denorm_mode_32 3
		.amdhsa_float_denorm_mode_16_64 3
		.amdhsa_dx10_clamp 1
		.amdhsa_ieee_mode 1
		.amdhsa_fp16_overflow 0
		.amdhsa_workgroup_processor_mode 1
		.amdhsa_memory_ordered 1
		.amdhsa_forward_progress 0
		.amdhsa_shared_vgpr_count 0
		.amdhsa_exception_fp_ieee_invalid_op 0
		.amdhsa_exception_fp_denorm_src 0
		.amdhsa_exception_fp_ieee_div_zero 0
		.amdhsa_exception_fp_ieee_overflow 0
		.amdhsa_exception_fp_ieee_underflow 0
		.amdhsa_exception_fp_ieee_inexact 0
		.amdhsa_exception_int_div_zero 0
	.end_amdhsa_kernel
	.section	.text._ZN7rocprim17ROCPRIM_400000_NS6detail17trampoline_kernelINS0_14default_configENS1_25partition_config_selectorILNS1_17partition_subalgoE9ExxbEEZZNS1_14partition_implILS5_9ELb0ES3_jN6thrust23THRUST_200600_302600_NS6detail15normal_iteratorINS9_10device_ptrIxEEEESE_PNS0_10empty_typeENS0_5tupleIJSE_SF_EEENSH_IJSE_SG_EEENS0_18inequality_wrapperI22is_equal_div_10_uniqueIxEEEPmJSF_EEE10hipError_tPvRmT3_T4_T5_T6_T7_T9_mT8_P12ihipStream_tbDpT10_ENKUlT_T0_E_clISt17integral_constantIbLb1EES18_EEDaS13_S14_EUlS13_E_NS1_11comp_targetILNS1_3genE8ELNS1_11target_archE1030ELNS1_3gpuE2ELNS1_3repE0EEENS1_30default_config_static_selectorELNS0_4arch9wavefront6targetE0EEEvT1_,"axG",@progbits,_ZN7rocprim17ROCPRIM_400000_NS6detail17trampoline_kernelINS0_14default_configENS1_25partition_config_selectorILNS1_17partition_subalgoE9ExxbEEZZNS1_14partition_implILS5_9ELb0ES3_jN6thrust23THRUST_200600_302600_NS6detail15normal_iteratorINS9_10device_ptrIxEEEESE_PNS0_10empty_typeENS0_5tupleIJSE_SF_EEENSH_IJSE_SG_EEENS0_18inequality_wrapperI22is_equal_div_10_uniqueIxEEEPmJSF_EEE10hipError_tPvRmT3_T4_T5_T6_T7_T9_mT8_P12ihipStream_tbDpT10_ENKUlT_T0_E_clISt17integral_constantIbLb1EES18_EEDaS13_S14_EUlS13_E_NS1_11comp_targetILNS1_3genE8ELNS1_11target_archE1030ELNS1_3gpuE2ELNS1_3repE0EEENS1_30default_config_static_selectorELNS0_4arch9wavefront6targetE0EEEvT1_,comdat
.Lfunc_end387:
	.size	_ZN7rocprim17ROCPRIM_400000_NS6detail17trampoline_kernelINS0_14default_configENS1_25partition_config_selectorILNS1_17partition_subalgoE9ExxbEEZZNS1_14partition_implILS5_9ELb0ES3_jN6thrust23THRUST_200600_302600_NS6detail15normal_iteratorINS9_10device_ptrIxEEEESE_PNS0_10empty_typeENS0_5tupleIJSE_SF_EEENSH_IJSE_SG_EEENS0_18inequality_wrapperI22is_equal_div_10_uniqueIxEEEPmJSF_EEE10hipError_tPvRmT3_T4_T5_T6_T7_T9_mT8_P12ihipStream_tbDpT10_ENKUlT_T0_E_clISt17integral_constantIbLb1EES18_EEDaS13_S14_EUlS13_E_NS1_11comp_targetILNS1_3genE8ELNS1_11target_archE1030ELNS1_3gpuE2ELNS1_3repE0EEENS1_30default_config_static_selectorELNS0_4arch9wavefront6targetE0EEEvT1_, .Lfunc_end387-_ZN7rocprim17ROCPRIM_400000_NS6detail17trampoline_kernelINS0_14default_configENS1_25partition_config_selectorILNS1_17partition_subalgoE9ExxbEEZZNS1_14partition_implILS5_9ELb0ES3_jN6thrust23THRUST_200600_302600_NS6detail15normal_iteratorINS9_10device_ptrIxEEEESE_PNS0_10empty_typeENS0_5tupleIJSE_SF_EEENSH_IJSE_SG_EEENS0_18inequality_wrapperI22is_equal_div_10_uniqueIxEEEPmJSF_EEE10hipError_tPvRmT3_T4_T5_T6_T7_T9_mT8_P12ihipStream_tbDpT10_ENKUlT_T0_E_clISt17integral_constantIbLb1EES18_EEDaS13_S14_EUlS13_E_NS1_11comp_targetILNS1_3genE8ELNS1_11target_archE1030ELNS1_3gpuE2ELNS1_3repE0EEENS1_30default_config_static_selectorELNS0_4arch9wavefront6targetE0EEEvT1_
                                        ; -- End function
	.section	.AMDGPU.csdata,"",@progbits
; Kernel info:
; codeLenInByte = 0
; NumSgprs: 0
; NumVgprs: 0
; ScratchSize: 0
; MemoryBound: 0
; FloatMode: 240
; IeeeMode: 1
; LDSByteSize: 0 bytes/workgroup (compile time only)
; SGPRBlocks: 0
; VGPRBlocks: 0
; NumSGPRsForWavesPerEU: 1
; NumVGPRsForWavesPerEU: 1
; Occupancy: 16
; WaveLimiterHint : 0
; COMPUTE_PGM_RSRC2:SCRATCH_EN: 0
; COMPUTE_PGM_RSRC2:USER_SGPR: 15
; COMPUTE_PGM_RSRC2:TRAP_HANDLER: 0
; COMPUTE_PGM_RSRC2:TGID_X_EN: 1
; COMPUTE_PGM_RSRC2:TGID_Y_EN: 0
; COMPUTE_PGM_RSRC2:TGID_Z_EN: 0
; COMPUTE_PGM_RSRC2:TIDIG_COMP_CNT: 0
	.section	.text._ZN7rocprim17ROCPRIM_400000_NS6detail17trampoline_kernelINS0_14default_configENS1_25partition_config_selectorILNS1_17partition_subalgoE9ExxbEEZZNS1_14partition_implILS5_9ELb0ES3_jN6thrust23THRUST_200600_302600_NS6detail15normal_iteratorINS9_10device_ptrIxEEEESE_PNS0_10empty_typeENS0_5tupleIJSE_SF_EEENSH_IJSE_SG_EEENS0_18inequality_wrapperI22is_equal_div_10_uniqueIxEEEPmJSF_EEE10hipError_tPvRmT3_T4_T5_T6_T7_T9_mT8_P12ihipStream_tbDpT10_ENKUlT_T0_E_clISt17integral_constantIbLb1EES17_IbLb0EEEEDaS13_S14_EUlS13_E_NS1_11comp_targetILNS1_3genE0ELNS1_11target_archE4294967295ELNS1_3gpuE0ELNS1_3repE0EEENS1_30default_config_static_selectorELNS0_4arch9wavefront6targetE0EEEvT1_,"axG",@progbits,_ZN7rocprim17ROCPRIM_400000_NS6detail17trampoline_kernelINS0_14default_configENS1_25partition_config_selectorILNS1_17partition_subalgoE9ExxbEEZZNS1_14partition_implILS5_9ELb0ES3_jN6thrust23THRUST_200600_302600_NS6detail15normal_iteratorINS9_10device_ptrIxEEEESE_PNS0_10empty_typeENS0_5tupleIJSE_SF_EEENSH_IJSE_SG_EEENS0_18inequality_wrapperI22is_equal_div_10_uniqueIxEEEPmJSF_EEE10hipError_tPvRmT3_T4_T5_T6_T7_T9_mT8_P12ihipStream_tbDpT10_ENKUlT_T0_E_clISt17integral_constantIbLb1EES17_IbLb0EEEEDaS13_S14_EUlS13_E_NS1_11comp_targetILNS1_3genE0ELNS1_11target_archE4294967295ELNS1_3gpuE0ELNS1_3repE0EEENS1_30default_config_static_selectorELNS0_4arch9wavefront6targetE0EEEvT1_,comdat
	.protected	_ZN7rocprim17ROCPRIM_400000_NS6detail17trampoline_kernelINS0_14default_configENS1_25partition_config_selectorILNS1_17partition_subalgoE9ExxbEEZZNS1_14partition_implILS5_9ELb0ES3_jN6thrust23THRUST_200600_302600_NS6detail15normal_iteratorINS9_10device_ptrIxEEEESE_PNS0_10empty_typeENS0_5tupleIJSE_SF_EEENSH_IJSE_SG_EEENS0_18inequality_wrapperI22is_equal_div_10_uniqueIxEEEPmJSF_EEE10hipError_tPvRmT3_T4_T5_T6_T7_T9_mT8_P12ihipStream_tbDpT10_ENKUlT_T0_E_clISt17integral_constantIbLb1EES17_IbLb0EEEEDaS13_S14_EUlS13_E_NS1_11comp_targetILNS1_3genE0ELNS1_11target_archE4294967295ELNS1_3gpuE0ELNS1_3repE0EEENS1_30default_config_static_selectorELNS0_4arch9wavefront6targetE0EEEvT1_ ; -- Begin function _ZN7rocprim17ROCPRIM_400000_NS6detail17trampoline_kernelINS0_14default_configENS1_25partition_config_selectorILNS1_17partition_subalgoE9ExxbEEZZNS1_14partition_implILS5_9ELb0ES3_jN6thrust23THRUST_200600_302600_NS6detail15normal_iteratorINS9_10device_ptrIxEEEESE_PNS0_10empty_typeENS0_5tupleIJSE_SF_EEENSH_IJSE_SG_EEENS0_18inequality_wrapperI22is_equal_div_10_uniqueIxEEEPmJSF_EEE10hipError_tPvRmT3_T4_T5_T6_T7_T9_mT8_P12ihipStream_tbDpT10_ENKUlT_T0_E_clISt17integral_constantIbLb1EES17_IbLb0EEEEDaS13_S14_EUlS13_E_NS1_11comp_targetILNS1_3genE0ELNS1_11target_archE4294967295ELNS1_3gpuE0ELNS1_3repE0EEENS1_30default_config_static_selectorELNS0_4arch9wavefront6targetE0EEEvT1_
	.globl	_ZN7rocprim17ROCPRIM_400000_NS6detail17trampoline_kernelINS0_14default_configENS1_25partition_config_selectorILNS1_17partition_subalgoE9ExxbEEZZNS1_14partition_implILS5_9ELb0ES3_jN6thrust23THRUST_200600_302600_NS6detail15normal_iteratorINS9_10device_ptrIxEEEESE_PNS0_10empty_typeENS0_5tupleIJSE_SF_EEENSH_IJSE_SG_EEENS0_18inequality_wrapperI22is_equal_div_10_uniqueIxEEEPmJSF_EEE10hipError_tPvRmT3_T4_T5_T6_T7_T9_mT8_P12ihipStream_tbDpT10_ENKUlT_T0_E_clISt17integral_constantIbLb1EES17_IbLb0EEEEDaS13_S14_EUlS13_E_NS1_11comp_targetILNS1_3genE0ELNS1_11target_archE4294967295ELNS1_3gpuE0ELNS1_3repE0EEENS1_30default_config_static_selectorELNS0_4arch9wavefront6targetE0EEEvT1_
	.p2align	8
	.type	_ZN7rocprim17ROCPRIM_400000_NS6detail17trampoline_kernelINS0_14default_configENS1_25partition_config_selectorILNS1_17partition_subalgoE9ExxbEEZZNS1_14partition_implILS5_9ELb0ES3_jN6thrust23THRUST_200600_302600_NS6detail15normal_iteratorINS9_10device_ptrIxEEEESE_PNS0_10empty_typeENS0_5tupleIJSE_SF_EEENSH_IJSE_SG_EEENS0_18inequality_wrapperI22is_equal_div_10_uniqueIxEEEPmJSF_EEE10hipError_tPvRmT3_T4_T5_T6_T7_T9_mT8_P12ihipStream_tbDpT10_ENKUlT_T0_E_clISt17integral_constantIbLb1EES17_IbLb0EEEEDaS13_S14_EUlS13_E_NS1_11comp_targetILNS1_3genE0ELNS1_11target_archE4294967295ELNS1_3gpuE0ELNS1_3repE0EEENS1_30default_config_static_selectorELNS0_4arch9wavefront6targetE0EEEvT1_,@function
_ZN7rocprim17ROCPRIM_400000_NS6detail17trampoline_kernelINS0_14default_configENS1_25partition_config_selectorILNS1_17partition_subalgoE9ExxbEEZZNS1_14partition_implILS5_9ELb0ES3_jN6thrust23THRUST_200600_302600_NS6detail15normal_iteratorINS9_10device_ptrIxEEEESE_PNS0_10empty_typeENS0_5tupleIJSE_SF_EEENSH_IJSE_SG_EEENS0_18inequality_wrapperI22is_equal_div_10_uniqueIxEEEPmJSF_EEE10hipError_tPvRmT3_T4_T5_T6_T7_T9_mT8_P12ihipStream_tbDpT10_ENKUlT_T0_E_clISt17integral_constantIbLb1EES17_IbLb0EEEEDaS13_S14_EUlS13_E_NS1_11comp_targetILNS1_3genE0ELNS1_11target_archE4294967295ELNS1_3gpuE0ELNS1_3repE0EEENS1_30default_config_static_selectorELNS0_4arch9wavefront6targetE0EEEvT1_: ; @_ZN7rocprim17ROCPRIM_400000_NS6detail17trampoline_kernelINS0_14default_configENS1_25partition_config_selectorILNS1_17partition_subalgoE9ExxbEEZZNS1_14partition_implILS5_9ELb0ES3_jN6thrust23THRUST_200600_302600_NS6detail15normal_iteratorINS9_10device_ptrIxEEEESE_PNS0_10empty_typeENS0_5tupleIJSE_SF_EEENSH_IJSE_SG_EEENS0_18inequality_wrapperI22is_equal_div_10_uniqueIxEEEPmJSF_EEE10hipError_tPvRmT3_T4_T5_T6_T7_T9_mT8_P12ihipStream_tbDpT10_ENKUlT_T0_E_clISt17integral_constantIbLb1EES17_IbLb0EEEEDaS13_S14_EUlS13_E_NS1_11comp_targetILNS1_3genE0ELNS1_11target_archE4294967295ELNS1_3gpuE0ELNS1_3repE0EEENS1_30default_config_static_selectorELNS0_4arch9wavefront6targetE0EEEvT1_
; %bb.0:
	.section	.rodata,"a",@progbits
	.p2align	6, 0x0
	.amdhsa_kernel _ZN7rocprim17ROCPRIM_400000_NS6detail17trampoline_kernelINS0_14default_configENS1_25partition_config_selectorILNS1_17partition_subalgoE9ExxbEEZZNS1_14partition_implILS5_9ELb0ES3_jN6thrust23THRUST_200600_302600_NS6detail15normal_iteratorINS9_10device_ptrIxEEEESE_PNS0_10empty_typeENS0_5tupleIJSE_SF_EEENSH_IJSE_SG_EEENS0_18inequality_wrapperI22is_equal_div_10_uniqueIxEEEPmJSF_EEE10hipError_tPvRmT3_T4_T5_T6_T7_T9_mT8_P12ihipStream_tbDpT10_ENKUlT_T0_E_clISt17integral_constantIbLb1EES17_IbLb0EEEEDaS13_S14_EUlS13_E_NS1_11comp_targetILNS1_3genE0ELNS1_11target_archE4294967295ELNS1_3gpuE0ELNS1_3repE0EEENS1_30default_config_static_selectorELNS0_4arch9wavefront6targetE0EEEvT1_
		.amdhsa_group_segment_fixed_size 0
		.amdhsa_private_segment_fixed_size 0
		.amdhsa_kernarg_size 112
		.amdhsa_user_sgpr_count 15
		.amdhsa_user_sgpr_dispatch_ptr 0
		.amdhsa_user_sgpr_queue_ptr 0
		.amdhsa_user_sgpr_kernarg_segment_ptr 1
		.amdhsa_user_sgpr_dispatch_id 0
		.amdhsa_user_sgpr_private_segment_size 0
		.amdhsa_wavefront_size32 1
		.amdhsa_uses_dynamic_stack 0
		.amdhsa_enable_private_segment 0
		.amdhsa_system_sgpr_workgroup_id_x 1
		.amdhsa_system_sgpr_workgroup_id_y 0
		.amdhsa_system_sgpr_workgroup_id_z 0
		.amdhsa_system_sgpr_workgroup_info 0
		.amdhsa_system_vgpr_workitem_id 0
		.amdhsa_next_free_vgpr 1
		.amdhsa_next_free_sgpr 1
		.amdhsa_reserve_vcc 0
		.amdhsa_float_round_mode_32 0
		.amdhsa_float_round_mode_16_64 0
		.amdhsa_float_denorm_mode_32 3
		.amdhsa_float_denorm_mode_16_64 3
		.amdhsa_dx10_clamp 1
		.amdhsa_ieee_mode 1
		.amdhsa_fp16_overflow 0
		.amdhsa_workgroup_processor_mode 1
		.amdhsa_memory_ordered 1
		.amdhsa_forward_progress 0
		.amdhsa_shared_vgpr_count 0
		.amdhsa_exception_fp_ieee_invalid_op 0
		.amdhsa_exception_fp_denorm_src 0
		.amdhsa_exception_fp_ieee_div_zero 0
		.amdhsa_exception_fp_ieee_overflow 0
		.amdhsa_exception_fp_ieee_underflow 0
		.amdhsa_exception_fp_ieee_inexact 0
		.amdhsa_exception_int_div_zero 0
	.end_amdhsa_kernel
	.section	.text._ZN7rocprim17ROCPRIM_400000_NS6detail17trampoline_kernelINS0_14default_configENS1_25partition_config_selectorILNS1_17partition_subalgoE9ExxbEEZZNS1_14partition_implILS5_9ELb0ES3_jN6thrust23THRUST_200600_302600_NS6detail15normal_iteratorINS9_10device_ptrIxEEEESE_PNS0_10empty_typeENS0_5tupleIJSE_SF_EEENSH_IJSE_SG_EEENS0_18inequality_wrapperI22is_equal_div_10_uniqueIxEEEPmJSF_EEE10hipError_tPvRmT3_T4_T5_T6_T7_T9_mT8_P12ihipStream_tbDpT10_ENKUlT_T0_E_clISt17integral_constantIbLb1EES17_IbLb0EEEEDaS13_S14_EUlS13_E_NS1_11comp_targetILNS1_3genE0ELNS1_11target_archE4294967295ELNS1_3gpuE0ELNS1_3repE0EEENS1_30default_config_static_selectorELNS0_4arch9wavefront6targetE0EEEvT1_,"axG",@progbits,_ZN7rocprim17ROCPRIM_400000_NS6detail17trampoline_kernelINS0_14default_configENS1_25partition_config_selectorILNS1_17partition_subalgoE9ExxbEEZZNS1_14partition_implILS5_9ELb0ES3_jN6thrust23THRUST_200600_302600_NS6detail15normal_iteratorINS9_10device_ptrIxEEEESE_PNS0_10empty_typeENS0_5tupleIJSE_SF_EEENSH_IJSE_SG_EEENS0_18inequality_wrapperI22is_equal_div_10_uniqueIxEEEPmJSF_EEE10hipError_tPvRmT3_T4_T5_T6_T7_T9_mT8_P12ihipStream_tbDpT10_ENKUlT_T0_E_clISt17integral_constantIbLb1EES17_IbLb0EEEEDaS13_S14_EUlS13_E_NS1_11comp_targetILNS1_3genE0ELNS1_11target_archE4294967295ELNS1_3gpuE0ELNS1_3repE0EEENS1_30default_config_static_selectorELNS0_4arch9wavefront6targetE0EEEvT1_,comdat
.Lfunc_end388:
	.size	_ZN7rocprim17ROCPRIM_400000_NS6detail17trampoline_kernelINS0_14default_configENS1_25partition_config_selectorILNS1_17partition_subalgoE9ExxbEEZZNS1_14partition_implILS5_9ELb0ES3_jN6thrust23THRUST_200600_302600_NS6detail15normal_iteratorINS9_10device_ptrIxEEEESE_PNS0_10empty_typeENS0_5tupleIJSE_SF_EEENSH_IJSE_SG_EEENS0_18inequality_wrapperI22is_equal_div_10_uniqueIxEEEPmJSF_EEE10hipError_tPvRmT3_T4_T5_T6_T7_T9_mT8_P12ihipStream_tbDpT10_ENKUlT_T0_E_clISt17integral_constantIbLb1EES17_IbLb0EEEEDaS13_S14_EUlS13_E_NS1_11comp_targetILNS1_3genE0ELNS1_11target_archE4294967295ELNS1_3gpuE0ELNS1_3repE0EEENS1_30default_config_static_selectorELNS0_4arch9wavefront6targetE0EEEvT1_, .Lfunc_end388-_ZN7rocprim17ROCPRIM_400000_NS6detail17trampoline_kernelINS0_14default_configENS1_25partition_config_selectorILNS1_17partition_subalgoE9ExxbEEZZNS1_14partition_implILS5_9ELb0ES3_jN6thrust23THRUST_200600_302600_NS6detail15normal_iteratorINS9_10device_ptrIxEEEESE_PNS0_10empty_typeENS0_5tupleIJSE_SF_EEENSH_IJSE_SG_EEENS0_18inequality_wrapperI22is_equal_div_10_uniqueIxEEEPmJSF_EEE10hipError_tPvRmT3_T4_T5_T6_T7_T9_mT8_P12ihipStream_tbDpT10_ENKUlT_T0_E_clISt17integral_constantIbLb1EES17_IbLb0EEEEDaS13_S14_EUlS13_E_NS1_11comp_targetILNS1_3genE0ELNS1_11target_archE4294967295ELNS1_3gpuE0ELNS1_3repE0EEENS1_30default_config_static_selectorELNS0_4arch9wavefront6targetE0EEEvT1_
                                        ; -- End function
	.section	.AMDGPU.csdata,"",@progbits
; Kernel info:
; codeLenInByte = 0
; NumSgprs: 0
; NumVgprs: 0
; ScratchSize: 0
; MemoryBound: 0
; FloatMode: 240
; IeeeMode: 1
; LDSByteSize: 0 bytes/workgroup (compile time only)
; SGPRBlocks: 0
; VGPRBlocks: 0
; NumSGPRsForWavesPerEU: 1
; NumVGPRsForWavesPerEU: 1
; Occupancy: 16
; WaveLimiterHint : 0
; COMPUTE_PGM_RSRC2:SCRATCH_EN: 0
; COMPUTE_PGM_RSRC2:USER_SGPR: 15
; COMPUTE_PGM_RSRC2:TRAP_HANDLER: 0
; COMPUTE_PGM_RSRC2:TGID_X_EN: 1
; COMPUTE_PGM_RSRC2:TGID_Y_EN: 0
; COMPUTE_PGM_RSRC2:TGID_Z_EN: 0
; COMPUTE_PGM_RSRC2:TIDIG_COMP_CNT: 0
	.section	.text._ZN7rocprim17ROCPRIM_400000_NS6detail17trampoline_kernelINS0_14default_configENS1_25partition_config_selectorILNS1_17partition_subalgoE9ExxbEEZZNS1_14partition_implILS5_9ELb0ES3_jN6thrust23THRUST_200600_302600_NS6detail15normal_iteratorINS9_10device_ptrIxEEEESE_PNS0_10empty_typeENS0_5tupleIJSE_SF_EEENSH_IJSE_SG_EEENS0_18inequality_wrapperI22is_equal_div_10_uniqueIxEEEPmJSF_EEE10hipError_tPvRmT3_T4_T5_T6_T7_T9_mT8_P12ihipStream_tbDpT10_ENKUlT_T0_E_clISt17integral_constantIbLb1EES17_IbLb0EEEEDaS13_S14_EUlS13_E_NS1_11comp_targetILNS1_3genE5ELNS1_11target_archE942ELNS1_3gpuE9ELNS1_3repE0EEENS1_30default_config_static_selectorELNS0_4arch9wavefront6targetE0EEEvT1_,"axG",@progbits,_ZN7rocprim17ROCPRIM_400000_NS6detail17trampoline_kernelINS0_14default_configENS1_25partition_config_selectorILNS1_17partition_subalgoE9ExxbEEZZNS1_14partition_implILS5_9ELb0ES3_jN6thrust23THRUST_200600_302600_NS6detail15normal_iteratorINS9_10device_ptrIxEEEESE_PNS0_10empty_typeENS0_5tupleIJSE_SF_EEENSH_IJSE_SG_EEENS0_18inequality_wrapperI22is_equal_div_10_uniqueIxEEEPmJSF_EEE10hipError_tPvRmT3_T4_T5_T6_T7_T9_mT8_P12ihipStream_tbDpT10_ENKUlT_T0_E_clISt17integral_constantIbLb1EES17_IbLb0EEEEDaS13_S14_EUlS13_E_NS1_11comp_targetILNS1_3genE5ELNS1_11target_archE942ELNS1_3gpuE9ELNS1_3repE0EEENS1_30default_config_static_selectorELNS0_4arch9wavefront6targetE0EEEvT1_,comdat
	.protected	_ZN7rocprim17ROCPRIM_400000_NS6detail17trampoline_kernelINS0_14default_configENS1_25partition_config_selectorILNS1_17partition_subalgoE9ExxbEEZZNS1_14partition_implILS5_9ELb0ES3_jN6thrust23THRUST_200600_302600_NS6detail15normal_iteratorINS9_10device_ptrIxEEEESE_PNS0_10empty_typeENS0_5tupleIJSE_SF_EEENSH_IJSE_SG_EEENS0_18inequality_wrapperI22is_equal_div_10_uniqueIxEEEPmJSF_EEE10hipError_tPvRmT3_T4_T5_T6_T7_T9_mT8_P12ihipStream_tbDpT10_ENKUlT_T0_E_clISt17integral_constantIbLb1EES17_IbLb0EEEEDaS13_S14_EUlS13_E_NS1_11comp_targetILNS1_3genE5ELNS1_11target_archE942ELNS1_3gpuE9ELNS1_3repE0EEENS1_30default_config_static_selectorELNS0_4arch9wavefront6targetE0EEEvT1_ ; -- Begin function _ZN7rocprim17ROCPRIM_400000_NS6detail17trampoline_kernelINS0_14default_configENS1_25partition_config_selectorILNS1_17partition_subalgoE9ExxbEEZZNS1_14partition_implILS5_9ELb0ES3_jN6thrust23THRUST_200600_302600_NS6detail15normal_iteratorINS9_10device_ptrIxEEEESE_PNS0_10empty_typeENS0_5tupleIJSE_SF_EEENSH_IJSE_SG_EEENS0_18inequality_wrapperI22is_equal_div_10_uniqueIxEEEPmJSF_EEE10hipError_tPvRmT3_T4_T5_T6_T7_T9_mT8_P12ihipStream_tbDpT10_ENKUlT_T0_E_clISt17integral_constantIbLb1EES17_IbLb0EEEEDaS13_S14_EUlS13_E_NS1_11comp_targetILNS1_3genE5ELNS1_11target_archE942ELNS1_3gpuE9ELNS1_3repE0EEENS1_30default_config_static_selectorELNS0_4arch9wavefront6targetE0EEEvT1_
	.globl	_ZN7rocprim17ROCPRIM_400000_NS6detail17trampoline_kernelINS0_14default_configENS1_25partition_config_selectorILNS1_17partition_subalgoE9ExxbEEZZNS1_14partition_implILS5_9ELb0ES3_jN6thrust23THRUST_200600_302600_NS6detail15normal_iteratorINS9_10device_ptrIxEEEESE_PNS0_10empty_typeENS0_5tupleIJSE_SF_EEENSH_IJSE_SG_EEENS0_18inequality_wrapperI22is_equal_div_10_uniqueIxEEEPmJSF_EEE10hipError_tPvRmT3_T4_T5_T6_T7_T9_mT8_P12ihipStream_tbDpT10_ENKUlT_T0_E_clISt17integral_constantIbLb1EES17_IbLb0EEEEDaS13_S14_EUlS13_E_NS1_11comp_targetILNS1_3genE5ELNS1_11target_archE942ELNS1_3gpuE9ELNS1_3repE0EEENS1_30default_config_static_selectorELNS0_4arch9wavefront6targetE0EEEvT1_
	.p2align	8
	.type	_ZN7rocprim17ROCPRIM_400000_NS6detail17trampoline_kernelINS0_14default_configENS1_25partition_config_selectorILNS1_17partition_subalgoE9ExxbEEZZNS1_14partition_implILS5_9ELb0ES3_jN6thrust23THRUST_200600_302600_NS6detail15normal_iteratorINS9_10device_ptrIxEEEESE_PNS0_10empty_typeENS0_5tupleIJSE_SF_EEENSH_IJSE_SG_EEENS0_18inequality_wrapperI22is_equal_div_10_uniqueIxEEEPmJSF_EEE10hipError_tPvRmT3_T4_T5_T6_T7_T9_mT8_P12ihipStream_tbDpT10_ENKUlT_T0_E_clISt17integral_constantIbLb1EES17_IbLb0EEEEDaS13_S14_EUlS13_E_NS1_11comp_targetILNS1_3genE5ELNS1_11target_archE942ELNS1_3gpuE9ELNS1_3repE0EEENS1_30default_config_static_selectorELNS0_4arch9wavefront6targetE0EEEvT1_,@function
_ZN7rocprim17ROCPRIM_400000_NS6detail17trampoline_kernelINS0_14default_configENS1_25partition_config_selectorILNS1_17partition_subalgoE9ExxbEEZZNS1_14partition_implILS5_9ELb0ES3_jN6thrust23THRUST_200600_302600_NS6detail15normal_iteratorINS9_10device_ptrIxEEEESE_PNS0_10empty_typeENS0_5tupleIJSE_SF_EEENSH_IJSE_SG_EEENS0_18inequality_wrapperI22is_equal_div_10_uniqueIxEEEPmJSF_EEE10hipError_tPvRmT3_T4_T5_T6_T7_T9_mT8_P12ihipStream_tbDpT10_ENKUlT_T0_E_clISt17integral_constantIbLb1EES17_IbLb0EEEEDaS13_S14_EUlS13_E_NS1_11comp_targetILNS1_3genE5ELNS1_11target_archE942ELNS1_3gpuE9ELNS1_3repE0EEENS1_30default_config_static_selectorELNS0_4arch9wavefront6targetE0EEEvT1_: ; @_ZN7rocprim17ROCPRIM_400000_NS6detail17trampoline_kernelINS0_14default_configENS1_25partition_config_selectorILNS1_17partition_subalgoE9ExxbEEZZNS1_14partition_implILS5_9ELb0ES3_jN6thrust23THRUST_200600_302600_NS6detail15normal_iteratorINS9_10device_ptrIxEEEESE_PNS0_10empty_typeENS0_5tupleIJSE_SF_EEENSH_IJSE_SG_EEENS0_18inequality_wrapperI22is_equal_div_10_uniqueIxEEEPmJSF_EEE10hipError_tPvRmT3_T4_T5_T6_T7_T9_mT8_P12ihipStream_tbDpT10_ENKUlT_T0_E_clISt17integral_constantIbLb1EES17_IbLb0EEEEDaS13_S14_EUlS13_E_NS1_11comp_targetILNS1_3genE5ELNS1_11target_archE942ELNS1_3gpuE9ELNS1_3repE0EEENS1_30default_config_static_selectorELNS0_4arch9wavefront6targetE0EEEvT1_
; %bb.0:
	.section	.rodata,"a",@progbits
	.p2align	6, 0x0
	.amdhsa_kernel _ZN7rocprim17ROCPRIM_400000_NS6detail17trampoline_kernelINS0_14default_configENS1_25partition_config_selectorILNS1_17partition_subalgoE9ExxbEEZZNS1_14partition_implILS5_9ELb0ES3_jN6thrust23THRUST_200600_302600_NS6detail15normal_iteratorINS9_10device_ptrIxEEEESE_PNS0_10empty_typeENS0_5tupleIJSE_SF_EEENSH_IJSE_SG_EEENS0_18inequality_wrapperI22is_equal_div_10_uniqueIxEEEPmJSF_EEE10hipError_tPvRmT3_T4_T5_T6_T7_T9_mT8_P12ihipStream_tbDpT10_ENKUlT_T0_E_clISt17integral_constantIbLb1EES17_IbLb0EEEEDaS13_S14_EUlS13_E_NS1_11comp_targetILNS1_3genE5ELNS1_11target_archE942ELNS1_3gpuE9ELNS1_3repE0EEENS1_30default_config_static_selectorELNS0_4arch9wavefront6targetE0EEEvT1_
		.amdhsa_group_segment_fixed_size 0
		.amdhsa_private_segment_fixed_size 0
		.amdhsa_kernarg_size 112
		.amdhsa_user_sgpr_count 15
		.amdhsa_user_sgpr_dispatch_ptr 0
		.amdhsa_user_sgpr_queue_ptr 0
		.amdhsa_user_sgpr_kernarg_segment_ptr 1
		.amdhsa_user_sgpr_dispatch_id 0
		.amdhsa_user_sgpr_private_segment_size 0
		.amdhsa_wavefront_size32 1
		.amdhsa_uses_dynamic_stack 0
		.amdhsa_enable_private_segment 0
		.amdhsa_system_sgpr_workgroup_id_x 1
		.amdhsa_system_sgpr_workgroup_id_y 0
		.amdhsa_system_sgpr_workgroup_id_z 0
		.amdhsa_system_sgpr_workgroup_info 0
		.amdhsa_system_vgpr_workitem_id 0
		.amdhsa_next_free_vgpr 1
		.amdhsa_next_free_sgpr 1
		.amdhsa_reserve_vcc 0
		.amdhsa_float_round_mode_32 0
		.amdhsa_float_round_mode_16_64 0
		.amdhsa_float_denorm_mode_32 3
		.amdhsa_float_denorm_mode_16_64 3
		.amdhsa_dx10_clamp 1
		.amdhsa_ieee_mode 1
		.amdhsa_fp16_overflow 0
		.amdhsa_workgroup_processor_mode 1
		.amdhsa_memory_ordered 1
		.amdhsa_forward_progress 0
		.amdhsa_shared_vgpr_count 0
		.amdhsa_exception_fp_ieee_invalid_op 0
		.amdhsa_exception_fp_denorm_src 0
		.amdhsa_exception_fp_ieee_div_zero 0
		.amdhsa_exception_fp_ieee_overflow 0
		.amdhsa_exception_fp_ieee_underflow 0
		.amdhsa_exception_fp_ieee_inexact 0
		.amdhsa_exception_int_div_zero 0
	.end_amdhsa_kernel
	.section	.text._ZN7rocprim17ROCPRIM_400000_NS6detail17trampoline_kernelINS0_14default_configENS1_25partition_config_selectorILNS1_17partition_subalgoE9ExxbEEZZNS1_14partition_implILS5_9ELb0ES3_jN6thrust23THRUST_200600_302600_NS6detail15normal_iteratorINS9_10device_ptrIxEEEESE_PNS0_10empty_typeENS0_5tupleIJSE_SF_EEENSH_IJSE_SG_EEENS0_18inequality_wrapperI22is_equal_div_10_uniqueIxEEEPmJSF_EEE10hipError_tPvRmT3_T4_T5_T6_T7_T9_mT8_P12ihipStream_tbDpT10_ENKUlT_T0_E_clISt17integral_constantIbLb1EES17_IbLb0EEEEDaS13_S14_EUlS13_E_NS1_11comp_targetILNS1_3genE5ELNS1_11target_archE942ELNS1_3gpuE9ELNS1_3repE0EEENS1_30default_config_static_selectorELNS0_4arch9wavefront6targetE0EEEvT1_,"axG",@progbits,_ZN7rocprim17ROCPRIM_400000_NS6detail17trampoline_kernelINS0_14default_configENS1_25partition_config_selectorILNS1_17partition_subalgoE9ExxbEEZZNS1_14partition_implILS5_9ELb0ES3_jN6thrust23THRUST_200600_302600_NS6detail15normal_iteratorINS9_10device_ptrIxEEEESE_PNS0_10empty_typeENS0_5tupleIJSE_SF_EEENSH_IJSE_SG_EEENS0_18inequality_wrapperI22is_equal_div_10_uniqueIxEEEPmJSF_EEE10hipError_tPvRmT3_T4_T5_T6_T7_T9_mT8_P12ihipStream_tbDpT10_ENKUlT_T0_E_clISt17integral_constantIbLb1EES17_IbLb0EEEEDaS13_S14_EUlS13_E_NS1_11comp_targetILNS1_3genE5ELNS1_11target_archE942ELNS1_3gpuE9ELNS1_3repE0EEENS1_30default_config_static_selectorELNS0_4arch9wavefront6targetE0EEEvT1_,comdat
.Lfunc_end389:
	.size	_ZN7rocprim17ROCPRIM_400000_NS6detail17trampoline_kernelINS0_14default_configENS1_25partition_config_selectorILNS1_17partition_subalgoE9ExxbEEZZNS1_14partition_implILS5_9ELb0ES3_jN6thrust23THRUST_200600_302600_NS6detail15normal_iteratorINS9_10device_ptrIxEEEESE_PNS0_10empty_typeENS0_5tupleIJSE_SF_EEENSH_IJSE_SG_EEENS0_18inequality_wrapperI22is_equal_div_10_uniqueIxEEEPmJSF_EEE10hipError_tPvRmT3_T4_T5_T6_T7_T9_mT8_P12ihipStream_tbDpT10_ENKUlT_T0_E_clISt17integral_constantIbLb1EES17_IbLb0EEEEDaS13_S14_EUlS13_E_NS1_11comp_targetILNS1_3genE5ELNS1_11target_archE942ELNS1_3gpuE9ELNS1_3repE0EEENS1_30default_config_static_selectorELNS0_4arch9wavefront6targetE0EEEvT1_, .Lfunc_end389-_ZN7rocprim17ROCPRIM_400000_NS6detail17trampoline_kernelINS0_14default_configENS1_25partition_config_selectorILNS1_17partition_subalgoE9ExxbEEZZNS1_14partition_implILS5_9ELb0ES3_jN6thrust23THRUST_200600_302600_NS6detail15normal_iteratorINS9_10device_ptrIxEEEESE_PNS0_10empty_typeENS0_5tupleIJSE_SF_EEENSH_IJSE_SG_EEENS0_18inequality_wrapperI22is_equal_div_10_uniqueIxEEEPmJSF_EEE10hipError_tPvRmT3_T4_T5_T6_T7_T9_mT8_P12ihipStream_tbDpT10_ENKUlT_T0_E_clISt17integral_constantIbLb1EES17_IbLb0EEEEDaS13_S14_EUlS13_E_NS1_11comp_targetILNS1_3genE5ELNS1_11target_archE942ELNS1_3gpuE9ELNS1_3repE0EEENS1_30default_config_static_selectorELNS0_4arch9wavefront6targetE0EEEvT1_
                                        ; -- End function
	.section	.AMDGPU.csdata,"",@progbits
; Kernel info:
; codeLenInByte = 0
; NumSgprs: 0
; NumVgprs: 0
; ScratchSize: 0
; MemoryBound: 0
; FloatMode: 240
; IeeeMode: 1
; LDSByteSize: 0 bytes/workgroup (compile time only)
; SGPRBlocks: 0
; VGPRBlocks: 0
; NumSGPRsForWavesPerEU: 1
; NumVGPRsForWavesPerEU: 1
; Occupancy: 16
; WaveLimiterHint : 0
; COMPUTE_PGM_RSRC2:SCRATCH_EN: 0
; COMPUTE_PGM_RSRC2:USER_SGPR: 15
; COMPUTE_PGM_RSRC2:TRAP_HANDLER: 0
; COMPUTE_PGM_RSRC2:TGID_X_EN: 1
; COMPUTE_PGM_RSRC2:TGID_Y_EN: 0
; COMPUTE_PGM_RSRC2:TGID_Z_EN: 0
; COMPUTE_PGM_RSRC2:TIDIG_COMP_CNT: 0
	.section	.text._ZN7rocprim17ROCPRIM_400000_NS6detail17trampoline_kernelINS0_14default_configENS1_25partition_config_selectorILNS1_17partition_subalgoE9ExxbEEZZNS1_14partition_implILS5_9ELb0ES3_jN6thrust23THRUST_200600_302600_NS6detail15normal_iteratorINS9_10device_ptrIxEEEESE_PNS0_10empty_typeENS0_5tupleIJSE_SF_EEENSH_IJSE_SG_EEENS0_18inequality_wrapperI22is_equal_div_10_uniqueIxEEEPmJSF_EEE10hipError_tPvRmT3_T4_T5_T6_T7_T9_mT8_P12ihipStream_tbDpT10_ENKUlT_T0_E_clISt17integral_constantIbLb1EES17_IbLb0EEEEDaS13_S14_EUlS13_E_NS1_11comp_targetILNS1_3genE4ELNS1_11target_archE910ELNS1_3gpuE8ELNS1_3repE0EEENS1_30default_config_static_selectorELNS0_4arch9wavefront6targetE0EEEvT1_,"axG",@progbits,_ZN7rocprim17ROCPRIM_400000_NS6detail17trampoline_kernelINS0_14default_configENS1_25partition_config_selectorILNS1_17partition_subalgoE9ExxbEEZZNS1_14partition_implILS5_9ELb0ES3_jN6thrust23THRUST_200600_302600_NS6detail15normal_iteratorINS9_10device_ptrIxEEEESE_PNS0_10empty_typeENS0_5tupleIJSE_SF_EEENSH_IJSE_SG_EEENS0_18inequality_wrapperI22is_equal_div_10_uniqueIxEEEPmJSF_EEE10hipError_tPvRmT3_T4_T5_T6_T7_T9_mT8_P12ihipStream_tbDpT10_ENKUlT_T0_E_clISt17integral_constantIbLb1EES17_IbLb0EEEEDaS13_S14_EUlS13_E_NS1_11comp_targetILNS1_3genE4ELNS1_11target_archE910ELNS1_3gpuE8ELNS1_3repE0EEENS1_30default_config_static_selectorELNS0_4arch9wavefront6targetE0EEEvT1_,comdat
	.protected	_ZN7rocprim17ROCPRIM_400000_NS6detail17trampoline_kernelINS0_14default_configENS1_25partition_config_selectorILNS1_17partition_subalgoE9ExxbEEZZNS1_14partition_implILS5_9ELb0ES3_jN6thrust23THRUST_200600_302600_NS6detail15normal_iteratorINS9_10device_ptrIxEEEESE_PNS0_10empty_typeENS0_5tupleIJSE_SF_EEENSH_IJSE_SG_EEENS0_18inequality_wrapperI22is_equal_div_10_uniqueIxEEEPmJSF_EEE10hipError_tPvRmT3_T4_T5_T6_T7_T9_mT8_P12ihipStream_tbDpT10_ENKUlT_T0_E_clISt17integral_constantIbLb1EES17_IbLb0EEEEDaS13_S14_EUlS13_E_NS1_11comp_targetILNS1_3genE4ELNS1_11target_archE910ELNS1_3gpuE8ELNS1_3repE0EEENS1_30default_config_static_selectorELNS0_4arch9wavefront6targetE0EEEvT1_ ; -- Begin function _ZN7rocprim17ROCPRIM_400000_NS6detail17trampoline_kernelINS0_14default_configENS1_25partition_config_selectorILNS1_17partition_subalgoE9ExxbEEZZNS1_14partition_implILS5_9ELb0ES3_jN6thrust23THRUST_200600_302600_NS6detail15normal_iteratorINS9_10device_ptrIxEEEESE_PNS0_10empty_typeENS0_5tupleIJSE_SF_EEENSH_IJSE_SG_EEENS0_18inequality_wrapperI22is_equal_div_10_uniqueIxEEEPmJSF_EEE10hipError_tPvRmT3_T4_T5_T6_T7_T9_mT8_P12ihipStream_tbDpT10_ENKUlT_T0_E_clISt17integral_constantIbLb1EES17_IbLb0EEEEDaS13_S14_EUlS13_E_NS1_11comp_targetILNS1_3genE4ELNS1_11target_archE910ELNS1_3gpuE8ELNS1_3repE0EEENS1_30default_config_static_selectorELNS0_4arch9wavefront6targetE0EEEvT1_
	.globl	_ZN7rocprim17ROCPRIM_400000_NS6detail17trampoline_kernelINS0_14default_configENS1_25partition_config_selectorILNS1_17partition_subalgoE9ExxbEEZZNS1_14partition_implILS5_9ELb0ES3_jN6thrust23THRUST_200600_302600_NS6detail15normal_iteratorINS9_10device_ptrIxEEEESE_PNS0_10empty_typeENS0_5tupleIJSE_SF_EEENSH_IJSE_SG_EEENS0_18inequality_wrapperI22is_equal_div_10_uniqueIxEEEPmJSF_EEE10hipError_tPvRmT3_T4_T5_T6_T7_T9_mT8_P12ihipStream_tbDpT10_ENKUlT_T0_E_clISt17integral_constantIbLb1EES17_IbLb0EEEEDaS13_S14_EUlS13_E_NS1_11comp_targetILNS1_3genE4ELNS1_11target_archE910ELNS1_3gpuE8ELNS1_3repE0EEENS1_30default_config_static_selectorELNS0_4arch9wavefront6targetE0EEEvT1_
	.p2align	8
	.type	_ZN7rocprim17ROCPRIM_400000_NS6detail17trampoline_kernelINS0_14default_configENS1_25partition_config_selectorILNS1_17partition_subalgoE9ExxbEEZZNS1_14partition_implILS5_9ELb0ES3_jN6thrust23THRUST_200600_302600_NS6detail15normal_iteratorINS9_10device_ptrIxEEEESE_PNS0_10empty_typeENS0_5tupleIJSE_SF_EEENSH_IJSE_SG_EEENS0_18inequality_wrapperI22is_equal_div_10_uniqueIxEEEPmJSF_EEE10hipError_tPvRmT3_T4_T5_T6_T7_T9_mT8_P12ihipStream_tbDpT10_ENKUlT_T0_E_clISt17integral_constantIbLb1EES17_IbLb0EEEEDaS13_S14_EUlS13_E_NS1_11comp_targetILNS1_3genE4ELNS1_11target_archE910ELNS1_3gpuE8ELNS1_3repE0EEENS1_30default_config_static_selectorELNS0_4arch9wavefront6targetE0EEEvT1_,@function
_ZN7rocprim17ROCPRIM_400000_NS6detail17trampoline_kernelINS0_14default_configENS1_25partition_config_selectorILNS1_17partition_subalgoE9ExxbEEZZNS1_14partition_implILS5_9ELb0ES3_jN6thrust23THRUST_200600_302600_NS6detail15normal_iteratorINS9_10device_ptrIxEEEESE_PNS0_10empty_typeENS0_5tupleIJSE_SF_EEENSH_IJSE_SG_EEENS0_18inequality_wrapperI22is_equal_div_10_uniqueIxEEEPmJSF_EEE10hipError_tPvRmT3_T4_T5_T6_T7_T9_mT8_P12ihipStream_tbDpT10_ENKUlT_T0_E_clISt17integral_constantIbLb1EES17_IbLb0EEEEDaS13_S14_EUlS13_E_NS1_11comp_targetILNS1_3genE4ELNS1_11target_archE910ELNS1_3gpuE8ELNS1_3repE0EEENS1_30default_config_static_selectorELNS0_4arch9wavefront6targetE0EEEvT1_: ; @_ZN7rocprim17ROCPRIM_400000_NS6detail17trampoline_kernelINS0_14default_configENS1_25partition_config_selectorILNS1_17partition_subalgoE9ExxbEEZZNS1_14partition_implILS5_9ELb0ES3_jN6thrust23THRUST_200600_302600_NS6detail15normal_iteratorINS9_10device_ptrIxEEEESE_PNS0_10empty_typeENS0_5tupleIJSE_SF_EEENSH_IJSE_SG_EEENS0_18inequality_wrapperI22is_equal_div_10_uniqueIxEEEPmJSF_EEE10hipError_tPvRmT3_T4_T5_T6_T7_T9_mT8_P12ihipStream_tbDpT10_ENKUlT_T0_E_clISt17integral_constantIbLb1EES17_IbLb0EEEEDaS13_S14_EUlS13_E_NS1_11comp_targetILNS1_3genE4ELNS1_11target_archE910ELNS1_3gpuE8ELNS1_3repE0EEENS1_30default_config_static_selectorELNS0_4arch9wavefront6targetE0EEEvT1_
; %bb.0:
	.section	.rodata,"a",@progbits
	.p2align	6, 0x0
	.amdhsa_kernel _ZN7rocprim17ROCPRIM_400000_NS6detail17trampoline_kernelINS0_14default_configENS1_25partition_config_selectorILNS1_17partition_subalgoE9ExxbEEZZNS1_14partition_implILS5_9ELb0ES3_jN6thrust23THRUST_200600_302600_NS6detail15normal_iteratorINS9_10device_ptrIxEEEESE_PNS0_10empty_typeENS0_5tupleIJSE_SF_EEENSH_IJSE_SG_EEENS0_18inequality_wrapperI22is_equal_div_10_uniqueIxEEEPmJSF_EEE10hipError_tPvRmT3_T4_T5_T6_T7_T9_mT8_P12ihipStream_tbDpT10_ENKUlT_T0_E_clISt17integral_constantIbLb1EES17_IbLb0EEEEDaS13_S14_EUlS13_E_NS1_11comp_targetILNS1_3genE4ELNS1_11target_archE910ELNS1_3gpuE8ELNS1_3repE0EEENS1_30default_config_static_selectorELNS0_4arch9wavefront6targetE0EEEvT1_
		.amdhsa_group_segment_fixed_size 0
		.amdhsa_private_segment_fixed_size 0
		.amdhsa_kernarg_size 112
		.amdhsa_user_sgpr_count 15
		.amdhsa_user_sgpr_dispatch_ptr 0
		.amdhsa_user_sgpr_queue_ptr 0
		.amdhsa_user_sgpr_kernarg_segment_ptr 1
		.amdhsa_user_sgpr_dispatch_id 0
		.amdhsa_user_sgpr_private_segment_size 0
		.amdhsa_wavefront_size32 1
		.amdhsa_uses_dynamic_stack 0
		.amdhsa_enable_private_segment 0
		.amdhsa_system_sgpr_workgroup_id_x 1
		.amdhsa_system_sgpr_workgroup_id_y 0
		.amdhsa_system_sgpr_workgroup_id_z 0
		.amdhsa_system_sgpr_workgroup_info 0
		.amdhsa_system_vgpr_workitem_id 0
		.amdhsa_next_free_vgpr 1
		.amdhsa_next_free_sgpr 1
		.amdhsa_reserve_vcc 0
		.amdhsa_float_round_mode_32 0
		.amdhsa_float_round_mode_16_64 0
		.amdhsa_float_denorm_mode_32 3
		.amdhsa_float_denorm_mode_16_64 3
		.amdhsa_dx10_clamp 1
		.amdhsa_ieee_mode 1
		.amdhsa_fp16_overflow 0
		.amdhsa_workgroup_processor_mode 1
		.amdhsa_memory_ordered 1
		.amdhsa_forward_progress 0
		.amdhsa_shared_vgpr_count 0
		.amdhsa_exception_fp_ieee_invalid_op 0
		.amdhsa_exception_fp_denorm_src 0
		.amdhsa_exception_fp_ieee_div_zero 0
		.amdhsa_exception_fp_ieee_overflow 0
		.amdhsa_exception_fp_ieee_underflow 0
		.amdhsa_exception_fp_ieee_inexact 0
		.amdhsa_exception_int_div_zero 0
	.end_amdhsa_kernel
	.section	.text._ZN7rocprim17ROCPRIM_400000_NS6detail17trampoline_kernelINS0_14default_configENS1_25partition_config_selectorILNS1_17partition_subalgoE9ExxbEEZZNS1_14partition_implILS5_9ELb0ES3_jN6thrust23THRUST_200600_302600_NS6detail15normal_iteratorINS9_10device_ptrIxEEEESE_PNS0_10empty_typeENS0_5tupleIJSE_SF_EEENSH_IJSE_SG_EEENS0_18inequality_wrapperI22is_equal_div_10_uniqueIxEEEPmJSF_EEE10hipError_tPvRmT3_T4_T5_T6_T7_T9_mT8_P12ihipStream_tbDpT10_ENKUlT_T0_E_clISt17integral_constantIbLb1EES17_IbLb0EEEEDaS13_S14_EUlS13_E_NS1_11comp_targetILNS1_3genE4ELNS1_11target_archE910ELNS1_3gpuE8ELNS1_3repE0EEENS1_30default_config_static_selectorELNS0_4arch9wavefront6targetE0EEEvT1_,"axG",@progbits,_ZN7rocprim17ROCPRIM_400000_NS6detail17trampoline_kernelINS0_14default_configENS1_25partition_config_selectorILNS1_17partition_subalgoE9ExxbEEZZNS1_14partition_implILS5_9ELb0ES3_jN6thrust23THRUST_200600_302600_NS6detail15normal_iteratorINS9_10device_ptrIxEEEESE_PNS0_10empty_typeENS0_5tupleIJSE_SF_EEENSH_IJSE_SG_EEENS0_18inequality_wrapperI22is_equal_div_10_uniqueIxEEEPmJSF_EEE10hipError_tPvRmT3_T4_T5_T6_T7_T9_mT8_P12ihipStream_tbDpT10_ENKUlT_T0_E_clISt17integral_constantIbLb1EES17_IbLb0EEEEDaS13_S14_EUlS13_E_NS1_11comp_targetILNS1_3genE4ELNS1_11target_archE910ELNS1_3gpuE8ELNS1_3repE0EEENS1_30default_config_static_selectorELNS0_4arch9wavefront6targetE0EEEvT1_,comdat
.Lfunc_end390:
	.size	_ZN7rocprim17ROCPRIM_400000_NS6detail17trampoline_kernelINS0_14default_configENS1_25partition_config_selectorILNS1_17partition_subalgoE9ExxbEEZZNS1_14partition_implILS5_9ELb0ES3_jN6thrust23THRUST_200600_302600_NS6detail15normal_iteratorINS9_10device_ptrIxEEEESE_PNS0_10empty_typeENS0_5tupleIJSE_SF_EEENSH_IJSE_SG_EEENS0_18inequality_wrapperI22is_equal_div_10_uniqueIxEEEPmJSF_EEE10hipError_tPvRmT3_T4_T5_T6_T7_T9_mT8_P12ihipStream_tbDpT10_ENKUlT_T0_E_clISt17integral_constantIbLb1EES17_IbLb0EEEEDaS13_S14_EUlS13_E_NS1_11comp_targetILNS1_3genE4ELNS1_11target_archE910ELNS1_3gpuE8ELNS1_3repE0EEENS1_30default_config_static_selectorELNS0_4arch9wavefront6targetE0EEEvT1_, .Lfunc_end390-_ZN7rocprim17ROCPRIM_400000_NS6detail17trampoline_kernelINS0_14default_configENS1_25partition_config_selectorILNS1_17partition_subalgoE9ExxbEEZZNS1_14partition_implILS5_9ELb0ES3_jN6thrust23THRUST_200600_302600_NS6detail15normal_iteratorINS9_10device_ptrIxEEEESE_PNS0_10empty_typeENS0_5tupleIJSE_SF_EEENSH_IJSE_SG_EEENS0_18inequality_wrapperI22is_equal_div_10_uniqueIxEEEPmJSF_EEE10hipError_tPvRmT3_T4_T5_T6_T7_T9_mT8_P12ihipStream_tbDpT10_ENKUlT_T0_E_clISt17integral_constantIbLb1EES17_IbLb0EEEEDaS13_S14_EUlS13_E_NS1_11comp_targetILNS1_3genE4ELNS1_11target_archE910ELNS1_3gpuE8ELNS1_3repE0EEENS1_30default_config_static_selectorELNS0_4arch9wavefront6targetE0EEEvT1_
                                        ; -- End function
	.section	.AMDGPU.csdata,"",@progbits
; Kernel info:
; codeLenInByte = 0
; NumSgprs: 0
; NumVgprs: 0
; ScratchSize: 0
; MemoryBound: 0
; FloatMode: 240
; IeeeMode: 1
; LDSByteSize: 0 bytes/workgroup (compile time only)
; SGPRBlocks: 0
; VGPRBlocks: 0
; NumSGPRsForWavesPerEU: 1
; NumVGPRsForWavesPerEU: 1
; Occupancy: 16
; WaveLimiterHint : 0
; COMPUTE_PGM_RSRC2:SCRATCH_EN: 0
; COMPUTE_PGM_RSRC2:USER_SGPR: 15
; COMPUTE_PGM_RSRC2:TRAP_HANDLER: 0
; COMPUTE_PGM_RSRC2:TGID_X_EN: 1
; COMPUTE_PGM_RSRC2:TGID_Y_EN: 0
; COMPUTE_PGM_RSRC2:TGID_Z_EN: 0
; COMPUTE_PGM_RSRC2:TIDIG_COMP_CNT: 0
	.section	.text._ZN7rocprim17ROCPRIM_400000_NS6detail17trampoline_kernelINS0_14default_configENS1_25partition_config_selectorILNS1_17partition_subalgoE9ExxbEEZZNS1_14partition_implILS5_9ELb0ES3_jN6thrust23THRUST_200600_302600_NS6detail15normal_iteratorINS9_10device_ptrIxEEEESE_PNS0_10empty_typeENS0_5tupleIJSE_SF_EEENSH_IJSE_SG_EEENS0_18inequality_wrapperI22is_equal_div_10_uniqueIxEEEPmJSF_EEE10hipError_tPvRmT3_T4_T5_T6_T7_T9_mT8_P12ihipStream_tbDpT10_ENKUlT_T0_E_clISt17integral_constantIbLb1EES17_IbLb0EEEEDaS13_S14_EUlS13_E_NS1_11comp_targetILNS1_3genE3ELNS1_11target_archE908ELNS1_3gpuE7ELNS1_3repE0EEENS1_30default_config_static_selectorELNS0_4arch9wavefront6targetE0EEEvT1_,"axG",@progbits,_ZN7rocprim17ROCPRIM_400000_NS6detail17trampoline_kernelINS0_14default_configENS1_25partition_config_selectorILNS1_17partition_subalgoE9ExxbEEZZNS1_14partition_implILS5_9ELb0ES3_jN6thrust23THRUST_200600_302600_NS6detail15normal_iteratorINS9_10device_ptrIxEEEESE_PNS0_10empty_typeENS0_5tupleIJSE_SF_EEENSH_IJSE_SG_EEENS0_18inequality_wrapperI22is_equal_div_10_uniqueIxEEEPmJSF_EEE10hipError_tPvRmT3_T4_T5_T6_T7_T9_mT8_P12ihipStream_tbDpT10_ENKUlT_T0_E_clISt17integral_constantIbLb1EES17_IbLb0EEEEDaS13_S14_EUlS13_E_NS1_11comp_targetILNS1_3genE3ELNS1_11target_archE908ELNS1_3gpuE7ELNS1_3repE0EEENS1_30default_config_static_selectorELNS0_4arch9wavefront6targetE0EEEvT1_,comdat
	.protected	_ZN7rocprim17ROCPRIM_400000_NS6detail17trampoline_kernelINS0_14default_configENS1_25partition_config_selectorILNS1_17partition_subalgoE9ExxbEEZZNS1_14partition_implILS5_9ELb0ES3_jN6thrust23THRUST_200600_302600_NS6detail15normal_iteratorINS9_10device_ptrIxEEEESE_PNS0_10empty_typeENS0_5tupleIJSE_SF_EEENSH_IJSE_SG_EEENS0_18inequality_wrapperI22is_equal_div_10_uniqueIxEEEPmJSF_EEE10hipError_tPvRmT3_T4_T5_T6_T7_T9_mT8_P12ihipStream_tbDpT10_ENKUlT_T0_E_clISt17integral_constantIbLb1EES17_IbLb0EEEEDaS13_S14_EUlS13_E_NS1_11comp_targetILNS1_3genE3ELNS1_11target_archE908ELNS1_3gpuE7ELNS1_3repE0EEENS1_30default_config_static_selectorELNS0_4arch9wavefront6targetE0EEEvT1_ ; -- Begin function _ZN7rocprim17ROCPRIM_400000_NS6detail17trampoline_kernelINS0_14default_configENS1_25partition_config_selectorILNS1_17partition_subalgoE9ExxbEEZZNS1_14partition_implILS5_9ELb0ES3_jN6thrust23THRUST_200600_302600_NS6detail15normal_iteratorINS9_10device_ptrIxEEEESE_PNS0_10empty_typeENS0_5tupleIJSE_SF_EEENSH_IJSE_SG_EEENS0_18inequality_wrapperI22is_equal_div_10_uniqueIxEEEPmJSF_EEE10hipError_tPvRmT3_T4_T5_T6_T7_T9_mT8_P12ihipStream_tbDpT10_ENKUlT_T0_E_clISt17integral_constantIbLb1EES17_IbLb0EEEEDaS13_S14_EUlS13_E_NS1_11comp_targetILNS1_3genE3ELNS1_11target_archE908ELNS1_3gpuE7ELNS1_3repE0EEENS1_30default_config_static_selectorELNS0_4arch9wavefront6targetE0EEEvT1_
	.globl	_ZN7rocprim17ROCPRIM_400000_NS6detail17trampoline_kernelINS0_14default_configENS1_25partition_config_selectorILNS1_17partition_subalgoE9ExxbEEZZNS1_14partition_implILS5_9ELb0ES3_jN6thrust23THRUST_200600_302600_NS6detail15normal_iteratorINS9_10device_ptrIxEEEESE_PNS0_10empty_typeENS0_5tupleIJSE_SF_EEENSH_IJSE_SG_EEENS0_18inequality_wrapperI22is_equal_div_10_uniqueIxEEEPmJSF_EEE10hipError_tPvRmT3_T4_T5_T6_T7_T9_mT8_P12ihipStream_tbDpT10_ENKUlT_T0_E_clISt17integral_constantIbLb1EES17_IbLb0EEEEDaS13_S14_EUlS13_E_NS1_11comp_targetILNS1_3genE3ELNS1_11target_archE908ELNS1_3gpuE7ELNS1_3repE0EEENS1_30default_config_static_selectorELNS0_4arch9wavefront6targetE0EEEvT1_
	.p2align	8
	.type	_ZN7rocprim17ROCPRIM_400000_NS6detail17trampoline_kernelINS0_14default_configENS1_25partition_config_selectorILNS1_17partition_subalgoE9ExxbEEZZNS1_14partition_implILS5_9ELb0ES3_jN6thrust23THRUST_200600_302600_NS6detail15normal_iteratorINS9_10device_ptrIxEEEESE_PNS0_10empty_typeENS0_5tupleIJSE_SF_EEENSH_IJSE_SG_EEENS0_18inequality_wrapperI22is_equal_div_10_uniqueIxEEEPmJSF_EEE10hipError_tPvRmT3_T4_T5_T6_T7_T9_mT8_P12ihipStream_tbDpT10_ENKUlT_T0_E_clISt17integral_constantIbLb1EES17_IbLb0EEEEDaS13_S14_EUlS13_E_NS1_11comp_targetILNS1_3genE3ELNS1_11target_archE908ELNS1_3gpuE7ELNS1_3repE0EEENS1_30default_config_static_selectorELNS0_4arch9wavefront6targetE0EEEvT1_,@function
_ZN7rocprim17ROCPRIM_400000_NS6detail17trampoline_kernelINS0_14default_configENS1_25partition_config_selectorILNS1_17partition_subalgoE9ExxbEEZZNS1_14partition_implILS5_9ELb0ES3_jN6thrust23THRUST_200600_302600_NS6detail15normal_iteratorINS9_10device_ptrIxEEEESE_PNS0_10empty_typeENS0_5tupleIJSE_SF_EEENSH_IJSE_SG_EEENS0_18inequality_wrapperI22is_equal_div_10_uniqueIxEEEPmJSF_EEE10hipError_tPvRmT3_T4_T5_T6_T7_T9_mT8_P12ihipStream_tbDpT10_ENKUlT_T0_E_clISt17integral_constantIbLb1EES17_IbLb0EEEEDaS13_S14_EUlS13_E_NS1_11comp_targetILNS1_3genE3ELNS1_11target_archE908ELNS1_3gpuE7ELNS1_3repE0EEENS1_30default_config_static_selectorELNS0_4arch9wavefront6targetE0EEEvT1_: ; @_ZN7rocprim17ROCPRIM_400000_NS6detail17trampoline_kernelINS0_14default_configENS1_25partition_config_selectorILNS1_17partition_subalgoE9ExxbEEZZNS1_14partition_implILS5_9ELb0ES3_jN6thrust23THRUST_200600_302600_NS6detail15normal_iteratorINS9_10device_ptrIxEEEESE_PNS0_10empty_typeENS0_5tupleIJSE_SF_EEENSH_IJSE_SG_EEENS0_18inequality_wrapperI22is_equal_div_10_uniqueIxEEEPmJSF_EEE10hipError_tPvRmT3_T4_T5_T6_T7_T9_mT8_P12ihipStream_tbDpT10_ENKUlT_T0_E_clISt17integral_constantIbLb1EES17_IbLb0EEEEDaS13_S14_EUlS13_E_NS1_11comp_targetILNS1_3genE3ELNS1_11target_archE908ELNS1_3gpuE7ELNS1_3repE0EEENS1_30default_config_static_selectorELNS0_4arch9wavefront6targetE0EEEvT1_
; %bb.0:
	.section	.rodata,"a",@progbits
	.p2align	6, 0x0
	.amdhsa_kernel _ZN7rocprim17ROCPRIM_400000_NS6detail17trampoline_kernelINS0_14default_configENS1_25partition_config_selectorILNS1_17partition_subalgoE9ExxbEEZZNS1_14partition_implILS5_9ELb0ES3_jN6thrust23THRUST_200600_302600_NS6detail15normal_iteratorINS9_10device_ptrIxEEEESE_PNS0_10empty_typeENS0_5tupleIJSE_SF_EEENSH_IJSE_SG_EEENS0_18inequality_wrapperI22is_equal_div_10_uniqueIxEEEPmJSF_EEE10hipError_tPvRmT3_T4_T5_T6_T7_T9_mT8_P12ihipStream_tbDpT10_ENKUlT_T0_E_clISt17integral_constantIbLb1EES17_IbLb0EEEEDaS13_S14_EUlS13_E_NS1_11comp_targetILNS1_3genE3ELNS1_11target_archE908ELNS1_3gpuE7ELNS1_3repE0EEENS1_30default_config_static_selectorELNS0_4arch9wavefront6targetE0EEEvT1_
		.amdhsa_group_segment_fixed_size 0
		.amdhsa_private_segment_fixed_size 0
		.amdhsa_kernarg_size 112
		.amdhsa_user_sgpr_count 15
		.amdhsa_user_sgpr_dispatch_ptr 0
		.amdhsa_user_sgpr_queue_ptr 0
		.amdhsa_user_sgpr_kernarg_segment_ptr 1
		.amdhsa_user_sgpr_dispatch_id 0
		.amdhsa_user_sgpr_private_segment_size 0
		.amdhsa_wavefront_size32 1
		.amdhsa_uses_dynamic_stack 0
		.amdhsa_enable_private_segment 0
		.amdhsa_system_sgpr_workgroup_id_x 1
		.amdhsa_system_sgpr_workgroup_id_y 0
		.amdhsa_system_sgpr_workgroup_id_z 0
		.amdhsa_system_sgpr_workgroup_info 0
		.amdhsa_system_vgpr_workitem_id 0
		.amdhsa_next_free_vgpr 1
		.amdhsa_next_free_sgpr 1
		.amdhsa_reserve_vcc 0
		.amdhsa_float_round_mode_32 0
		.amdhsa_float_round_mode_16_64 0
		.amdhsa_float_denorm_mode_32 3
		.amdhsa_float_denorm_mode_16_64 3
		.amdhsa_dx10_clamp 1
		.amdhsa_ieee_mode 1
		.amdhsa_fp16_overflow 0
		.amdhsa_workgroup_processor_mode 1
		.amdhsa_memory_ordered 1
		.amdhsa_forward_progress 0
		.amdhsa_shared_vgpr_count 0
		.amdhsa_exception_fp_ieee_invalid_op 0
		.amdhsa_exception_fp_denorm_src 0
		.amdhsa_exception_fp_ieee_div_zero 0
		.amdhsa_exception_fp_ieee_overflow 0
		.amdhsa_exception_fp_ieee_underflow 0
		.amdhsa_exception_fp_ieee_inexact 0
		.amdhsa_exception_int_div_zero 0
	.end_amdhsa_kernel
	.section	.text._ZN7rocprim17ROCPRIM_400000_NS6detail17trampoline_kernelINS0_14default_configENS1_25partition_config_selectorILNS1_17partition_subalgoE9ExxbEEZZNS1_14partition_implILS5_9ELb0ES3_jN6thrust23THRUST_200600_302600_NS6detail15normal_iteratorINS9_10device_ptrIxEEEESE_PNS0_10empty_typeENS0_5tupleIJSE_SF_EEENSH_IJSE_SG_EEENS0_18inequality_wrapperI22is_equal_div_10_uniqueIxEEEPmJSF_EEE10hipError_tPvRmT3_T4_T5_T6_T7_T9_mT8_P12ihipStream_tbDpT10_ENKUlT_T0_E_clISt17integral_constantIbLb1EES17_IbLb0EEEEDaS13_S14_EUlS13_E_NS1_11comp_targetILNS1_3genE3ELNS1_11target_archE908ELNS1_3gpuE7ELNS1_3repE0EEENS1_30default_config_static_selectorELNS0_4arch9wavefront6targetE0EEEvT1_,"axG",@progbits,_ZN7rocprim17ROCPRIM_400000_NS6detail17trampoline_kernelINS0_14default_configENS1_25partition_config_selectorILNS1_17partition_subalgoE9ExxbEEZZNS1_14partition_implILS5_9ELb0ES3_jN6thrust23THRUST_200600_302600_NS6detail15normal_iteratorINS9_10device_ptrIxEEEESE_PNS0_10empty_typeENS0_5tupleIJSE_SF_EEENSH_IJSE_SG_EEENS0_18inequality_wrapperI22is_equal_div_10_uniqueIxEEEPmJSF_EEE10hipError_tPvRmT3_T4_T5_T6_T7_T9_mT8_P12ihipStream_tbDpT10_ENKUlT_T0_E_clISt17integral_constantIbLb1EES17_IbLb0EEEEDaS13_S14_EUlS13_E_NS1_11comp_targetILNS1_3genE3ELNS1_11target_archE908ELNS1_3gpuE7ELNS1_3repE0EEENS1_30default_config_static_selectorELNS0_4arch9wavefront6targetE0EEEvT1_,comdat
.Lfunc_end391:
	.size	_ZN7rocprim17ROCPRIM_400000_NS6detail17trampoline_kernelINS0_14default_configENS1_25partition_config_selectorILNS1_17partition_subalgoE9ExxbEEZZNS1_14partition_implILS5_9ELb0ES3_jN6thrust23THRUST_200600_302600_NS6detail15normal_iteratorINS9_10device_ptrIxEEEESE_PNS0_10empty_typeENS0_5tupleIJSE_SF_EEENSH_IJSE_SG_EEENS0_18inequality_wrapperI22is_equal_div_10_uniqueIxEEEPmJSF_EEE10hipError_tPvRmT3_T4_T5_T6_T7_T9_mT8_P12ihipStream_tbDpT10_ENKUlT_T0_E_clISt17integral_constantIbLb1EES17_IbLb0EEEEDaS13_S14_EUlS13_E_NS1_11comp_targetILNS1_3genE3ELNS1_11target_archE908ELNS1_3gpuE7ELNS1_3repE0EEENS1_30default_config_static_selectorELNS0_4arch9wavefront6targetE0EEEvT1_, .Lfunc_end391-_ZN7rocprim17ROCPRIM_400000_NS6detail17trampoline_kernelINS0_14default_configENS1_25partition_config_selectorILNS1_17partition_subalgoE9ExxbEEZZNS1_14partition_implILS5_9ELb0ES3_jN6thrust23THRUST_200600_302600_NS6detail15normal_iteratorINS9_10device_ptrIxEEEESE_PNS0_10empty_typeENS0_5tupleIJSE_SF_EEENSH_IJSE_SG_EEENS0_18inequality_wrapperI22is_equal_div_10_uniqueIxEEEPmJSF_EEE10hipError_tPvRmT3_T4_T5_T6_T7_T9_mT8_P12ihipStream_tbDpT10_ENKUlT_T0_E_clISt17integral_constantIbLb1EES17_IbLb0EEEEDaS13_S14_EUlS13_E_NS1_11comp_targetILNS1_3genE3ELNS1_11target_archE908ELNS1_3gpuE7ELNS1_3repE0EEENS1_30default_config_static_selectorELNS0_4arch9wavefront6targetE0EEEvT1_
                                        ; -- End function
	.section	.AMDGPU.csdata,"",@progbits
; Kernel info:
; codeLenInByte = 0
; NumSgprs: 0
; NumVgprs: 0
; ScratchSize: 0
; MemoryBound: 0
; FloatMode: 240
; IeeeMode: 1
; LDSByteSize: 0 bytes/workgroup (compile time only)
; SGPRBlocks: 0
; VGPRBlocks: 0
; NumSGPRsForWavesPerEU: 1
; NumVGPRsForWavesPerEU: 1
; Occupancy: 16
; WaveLimiterHint : 0
; COMPUTE_PGM_RSRC2:SCRATCH_EN: 0
; COMPUTE_PGM_RSRC2:USER_SGPR: 15
; COMPUTE_PGM_RSRC2:TRAP_HANDLER: 0
; COMPUTE_PGM_RSRC2:TGID_X_EN: 1
; COMPUTE_PGM_RSRC2:TGID_Y_EN: 0
; COMPUTE_PGM_RSRC2:TGID_Z_EN: 0
; COMPUTE_PGM_RSRC2:TIDIG_COMP_CNT: 0
	.section	.text._ZN7rocprim17ROCPRIM_400000_NS6detail17trampoline_kernelINS0_14default_configENS1_25partition_config_selectorILNS1_17partition_subalgoE9ExxbEEZZNS1_14partition_implILS5_9ELb0ES3_jN6thrust23THRUST_200600_302600_NS6detail15normal_iteratorINS9_10device_ptrIxEEEESE_PNS0_10empty_typeENS0_5tupleIJSE_SF_EEENSH_IJSE_SG_EEENS0_18inequality_wrapperI22is_equal_div_10_uniqueIxEEEPmJSF_EEE10hipError_tPvRmT3_T4_T5_T6_T7_T9_mT8_P12ihipStream_tbDpT10_ENKUlT_T0_E_clISt17integral_constantIbLb1EES17_IbLb0EEEEDaS13_S14_EUlS13_E_NS1_11comp_targetILNS1_3genE2ELNS1_11target_archE906ELNS1_3gpuE6ELNS1_3repE0EEENS1_30default_config_static_selectorELNS0_4arch9wavefront6targetE0EEEvT1_,"axG",@progbits,_ZN7rocprim17ROCPRIM_400000_NS6detail17trampoline_kernelINS0_14default_configENS1_25partition_config_selectorILNS1_17partition_subalgoE9ExxbEEZZNS1_14partition_implILS5_9ELb0ES3_jN6thrust23THRUST_200600_302600_NS6detail15normal_iteratorINS9_10device_ptrIxEEEESE_PNS0_10empty_typeENS0_5tupleIJSE_SF_EEENSH_IJSE_SG_EEENS0_18inequality_wrapperI22is_equal_div_10_uniqueIxEEEPmJSF_EEE10hipError_tPvRmT3_T4_T5_T6_T7_T9_mT8_P12ihipStream_tbDpT10_ENKUlT_T0_E_clISt17integral_constantIbLb1EES17_IbLb0EEEEDaS13_S14_EUlS13_E_NS1_11comp_targetILNS1_3genE2ELNS1_11target_archE906ELNS1_3gpuE6ELNS1_3repE0EEENS1_30default_config_static_selectorELNS0_4arch9wavefront6targetE0EEEvT1_,comdat
	.protected	_ZN7rocprim17ROCPRIM_400000_NS6detail17trampoline_kernelINS0_14default_configENS1_25partition_config_selectorILNS1_17partition_subalgoE9ExxbEEZZNS1_14partition_implILS5_9ELb0ES3_jN6thrust23THRUST_200600_302600_NS6detail15normal_iteratorINS9_10device_ptrIxEEEESE_PNS0_10empty_typeENS0_5tupleIJSE_SF_EEENSH_IJSE_SG_EEENS0_18inequality_wrapperI22is_equal_div_10_uniqueIxEEEPmJSF_EEE10hipError_tPvRmT3_T4_T5_T6_T7_T9_mT8_P12ihipStream_tbDpT10_ENKUlT_T0_E_clISt17integral_constantIbLb1EES17_IbLb0EEEEDaS13_S14_EUlS13_E_NS1_11comp_targetILNS1_3genE2ELNS1_11target_archE906ELNS1_3gpuE6ELNS1_3repE0EEENS1_30default_config_static_selectorELNS0_4arch9wavefront6targetE0EEEvT1_ ; -- Begin function _ZN7rocprim17ROCPRIM_400000_NS6detail17trampoline_kernelINS0_14default_configENS1_25partition_config_selectorILNS1_17partition_subalgoE9ExxbEEZZNS1_14partition_implILS5_9ELb0ES3_jN6thrust23THRUST_200600_302600_NS6detail15normal_iteratorINS9_10device_ptrIxEEEESE_PNS0_10empty_typeENS0_5tupleIJSE_SF_EEENSH_IJSE_SG_EEENS0_18inequality_wrapperI22is_equal_div_10_uniqueIxEEEPmJSF_EEE10hipError_tPvRmT3_T4_T5_T6_T7_T9_mT8_P12ihipStream_tbDpT10_ENKUlT_T0_E_clISt17integral_constantIbLb1EES17_IbLb0EEEEDaS13_S14_EUlS13_E_NS1_11comp_targetILNS1_3genE2ELNS1_11target_archE906ELNS1_3gpuE6ELNS1_3repE0EEENS1_30default_config_static_selectorELNS0_4arch9wavefront6targetE0EEEvT1_
	.globl	_ZN7rocprim17ROCPRIM_400000_NS6detail17trampoline_kernelINS0_14default_configENS1_25partition_config_selectorILNS1_17partition_subalgoE9ExxbEEZZNS1_14partition_implILS5_9ELb0ES3_jN6thrust23THRUST_200600_302600_NS6detail15normal_iteratorINS9_10device_ptrIxEEEESE_PNS0_10empty_typeENS0_5tupleIJSE_SF_EEENSH_IJSE_SG_EEENS0_18inequality_wrapperI22is_equal_div_10_uniqueIxEEEPmJSF_EEE10hipError_tPvRmT3_T4_T5_T6_T7_T9_mT8_P12ihipStream_tbDpT10_ENKUlT_T0_E_clISt17integral_constantIbLb1EES17_IbLb0EEEEDaS13_S14_EUlS13_E_NS1_11comp_targetILNS1_3genE2ELNS1_11target_archE906ELNS1_3gpuE6ELNS1_3repE0EEENS1_30default_config_static_selectorELNS0_4arch9wavefront6targetE0EEEvT1_
	.p2align	8
	.type	_ZN7rocprim17ROCPRIM_400000_NS6detail17trampoline_kernelINS0_14default_configENS1_25partition_config_selectorILNS1_17partition_subalgoE9ExxbEEZZNS1_14partition_implILS5_9ELb0ES3_jN6thrust23THRUST_200600_302600_NS6detail15normal_iteratorINS9_10device_ptrIxEEEESE_PNS0_10empty_typeENS0_5tupleIJSE_SF_EEENSH_IJSE_SG_EEENS0_18inequality_wrapperI22is_equal_div_10_uniqueIxEEEPmJSF_EEE10hipError_tPvRmT3_T4_T5_T6_T7_T9_mT8_P12ihipStream_tbDpT10_ENKUlT_T0_E_clISt17integral_constantIbLb1EES17_IbLb0EEEEDaS13_S14_EUlS13_E_NS1_11comp_targetILNS1_3genE2ELNS1_11target_archE906ELNS1_3gpuE6ELNS1_3repE0EEENS1_30default_config_static_selectorELNS0_4arch9wavefront6targetE0EEEvT1_,@function
_ZN7rocprim17ROCPRIM_400000_NS6detail17trampoline_kernelINS0_14default_configENS1_25partition_config_selectorILNS1_17partition_subalgoE9ExxbEEZZNS1_14partition_implILS5_9ELb0ES3_jN6thrust23THRUST_200600_302600_NS6detail15normal_iteratorINS9_10device_ptrIxEEEESE_PNS0_10empty_typeENS0_5tupleIJSE_SF_EEENSH_IJSE_SG_EEENS0_18inequality_wrapperI22is_equal_div_10_uniqueIxEEEPmJSF_EEE10hipError_tPvRmT3_T4_T5_T6_T7_T9_mT8_P12ihipStream_tbDpT10_ENKUlT_T0_E_clISt17integral_constantIbLb1EES17_IbLb0EEEEDaS13_S14_EUlS13_E_NS1_11comp_targetILNS1_3genE2ELNS1_11target_archE906ELNS1_3gpuE6ELNS1_3repE0EEENS1_30default_config_static_selectorELNS0_4arch9wavefront6targetE0EEEvT1_: ; @_ZN7rocprim17ROCPRIM_400000_NS6detail17trampoline_kernelINS0_14default_configENS1_25partition_config_selectorILNS1_17partition_subalgoE9ExxbEEZZNS1_14partition_implILS5_9ELb0ES3_jN6thrust23THRUST_200600_302600_NS6detail15normal_iteratorINS9_10device_ptrIxEEEESE_PNS0_10empty_typeENS0_5tupleIJSE_SF_EEENSH_IJSE_SG_EEENS0_18inequality_wrapperI22is_equal_div_10_uniqueIxEEEPmJSF_EEE10hipError_tPvRmT3_T4_T5_T6_T7_T9_mT8_P12ihipStream_tbDpT10_ENKUlT_T0_E_clISt17integral_constantIbLb1EES17_IbLb0EEEEDaS13_S14_EUlS13_E_NS1_11comp_targetILNS1_3genE2ELNS1_11target_archE906ELNS1_3gpuE6ELNS1_3repE0EEENS1_30default_config_static_selectorELNS0_4arch9wavefront6targetE0EEEvT1_
; %bb.0:
	.section	.rodata,"a",@progbits
	.p2align	6, 0x0
	.amdhsa_kernel _ZN7rocprim17ROCPRIM_400000_NS6detail17trampoline_kernelINS0_14default_configENS1_25partition_config_selectorILNS1_17partition_subalgoE9ExxbEEZZNS1_14partition_implILS5_9ELb0ES3_jN6thrust23THRUST_200600_302600_NS6detail15normal_iteratorINS9_10device_ptrIxEEEESE_PNS0_10empty_typeENS0_5tupleIJSE_SF_EEENSH_IJSE_SG_EEENS0_18inequality_wrapperI22is_equal_div_10_uniqueIxEEEPmJSF_EEE10hipError_tPvRmT3_T4_T5_T6_T7_T9_mT8_P12ihipStream_tbDpT10_ENKUlT_T0_E_clISt17integral_constantIbLb1EES17_IbLb0EEEEDaS13_S14_EUlS13_E_NS1_11comp_targetILNS1_3genE2ELNS1_11target_archE906ELNS1_3gpuE6ELNS1_3repE0EEENS1_30default_config_static_selectorELNS0_4arch9wavefront6targetE0EEEvT1_
		.amdhsa_group_segment_fixed_size 0
		.amdhsa_private_segment_fixed_size 0
		.amdhsa_kernarg_size 112
		.amdhsa_user_sgpr_count 15
		.amdhsa_user_sgpr_dispatch_ptr 0
		.amdhsa_user_sgpr_queue_ptr 0
		.amdhsa_user_sgpr_kernarg_segment_ptr 1
		.amdhsa_user_sgpr_dispatch_id 0
		.amdhsa_user_sgpr_private_segment_size 0
		.amdhsa_wavefront_size32 1
		.amdhsa_uses_dynamic_stack 0
		.amdhsa_enable_private_segment 0
		.amdhsa_system_sgpr_workgroup_id_x 1
		.amdhsa_system_sgpr_workgroup_id_y 0
		.amdhsa_system_sgpr_workgroup_id_z 0
		.amdhsa_system_sgpr_workgroup_info 0
		.amdhsa_system_vgpr_workitem_id 0
		.amdhsa_next_free_vgpr 1
		.amdhsa_next_free_sgpr 1
		.amdhsa_reserve_vcc 0
		.amdhsa_float_round_mode_32 0
		.amdhsa_float_round_mode_16_64 0
		.amdhsa_float_denorm_mode_32 3
		.amdhsa_float_denorm_mode_16_64 3
		.amdhsa_dx10_clamp 1
		.amdhsa_ieee_mode 1
		.amdhsa_fp16_overflow 0
		.amdhsa_workgroup_processor_mode 1
		.amdhsa_memory_ordered 1
		.amdhsa_forward_progress 0
		.amdhsa_shared_vgpr_count 0
		.amdhsa_exception_fp_ieee_invalid_op 0
		.amdhsa_exception_fp_denorm_src 0
		.amdhsa_exception_fp_ieee_div_zero 0
		.amdhsa_exception_fp_ieee_overflow 0
		.amdhsa_exception_fp_ieee_underflow 0
		.amdhsa_exception_fp_ieee_inexact 0
		.amdhsa_exception_int_div_zero 0
	.end_amdhsa_kernel
	.section	.text._ZN7rocprim17ROCPRIM_400000_NS6detail17trampoline_kernelINS0_14default_configENS1_25partition_config_selectorILNS1_17partition_subalgoE9ExxbEEZZNS1_14partition_implILS5_9ELb0ES3_jN6thrust23THRUST_200600_302600_NS6detail15normal_iteratorINS9_10device_ptrIxEEEESE_PNS0_10empty_typeENS0_5tupleIJSE_SF_EEENSH_IJSE_SG_EEENS0_18inequality_wrapperI22is_equal_div_10_uniqueIxEEEPmJSF_EEE10hipError_tPvRmT3_T4_T5_T6_T7_T9_mT8_P12ihipStream_tbDpT10_ENKUlT_T0_E_clISt17integral_constantIbLb1EES17_IbLb0EEEEDaS13_S14_EUlS13_E_NS1_11comp_targetILNS1_3genE2ELNS1_11target_archE906ELNS1_3gpuE6ELNS1_3repE0EEENS1_30default_config_static_selectorELNS0_4arch9wavefront6targetE0EEEvT1_,"axG",@progbits,_ZN7rocprim17ROCPRIM_400000_NS6detail17trampoline_kernelINS0_14default_configENS1_25partition_config_selectorILNS1_17partition_subalgoE9ExxbEEZZNS1_14partition_implILS5_9ELb0ES3_jN6thrust23THRUST_200600_302600_NS6detail15normal_iteratorINS9_10device_ptrIxEEEESE_PNS0_10empty_typeENS0_5tupleIJSE_SF_EEENSH_IJSE_SG_EEENS0_18inequality_wrapperI22is_equal_div_10_uniqueIxEEEPmJSF_EEE10hipError_tPvRmT3_T4_T5_T6_T7_T9_mT8_P12ihipStream_tbDpT10_ENKUlT_T0_E_clISt17integral_constantIbLb1EES17_IbLb0EEEEDaS13_S14_EUlS13_E_NS1_11comp_targetILNS1_3genE2ELNS1_11target_archE906ELNS1_3gpuE6ELNS1_3repE0EEENS1_30default_config_static_selectorELNS0_4arch9wavefront6targetE0EEEvT1_,comdat
.Lfunc_end392:
	.size	_ZN7rocprim17ROCPRIM_400000_NS6detail17trampoline_kernelINS0_14default_configENS1_25partition_config_selectorILNS1_17partition_subalgoE9ExxbEEZZNS1_14partition_implILS5_9ELb0ES3_jN6thrust23THRUST_200600_302600_NS6detail15normal_iteratorINS9_10device_ptrIxEEEESE_PNS0_10empty_typeENS0_5tupleIJSE_SF_EEENSH_IJSE_SG_EEENS0_18inequality_wrapperI22is_equal_div_10_uniqueIxEEEPmJSF_EEE10hipError_tPvRmT3_T4_T5_T6_T7_T9_mT8_P12ihipStream_tbDpT10_ENKUlT_T0_E_clISt17integral_constantIbLb1EES17_IbLb0EEEEDaS13_S14_EUlS13_E_NS1_11comp_targetILNS1_3genE2ELNS1_11target_archE906ELNS1_3gpuE6ELNS1_3repE0EEENS1_30default_config_static_selectorELNS0_4arch9wavefront6targetE0EEEvT1_, .Lfunc_end392-_ZN7rocprim17ROCPRIM_400000_NS6detail17trampoline_kernelINS0_14default_configENS1_25partition_config_selectorILNS1_17partition_subalgoE9ExxbEEZZNS1_14partition_implILS5_9ELb0ES3_jN6thrust23THRUST_200600_302600_NS6detail15normal_iteratorINS9_10device_ptrIxEEEESE_PNS0_10empty_typeENS0_5tupleIJSE_SF_EEENSH_IJSE_SG_EEENS0_18inequality_wrapperI22is_equal_div_10_uniqueIxEEEPmJSF_EEE10hipError_tPvRmT3_T4_T5_T6_T7_T9_mT8_P12ihipStream_tbDpT10_ENKUlT_T0_E_clISt17integral_constantIbLb1EES17_IbLb0EEEEDaS13_S14_EUlS13_E_NS1_11comp_targetILNS1_3genE2ELNS1_11target_archE906ELNS1_3gpuE6ELNS1_3repE0EEENS1_30default_config_static_selectorELNS0_4arch9wavefront6targetE0EEEvT1_
                                        ; -- End function
	.section	.AMDGPU.csdata,"",@progbits
; Kernel info:
; codeLenInByte = 0
; NumSgprs: 0
; NumVgprs: 0
; ScratchSize: 0
; MemoryBound: 0
; FloatMode: 240
; IeeeMode: 1
; LDSByteSize: 0 bytes/workgroup (compile time only)
; SGPRBlocks: 0
; VGPRBlocks: 0
; NumSGPRsForWavesPerEU: 1
; NumVGPRsForWavesPerEU: 1
; Occupancy: 15
; WaveLimiterHint : 0
; COMPUTE_PGM_RSRC2:SCRATCH_EN: 0
; COMPUTE_PGM_RSRC2:USER_SGPR: 15
; COMPUTE_PGM_RSRC2:TRAP_HANDLER: 0
; COMPUTE_PGM_RSRC2:TGID_X_EN: 1
; COMPUTE_PGM_RSRC2:TGID_Y_EN: 0
; COMPUTE_PGM_RSRC2:TGID_Z_EN: 0
; COMPUTE_PGM_RSRC2:TIDIG_COMP_CNT: 0
	.section	.text._ZN7rocprim17ROCPRIM_400000_NS6detail17trampoline_kernelINS0_14default_configENS1_25partition_config_selectorILNS1_17partition_subalgoE9ExxbEEZZNS1_14partition_implILS5_9ELb0ES3_jN6thrust23THRUST_200600_302600_NS6detail15normal_iteratorINS9_10device_ptrIxEEEESE_PNS0_10empty_typeENS0_5tupleIJSE_SF_EEENSH_IJSE_SG_EEENS0_18inequality_wrapperI22is_equal_div_10_uniqueIxEEEPmJSF_EEE10hipError_tPvRmT3_T4_T5_T6_T7_T9_mT8_P12ihipStream_tbDpT10_ENKUlT_T0_E_clISt17integral_constantIbLb1EES17_IbLb0EEEEDaS13_S14_EUlS13_E_NS1_11comp_targetILNS1_3genE10ELNS1_11target_archE1200ELNS1_3gpuE4ELNS1_3repE0EEENS1_30default_config_static_selectorELNS0_4arch9wavefront6targetE0EEEvT1_,"axG",@progbits,_ZN7rocprim17ROCPRIM_400000_NS6detail17trampoline_kernelINS0_14default_configENS1_25partition_config_selectorILNS1_17partition_subalgoE9ExxbEEZZNS1_14partition_implILS5_9ELb0ES3_jN6thrust23THRUST_200600_302600_NS6detail15normal_iteratorINS9_10device_ptrIxEEEESE_PNS0_10empty_typeENS0_5tupleIJSE_SF_EEENSH_IJSE_SG_EEENS0_18inequality_wrapperI22is_equal_div_10_uniqueIxEEEPmJSF_EEE10hipError_tPvRmT3_T4_T5_T6_T7_T9_mT8_P12ihipStream_tbDpT10_ENKUlT_T0_E_clISt17integral_constantIbLb1EES17_IbLb0EEEEDaS13_S14_EUlS13_E_NS1_11comp_targetILNS1_3genE10ELNS1_11target_archE1200ELNS1_3gpuE4ELNS1_3repE0EEENS1_30default_config_static_selectorELNS0_4arch9wavefront6targetE0EEEvT1_,comdat
	.protected	_ZN7rocprim17ROCPRIM_400000_NS6detail17trampoline_kernelINS0_14default_configENS1_25partition_config_selectorILNS1_17partition_subalgoE9ExxbEEZZNS1_14partition_implILS5_9ELb0ES3_jN6thrust23THRUST_200600_302600_NS6detail15normal_iteratorINS9_10device_ptrIxEEEESE_PNS0_10empty_typeENS0_5tupleIJSE_SF_EEENSH_IJSE_SG_EEENS0_18inequality_wrapperI22is_equal_div_10_uniqueIxEEEPmJSF_EEE10hipError_tPvRmT3_T4_T5_T6_T7_T9_mT8_P12ihipStream_tbDpT10_ENKUlT_T0_E_clISt17integral_constantIbLb1EES17_IbLb0EEEEDaS13_S14_EUlS13_E_NS1_11comp_targetILNS1_3genE10ELNS1_11target_archE1200ELNS1_3gpuE4ELNS1_3repE0EEENS1_30default_config_static_selectorELNS0_4arch9wavefront6targetE0EEEvT1_ ; -- Begin function _ZN7rocprim17ROCPRIM_400000_NS6detail17trampoline_kernelINS0_14default_configENS1_25partition_config_selectorILNS1_17partition_subalgoE9ExxbEEZZNS1_14partition_implILS5_9ELb0ES3_jN6thrust23THRUST_200600_302600_NS6detail15normal_iteratorINS9_10device_ptrIxEEEESE_PNS0_10empty_typeENS0_5tupleIJSE_SF_EEENSH_IJSE_SG_EEENS0_18inequality_wrapperI22is_equal_div_10_uniqueIxEEEPmJSF_EEE10hipError_tPvRmT3_T4_T5_T6_T7_T9_mT8_P12ihipStream_tbDpT10_ENKUlT_T0_E_clISt17integral_constantIbLb1EES17_IbLb0EEEEDaS13_S14_EUlS13_E_NS1_11comp_targetILNS1_3genE10ELNS1_11target_archE1200ELNS1_3gpuE4ELNS1_3repE0EEENS1_30default_config_static_selectorELNS0_4arch9wavefront6targetE0EEEvT1_
	.globl	_ZN7rocprim17ROCPRIM_400000_NS6detail17trampoline_kernelINS0_14default_configENS1_25partition_config_selectorILNS1_17partition_subalgoE9ExxbEEZZNS1_14partition_implILS5_9ELb0ES3_jN6thrust23THRUST_200600_302600_NS6detail15normal_iteratorINS9_10device_ptrIxEEEESE_PNS0_10empty_typeENS0_5tupleIJSE_SF_EEENSH_IJSE_SG_EEENS0_18inequality_wrapperI22is_equal_div_10_uniqueIxEEEPmJSF_EEE10hipError_tPvRmT3_T4_T5_T6_T7_T9_mT8_P12ihipStream_tbDpT10_ENKUlT_T0_E_clISt17integral_constantIbLb1EES17_IbLb0EEEEDaS13_S14_EUlS13_E_NS1_11comp_targetILNS1_3genE10ELNS1_11target_archE1200ELNS1_3gpuE4ELNS1_3repE0EEENS1_30default_config_static_selectorELNS0_4arch9wavefront6targetE0EEEvT1_
	.p2align	8
	.type	_ZN7rocprim17ROCPRIM_400000_NS6detail17trampoline_kernelINS0_14default_configENS1_25partition_config_selectorILNS1_17partition_subalgoE9ExxbEEZZNS1_14partition_implILS5_9ELb0ES3_jN6thrust23THRUST_200600_302600_NS6detail15normal_iteratorINS9_10device_ptrIxEEEESE_PNS0_10empty_typeENS0_5tupleIJSE_SF_EEENSH_IJSE_SG_EEENS0_18inequality_wrapperI22is_equal_div_10_uniqueIxEEEPmJSF_EEE10hipError_tPvRmT3_T4_T5_T6_T7_T9_mT8_P12ihipStream_tbDpT10_ENKUlT_T0_E_clISt17integral_constantIbLb1EES17_IbLb0EEEEDaS13_S14_EUlS13_E_NS1_11comp_targetILNS1_3genE10ELNS1_11target_archE1200ELNS1_3gpuE4ELNS1_3repE0EEENS1_30default_config_static_selectorELNS0_4arch9wavefront6targetE0EEEvT1_,@function
_ZN7rocprim17ROCPRIM_400000_NS6detail17trampoline_kernelINS0_14default_configENS1_25partition_config_selectorILNS1_17partition_subalgoE9ExxbEEZZNS1_14partition_implILS5_9ELb0ES3_jN6thrust23THRUST_200600_302600_NS6detail15normal_iteratorINS9_10device_ptrIxEEEESE_PNS0_10empty_typeENS0_5tupleIJSE_SF_EEENSH_IJSE_SG_EEENS0_18inequality_wrapperI22is_equal_div_10_uniqueIxEEEPmJSF_EEE10hipError_tPvRmT3_T4_T5_T6_T7_T9_mT8_P12ihipStream_tbDpT10_ENKUlT_T0_E_clISt17integral_constantIbLb1EES17_IbLb0EEEEDaS13_S14_EUlS13_E_NS1_11comp_targetILNS1_3genE10ELNS1_11target_archE1200ELNS1_3gpuE4ELNS1_3repE0EEENS1_30default_config_static_selectorELNS0_4arch9wavefront6targetE0EEEvT1_: ; @_ZN7rocprim17ROCPRIM_400000_NS6detail17trampoline_kernelINS0_14default_configENS1_25partition_config_selectorILNS1_17partition_subalgoE9ExxbEEZZNS1_14partition_implILS5_9ELb0ES3_jN6thrust23THRUST_200600_302600_NS6detail15normal_iteratorINS9_10device_ptrIxEEEESE_PNS0_10empty_typeENS0_5tupleIJSE_SF_EEENSH_IJSE_SG_EEENS0_18inequality_wrapperI22is_equal_div_10_uniqueIxEEEPmJSF_EEE10hipError_tPvRmT3_T4_T5_T6_T7_T9_mT8_P12ihipStream_tbDpT10_ENKUlT_T0_E_clISt17integral_constantIbLb1EES17_IbLb0EEEEDaS13_S14_EUlS13_E_NS1_11comp_targetILNS1_3genE10ELNS1_11target_archE1200ELNS1_3gpuE4ELNS1_3repE0EEENS1_30default_config_static_selectorELNS0_4arch9wavefront6targetE0EEEvT1_
; %bb.0:
	.section	.rodata,"a",@progbits
	.p2align	6, 0x0
	.amdhsa_kernel _ZN7rocprim17ROCPRIM_400000_NS6detail17trampoline_kernelINS0_14default_configENS1_25partition_config_selectorILNS1_17partition_subalgoE9ExxbEEZZNS1_14partition_implILS5_9ELb0ES3_jN6thrust23THRUST_200600_302600_NS6detail15normal_iteratorINS9_10device_ptrIxEEEESE_PNS0_10empty_typeENS0_5tupleIJSE_SF_EEENSH_IJSE_SG_EEENS0_18inequality_wrapperI22is_equal_div_10_uniqueIxEEEPmJSF_EEE10hipError_tPvRmT3_T4_T5_T6_T7_T9_mT8_P12ihipStream_tbDpT10_ENKUlT_T0_E_clISt17integral_constantIbLb1EES17_IbLb0EEEEDaS13_S14_EUlS13_E_NS1_11comp_targetILNS1_3genE10ELNS1_11target_archE1200ELNS1_3gpuE4ELNS1_3repE0EEENS1_30default_config_static_selectorELNS0_4arch9wavefront6targetE0EEEvT1_
		.amdhsa_group_segment_fixed_size 0
		.amdhsa_private_segment_fixed_size 0
		.amdhsa_kernarg_size 112
		.amdhsa_user_sgpr_count 15
		.amdhsa_user_sgpr_dispatch_ptr 0
		.amdhsa_user_sgpr_queue_ptr 0
		.amdhsa_user_sgpr_kernarg_segment_ptr 1
		.amdhsa_user_sgpr_dispatch_id 0
		.amdhsa_user_sgpr_private_segment_size 0
		.amdhsa_wavefront_size32 1
		.amdhsa_uses_dynamic_stack 0
		.amdhsa_enable_private_segment 0
		.amdhsa_system_sgpr_workgroup_id_x 1
		.amdhsa_system_sgpr_workgroup_id_y 0
		.amdhsa_system_sgpr_workgroup_id_z 0
		.amdhsa_system_sgpr_workgroup_info 0
		.amdhsa_system_vgpr_workitem_id 0
		.amdhsa_next_free_vgpr 1
		.amdhsa_next_free_sgpr 1
		.amdhsa_reserve_vcc 0
		.amdhsa_float_round_mode_32 0
		.amdhsa_float_round_mode_16_64 0
		.amdhsa_float_denorm_mode_32 3
		.amdhsa_float_denorm_mode_16_64 3
		.amdhsa_dx10_clamp 1
		.amdhsa_ieee_mode 1
		.amdhsa_fp16_overflow 0
		.amdhsa_workgroup_processor_mode 1
		.amdhsa_memory_ordered 1
		.amdhsa_forward_progress 0
		.amdhsa_shared_vgpr_count 0
		.amdhsa_exception_fp_ieee_invalid_op 0
		.amdhsa_exception_fp_denorm_src 0
		.amdhsa_exception_fp_ieee_div_zero 0
		.amdhsa_exception_fp_ieee_overflow 0
		.amdhsa_exception_fp_ieee_underflow 0
		.amdhsa_exception_fp_ieee_inexact 0
		.amdhsa_exception_int_div_zero 0
	.end_amdhsa_kernel
	.section	.text._ZN7rocprim17ROCPRIM_400000_NS6detail17trampoline_kernelINS0_14default_configENS1_25partition_config_selectorILNS1_17partition_subalgoE9ExxbEEZZNS1_14partition_implILS5_9ELb0ES3_jN6thrust23THRUST_200600_302600_NS6detail15normal_iteratorINS9_10device_ptrIxEEEESE_PNS0_10empty_typeENS0_5tupleIJSE_SF_EEENSH_IJSE_SG_EEENS0_18inequality_wrapperI22is_equal_div_10_uniqueIxEEEPmJSF_EEE10hipError_tPvRmT3_T4_T5_T6_T7_T9_mT8_P12ihipStream_tbDpT10_ENKUlT_T0_E_clISt17integral_constantIbLb1EES17_IbLb0EEEEDaS13_S14_EUlS13_E_NS1_11comp_targetILNS1_3genE10ELNS1_11target_archE1200ELNS1_3gpuE4ELNS1_3repE0EEENS1_30default_config_static_selectorELNS0_4arch9wavefront6targetE0EEEvT1_,"axG",@progbits,_ZN7rocprim17ROCPRIM_400000_NS6detail17trampoline_kernelINS0_14default_configENS1_25partition_config_selectorILNS1_17partition_subalgoE9ExxbEEZZNS1_14partition_implILS5_9ELb0ES3_jN6thrust23THRUST_200600_302600_NS6detail15normal_iteratorINS9_10device_ptrIxEEEESE_PNS0_10empty_typeENS0_5tupleIJSE_SF_EEENSH_IJSE_SG_EEENS0_18inequality_wrapperI22is_equal_div_10_uniqueIxEEEPmJSF_EEE10hipError_tPvRmT3_T4_T5_T6_T7_T9_mT8_P12ihipStream_tbDpT10_ENKUlT_T0_E_clISt17integral_constantIbLb1EES17_IbLb0EEEEDaS13_S14_EUlS13_E_NS1_11comp_targetILNS1_3genE10ELNS1_11target_archE1200ELNS1_3gpuE4ELNS1_3repE0EEENS1_30default_config_static_selectorELNS0_4arch9wavefront6targetE0EEEvT1_,comdat
.Lfunc_end393:
	.size	_ZN7rocprim17ROCPRIM_400000_NS6detail17trampoline_kernelINS0_14default_configENS1_25partition_config_selectorILNS1_17partition_subalgoE9ExxbEEZZNS1_14partition_implILS5_9ELb0ES3_jN6thrust23THRUST_200600_302600_NS6detail15normal_iteratorINS9_10device_ptrIxEEEESE_PNS0_10empty_typeENS0_5tupleIJSE_SF_EEENSH_IJSE_SG_EEENS0_18inequality_wrapperI22is_equal_div_10_uniqueIxEEEPmJSF_EEE10hipError_tPvRmT3_T4_T5_T6_T7_T9_mT8_P12ihipStream_tbDpT10_ENKUlT_T0_E_clISt17integral_constantIbLb1EES17_IbLb0EEEEDaS13_S14_EUlS13_E_NS1_11comp_targetILNS1_3genE10ELNS1_11target_archE1200ELNS1_3gpuE4ELNS1_3repE0EEENS1_30default_config_static_selectorELNS0_4arch9wavefront6targetE0EEEvT1_, .Lfunc_end393-_ZN7rocprim17ROCPRIM_400000_NS6detail17trampoline_kernelINS0_14default_configENS1_25partition_config_selectorILNS1_17partition_subalgoE9ExxbEEZZNS1_14partition_implILS5_9ELb0ES3_jN6thrust23THRUST_200600_302600_NS6detail15normal_iteratorINS9_10device_ptrIxEEEESE_PNS0_10empty_typeENS0_5tupleIJSE_SF_EEENSH_IJSE_SG_EEENS0_18inequality_wrapperI22is_equal_div_10_uniqueIxEEEPmJSF_EEE10hipError_tPvRmT3_T4_T5_T6_T7_T9_mT8_P12ihipStream_tbDpT10_ENKUlT_T0_E_clISt17integral_constantIbLb1EES17_IbLb0EEEEDaS13_S14_EUlS13_E_NS1_11comp_targetILNS1_3genE10ELNS1_11target_archE1200ELNS1_3gpuE4ELNS1_3repE0EEENS1_30default_config_static_selectorELNS0_4arch9wavefront6targetE0EEEvT1_
                                        ; -- End function
	.section	.AMDGPU.csdata,"",@progbits
; Kernel info:
; codeLenInByte = 0
; NumSgprs: 0
; NumVgprs: 0
; ScratchSize: 0
; MemoryBound: 0
; FloatMode: 240
; IeeeMode: 1
; LDSByteSize: 0 bytes/workgroup (compile time only)
; SGPRBlocks: 0
; VGPRBlocks: 0
; NumSGPRsForWavesPerEU: 1
; NumVGPRsForWavesPerEU: 1
; Occupancy: 15
; WaveLimiterHint : 0
; COMPUTE_PGM_RSRC2:SCRATCH_EN: 0
; COMPUTE_PGM_RSRC2:USER_SGPR: 15
; COMPUTE_PGM_RSRC2:TRAP_HANDLER: 0
; COMPUTE_PGM_RSRC2:TGID_X_EN: 1
; COMPUTE_PGM_RSRC2:TGID_Y_EN: 0
; COMPUTE_PGM_RSRC2:TGID_Z_EN: 0
; COMPUTE_PGM_RSRC2:TIDIG_COMP_CNT: 0
	.section	.text._ZN7rocprim17ROCPRIM_400000_NS6detail17trampoline_kernelINS0_14default_configENS1_25partition_config_selectorILNS1_17partition_subalgoE9ExxbEEZZNS1_14partition_implILS5_9ELb0ES3_jN6thrust23THRUST_200600_302600_NS6detail15normal_iteratorINS9_10device_ptrIxEEEESE_PNS0_10empty_typeENS0_5tupleIJSE_SF_EEENSH_IJSE_SG_EEENS0_18inequality_wrapperI22is_equal_div_10_uniqueIxEEEPmJSF_EEE10hipError_tPvRmT3_T4_T5_T6_T7_T9_mT8_P12ihipStream_tbDpT10_ENKUlT_T0_E_clISt17integral_constantIbLb1EES17_IbLb0EEEEDaS13_S14_EUlS13_E_NS1_11comp_targetILNS1_3genE9ELNS1_11target_archE1100ELNS1_3gpuE3ELNS1_3repE0EEENS1_30default_config_static_selectorELNS0_4arch9wavefront6targetE0EEEvT1_,"axG",@progbits,_ZN7rocprim17ROCPRIM_400000_NS6detail17trampoline_kernelINS0_14default_configENS1_25partition_config_selectorILNS1_17partition_subalgoE9ExxbEEZZNS1_14partition_implILS5_9ELb0ES3_jN6thrust23THRUST_200600_302600_NS6detail15normal_iteratorINS9_10device_ptrIxEEEESE_PNS0_10empty_typeENS0_5tupleIJSE_SF_EEENSH_IJSE_SG_EEENS0_18inequality_wrapperI22is_equal_div_10_uniqueIxEEEPmJSF_EEE10hipError_tPvRmT3_T4_T5_T6_T7_T9_mT8_P12ihipStream_tbDpT10_ENKUlT_T0_E_clISt17integral_constantIbLb1EES17_IbLb0EEEEDaS13_S14_EUlS13_E_NS1_11comp_targetILNS1_3genE9ELNS1_11target_archE1100ELNS1_3gpuE3ELNS1_3repE0EEENS1_30default_config_static_selectorELNS0_4arch9wavefront6targetE0EEEvT1_,comdat
	.protected	_ZN7rocprim17ROCPRIM_400000_NS6detail17trampoline_kernelINS0_14default_configENS1_25partition_config_selectorILNS1_17partition_subalgoE9ExxbEEZZNS1_14partition_implILS5_9ELb0ES3_jN6thrust23THRUST_200600_302600_NS6detail15normal_iteratorINS9_10device_ptrIxEEEESE_PNS0_10empty_typeENS0_5tupleIJSE_SF_EEENSH_IJSE_SG_EEENS0_18inequality_wrapperI22is_equal_div_10_uniqueIxEEEPmJSF_EEE10hipError_tPvRmT3_T4_T5_T6_T7_T9_mT8_P12ihipStream_tbDpT10_ENKUlT_T0_E_clISt17integral_constantIbLb1EES17_IbLb0EEEEDaS13_S14_EUlS13_E_NS1_11comp_targetILNS1_3genE9ELNS1_11target_archE1100ELNS1_3gpuE3ELNS1_3repE0EEENS1_30default_config_static_selectorELNS0_4arch9wavefront6targetE0EEEvT1_ ; -- Begin function _ZN7rocprim17ROCPRIM_400000_NS6detail17trampoline_kernelINS0_14default_configENS1_25partition_config_selectorILNS1_17partition_subalgoE9ExxbEEZZNS1_14partition_implILS5_9ELb0ES3_jN6thrust23THRUST_200600_302600_NS6detail15normal_iteratorINS9_10device_ptrIxEEEESE_PNS0_10empty_typeENS0_5tupleIJSE_SF_EEENSH_IJSE_SG_EEENS0_18inequality_wrapperI22is_equal_div_10_uniqueIxEEEPmJSF_EEE10hipError_tPvRmT3_T4_T5_T6_T7_T9_mT8_P12ihipStream_tbDpT10_ENKUlT_T0_E_clISt17integral_constantIbLb1EES17_IbLb0EEEEDaS13_S14_EUlS13_E_NS1_11comp_targetILNS1_3genE9ELNS1_11target_archE1100ELNS1_3gpuE3ELNS1_3repE0EEENS1_30default_config_static_selectorELNS0_4arch9wavefront6targetE0EEEvT1_
	.globl	_ZN7rocprim17ROCPRIM_400000_NS6detail17trampoline_kernelINS0_14default_configENS1_25partition_config_selectorILNS1_17partition_subalgoE9ExxbEEZZNS1_14partition_implILS5_9ELb0ES3_jN6thrust23THRUST_200600_302600_NS6detail15normal_iteratorINS9_10device_ptrIxEEEESE_PNS0_10empty_typeENS0_5tupleIJSE_SF_EEENSH_IJSE_SG_EEENS0_18inequality_wrapperI22is_equal_div_10_uniqueIxEEEPmJSF_EEE10hipError_tPvRmT3_T4_T5_T6_T7_T9_mT8_P12ihipStream_tbDpT10_ENKUlT_T0_E_clISt17integral_constantIbLb1EES17_IbLb0EEEEDaS13_S14_EUlS13_E_NS1_11comp_targetILNS1_3genE9ELNS1_11target_archE1100ELNS1_3gpuE3ELNS1_3repE0EEENS1_30default_config_static_selectorELNS0_4arch9wavefront6targetE0EEEvT1_
	.p2align	8
	.type	_ZN7rocprim17ROCPRIM_400000_NS6detail17trampoline_kernelINS0_14default_configENS1_25partition_config_selectorILNS1_17partition_subalgoE9ExxbEEZZNS1_14partition_implILS5_9ELb0ES3_jN6thrust23THRUST_200600_302600_NS6detail15normal_iteratorINS9_10device_ptrIxEEEESE_PNS0_10empty_typeENS0_5tupleIJSE_SF_EEENSH_IJSE_SG_EEENS0_18inequality_wrapperI22is_equal_div_10_uniqueIxEEEPmJSF_EEE10hipError_tPvRmT3_T4_T5_T6_T7_T9_mT8_P12ihipStream_tbDpT10_ENKUlT_T0_E_clISt17integral_constantIbLb1EES17_IbLb0EEEEDaS13_S14_EUlS13_E_NS1_11comp_targetILNS1_3genE9ELNS1_11target_archE1100ELNS1_3gpuE3ELNS1_3repE0EEENS1_30default_config_static_selectorELNS0_4arch9wavefront6targetE0EEEvT1_,@function
_ZN7rocprim17ROCPRIM_400000_NS6detail17trampoline_kernelINS0_14default_configENS1_25partition_config_selectorILNS1_17partition_subalgoE9ExxbEEZZNS1_14partition_implILS5_9ELb0ES3_jN6thrust23THRUST_200600_302600_NS6detail15normal_iteratorINS9_10device_ptrIxEEEESE_PNS0_10empty_typeENS0_5tupleIJSE_SF_EEENSH_IJSE_SG_EEENS0_18inequality_wrapperI22is_equal_div_10_uniqueIxEEEPmJSF_EEE10hipError_tPvRmT3_T4_T5_T6_T7_T9_mT8_P12ihipStream_tbDpT10_ENKUlT_T0_E_clISt17integral_constantIbLb1EES17_IbLb0EEEEDaS13_S14_EUlS13_E_NS1_11comp_targetILNS1_3genE9ELNS1_11target_archE1100ELNS1_3gpuE3ELNS1_3repE0EEENS1_30default_config_static_selectorELNS0_4arch9wavefront6targetE0EEEvT1_: ; @_ZN7rocprim17ROCPRIM_400000_NS6detail17trampoline_kernelINS0_14default_configENS1_25partition_config_selectorILNS1_17partition_subalgoE9ExxbEEZZNS1_14partition_implILS5_9ELb0ES3_jN6thrust23THRUST_200600_302600_NS6detail15normal_iteratorINS9_10device_ptrIxEEEESE_PNS0_10empty_typeENS0_5tupleIJSE_SF_EEENSH_IJSE_SG_EEENS0_18inequality_wrapperI22is_equal_div_10_uniqueIxEEEPmJSF_EEE10hipError_tPvRmT3_T4_T5_T6_T7_T9_mT8_P12ihipStream_tbDpT10_ENKUlT_T0_E_clISt17integral_constantIbLb1EES17_IbLb0EEEEDaS13_S14_EUlS13_E_NS1_11comp_targetILNS1_3genE9ELNS1_11target_archE1100ELNS1_3gpuE3ELNS1_3repE0EEENS1_30default_config_static_selectorELNS0_4arch9wavefront6targetE0EEEvT1_
; %bb.0:
	s_clause 0x4
	s_load_b128 s[4:7], s[0:1], 0x8
	s_load_b32 s14, s[0:1], 0x68
	s_load_b128 s[16:19], s[0:1], 0x40
	s_load_b64 s[2:3], s[0:1], 0x50
	s_load_b64 s[8:9], s[0:1], 0x18
	s_mov_b32 s21, 0
	v_lshlrev_b32_e32 v55, 3, v0
	v_lshrrev_b32_e32 v33, 2, v0
	v_or_b32_e32 v38, 0x200, v0
	v_or_b32_e32 v36, 0x400, v0
	v_or_b32_e32 v40, 0x600, v0
	v_or_b32_e32 v39, 0x800, v0
	v_or_b32_e32 v37, 0xa00, v0
	v_or_b32_e32 v34, 0xc00, v0
	v_or_b32_e32 v35, 0xe00, v0
	s_waitcnt lgkmcnt(0)
	s_lshl_b64 s[12:13], s[6:7], 3
	s_delay_alu instid0(SALU_CYCLE_1)
	s_add_u32 s22, s4, s12
	s_addc_u32 s23, s5, s13
	s_add_i32 s24, s14, -1
	s_load_b64 s[10:11], s[18:19], 0x0
	s_lshl_b32 s4, s24, 12
	s_lshl_b32 s5, s14, 12
	s_add_i32 s4, s6, s4
	s_lshl_b32 s20, s15, 12
	s_sub_i32 s19, s2, s4
	s_add_u32 s4, s6, s5
	s_addc_u32 s5, s7, 0
	s_cmp_eq_u32 s15, s24
	v_cmp_ge_u64_e64 s2, s[4:5], s[2:3]
	s_cselect_b32 s14, -1, 0
	s_lshl_b64 s[4:5], s[20:21], 3
	s_delay_alu instid0(VALU_DEP_1) | instskip(NEXT) | instid1(SALU_CYCLE_1)
	s_and_b32 s3, s14, s2
	s_xor_b32 s18, s3, -1
	s_add_u32 s21, s22, s4
	s_addc_u32 s20, s23, s5
	s_and_b32 vcc_lo, exec_lo, s18
	s_mov_b32 s22, -1
	s_cbranch_vccz .LBB394_2
; %bb.1:
	v_add_co_u32 v1, s2, s21, v55
	s_delay_alu instid0(VALU_DEP_1) | instskip(SKIP_1) | instid1(VALU_DEP_3)
	v_add_co_ci_u32_e64 v2, null, s20, 0, s2
	v_lshrrev_b32_e32 v18, 2, v38
	v_add_co_u32 v3, vcc_lo, 0x1000, v1
	s_delay_alu instid0(VALU_DEP_3)
	v_add_co_ci_u32_e32 v4, vcc_lo, 0, v2, vcc_lo
	v_add_co_u32 v5, vcc_lo, 0x2000, v1
	v_add_co_ci_u32_e32 v6, vcc_lo, 0, v2, vcc_lo
	v_add_co_u32 v7, vcc_lo, 0x3000, v1
	;; [unrolled: 2-line block ×6, first 2 shown]
	v_add_co_ci_u32_e32 v16, vcc_lo, 0, v2, vcc_lo
	s_clause 0x7
	flat_load_b64 v[1:2], v[1:2]
	flat_load_b64 v[3:4], v[3:4]
	;; [unrolled: 1-line block ×8, first 2 shown]
	v_lshrrev_b32_e32 v19, 2, v36
	v_lshrrev_b32_e32 v20, 2, v40
	;; [unrolled: 1-line block ×3, first 2 shown]
	v_and_b32_e32 v17, 0x78, v33
	v_lshrrev_b32_e32 v22, 2, v37
	v_lshrrev_b32_e32 v23, 2, v34
	;; [unrolled: 1-line block ×3, first 2 shown]
	v_and_b32_e32 v18, 0xf8, v18
	v_and_b32_e32 v19, 0x178, v19
	;; [unrolled: 1-line block ×4, first 2 shown]
	v_add_nc_u32_e32 v17, v17, v55
	v_and_b32_e32 v22, 0x2f8, v22
	v_and_b32_e32 v23, 0x378, v23
	;; [unrolled: 1-line block ×3, first 2 shown]
	v_add_nc_u32_e32 v18, v18, v55
	v_add_nc_u32_e32 v19, v19, v55
	;; [unrolled: 1-line block ×4, first 2 shown]
	s_mov_b32 s22, 0
	v_add_nc_u32_e32 v22, v22, v55
	v_add_nc_u32_e32 v23, v23, v55
	;; [unrolled: 1-line block ×3, first 2 shown]
	s_waitcnt vmcnt(7) lgkmcnt(0)
	ds_store_b64 v17, v[1:2]
	s_waitcnt vmcnt(6)
	ds_store_b64 v18, v[3:4] offset:4096
	s_waitcnt vmcnt(5)
	ds_store_b64 v19, v[5:6] offset:8192
	;; [unrolled: 2-line block ×7, first 2 shown]
	s_waitcnt lgkmcnt(0)
	s_barrier
.LBB394_2:
	v_cmp_gt_u32_e64 s2, s19, v0
	s_and_not1_b32 vcc_lo, exec_lo, s22
	s_cbranch_vccnz .LBB394_20
; %bb.3:
                                        ; implicit-def: $vgpr1_vgpr2_vgpr3_vgpr4_vgpr5_vgpr6_vgpr7_vgpr8_vgpr9_vgpr10_vgpr11_vgpr12_vgpr13_vgpr14_vgpr15_vgpr16
	s_delay_alu instid0(VALU_DEP_1)
	s_and_saveexec_b32 s22, s2
	s_cbranch_execz .LBB394_11
; %bb.4:
	v_add_co_u32 v1, s2, s21, v55
	s_delay_alu instid0(VALU_DEP_1) | instskip(SKIP_2) | instid1(SALU_CYCLE_1)
	v_add_co_ci_u32_e64 v2, null, s20, 0, s2
	flat_load_b64 v[1:2], v[1:2]
	s_or_b32 exec_lo, exec_lo, s22
	s_mov_b32 s2, exec_lo
	v_cmpx_gt_u32_e64 s19, v38
	s_cbranch_execnz .LBB394_12
.LBB394_5:
	s_or_b32 exec_lo, exec_lo, s2
	s_delay_alu instid0(SALU_CYCLE_1)
	s_mov_b32 s2, exec_lo
	v_cmpx_gt_u32_e64 s19, v36
	s_cbranch_execz .LBB394_13
.LBB394_6:
	v_lshlrev_b32_e32 v5, 3, v36
	s_delay_alu instid0(VALU_DEP_1) | instskip(NEXT) | instid1(VALU_DEP_1)
	v_add_co_u32 v5, s22, s21, v5
	v_add_co_ci_u32_e64 v6, null, s20, 0, s22
	flat_load_b64 v[5:6], v[5:6]
	s_or_b32 exec_lo, exec_lo, s2
	s_delay_alu instid0(SALU_CYCLE_1)
	s_mov_b32 s2, exec_lo
	v_cmpx_gt_u32_e64 s19, v40
	s_cbranch_execnz .LBB394_14
.LBB394_7:
	s_or_b32 exec_lo, exec_lo, s2
	s_delay_alu instid0(SALU_CYCLE_1)
	s_mov_b32 s2, exec_lo
	v_cmpx_gt_u32_e64 s19, v39
	s_cbranch_execz .LBB394_15
.LBB394_8:
	v_lshlrev_b32_e32 v9, 3, v39
	s_delay_alu instid0(VALU_DEP_1) | instskip(NEXT) | instid1(VALU_DEP_1)
	v_add_co_u32 v9, s22, s21, v9
	v_add_co_ci_u32_e64 v10, null, s20, 0, s22
	flat_load_b64 v[9:10], v[9:10]
	s_or_b32 exec_lo, exec_lo, s2
	s_delay_alu instid0(SALU_CYCLE_1)
	s_mov_b32 s2, exec_lo
	v_cmpx_gt_u32_e64 s19, v37
	s_cbranch_execnz .LBB394_16
.LBB394_9:
	s_or_b32 exec_lo, exec_lo, s2
	s_delay_alu instid0(SALU_CYCLE_1)
	s_mov_b32 s2, exec_lo
	v_cmpx_gt_u32_e64 s19, v34
	s_cbranch_execz .LBB394_17
.LBB394_10:
	v_lshlrev_b32_e32 v13, 3, v34
	s_delay_alu instid0(VALU_DEP_1) | instskip(NEXT) | instid1(VALU_DEP_1)
	v_add_co_u32 v13, s22, s21, v13
	v_add_co_ci_u32_e64 v14, null, s20, 0, s22
	flat_load_b64 v[13:14], v[13:14]
	s_or_b32 exec_lo, exec_lo, s2
	s_delay_alu instid0(SALU_CYCLE_1)
	s_mov_b32 s2, exec_lo
	v_cmpx_gt_u32_e64 s19, v35
	s_cbranch_execnz .LBB394_18
	s_branch .LBB394_19
.LBB394_11:
	s_or_b32 exec_lo, exec_lo, s22
	s_delay_alu instid0(SALU_CYCLE_1)
	s_mov_b32 s2, exec_lo
	v_cmpx_gt_u32_e64 s19, v38
	s_cbranch_execz .LBB394_5
.LBB394_12:
	v_lshlrev_b32_e32 v3, 3, v38
	s_delay_alu instid0(VALU_DEP_1) | instskip(NEXT) | instid1(VALU_DEP_1)
	v_add_co_u32 v3, s22, s21, v3
	v_add_co_ci_u32_e64 v4, null, s20, 0, s22
	flat_load_b64 v[3:4], v[3:4]
	s_or_b32 exec_lo, exec_lo, s2
	s_delay_alu instid0(SALU_CYCLE_1)
	s_mov_b32 s2, exec_lo
	v_cmpx_gt_u32_e64 s19, v36
	s_cbranch_execnz .LBB394_6
.LBB394_13:
	s_or_b32 exec_lo, exec_lo, s2
	s_delay_alu instid0(SALU_CYCLE_1)
	s_mov_b32 s2, exec_lo
	v_cmpx_gt_u32_e64 s19, v40
	s_cbranch_execz .LBB394_7
.LBB394_14:
	v_lshlrev_b32_e32 v7, 3, v40
	s_delay_alu instid0(VALU_DEP_1) | instskip(NEXT) | instid1(VALU_DEP_1)
	v_add_co_u32 v7, s22, s21, v7
	v_add_co_ci_u32_e64 v8, null, s20, 0, s22
	flat_load_b64 v[7:8], v[7:8]
	s_or_b32 exec_lo, exec_lo, s2
	s_delay_alu instid0(SALU_CYCLE_1)
	s_mov_b32 s2, exec_lo
	v_cmpx_gt_u32_e64 s19, v39
	s_cbranch_execnz .LBB394_8
.LBB394_15:
	s_or_b32 exec_lo, exec_lo, s2
	s_delay_alu instid0(SALU_CYCLE_1)
	s_mov_b32 s2, exec_lo
	v_cmpx_gt_u32_e64 s19, v37
	s_cbranch_execz .LBB394_9
.LBB394_16:
	v_lshlrev_b32_e32 v11, 3, v37
	s_delay_alu instid0(VALU_DEP_1) | instskip(NEXT) | instid1(VALU_DEP_1)
	v_add_co_u32 v11, s22, s21, v11
	v_add_co_ci_u32_e64 v12, null, s20, 0, s22
	flat_load_b64 v[11:12], v[11:12]
	s_or_b32 exec_lo, exec_lo, s2
	s_delay_alu instid0(SALU_CYCLE_1)
	s_mov_b32 s2, exec_lo
	v_cmpx_gt_u32_e64 s19, v34
	s_cbranch_execnz .LBB394_10
.LBB394_17:
	s_or_b32 exec_lo, exec_lo, s2
	s_delay_alu instid0(SALU_CYCLE_1)
	s_mov_b32 s2, exec_lo
	v_cmpx_gt_u32_e64 s19, v35
	s_cbranch_execz .LBB394_19
.LBB394_18:
	v_lshlrev_b32_e32 v15, 3, v35
	s_delay_alu instid0(VALU_DEP_1) | instskip(NEXT) | instid1(VALU_DEP_1)
	v_add_co_u32 v15, s22, s21, v15
	v_add_co_ci_u32_e64 v16, null, s20, 0, s22
	flat_load_b64 v[15:16], v[15:16]
.LBB394_19:
	s_or_b32 exec_lo, exec_lo, s2
	v_lshrrev_b32_e32 v17, 2, v38
	v_lshrrev_b32_e32 v18, 2, v36
	;; [unrolled: 1-line block ×4, first 2 shown]
	v_and_b32_e32 v19, 0x78, v33
	v_lshrrev_b32_e32 v22, 2, v37
	v_lshrrev_b32_e32 v23, 2, v34
	;; [unrolled: 1-line block ×3, first 2 shown]
	v_and_b32_e32 v17, 0xf8, v17
	v_and_b32_e32 v18, 0x1f8, v18
	;; [unrolled: 1-line block ×4, first 2 shown]
	v_add_nc_u32_e32 v19, v19, v55
	v_and_b32_e32 v22, 0x3f8, v22
	v_and_b32_e32 v23, 0x3f8, v23
	;; [unrolled: 1-line block ×3, first 2 shown]
	v_add_nc_u32_e32 v17, v17, v55
	v_add_nc_u32_e32 v18, v18, v55
	;; [unrolled: 1-line block ×7, first 2 shown]
	s_waitcnt vmcnt(0) lgkmcnt(0)
	ds_store_b64 v19, v[1:2]
	ds_store_b64 v17, v[3:4] offset:4096
	ds_store_b64 v18, v[5:6] offset:8192
	;; [unrolled: 1-line block ×7, first 2 shown]
	s_waitcnt lgkmcnt(0)
	s_barrier
.LBB394_20:
	v_add_lshl_u32 v41, v33, v55, 3
	s_waitcnt lgkmcnt(0)
	buffer_gl0_inv
	s_add_u32 s2, s8, s12
	s_addc_u32 s8, s9, s13
	s_add_u32 s2, s2, s4
	ds_load_2addr_b64 v[29:32], v41 offset1:1
	ds_load_2addr_b64 v[25:28], v41 offset0:2 offset1:3
	ds_load_2addr_b64 v[21:24], v41 offset0:4 offset1:5
	;; [unrolled: 1-line block ×3, first 2 shown]
	s_addc_u32 s4, s8, s5
	s_and_b32 vcc_lo, exec_lo, s18
	s_mov_b32 s5, -1
	s_waitcnt lgkmcnt(0)
	s_barrier
	buffer_gl0_inv
	s_cbranch_vccz .LBB394_22
; %bb.21:
	v_add_co_u32 v1, s5, s2, v55
	s_delay_alu instid0(VALU_DEP_1) | instskip(SKIP_1) | instid1(VALU_DEP_3)
	v_add_co_ci_u32_e64 v2, null, s4, 0, s5
	v_lshrrev_b32_e32 v43, 2, v38
	v_add_co_u32 v3, vcc_lo, 0x1000, v1
	s_delay_alu instid0(VALU_DEP_3)
	v_add_co_ci_u32_e32 v4, vcc_lo, 0, v2, vcc_lo
	v_add_co_u32 v5, vcc_lo, 0x2000, v1
	v_add_co_ci_u32_e32 v6, vcc_lo, 0, v2, vcc_lo
	v_add_co_u32 v7, vcc_lo, 0x3000, v1
	;; [unrolled: 2-line block ×6, first 2 shown]
	v_add_co_ci_u32_e32 v16, vcc_lo, 0, v2, vcc_lo
	s_clause 0x7
	flat_load_b64 v[1:2], v[1:2]
	flat_load_b64 v[3:4], v[3:4]
	;; [unrolled: 1-line block ×8, first 2 shown]
	v_lshrrev_b32_e32 v44, 2, v36
	v_lshrrev_b32_e32 v45, 2, v40
	;; [unrolled: 1-line block ×3, first 2 shown]
	v_and_b32_e32 v42, 0x78, v33
	v_lshrrev_b32_e32 v47, 2, v37
	v_lshrrev_b32_e32 v48, 2, v34
	;; [unrolled: 1-line block ×3, first 2 shown]
	v_and_b32_e32 v43, 0xf8, v43
	v_and_b32_e32 v44, 0x178, v44
	;; [unrolled: 1-line block ×4, first 2 shown]
	v_add_nc_u32_e32 v42, v42, v55
	v_and_b32_e32 v47, 0x2f8, v47
	v_and_b32_e32 v48, 0x378, v48
	;; [unrolled: 1-line block ×3, first 2 shown]
	v_add_nc_u32_e32 v43, v43, v55
	v_add_nc_u32_e32 v44, v44, v55
	;; [unrolled: 1-line block ×4, first 2 shown]
	s_mov_b32 s5, 0
	v_add_nc_u32_e32 v47, v47, v55
	v_add_nc_u32_e32 v48, v48, v55
	;; [unrolled: 1-line block ×3, first 2 shown]
	s_waitcnt vmcnt(7) lgkmcnt(7)
	ds_store_b64 v42, v[1:2]
	s_waitcnt vmcnt(6) lgkmcnt(7)
	ds_store_b64 v43, v[3:4] offset:4096
	s_waitcnt vmcnt(5) lgkmcnt(7)
	ds_store_b64 v44, v[5:6] offset:8192
	;; [unrolled: 2-line block ×7, first 2 shown]
	s_waitcnt lgkmcnt(0)
	s_barrier
.LBB394_22:
	s_and_not1_b32 vcc_lo, exec_lo, s5
	s_cbranch_vccnz .LBB394_40
; %bb.23:
	s_mov_b32 s5, exec_lo
                                        ; implicit-def: $vgpr1_vgpr2
	v_cmpx_gt_u32_e64 s19, v0
	s_cbranch_execz .LBB394_25
; %bb.24:
	v_add_co_u32 v1, s8, s2, v55
	s_delay_alu instid0(VALU_DEP_1)
	v_add_co_ci_u32_e64 v2, null, s4, 0, s8
	flat_load_b64 v[1:2], v[1:2]
.LBB394_25:
	s_or_b32 exec_lo, exec_lo, s5
	s_delay_alu instid0(SALU_CYCLE_1)
	s_mov_b32 s5, exec_lo
                                        ; implicit-def: $vgpr3_vgpr4
	v_cmpx_gt_u32_e64 s19, v38
	s_cbranch_execz .LBB394_27
; %bb.26:
	v_lshlrev_b32_e32 v3, 3, v38
	s_delay_alu instid0(VALU_DEP_1) | instskip(NEXT) | instid1(VALU_DEP_1)
	v_add_co_u32 v3, s8, s2, v3
	v_add_co_ci_u32_e64 v4, null, s4, 0, s8
	flat_load_b64 v[3:4], v[3:4]
.LBB394_27:
	s_or_b32 exec_lo, exec_lo, s5
	s_delay_alu instid0(SALU_CYCLE_1)
	s_mov_b32 s5, exec_lo
                                        ; implicit-def: $vgpr5_vgpr6
	v_cmpx_gt_u32_e64 s19, v36
	s_cbranch_execz .LBB394_29
; %bb.28:
	v_lshlrev_b32_e32 v5, 3, v36
	s_delay_alu instid0(VALU_DEP_1) | instskip(NEXT) | instid1(VALU_DEP_1)
	v_add_co_u32 v5, s8, s2, v5
	v_add_co_ci_u32_e64 v6, null, s4, 0, s8
	flat_load_b64 v[5:6], v[5:6]
.LBB394_29:
	s_or_b32 exec_lo, exec_lo, s5
	s_delay_alu instid0(SALU_CYCLE_1)
	s_mov_b32 s5, exec_lo
                                        ; implicit-def: $vgpr7_vgpr8
	v_cmpx_gt_u32_e64 s19, v40
	s_cbranch_execz .LBB394_31
; %bb.30:
	v_lshlrev_b32_e32 v7, 3, v40
	s_delay_alu instid0(VALU_DEP_1) | instskip(NEXT) | instid1(VALU_DEP_1)
	v_add_co_u32 v7, s8, s2, v7
	v_add_co_ci_u32_e64 v8, null, s4, 0, s8
	flat_load_b64 v[7:8], v[7:8]
.LBB394_31:
	s_or_b32 exec_lo, exec_lo, s5
	s_delay_alu instid0(SALU_CYCLE_1)
	s_mov_b32 s5, exec_lo
                                        ; implicit-def: $vgpr9_vgpr10
	v_cmpx_gt_u32_e64 s19, v39
	s_cbranch_execz .LBB394_33
; %bb.32:
	v_lshlrev_b32_e32 v9, 3, v39
	s_delay_alu instid0(VALU_DEP_1) | instskip(NEXT) | instid1(VALU_DEP_1)
	v_add_co_u32 v9, s8, s2, v9
	v_add_co_ci_u32_e64 v10, null, s4, 0, s8
	flat_load_b64 v[9:10], v[9:10]
.LBB394_33:
	s_or_b32 exec_lo, exec_lo, s5
	s_delay_alu instid0(SALU_CYCLE_1)
	s_mov_b32 s5, exec_lo
                                        ; implicit-def: $vgpr11_vgpr12
	v_cmpx_gt_u32_e64 s19, v37
	s_cbranch_execz .LBB394_35
; %bb.34:
	v_lshlrev_b32_e32 v11, 3, v37
	s_delay_alu instid0(VALU_DEP_1) | instskip(NEXT) | instid1(VALU_DEP_1)
	v_add_co_u32 v11, s8, s2, v11
	v_add_co_ci_u32_e64 v12, null, s4, 0, s8
	flat_load_b64 v[11:12], v[11:12]
.LBB394_35:
	s_or_b32 exec_lo, exec_lo, s5
	s_delay_alu instid0(SALU_CYCLE_1)
	s_mov_b32 s5, exec_lo
                                        ; implicit-def: $vgpr13_vgpr14
	v_cmpx_gt_u32_e64 s19, v34
	s_cbranch_execz .LBB394_37
; %bb.36:
	v_lshlrev_b32_e32 v13, 3, v34
	s_delay_alu instid0(VALU_DEP_1) | instskip(NEXT) | instid1(VALU_DEP_1)
	v_add_co_u32 v13, s8, s2, v13
	v_add_co_ci_u32_e64 v14, null, s4, 0, s8
	flat_load_b64 v[13:14], v[13:14]
.LBB394_37:
	s_or_b32 exec_lo, exec_lo, s5
	s_delay_alu instid0(SALU_CYCLE_1)
	s_mov_b32 s5, exec_lo
                                        ; implicit-def: $vgpr15_vgpr16
	v_cmpx_gt_u32_e64 s19, v35
	s_cbranch_execz .LBB394_39
; %bb.38:
	v_lshlrev_b32_e32 v15, 3, v35
	s_delay_alu instid0(VALU_DEP_1) | instskip(NEXT) | instid1(VALU_DEP_1)
	v_add_co_u32 v15, s2, s2, v15
	v_add_co_ci_u32_e64 v16, null, s4, 0, s2
	flat_load_b64 v[15:16], v[15:16]
.LBB394_39:
	s_or_b32 exec_lo, exec_lo, s5
	v_lshrrev_b32_e32 v38, 2, v38
	v_lshrrev_b32_e32 v36, 2, v36
	;; [unrolled: 1-line block ×4, first 2 shown]
	v_and_b32_e32 v33, 0x78, v33
	v_lshrrev_b32_e32 v37, 2, v37
	v_lshrrev_b32_e32 v34, 2, v34
	;; [unrolled: 1-line block ×3, first 2 shown]
	v_and_b32_e32 v38, 0xf8, v38
	v_and_b32_e32 v36, 0x1f8, v36
	;; [unrolled: 1-line block ×4, first 2 shown]
	v_add_nc_u32_e32 v33, v33, v55
	v_and_b32_e32 v37, 0x3f8, v37
	v_and_b32_e32 v34, 0x3f8, v34
	;; [unrolled: 1-line block ×3, first 2 shown]
	v_add_nc_u32_e32 v38, v38, v55
	v_add_nc_u32_e32 v36, v36, v55
	;; [unrolled: 1-line block ×7, first 2 shown]
	s_waitcnt vmcnt(0) lgkmcnt(0)
	ds_store_b64 v33, v[1:2]
	ds_store_b64 v38, v[3:4] offset:4096
	ds_store_b64 v36, v[5:6] offset:8192
	;; [unrolled: 1-line block ×7, first 2 shown]
	s_waitcnt lgkmcnt(0)
	s_barrier
.LBB394_40:
	buffer_gl0_inv
	ds_load_2addr_b64 v[13:16], v41 offset1:1
	ds_load_2addr_b64 v[9:12], v41 offset0:2 offset1:3
	ds_load_2addr_b64 v[5:8], v41 offset0:4 offset1:5
	;; [unrolled: 1-line block ×3, first 2 shown]
	s_cmp_lg_u32 s15, 0
	s_waitcnt lgkmcnt(0)
	s_cselect_b32 s8, -1, 0
	s_cmp_lg_u64 s[6:7], 0
	s_barrier
	s_cselect_b32 s2, -1, 0
	buffer_gl0_inv
	s_or_b32 s2, s8, s2
	s_delay_alu instid0(SALU_CYCLE_1)
	s_and_b32 vcc_lo, exec_lo, s2
	s_mov_b32 s2, 0
	s_cbranch_vccz .LBB394_45
; %bb.41:
	v_add_co_u32 v33, s2, -8, s21
	s_delay_alu instid0(VALU_DEP_1)
	v_add_co_ci_u32_e64 v34, null, -1, s20, s2
	s_mov_b32 s2, -1
	s_and_b32 vcc_lo, exec_lo, s18
	flat_load_b64 v[35:36], v[33:34]
	ds_store_b64 v55, v[19:20]
	s_cbranch_vccz .LBB394_46
; %bb.42:
	s_waitcnt vmcnt(0) lgkmcnt(1)
	v_dual_mov_b32 v33, v35 :: v_dual_mov_b32 v34, v36
	s_mov_b32 s2, 0
	s_mov_b32 s4, exec_lo
	s_waitcnt lgkmcnt(0)
	s_barrier
	buffer_gl0_inv
	v_cmpx_ne_u32_e32 0, v0
	s_cbranch_execz .LBB394_44
; %bb.43:
	v_add_nc_u32_e32 v33, -8, v55
	ds_load_b64 v[33:34], v33
.LBB394_44:
	s_or_b32 exec_lo, exec_lo, s4
	s_waitcnt lgkmcnt(0)
	v_mul_hi_i32 v34, 0x66666667, v17
	v_mul_hi_i32 v36, 0x66666667, v19
	;; [unrolled: 1-line block ×6, first 2 shown]
	v_lshrrev_b32_e32 v40, 31, v34
	v_ashrrev_i32_e32 v34, 2, v34
	v_lshrrev_b32_e32 v41, 31, v36
	v_ashrrev_i32_e32 v36, 2, v36
	;; [unrolled: 2-line block ×3, first 2 shown]
	v_add_nc_u32_e32 v34, v34, v40
	v_lshrrev_b32_e32 v43, 31, v38
	v_add_nc_u32_e32 v36, v36, v41
	v_ashrrev_i32_e32 v38, 2, v38
	v_add_nc_u32_e32 v37, v37, v42
	v_mul_hi_i32 v41, 0x66666667, v25
	v_lshrrev_b32_e32 v40, 31, v39
	v_cmp_ne_u32_e32 vcc_lo, v34, v36
	v_add_nc_u32_e32 v38, v38, v43
	v_ashrrev_i32_e32 v39, 2, v39
	v_mul_hi_i32 v42, 0x66666667, v31
	v_mul_hi_i32 v43, 0x66666667, v29
	v_cndmask_b32_e64 v36, 0, 1, vcc_lo
	v_cmp_ne_u32_e32 vcc_lo, v37, v34
	v_add_nc_u32_e32 v39, v39, v40
	v_lshrrev_b32_e32 v40, 31, v41
	v_ashrrev_i32_e32 v41, 2, v41
	v_lshlrev_b16 v36, 8, v36
	v_cndmask_b32_e64 v34, 0, 1, vcc_lo
	v_cmp_ne_u32_e32 vcc_lo, v38, v37
	v_lshrrev_b32_e32 v44, 31, v42
	v_ashrrev_i32_e32 v42, 2, v42
	v_add_nc_u32_e32 v40, v41, v40
	v_lshrrev_b32_e32 v45, 31, v43
	v_cndmask_b32_e64 v37, 0, 1, vcc_lo
	v_cmp_ne_u32_e32 vcc_lo, v39, v38
	v_ashrrev_i32_e32 v43, 2, v43
	v_add_nc_u32_e32 v41, v42, v44
	v_or_b32_e32 v34, v34, v36
	v_lshlrev_b16 v37, 8, v37
	v_cndmask_b32_e64 v38, 0, 1, vcc_lo
	v_cmp_ne_u32_e32 vcc_lo, v40, v39
	v_add_nc_u32_e32 v42, v43, v45
	v_lshrrev_b32_e32 v43, 31, v33
	v_ashrrev_i32_e32 v33, 2, v33
	v_or_b32_e32 v37, v38, v37
	v_cndmask_b32_e64 v39, 0, 1, vcc_lo
	v_cmp_ne_u32_e32 vcc_lo, v41, v40
	v_lshlrev_b32_e32 v34, 16, v34
	v_add_nc_u32_e32 v33, v33, v43
	v_and_b32_e32 v37, 0xffff, v37
	v_lshlrev_b16 v39, 8, v39
	v_cndmask_b32_e64 v40, 0, 1, vcc_lo
	v_cmp_ne_u32_e32 vcc_lo, v42, v41
	v_cmp_ne_u32_e64 s4, v33, v42
	v_or_b32_e32 v34, v37, v34
	s_delay_alu instid0(VALU_DEP_4) | instskip(SKIP_1) | instid1(VALU_DEP_2)
	v_or_b32_e32 v39, v40, v39
	v_cndmask_b32_e64 v41, 0, 1, vcc_lo
	v_lshlrev_b32_e32 v36, 16, v39
	s_delay_alu instid0(VALU_DEP_2) | instskip(NEXT) | instid1(VALU_DEP_1)
	v_lshlrev_b16 v40, 8, v41
	v_and_b32_e32 v38, 0xffff, v40
	s_delay_alu instid0(VALU_DEP_1)
	v_or_b32_e32 v33, v38, v36
	s_and_b32 vcc_lo, exec_lo, s2
	s_cbranch_vccnz .LBB394_47
	s_branch .LBB394_66
.LBB394_45:
                                        ; implicit-def: $sgpr4
                                        ; implicit-def: $vgpr34
	s_branch .LBB394_67
.LBB394_46:
                                        ; implicit-def: $sgpr4
                                        ; implicit-def: $vgpr34
	s_and_b32 vcc_lo, exec_lo, s2
	s_cbranch_vccz .LBB394_66
.LBB394_47:
	v_or_b32_e32 v33, 7, v55
	s_mov_b32 s2, 0
	s_mov_b32 s4, 0
	s_mov_b32 s5, exec_lo
	s_delay_alu instid0(VALU_DEP_1)
	v_cmpx_gt_u32_e64 s19, v33
	s_cbranch_execz .LBB394_49
; %bb.48:
	v_mul_hi_i32 v33, 0x66666667, v17
	v_mul_hi_i32 v34, 0x66666667, v19
	s_waitcnt vmcnt(0) lgkmcnt(1)
	s_delay_alu instid0(VALU_DEP_2) | instskip(SKIP_1) | instid1(VALU_DEP_3)
	v_lshrrev_b32_e32 v36, 31, v33
	v_ashrrev_i32_e32 v33, 2, v33
	v_lshrrev_b32_e32 v37, 31, v34
	v_ashrrev_i32_e32 v34, 2, v34
	s_delay_alu instid0(VALU_DEP_3) | instskip(NEXT) | instid1(VALU_DEP_2)
	v_add_nc_u32_e32 v33, v33, v36
	v_add_nc_u32_e32 v34, v34, v37
	s_delay_alu instid0(VALU_DEP_1)
	v_cmp_ne_u32_e32 vcc_lo, v33, v34
	s_and_b32 s4, vcc_lo, exec_lo
.LBB394_49:
	s_or_b32 exec_lo, exec_lo, s5
	v_or_b32_e32 v33, 6, v55
	s_mov_b32 s5, exec_lo
	s_delay_alu instid0(VALU_DEP_1)
	v_cmpx_gt_u32_e64 s19, v33
	s_cbranch_execz .LBB394_51
; %bb.50:
	v_mul_hi_i32 v33, 0x66666667, v23
	v_mul_hi_i32 v34, 0x66666667, v17
	s_waitcnt vmcnt(0) lgkmcnt(1)
	s_delay_alu instid0(VALU_DEP_2) | instskip(SKIP_1) | instid1(VALU_DEP_3)
	v_lshrrev_b32_e32 v36, 31, v33
	v_ashrrev_i32_e32 v33, 2, v33
	v_lshrrev_b32_e32 v37, 31, v34
	v_ashrrev_i32_e32 v34, 2, v34
	s_delay_alu instid0(VALU_DEP_3) | instskip(NEXT) | instid1(VALU_DEP_2)
	v_add_nc_u32_e32 v33, v33, v36
	v_add_nc_u32_e32 v34, v34, v37
	s_delay_alu instid0(VALU_DEP_1)
	v_cmp_ne_u32_e32 vcc_lo, v33, v34
	s_and_b32 s2, vcc_lo, exec_lo
.LBB394_51:
	s_or_b32 exec_lo, exec_lo, s5
	v_or_b32_e32 v33, 5, v55
	s_mov_b32 s6, 0
	s_mov_b32 s5, 0
	s_mov_b32 s7, exec_lo
	s_delay_alu instid0(VALU_DEP_1)
	v_cmpx_gt_u32_e64 s19, v33
	s_cbranch_execz .LBB394_53
; %bb.52:
	v_mul_hi_i32 v33, 0x66666667, v21
	v_mul_hi_i32 v34, 0x66666667, v23
	s_waitcnt vmcnt(0) lgkmcnt(1)
	s_delay_alu instid0(VALU_DEP_2) | instskip(SKIP_1) | instid1(VALU_DEP_3)
	v_lshrrev_b32_e32 v36, 31, v33
	v_ashrrev_i32_e32 v33, 2, v33
	v_lshrrev_b32_e32 v37, 31, v34
	v_ashrrev_i32_e32 v34, 2, v34
	s_delay_alu instid0(VALU_DEP_3) | instskip(NEXT) | instid1(VALU_DEP_2)
	v_add_nc_u32_e32 v33, v33, v36
	v_add_nc_u32_e32 v34, v34, v37
	s_delay_alu instid0(VALU_DEP_1)
	v_cmp_ne_u32_e32 vcc_lo, v33, v34
	s_and_b32 s5, vcc_lo, exec_lo
.LBB394_53:
	s_or_b32 exec_lo, exec_lo, s7
	v_or_b32_e32 v33, 4, v55
	s_mov_b32 s7, exec_lo
	s_delay_alu instid0(VALU_DEP_1)
	v_cmpx_gt_u32_e64 s19, v33
	s_cbranch_execz .LBB394_55
; %bb.54:
	v_mul_hi_i32 v33, 0x66666667, v27
	v_mul_hi_i32 v34, 0x66666667, v21
	s_waitcnt vmcnt(0) lgkmcnt(1)
	s_delay_alu instid0(VALU_DEP_2) | instskip(SKIP_1) | instid1(VALU_DEP_3)
	v_lshrrev_b32_e32 v36, 31, v33
	v_ashrrev_i32_e32 v33, 2, v33
	v_lshrrev_b32_e32 v37, 31, v34
	v_ashrrev_i32_e32 v34, 2, v34
	s_delay_alu instid0(VALU_DEP_3) | instskip(NEXT) | instid1(VALU_DEP_2)
	v_add_nc_u32_e32 v33, v33, v36
	v_add_nc_u32_e32 v34, v34, v37
	s_delay_alu instid0(VALU_DEP_1)
	v_cmp_ne_u32_e32 vcc_lo, v33, v34
	s_and_b32 s6, vcc_lo, exec_lo
.LBB394_55:
	s_or_b32 exec_lo, exec_lo, s7
	;; [unrolled: 46-line block ×3, first 2 shown]
	v_or_b32_e32 v33, 1, v55
	s_mov_b32 s12, 0
	s_mov_b32 s13, exec_lo
	s_delay_alu instid0(VALU_DEP_1)
	v_cmpx_gt_u32_e64 s19, v33
	s_cbranch_execz .LBB394_61
; %bb.60:
	v_mul_hi_i32 v33, 0x66666667, v29
	v_mul_hi_i32 v34, 0x66666667, v31
	s_waitcnt vmcnt(0) lgkmcnt(1)
	s_delay_alu instid0(VALU_DEP_2) | instskip(SKIP_1) | instid1(VALU_DEP_3)
	v_lshrrev_b32_e32 v36, 31, v33
	v_ashrrev_i32_e32 v33, 2, v33
	v_lshrrev_b32_e32 v37, 31, v34
	v_ashrrev_i32_e32 v34, 2, v34
	s_delay_alu instid0(VALU_DEP_3) | instskip(NEXT) | instid1(VALU_DEP_2)
	v_add_nc_u32_e32 v33, v33, v36
	v_add_nc_u32_e32 v34, v34, v37
	s_delay_alu instid0(VALU_DEP_1)
	v_cmp_ne_u32_e32 vcc_lo, v33, v34
	s_and_b32 s12, vcc_lo, exec_lo
.LBB394_61:
	s_or_b32 exec_lo, exec_lo, s13
	s_delay_alu instid0(SALU_CYCLE_1)
	s_mov_b32 s13, exec_lo
	s_waitcnt vmcnt(0) lgkmcnt(0)
	s_barrier
	buffer_gl0_inv
	v_cmpx_ne_u32_e32 0, v0
	s_cbranch_execz .LBB394_63
; %bb.62:
	v_add_nc_u32_e32 v33, -8, v55
	ds_load_b64 v[35:36], v33
.LBB394_63:
	s_or_b32 exec_lo, exec_lo, s13
	v_cndmask_b32_e64 v34, 0, 1, s7
	v_cndmask_b32_e64 v37, 0, 1, s5
	;; [unrolled: 1-line block ×4, first 2 shown]
	s_waitcnt lgkmcnt(0)
	v_cndmask_b32_e64 v36, 0, 1, s6
	v_cndmask_b32_e64 v39, 0, 1, s2
	;; [unrolled: 1-line block ×3, first 2 shown]
	v_lshlrev_b16 v34, 8, v34
	v_lshlrev_b16 v37, 8, v37
	;; [unrolled: 1-line block ×3, first 2 shown]
	s_mov_b32 s4, 0
	v_lshlrev_b16 v40, 8, v40
	v_or_b32_e32 v34, v33, v34
	v_or_b32_e32 v36, v36, v37
	;; [unrolled: 1-line block ×3, first 2 shown]
	s_mov_b32 s2, exec_lo
	v_and_b32_e32 v33, 0xffff, v40
	v_lshlrev_b32_e32 v34, 16, v34
	v_and_b32_e32 v36, 0xffff, v36
	v_lshlrev_b32_e32 v37, 16, v37
	v_cmpx_gt_u32_e64 s19, v55
; %bb.64:
	v_mul_hi_i32 v35, 0x66666667, v35
	v_mul_hi_i32 v38, 0x66666667, v29
	s_delay_alu instid0(VALU_DEP_2) | instskip(SKIP_1) | instid1(VALU_DEP_3)
	v_lshrrev_b32_e32 v39, 31, v35
	v_ashrrev_i32_e32 v35, 2, v35
	v_lshrrev_b32_e32 v40, 31, v38
	v_ashrrev_i32_e32 v38, 2, v38
	s_delay_alu instid0(VALU_DEP_3) | instskip(NEXT) | instid1(VALU_DEP_2)
	v_add_nc_u32_e32 v35, v35, v39
	v_add_nc_u32_e32 v38, v38, v40
	s_delay_alu instid0(VALU_DEP_1)
	v_cmp_ne_u32_e32 vcc_lo, v35, v38
	s_and_b32 s4, vcc_lo, exec_lo
; %bb.65:
	s_or_b32 exec_lo, exec_lo, s2
	v_or_b32_e32 v33, v33, v34
	v_or_b32_e32 v34, v36, v37
.LBB394_66:
	s_mov_b32 s2, -1
	s_cbranch_execnz .LBB394_91
.LBB394_67:
	v_mul_hi_i32 v40, 0x66666667, v17
	v_mul_hi_i32 v39, 0x66666667, v23
	;; [unrolled: 1-line block ×4, first 2 shown]
	s_waitcnt vmcnt(0) lgkmcnt(1)
	v_mul_hi_i32 v36, 0x66666667, v25
	v_mul_hi_i32 v35, 0x66666667, v31
	s_and_b32 vcc_lo, exec_lo, s18
	ds_store_b64 v55, v[19:20]
	s_cbranch_vccz .LBB394_71
; %bb.68:
	v_mul_hi_i32 v33, 0x66666667, v19
	v_lshrrev_b32_e32 v34, 31, v40
	v_ashrrev_i32_e32 v41, 2, v40
	v_lshrrev_b32_e32 v42, 31, v39
	v_ashrrev_i32_e32 v43, 2, v39
	;; [unrolled: 2-line block ×3, first 2 shown]
	v_add_nc_u32_e32 v34, v41, v34
	v_lshrrev_b32_e32 v45, 31, v33
	v_ashrrev_i32_e32 v33, 2, v33
	v_add_nc_u32_e32 v41, v43, v42
	v_lshrrev_b32_e32 v42, 31, v37
	v_ashrrev_i32_e32 v43, 2, v37
	v_ashrrev_i32_e32 v48, 2, v35
	v_add_nc_u32_e32 v33, v33, v45
	v_cmp_ne_u32_e32 vcc_lo, v41, v34
	v_mul_hi_i32 v45, 0x66666667, v29
	v_add_nc_u32_e32 v42, v43, v42
	v_lshrrev_b32_e32 v43, 31, v36
	s_mov_b32 s5, 0
	v_cndmask_b32_e64 v47, 0, 1, vcc_lo
	v_cmp_ne_u32_e32 vcc_lo, v34, v33
	v_add_nc_u32_e32 v34, v46, v44
	v_ashrrev_i32_e32 v44, 2, v36
	v_lshrrev_b32_e32 v46, 31, v35
	v_lshrrev_b32_e32 v49, 31, v45
	v_cndmask_b32_e64 v33, 0, 1, vcc_lo
	v_cmp_ne_u32_e32 vcc_lo, v34, v41
	v_ashrrev_i32_e32 v45, 2, v45
	v_add_nc_u32_e32 v43, v44, v43
	v_add_nc_u32_e32 v44, v48, v46
	v_lshlrev_b16 v33, 8, v33
	v_cndmask_b32_e64 v50, 0, 1, vcc_lo
	v_cmp_ne_u32_e32 vcc_lo, v42, v34
	v_add_nc_u32_e32 v41, v45, v49
	s_mov_b32 s6, exec_lo
	v_or_b32_e32 v33, v47, v33
	s_waitcnt lgkmcnt(0)
	v_cndmask_b32_e64 v34, 0, 1, vcc_lo
	v_cmp_ne_u32_e32 vcc_lo, v43, v42
	s_barrier
	v_lshlrev_b32_e32 v33, 16, v33
	buffer_gl0_inv
                                        ; implicit-def: $sgpr4
	v_cndmask_b32_e64 v42, 0, 1, vcc_lo
	v_cmp_ne_u32_e32 vcc_lo, v41, v44
	s_delay_alu instid0(VALU_DEP_2) | instskip(SKIP_3) | instid1(VALU_DEP_3)
	v_lshlrev_b16 v42, 8, v42
	v_cndmask_b32_e64 v45, 0, 1, vcc_lo
	v_cmp_ne_u32_e32 vcc_lo, v44, v43
	v_lshlrev_b16 v44, 8, v50
	v_lshlrev_b16 v45, 8, v45
	v_cndmask_b32_e64 v43, 0, 1, vcc_lo
	s_delay_alu instid0(VALU_DEP_3) | instskip(NEXT) | instid1(VALU_DEP_2)
	v_or_b32_e32 v34, v34, v44
	v_or_b32_e32 v42, v43, v42
	s_delay_alu instid0(VALU_DEP_4) | instskip(NEXT) | instid1(VALU_DEP_3)
	v_or_b32_e32 v43, 1, v45
	v_and_b32_e32 v34, 0xffff, v34
	s_delay_alu instid0(VALU_DEP_3) | instskip(NEXT) | instid1(VALU_DEP_3)
	v_lshlrev_b32_e32 v42, 16, v42
	v_and_b32_e32 v43, 0xffff, v43
	s_delay_alu instid0(VALU_DEP_3) | instskip(NEXT) | instid1(VALU_DEP_2)
	v_or_b32_e32 v34, v34, v33
	v_or_b32_e32 v33, v43, v42
	v_cmpx_ne_u32_e32 0, v0
	s_xor_b32 s6, exec_lo, s6
	s_cbranch_execz .LBB394_70
; %bb.69:
	v_add_nc_u32_e32 v42, -8, v55
	s_or_b32 s2, s2, exec_lo
	ds_load_b32 v42, v42
	s_waitcnt lgkmcnt(0)
	v_mul_hi_i32 v42, 0x66666667, v42
	s_delay_alu instid0(VALU_DEP_1) | instskip(SKIP_1) | instid1(VALU_DEP_1)
	v_lshrrev_b32_e32 v43, 31, v42
	v_ashrrev_i32_e32 v42, 2, v42
	v_add_nc_u32_e32 v42, v42, v43
	s_delay_alu instid0(VALU_DEP_1)
	v_cmp_ne_u32_e32 vcc_lo, v42, v41
	s_and_b32 s4, vcc_lo, exec_lo
.LBB394_70:
	s_or_b32 exec_lo, exec_lo, s6
	s_delay_alu instid0(SALU_CYCLE_1)
	s_and_b32 vcc_lo, exec_lo, s5
	s_cbranch_vccnz .LBB394_72
	s_branch .LBB394_91
.LBB394_71:
                                        ; implicit-def: $sgpr4
                                        ; implicit-def: $vgpr34
	s_cbranch_execz .LBB394_91
.LBB394_72:
	v_or_b32_e32 v33, 7, v55
	s_mov_b32 s4, 0
	s_mov_b32 s5, 0
	s_mov_b32 s6, exec_lo
	s_delay_alu instid0(VALU_DEP_1)
	v_cmpx_gt_u32_e64 s19, v33
; %bb.73:
	v_mul_hi_i32 v33, 0x66666667, v19
	v_lshrrev_b32_e32 v34, 31, v40
	v_ashrrev_i32_e32 v41, 2, v40
	s_delay_alu instid0(VALU_DEP_1) | instskip(NEXT) | instid1(VALU_DEP_4)
	v_add_nc_u32_e32 v34, v41, v34
	v_lshrrev_b32_e32 v42, 31, v33
	v_ashrrev_i32_e32 v33, 2, v33
	s_delay_alu instid0(VALU_DEP_1) | instskip(NEXT) | instid1(VALU_DEP_1)
	v_add_nc_u32_e32 v33, v33, v42
	v_cmp_ne_u32_e32 vcc_lo, v34, v33
	s_and_b32 s5, vcc_lo, exec_lo
; %bb.74:
	s_or_b32 exec_lo, exec_lo, s6
	v_or_b32_e32 v33, 6, v55
	s_mov_b32 s6, exec_lo
	s_delay_alu instid0(VALU_DEP_1)
	v_cmpx_gt_u32_e64 s19, v33
; %bb.75:
	v_lshrrev_b32_e32 v33, 31, v39
	v_ashrrev_i32_e32 v34, 2, v39
	v_lshrrev_b32_e32 v41, 31, v40
	v_ashrrev_i32_e32 v40, 2, v40
	s_delay_alu instid0(VALU_DEP_3) | instskip(NEXT) | instid1(VALU_DEP_2)
	v_add_nc_u32_e32 v33, v34, v33
	v_add_nc_u32_e32 v34, v40, v41
	s_delay_alu instid0(VALU_DEP_1)
	v_cmp_ne_u32_e32 vcc_lo, v33, v34
	s_and_b32 s4, vcc_lo, exec_lo
; %bb.76:
	s_or_b32 exec_lo, exec_lo, s6
	v_or_b32_e32 v33, 5, v55
	s_mov_b32 s6, 0
	s_mov_b32 s7, 0
	s_mov_b32 s9, exec_lo
	s_delay_alu instid0(VALU_DEP_1)
	v_cmpx_gt_u32_e64 s19, v33
; %bb.77:
	v_lshrrev_b32_e32 v33, 31, v38
	v_ashrrev_i32_e32 v34, 2, v38
	v_lshrrev_b32_e32 v40, 31, v39
	v_ashrrev_i32_e32 v39, 2, v39
	s_delay_alu instid0(VALU_DEP_3) | instskip(NEXT) | instid1(VALU_DEP_2)
	v_add_nc_u32_e32 v33, v34, v33
	v_add_nc_u32_e32 v34, v39, v40
	s_delay_alu instid0(VALU_DEP_1)
	v_cmp_ne_u32_e32 vcc_lo, v33, v34
	s_and_b32 s7, vcc_lo, exec_lo
; %bb.78:
	s_or_b32 exec_lo, exec_lo, s9
	v_or_b32_e32 v33, 4, v55
	s_mov_b32 s9, exec_lo
	s_delay_alu instid0(VALU_DEP_1)
	v_cmpx_gt_u32_e64 s19, v33
; %bb.79:
	v_lshrrev_b32_e32 v33, 31, v37
	v_ashrrev_i32_e32 v34, 2, v37
	v_lshrrev_b32_e32 v39, 31, v38
	v_ashrrev_i32_e32 v38, 2, v38
	s_delay_alu instid0(VALU_DEP_3) | instskip(NEXT) | instid1(VALU_DEP_2)
	v_add_nc_u32_e32 v33, v34, v33
	v_add_nc_u32_e32 v34, v38, v39
	s_delay_alu instid0(VALU_DEP_1)
	v_cmp_ne_u32_e32 vcc_lo, v33, v34
	s_and_b32 s6, vcc_lo, exec_lo
; %bb.80:
	s_or_b32 exec_lo, exec_lo, s9
	v_or_b32_e32 v33, 3, v55
	s_mov_b32 s12, 0
	s_mov_b32 s9, 0
	s_mov_b32 s13, exec_lo
	s_delay_alu instid0(VALU_DEP_1)
	v_cmpx_gt_u32_e64 s19, v33
; %bb.81:
	v_lshrrev_b32_e32 v33, 31, v36
	v_ashrrev_i32_e32 v34, 2, v36
	v_lshrrev_b32_e32 v38, 31, v37
	v_ashrrev_i32_e32 v37, 2, v37
	s_delay_alu instid0(VALU_DEP_3) | instskip(NEXT) | instid1(VALU_DEP_2)
	v_add_nc_u32_e32 v33, v34, v33
	v_add_nc_u32_e32 v34, v37, v38
	s_delay_alu instid0(VALU_DEP_1)
	v_cmp_ne_u32_e32 vcc_lo, v33, v34
	s_and_b32 s9, vcc_lo, exec_lo
; %bb.82:
	s_or_b32 exec_lo, exec_lo, s13
	v_or_b32_e32 v33, 2, v55
	s_mov_b32 s13, exec_lo
	s_delay_alu instid0(VALU_DEP_1)
	v_cmpx_gt_u32_e64 s19, v33
; %bb.83:
	v_lshrrev_b32_e32 v33, 31, v35
	v_ashrrev_i32_e32 v34, 2, v35
	v_lshrrev_b32_e32 v37, 31, v36
	v_ashrrev_i32_e32 v36, 2, v36
	s_delay_alu instid0(VALU_DEP_3) | instskip(NEXT) | instid1(VALU_DEP_2)
	v_add_nc_u32_e32 v33, v34, v33
	v_add_nc_u32_e32 v34, v36, v37
	s_delay_alu instid0(VALU_DEP_1)
	v_cmp_ne_u32_e32 vcc_lo, v33, v34
	s_and_b32 s12, vcc_lo, exec_lo
; %bb.84:
	s_or_b32 exec_lo, exec_lo, s13
	v_or_b32_e32 v33, 1, v55
	s_mov_b32 s20, 0
	s_mov_b32 s13, exec_lo
	s_delay_alu instid0(VALU_DEP_1)
	v_cmpx_gt_u32_e64 s19, v33
; %bb.85:
	v_mul_hi_i32 v33, 0x66666667, v29
	v_lshrrev_b32_e32 v34, 31, v35
	v_ashrrev_i32_e32 v35, 2, v35
	s_delay_alu instid0(VALU_DEP_1) | instskip(NEXT) | instid1(VALU_DEP_4)
	v_add_nc_u32_e32 v34, v35, v34
	v_lshrrev_b32_e32 v36, 31, v33
	v_ashrrev_i32_e32 v33, 2, v33
	s_delay_alu instid0(VALU_DEP_1) | instskip(NEXT) | instid1(VALU_DEP_1)
	v_add_nc_u32_e32 v33, v33, v36
	v_cmp_ne_u32_e32 vcc_lo, v33, v34
	s_and_b32 s20, vcc_lo, exec_lo
; %bb.86:
	s_or_b32 exec_lo, exec_lo, s13
	v_cndmask_b32_e64 v34, 0, 1, s9
	v_cndmask_b32_e64 v35, 0, 1, s7
	;; [unrolled: 1-line block ×7, first 2 shown]
	v_lshlrev_b16 v35, 8, v35
	v_lshlrev_b16 v36, 8, v36
	;; [unrolled: 1-line block ×4, first 2 shown]
	s_mov_b32 s5, exec_lo
	v_or_b32_e32 v35, v38, v35
	v_or_b32_e32 v36, v39, v36
	v_or_b32_e32 v37, 1, v37
	v_or_b32_e32 v33, v33, v34
	s_waitcnt lgkmcnt(0)
	v_and_b32_e32 v34, 0xffff, v35
	v_lshlrev_b32_e32 v35, 16, v36
	v_and_b32_e32 v36, 0xffff, v37
	v_lshlrev_b32_e32 v33, 16, v33
	s_barrier
	buffer_gl0_inv
	v_or_b32_e32 v34, v34, v35
                                        ; implicit-def: $sgpr4
	v_or_b32_e32 v33, v36, v33
	v_cmpx_ne_u32_e32 0, v0
	s_cbranch_execz .LBB394_90
; %bb.87:
	s_mov_b32 s6, 0
	s_mov_b32 s4, exec_lo
	v_cmpx_gt_u32_e64 s19, v55
	s_cbranch_execz .LBB394_89
; %bb.88:
	v_add_nc_u32_e32 v35, -8, v55
	v_mul_hi_i32 v36, 0x66666667, v29
	ds_load_b32 v35, v35
	v_lshrrev_b32_e32 v37, 31, v36
	v_ashrrev_i32_e32 v36, 2, v36
	s_delay_alu instid0(VALU_DEP_1) | instskip(SKIP_2) | instid1(VALU_DEP_1)
	v_add_nc_u32_e32 v36, v36, v37
	s_waitcnt lgkmcnt(0)
	v_mul_hi_i32 v35, 0x66666667, v35
	v_lshrrev_b32_e32 v38, 31, v35
	v_ashrrev_i32_e32 v35, 2, v35
	s_delay_alu instid0(VALU_DEP_1) | instskip(NEXT) | instid1(VALU_DEP_1)
	v_add_nc_u32_e32 v35, v35, v38
	v_cmp_ne_u32_e32 vcc_lo, v35, v36
	s_and_b32 s6, vcc_lo, exec_lo
.LBB394_89:
	s_or_b32 exec_lo, exec_lo, s4
	s_delay_alu instid0(SALU_CYCLE_1)
	s_and_b32 s4, s6, exec_lo
	s_or_b32 s2, s2, exec_lo
.LBB394_90:
	s_or_b32 exec_lo, exec_lo, s5
.LBB394_91:
	s_and_saveexec_b32 s5, s2
	s_cbranch_execz .LBB394_93
; %bb.92:
	s_waitcnt vmcnt(0) lgkmcnt(1)
	v_and_b32_e32 v35, 0xffffff00, v33
	v_cndmask_b32_e64 v36, 0, 1, s4
	s_delay_alu instid0(VALU_DEP_1) | instskip(NEXT) | instid1(VALU_DEP_1)
	v_or_b32_e32 v35, v36, v35
	v_and_b32_e32 v35, 0xffff, v35
	s_delay_alu instid0(VALU_DEP_1)
	v_and_or_b32 v33, 0xffff0000, v33, v35
.LBB394_93:
	s_or_b32 exec_lo, exec_lo, s5
	s_load_b64 s[12:13], s[0:1], 0x60
	s_and_not1_b32 vcc_lo, exec_lo, s3
	s_cbranch_vccnz .LBB394_95
; %bb.94:
	v_cmp_gt_u32_e32 vcc_lo, s19, v55
	s_waitcnt vmcnt(0) lgkmcnt(0)
	v_or_b32_e32 v36, 1, v55
	v_and_b32_e32 v37, 0xffffff00, v34
	v_or_b32_e32 v38, 2, v55
	v_cndmask_b32_e32 v35, 0, v33, vcc_lo
	s_delay_alu instid0(VALU_DEP_4) | instskip(SKIP_1) | instid1(VALU_DEP_4)
	v_cmp_gt_u32_e32 vcc_lo, s19, v36
	v_or_b32_e32 v36, 4, v55
	v_cmp_gt_u32_e64 s2, s19, v38
	v_or_b32_e32 v38, 3, v55
	v_and_b32_e32 v35, 0xff, v35
	s_delay_alu instid0(VALU_DEP_2) | instskip(NEXT) | instid1(VALU_DEP_2)
	v_cmp_gt_u32_e64 s3, s19, v38
	v_cndmask_b32_e32 v35, v35, v33, vcc_lo
	v_cmp_gt_u32_e32 vcc_lo, s19, v36
	v_cndmask_b32_e32 v36, v37, v34, vcc_lo
	v_or_b32_e32 v37, 5, v55
	s_delay_alu instid0(VALU_DEP_2) | instskip(SKIP_1) | instid1(VALU_DEP_1)
	v_and_b32_e32 v36, 0xffff00ff, v36
	v_and_b32_e32 v35, 0xffff, v35
	v_cndmask_b32_e64 v35, v35, v33, s2
	s_delay_alu instid0(VALU_DEP_4) | instskip(SKIP_1) | instid1(VALU_DEP_3)
	v_cmp_gt_u32_e64 s2, s19, v37
	v_or_b32_e32 v37, 6, v55
	v_and_b32_e32 v35, 0xffffff, v35
	s_delay_alu instid0(VALU_DEP_3) | instskip(NEXT) | instid1(VALU_DEP_2)
	v_cndmask_b32_e64 v36, v36, v34, s2
	v_cndmask_b32_e64 v35, v35, v33, s3
	s_delay_alu instid0(VALU_DEP_1) | instskip(SKIP_2) | instid1(VALU_DEP_3)
	v_dual_cndmask_b32 v35, v35, v33 :: v_dual_and_b32 v36, 0xff00ffff, v36
	v_cmp_gt_u32_e32 vcc_lo, s19, v37
	v_or_b32_e32 v37, 7, v55
	v_cndmask_b32_e64 v35, v35, v33, s2
	s_delay_alu instid0(VALU_DEP_1) | instskip(NEXT) | instid1(VALU_DEP_1)
	v_dual_cndmask_b32 v36, v36, v34 :: v_dual_cndmask_b32 v35, v35, v33
	v_and_b32_e32 v36, 0xffffff, v36
	s_delay_alu instid0(VALU_DEP_4) | instskip(NEXT) | instid1(VALU_DEP_2)
	v_cmp_gt_u32_e32 vcc_lo, s19, v37
	v_dual_cndmask_b32 v34, v36, v34 :: v_dual_cndmask_b32 v33, v35, v33
.LBB394_95:
	s_delay_alu instid0(VALU_DEP_1) | instskip(SKIP_1) | instid1(VALU_DEP_2)
	v_and_b32_e32 v44, 0xff, v33
	s_waitcnt vmcnt(0) lgkmcnt(0)
	v_alignbit_b32 v35, v34, v33, 24
	v_bfe_u32 v46, v33, 8, 8
	v_bfe_u32 v48, v33, 16, 8
	v_and_b32_e32 v52, 0xff, v34
	v_bfe_u32 v54, v34, 8, 8
	v_and_b32_e32 v50, 0xff, v35
	v_add_nc_u32_e32 v35, v46, v44
	v_mbcnt_lo_u32_b32 v58, -1, 0
	v_bfe_u32 v57, v34, 16, 8
	v_lshrrev_b32_e32 v56, 24, v34
	v_lshrrev_b32_e32 v59, 5, v0
	v_add3_u32 v35, v35, v48, v50
	v_and_b32_e32 v36, 15, v58
	v_and_b32_e32 v37, 16, v58
	s_and_b32 vcc_lo, exec_lo, s8
	s_mov_b32 s9, -1
	v_add3_u32 v35, v35, v52, v54
	v_cmp_eq_u32_e64 s4, 0, v36
	v_cmp_lt_u32_e64 s2, 1, v36
	v_cmp_lt_u32_e64 s5, 3, v36
	v_cmp_lt_u32_e64 s3, 7, v36
	v_add3_u32 v60, v35, v57, v56
	v_or_b32_e32 v35, 31, v0
	v_cmp_eq_u32_e64 s7, 0, v37
	s_barrier
	buffer_gl0_inv
	v_cmp_eq_u32_e64 s6, v35, v0
	s_cbranch_vccz .LBB394_126
; %bb.96:
	v_mov_b32_dpp v35, v60 row_shr:1 row_mask:0xf bank_mask:0xf
	s_delay_alu instid0(VALU_DEP_1) | instskip(NEXT) | instid1(VALU_DEP_1)
	v_cndmask_b32_e64 v35, v35, 0, s4
	v_add_nc_u32_e32 v35, v35, v60
	s_delay_alu instid0(VALU_DEP_1) | instskip(NEXT) | instid1(VALU_DEP_1)
	v_mov_b32_dpp v36, v35 row_shr:2 row_mask:0xf bank_mask:0xf
	v_cndmask_b32_e64 v36, 0, v36, s2
	s_delay_alu instid0(VALU_DEP_1) | instskip(NEXT) | instid1(VALU_DEP_1)
	v_add_nc_u32_e32 v35, v35, v36
	v_mov_b32_dpp v36, v35 row_shr:4 row_mask:0xf bank_mask:0xf
	s_delay_alu instid0(VALU_DEP_1) | instskip(NEXT) | instid1(VALU_DEP_1)
	v_cndmask_b32_e64 v36, 0, v36, s5
	v_add_nc_u32_e32 v35, v35, v36
	s_delay_alu instid0(VALU_DEP_1) | instskip(NEXT) | instid1(VALU_DEP_1)
	v_mov_b32_dpp v36, v35 row_shr:8 row_mask:0xf bank_mask:0xf
	v_cndmask_b32_e64 v36, 0, v36, s3
	s_delay_alu instid0(VALU_DEP_1) | instskip(SKIP_3) | instid1(VALU_DEP_1)
	v_add_nc_u32_e32 v35, v35, v36
	ds_swizzle_b32 v36, v35 offset:swizzle(BROADCAST,32,15)
	s_waitcnt lgkmcnt(0)
	v_cndmask_b32_e64 v36, v36, 0, s7
	v_add_nc_u32_e32 v35, v35, v36
	s_and_saveexec_b32 s8, s6
	s_cbranch_execz .LBB394_98
; %bb.97:
	v_lshlrev_b32_e32 v36, 2, v59
	ds_store_b32 v36, v35
.LBB394_98:
	s_or_b32 exec_lo, exec_lo, s8
	s_delay_alu instid0(SALU_CYCLE_1)
	s_mov_b32 s8, exec_lo
	s_waitcnt lgkmcnt(0)
	s_barrier
	buffer_gl0_inv
	v_cmpx_gt_u32_e32 16, v0
	s_cbranch_execz .LBB394_100
; %bb.99:
	v_lshlrev_b32_e32 v36, 2, v0
	ds_load_b32 v37, v36
	s_waitcnt lgkmcnt(0)
	v_mov_b32_dpp v38, v37 row_shr:1 row_mask:0xf bank_mask:0xf
	s_delay_alu instid0(VALU_DEP_1) | instskip(NEXT) | instid1(VALU_DEP_1)
	v_cndmask_b32_e64 v38, v38, 0, s4
	v_add_nc_u32_e32 v37, v38, v37
	s_delay_alu instid0(VALU_DEP_1) | instskip(NEXT) | instid1(VALU_DEP_1)
	v_mov_b32_dpp v38, v37 row_shr:2 row_mask:0xf bank_mask:0xf
	v_cndmask_b32_e64 v38, 0, v38, s2
	s_delay_alu instid0(VALU_DEP_1) | instskip(NEXT) | instid1(VALU_DEP_1)
	v_add_nc_u32_e32 v37, v37, v38
	v_mov_b32_dpp v38, v37 row_shr:4 row_mask:0xf bank_mask:0xf
	s_delay_alu instid0(VALU_DEP_1) | instskip(NEXT) | instid1(VALU_DEP_1)
	v_cndmask_b32_e64 v38, 0, v38, s5
	v_add_nc_u32_e32 v37, v37, v38
	s_delay_alu instid0(VALU_DEP_1) | instskip(NEXT) | instid1(VALU_DEP_1)
	v_mov_b32_dpp v38, v37 row_shr:8 row_mask:0xf bank_mask:0xf
	v_cndmask_b32_e64 v38, 0, v38, s3
	s_delay_alu instid0(VALU_DEP_1)
	v_add_nc_u32_e32 v37, v37, v38
	ds_store_b32 v36, v37
.LBB394_100:
	s_or_b32 exec_lo, exec_lo, s8
	v_cmp_gt_u32_e32 vcc_lo, 32, v0
	s_mov_b32 s9, exec_lo
	s_waitcnt lgkmcnt(0)
	s_barrier
	buffer_gl0_inv
                                        ; implicit-def: $vgpr43
	v_cmpx_lt_u32_e32 31, v0
	s_cbranch_execz .LBB394_102
; %bb.101:
	v_lshl_add_u32 v36, v59, 2, -4
	ds_load_b32 v43, v36
	s_waitcnt lgkmcnt(0)
	v_add_nc_u32_e32 v35, v43, v35
.LBB394_102:
	s_or_b32 exec_lo, exec_lo, s9
	v_add_nc_u32_e32 v36, -1, v58
	s_delay_alu instid0(VALU_DEP_1) | instskip(NEXT) | instid1(VALU_DEP_1)
	v_cmp_gt_i32_e64 s8, 0, v36
	v_cndmask_b32_e64 v36, v36, v58, s8
	v_cmp_eq_u32_e64 s8, 0, v58
	s_delay_alu instid0(VALU_DEP_2)
	v_lshlrev_b32_e32 v36, 2, v36
	ds_bpermute_b32 v45, v36, v35
	s_and_saveexec_b32 s9, vcc_lo
	s_cbranch_execz .LBB394_125
; %bb.103:
	v_mov_b32_e32 v39, 0
	ds_load_b32 v35, v39 offset:60
	s_and_saveexec_b32 s19, s8
	s_cbranch_execz .LBB394_105
; %bb.104:
	s_add_i32 s20, s15, 32
	s_mov_b32 s21, 0
	v_mov_b32_e32 v36, 1
	s_lshl_b64 s[20:21], s[20:21], 3
	s_delay_alu instid0(SALU_CYCLE_1)
	s_add_u32 s20, s12, s20
	s_addc_u32 s21, s13, s21
	s_waitcnt lgkmcnt(0)
	global_store_b64 v39, v[35:36], s[20:21]
.LBB394_105:
	s_or_b32 exec_lo, exec_lo, s19
	v_xad_u32 v37, v58, -1, s15
	s_mov_b32 s20, 0
	s_mov_b32 s19, exec_lo
	s_delay_alu instid0(VALU_DEP_1) | instskip(NEXT) | instid1(VALU_DEP_1)
	v_add_nc_u32_e32 v38, 32, v37
	v_lshlrev_b64 v[38:39], 3, v[38:39]
	s_delay_alu instid0(VALU_DEP_1) | instskip(NEXT) | instid1(VALU_DEP_2)
	v_add_co_u32 v41, vcc_lo, s12, v38
	v_add_co_ci_u32_e32 v42, vcc_lo, s13, v39, vcc_lo
	global_load_b64 v[39:40], v[41:42], off glc
	s_waitcnt vmcnt(0)
	v_and_b32_e32 v36, 0xff, v40
	s_delay_alu instid0(VALU_DEP_1)
	v_cmpx_eq_u16_e32 0, v36
	s_cbranch_execz .LBB394_111
; %bb.106:
	s_mov_b32 s21, 1
	.p2align	6
.LBB394_107:                            ; =>This Loop Header: Depth=1
                                        ;     Child Loop BB394_108 Depth 2
	s_delay_alu instid0(SALU_CYCLE_1)
	s_max_u32 s22, s21, 1
.LBB394_108:                            ;   Parent Loop BB394_107 Depth=1
                                        ; =>  This Inner Loop Header: Depth=2
	s_delay_alu instid0(SALU_CYCLE_1)
	s_add_i32 s22, s22, -1
	s_sleep 1
	s_cmp_eq_u32 s22, 0
	s_cbranch_scc0 .LBB394_108
; %bb.109:                              ;   in Loop: Header=BB394_107 Depth=1
	global_load_b64 v[39:40], v[41:42], off glc
	s_cmp_lt_u32 s21, 32
	s_cselect_b32 s22, -1, 0
	s_delay_alu instid0(SALU_CYCLE_1) | instskip(SKIP_3) | instid1(VALU_DEP_1)
	s_cmp_lg_u32 s22, 0
	s_addc_u32 s21, s21, 0
	s_waitcnt vmcnt(0)
	v_and_b32_e32 v36, 0xff, v40
	v_cmp_ne_u16_e32 vcc_lo, 0, v36
	s_or_b32 s20, vcc_lo, s20
	s_delay_alu instid0(SALU_CYCLE_1)
	s_and_not1_b32 exec_lo, exec_lo, s20
	s_cbranch_execnz .LBB394_107
; %bb.110:
	s_or_b32 exec_lo, exec_lo, s20
.LBB394_111:
	s_delay_alu instid0(SALU_CYCLE_1)
	s_or_b32 exec_lo, exec_lo, s19
	v_cmp_ne_u32_e32 vcc_lo, 31, v58
	v_lshlrev_b32_e64 v49, v58, -1
	v_add_nc_u32_e32 v53, 2, v58
	v_add_nc_u32_e32 v66, 16, v58
	v_add_co_ci_u32_e32 v36, vcc_lo, 0, v58, vcc_lo
	s_delay_alu instid0(VALU_DEP_1)
	v_lshlrev_b32_e32 v47, 2, v36
	v_and_b32_e32 v36, 0xff, v40
	ds_bpermute_b32 v38, v47, v39
	v_cmp_eq_u16_e32 vcc_lo, 2, v36
	v_and_or_b32 v36, vcc_lo, v49, 0x80000000
	v_cmp_gt_u32_e32 vcc_lo, 30, v58
	s_delay_alu instid0(VALU_DEP_2) | instskip(SKIP_1) | instid1(VALU_DEP_2)
	v_ctz_i32_b32_e32 v36, v36
	v_cndmask_b32_e64 v41, 0, 1, vcc_lo
	v_cmp_lt_u32_e32 vcc_lo, v58, v36
	s_waitcnt lgkmcnt(0)
	s_delay_alu instid0(VALU_DEP_2) | instskip(NEXT) | instid1(VALU_DEP_1)
	v_dual_cndmask_b32 v38, 0, v38 :: v_dual_lshlrev_b32 v41, 1, v41
	v_add_lshl_u32 v51, v41, v58, 2
	v_cmp_gt_u32_e32 vcc_lo, 28, v58
	s_delay_alu instid0(VALU_DEP_3) | instskip(SKIP_4) | instid1(VALU_DEP_1)
	v_add_nc_u32_e32 v38, v38, v39
	v_cndmask_b32_e64 v41, 0, 1, vcc_lo
	v_cmp_le_u32_e32 vcc_lo, v53, v36
	ds_bpermute_b32 v39, v51, v38
	v_lshlrev_b32_e32 v41, 2, v41
	v_add_lshl_u32 v61, v41, v58, 2
	s_waitcnt lgkmcnt(0)
	v_cndmask_b32_e32 v39, 0, v39, vcc_lo
	v_cmp_gt_u32_e32 vcc_lo, 24, v58
	s_delay_alu instid0(VALU_DEP_2) | instskip(SKIP_4) | instid1(VALU_DEP_2)
	v_add_nc_u32_e32 v38, v38, v39
	v_cndmask_b32_e64 v41, 0, 1, vcc_lo
	ds_bpermute_b32 v39, v61, v38
	v_add_nc_u32_e32 v62, 4, v58
	v_lshlrev_b32_e32 v41, 3, v41
	v_cmp_le_u32_e32 vcc_lo, v62, v36
	s_delay_alu instid0(VALU_DEP_2) | instskip(SKIP_3) | instid1(VALU_DEP_2)
	v_add_lshl_u32 v63, v41, v58, 2
	s_waitcnt lgkmcnt(0)
	v_cndmask_b32_e32 v39, 0, v39, vcc_lo
	v_cmp_gt_u32_e32 vcc_lo, 16, v58
	v_add_nc_u32_e32 v38, v38, v39
	v_cndmask_b32_e64 v41, 0, 1, vcc_lo
	ds_bpermute_b32 v39, v63, v38
	v_add_nc_u32_e32 v64, 8, v58
	v_lshlrev_b32_e32 v41, 4, v41
	s_delay_alu instid0(VALU_DEP_2) | instskip(NEXT) | instid1(VALU_DEP_2)
	v_cmp_le_u32_e32 vcc_lo, v64, v36
	v_add_lshl_u32 v65, v41, v58, 2
	s_waitcnt lgkmcnt(0)
	v_cndmask_b32_e32 v39, 0, v39, vcc_lo
	v_cmp_le_u32_e32 vcc_lo, v66, v36
	s_delay_alu instid0(VALU_DEP_2) | instskip(SKIP_3) | instid1(VALU_DEP_1)
	v_add_nc_u32_e32 v38, v38, v39
	ds_bpermute_b32 v39, v65, v38
	s_waitcnt lgkmcnt(0)
	v_cndmask_b32_e32 v36, 0, v39, vcc_lo
	v_dual_mov_b32 v38, 0 :: v_dual_add_nc_u32 v39, v38, v36
	s_branch .LBB394_113
.LBB394_112:                            ;   in Loop: Header=BB394_113 Depth=1
	s_or_b32 exec_lo, exec_lo, s19
	ds_bpermute_b32 v42, v47, v39
	v_and_b32_e32 v41, 0xff, v40
	v_subrev_nc_u32_e32 v37, 32, v37
	s_delay_alu instid0(VALU_DEP_2) | instskip(SKIP_1) | instid1(VALU_DEP_1)
	v_cmp_eq_u16_e32 vcc_lo, 2, v41
	v_and_or_b32 v41, vcc_lo, v49, 0x80000000
	v_ctz_i32_b32_e32 v41, v41
	s_delay_alu instid0(VALU_DEP_1) | instskip(SKIP_3) | instid1(VALU_DEP_2)
	v_cmp_lt_u32_e32 vcc_lo, v58, v41
	s_waitcnt lgkmcnt(0)
	v_cndmask_b32_e32 v42, 0, v42, vcc_lo
	v_cmp_le_u32_e32 vcc_lo, v53, v41
	v_add_nc_u32_e32 v39, v42, v39
	ds_bpermute_b32 v42, v51, v39
	s_waitcnt lgkmcnt(0)
	v_cndmask_b32_e32 v42, 0, v42, vcc_lo
	v_cmp_le_u32_e32 vcc_lo, v62, v41
	s_delay_alu instid0(VALU_DEP_2) | instskip(SKIP_4) | instid1(VALU_DEP_2)
	v_add_nc_u32_e32 v39, v39, v42
	ds_bpermute_b32 v42, v61, v39
	s_waitcnt lgkmcnt(0)
	v_cndmask_b32_e32 v42, 0, v42, vcc_lo
	v_cmp_le_u32_e32 vcc_lo, v64, v41
	v_add_nc_u32_e32 v39, v39, v42
	ds_bpermute_b32 v42, v63, v39
	s_waitcnt lgkmcnt(0)
	v_cndmask_b32_e32 v42, 0, v42, vcc_lo
	v_cmp_le_u32_e32 vcc_lo, v66, v41
	s_delay_alu instid0(VALU_DEP_2) | instskip(SKIP_3) | instid1(VALU_DEP_1)
	v_add_nc_u32_e32 v39, v39, v42
	ds_bpermute_b32 v42, v65, v39
	s_waitcnt lgkmcnt(0)
	v_cndmask_b32_e32 v41, 0, v42, vcc_lo
	v_add3_u32 v39, v41, v36, v39
.LBB394_113:                            ; =>This Loop Header: Depth=1
                                        ;     Child Loop BB394_116 Depth 2
                                        ;       Child Loop BB394_117 Depth 3
	v_and_b32_e32 v36, 0xff, v40
	s_delay_alu instid0(VALU_DEP_1) | instskip(SKIP_2) | instid1(VALU_DEP_1)
	v_cmp_ne_u16_e32 vcc_lo, 2, v36
	v_cndmask_b32_e64 v36, 0, 1, vcc_lo
	;;#ASMSTART
	;;#ASMEND
	v_cmp_ne_u32_e32 vcc_lo, 0, v36
	v_mov_b32_e32 v36, v39
	s_cmp_lg_u32 vcc_lo, exec_lo
	s_cbranch_scc1 .LBB394_120
; %bb.114:                              ;   in Loop: Header=BB394_113 Depth=1
	v_lshlrev_b64 v[39:40], 3, v[37:38]
	s_mov_b32 s19, exec_lo
	s_delay_alu instid0(VALU_DEP_1) | instskip(NEXT) | instid1(VALU_DEP_2)
	v_add_co_u32 v41, vcc_lo, s12, v39
	v_add_co_ci_u32_e32 v42, vcc_lo, s13, v40, vcc_lo
	global_load_b64 v[39:40], v[41:42], off glc
	s_waitcnt vmcnt(0)
	v_and_b32_e32 v67, 0xff, v40
	s_delay_alu instid0(VALU_DEP_1)
	v_cmpx_eq_u16_e32 0, v67
	s_cbranch_execz .LBB394_112
; %bb.115:                              ;   in Loop: Header=BB394_113 Depth=1
	s_mov_b32 s21, 1
	s_mov_b32 s20, 0
	.p2align	6
.LBB394_116:                            ;   Parent Loop BB394_113 Depth=1
                                        ; =>  This Loop Header: Depth=2
                                        ;       Child Loop BB394_117 Depth 3
	s_max_u32 s22, s21, 1
.LBB394_117:                            ;   Parent Loop BB394_113 Depth=1
                                        ;     Parent Loop BB394_116 Depth=2
                                        ; =>    This Inner Loop Header: Depth=3
	s_delay_alu instid0(SALU_CYCLE_1)
	s_add_i32 s22, s22, -1
	s_sleep 1
	s_cmp_eq_u32 s22, 0
	s_cbranch_scc0 .LBB394_117
; %bb.118:                              ;   in Loop: Header=BB394_116 Depth=2
	global_load_b64 v[39:40], v[41:42], off glc
	s_cmp_lt_u32 s21, 32
	s_cselect_b32 s22, -1, 0
	s_delay_alu instid0(SALU_CYCLE_1) | instskip(SKIP_3) | instid1(VALU_DEP_1)
	s_cmp_lg_u32 s22, 0
	s_addc_u32 s21, s21, 0
	s_waitcnt vmcnt(0)
	v_and_b32_e32 v67, 0xff, v40
	v_cmp_ne_u16_e32 vcc_lo, 0, v67
	s_or_b32 s20, vcc_lo, s20
	s_delay_alu instid0(SALU_CYCLE_1)
	s_and_not1_b32 exec_lo, exec_lo, s20
	s_cbranch_execnz .LBB394_116
; %bb.119:                              ;   in Loop: Header=BB394_113 Depth=1
	s_or_b32 exec_lo, exec_lo, s20
	s_branch .LBB394_112
.LBB394_120:                            ;   in Loop: Header=BB394_113 Depth=1
                                        ; implicit-def: $vgpr39
                                        ; implicit-def: $vgpr40
	s_cbranch_execz .LBB394_113
; %bb.121:
	s_and_saveexec_b32 s19, s8
	s_cbranch_execz .LBB394_123
; %bb.122:
	s_add_i32 s20, s15, 32
	s_mov_b32 s21, 0
	v_dual_mov_b32 v38, 2 :: v_dual_add_nc_u32 v37, v36, v35
	s_lshl_b64 s[20:21], s[20:21], 3
	v_mov_b32_e32 v39, 0
	s_add_u32 s20, s12, s20
	s_addc_u32 s21, s13, s21
	global_store_b64 v39, v[37:38], s[20:21]
	ds_store_b64 v39, v[35:36] offset:33792
.LBB394_123:
	s_or_b32 exec_lo, exec_lo, s19
	v_cmp_eq_u32_e32 vcc_lo, 0, v0
	s_and_b32 exec_lo, exec_lo, vcc_lo
	s_cbranch_execz .LBB394_125
; %bb.124:
	v_mov_b32_e32 v35, 0
	ds_store_b32 v35, v36 offset:60
.LBB394_125:
	s_or_b32 exec_lo, exec_lo, s9
	v_mov_b32_e32 v35, 0
	s_waitcnt lgkmcnt(0)
	s_waitcnt_vscnt null, 0x0
	s_barrier
	buffer_gl0_inv
	v_cndmask_b32_e64 v37, v45, v43, s8
	ds_load_b32 v36, v35 offset:60
	v_cmp_ne_u32_e32 vcc_lo, 0, v0
	s_waitcnt lgkmcnt(0)
	s_barrier
	buffer_gl0_inv
	v_cndmask_b32_e32 v37, 0, v37, vcc_lo
	s_delay_alu instid0(VALU_DEP_1) | instskip(SKIP_2) | instid1(VALU_DEP_1)
	v_add_nc_u32_e32 v53, v36, v37
	ds_load_b64 v[35:36], v35 offset:33792
	v_add_nc_u32_e32 v51, v53, v44
	v_add_nc_u32_e32 v49, v51, v46
	s_delay_alu instid0(VALU_DEP_1) | instskip(NEXT) | instid1(VALU_DEP_1)
	v_add_nc_u32_e32 v47, v49, v48
	v_add_nc_u32_e32 v45, v47, v50
	s_waitcnt lgkmcnt(0)
	v_readfirstlane_b32 s8, v36
	s_delay_alu instid0(VALU_DEP_2) | instskip(NEXT) | instid1(VALU_DEP_1)
	v_add_nc_u32_e32 v43, v45, v52
	v_add_nc_u32_e32 v41, v43, v54
	s_delay_alu instid0(VALU_DEP_1)
	v_add_nc_u32_e32 v39, v41, v57
	v_lshrrev_b64 v[37:38], 24, v[33:34]
	s_branch .LBB394_136
.LBB394_126:
                                        ; implicit-def: $vgpr39
                                        ; implicit-def: $vgpr41
                                        ; implicit-def: $vgpr43
                                        ; implicit-def: $vgpr45
                                        ; implicit-def: $vgpr47
                                        ; implicit-def: $vgpr49
                                        ; implicit-def: $vgpr51
                                        ; implicit-def: $vgpr53
                                        ; implicit-def: $sgpr8
                                        ; implicit-def: $vgpr35
	v_lshrrev_b64 v[37:38], 24, v[33:34]
	s_and_b32 vcc_lo, exec_lo, s9
	s_cbranch_vccz .LBB394_136
; %bb.127:
	v_mov_b32_dpp v35, v60 row_shr:1 row_mask:0xf bank_mask:0xf
	s_delay_alu instid0(VALU_DEP_1) | instskip(NEXT) | instid1(VALU_DEP_1)
	v_cndmask_b32_e64 v35, v35, 0, s4
	v_add_nc_u32_e32 v35, v35, v60
	s_delay_alu instid0(VALU_DEP_1) | instskip(NEXT) | instid1(VALU_DEP_1)
	v_mov_b32_dpp v36, v35 row_shr:2 row_mask:0xf bank_mask:0xf
	v_cndmask_b32_e64 v36, 0, v36, s2
	s_delay_alu instid0(VALU_DEP_1) | instskip(NEXT) | instid1(VALU_DEP_1)
	v_add_nc_u32_e32 v35, v35, v36
	v_mov_b32_dpp v36, v35 row_shr:4 row_mask:0xf bank_mask:0xf
	s_delay_alu instid0(VALU_DEP_1) | instskip(NEXT) | instid1(VALU_DEP_1)
	v_cndmask_b32_e64 v36, 0, v36, s5
	v_add_nc_u32_e32 v35, v35, v36
	s_delay_alu instid0(VALU_DEP_1) | instskip(NEXT) | instid1(VALU_DEP_1)
	v_mov_b32_dpp v36, v35 row_shr:8 row_mask:0xf bank_mask:0xf
	v_cndmask_b32_e64 v36, 0, v36, s3
	s_delay_alu instid0(VALU_DEP_1) | instskip(SKIP_3) | instid1(VALU_DEP_1)
	v_add_nc_u32_e32 v35, v35, v36
	ds_swizzle_b32 v36, v35 offset:swizzle(BROADCAST,32,15)
	s_waitcnt lgkmcnt(0)
	v_cndmask_b32_e64 v36, v36, 0, s7
	v_add_nc_u32_e32 v35, v35, v36
	s_and_saveexec_b32 s7, s6
	s_cbranch_execz .LBB394_129
; %bb.128:
	v_lshlrev_b32_e32 v36, 2, v59
	ds_store_b32 v36, v35
.LBB394_129:
	s_or_b32 exec_lo, exec_lo, s7
	s_delay_alu instid0(SALU_CYCLE_1)
	s_mov_b32 s6, exec_lo
	s_waitcnt lgkmcnt(0)
	s_barrier
	buffer_gl0_inv
	v_cmpx_gt_u32_e32 16, v0
	s_cbranch_execz .LBB394_131
; %bb.130:
	v_lshlrev_b32_e32 v36, 2, v0
	ds_load_b32 v38, v36
	s_waitcnt lgkmcnt(0)
	v_mov_b32_dpp v39, v38 row_shr:1 row_mask:0xf bank_mask:0xf
	s_delay_alu instid0(VALU_DEP_1) | instskip(NEXT) | instid1(VALU_DEP_1)
	v_cndmask_b32_e64 v39, v39, 0, s4
	v_add_nc_u32_e32 v38, v39, v38
	s_delay_alu instid0(VALU_DEP_1) | instskip(NEXT) | instid1(VALU_DEP_1)
	v_mov_b32_dpp v39, v38 row_shr:2 row_mask:0xf bank_mask:0xf
	v_cndmask_b32_e64 v39, 0, v39, s2
	s_delay_alu instid0(VALU_DEP_1) | instskip(NEXT) | instid1(VALU_DEP_1)
	v_add_nc_u32_e32 v38, v38, v39
	v_mov_b32_dpp v39, v38 row_shr:4 row_mask:0xf bank_mask:0xf
	s_delay_alu instid0(VALU_DEP_1) | instskip(NEXT) | instid1(VALU_DEP_1)
	v_cndmask_b32_e64 v39, 0, v39, s5
	v_add_nc_u32_e32 v38, v38, v39
	s_delay_alu instid0(VALU_DEP_1) | instskip(NEXT) | instid1(VALU_DEP_1)
	v_mov_b32_dpp v39, v38 row_shr:8 row_mask:0xf bank_mask:0xf
	v_cndmask_b32_e64 v39, 0, v39, s3
	s_delay_alu instid0(VALU_DEP_1)
	v_add_nc_u32_e32 v38, v38, v39
	ds_store_b32 v36, v38
.LBB394_131:
	s_or_b32 exec_lo, exec_lo, s6
	v_mov_b32_e32 v36, 0
	v_mov_b32_e32 v38, 0
	s_mov_b32 s2, exec_lo
	s_waitcnt lgkmcnt(0)
	s_barrier
	buffer_gl0_inv
	v_cmpx_lt_u32_e32 31, v0
	s_cbranch_execz .LBB394_133
; %bb.132:
	v_lshl_add_u32 v38, v59, 2, -4
	ds_load_b32 v38, v38
.LBB394_133:
	s_or_b32 exec_lo, exec_lo, s2
	v_add_nc_u32_e32 v39, -1, v58
	s_waitcnt lgkmcnt(0)
	v_add_nc_u32_e32 v35, v38, v35
	s_mov_b32 s8, 0
	s_delay_alu instid0(VALU_DEP_2) | instskip(SKIP_2) | instid1(VALU_DEP_2)
	v_cmp_gt_i32_e32 vcc_lo, 0, v39
	v_cndmask_b32_e32 v39, v39, v58, vcc_lo
	v_cmp_eq_u32_e32 vcc_lo, 0, v0
	v_lshlrev_b32_e32 v39, 2, v39
	ds_bpermute_b32 v39, v39, v35
	ds_load_b32 v35, v36 offset:60
	s_and_saveexec_b32 s2, vcc_lo
	s_cbranch_execz .LBB394_135
; %bb.134:
	v_mov_b32_e32 v40, 0
	v_mov_b32_e32 v36, 2
	s_waitcnt lgkmcnt(0)
	global_store_b64 v40, v[35:36], s[12:13] offset:256
.LBB394_135:
	s_or_b32 exec_lo, exec_lo, s2
	v_cmp_eq_u32_e64 s2, 0, v58
	s_waitcnt lgkmcnt(0)
	s_waitcnt_vscnt null, 0x0
	s_barrier
	buffer_gl0_inv
	v_cndmask_b32_e64 v36, v39, v38, s2
	s_delay_alu instid0(VALU_DEP_1) | instskip(NEXT) | instid1(VALU_DEP_1)
	v_cndmask_b32_e64 v53, v36, 0, vcc_lo
	v_add_nc_u32_e32 v51, v53, v44
	s_delay_alu instid0(VALU_DEP_1) | instskip(NEXT) | instid1(VALU_DEP_1)
	v_add_nc_u32_e32 v49, v51, v46
	v_add_nc_u32_e32 v47, v49, v48
	s_delay_alu instid0(VALU_DEP_1) | instskip(NEXT) | instid1(VALU_DEP_1)
	v_add_nc_u32_e32 v45, v47, v50
	;; [unrolled: 3-line block ×3, first 2 shown]
	v_add_nc_u32_e32 v39, v41, v57
.LBB394_136:
	s_load_b128 s[4:7], s[0:1], 0x28
	v_add_nc_u32_e32 v59, s8, v35
	v_cmp_gt_u32_e64 s0, 0x201, v35
	v_lshrrev_b32_e32 v58, 8, v33
	v_lshrrev_b32_e32 v57, 16, v33
	;; [unrolled: 1-line block ×4, first 2 shown]
	v_cmp_lt_u32_e64 s1, v53, v59
	s_and_b32 vcc_lo, exec_lo, s0
	s_mov_b32 s2, -1
	s_cbranch_vccz .LBB394_162
; %bb.137:
	s_lshl_b64 s[2:3], s[10:11], 3
	s_waitcnt lgkmcnt(0)
	s_add_u32 s2, s4, s2
	s_addc_u32 s3, s5, s3
	s_or_b32 s9, s18, s1
	s_delay_alu instid0(SALU_CYCLE_1)
	s_and_saveexec_b32 s1, s9
	s_cbranch_execz .LBB394_140
; %bb.138:
	v_and_b32_e32 v40, 1, v33
	s_delay_alu instid0(VALU_DEP_1)
	v_cmp_eq_u32_e32 vcc_lo, 1, v40
	s_and_b32 exec_lo, exec_lo, vcc_lo
	s_cbranch_execz .LBB394_140
; %bb.139:
	v_mov_b32_e32 v54, 0
	s_delay_alu instid0(VALU_DEP_1) | instskip(NEXT) | instid1(VALU_DEP_1)
	v_lshlrev_b64 v[60:61], 3, v[53:54]
	v_add_co_u32 v60, vcc_lo, s2, v60
	s_delay_alu instid0(VALU_DEP_2)
	v_add_co_ci_u32_e32 v61, vcc_lo, s3, v61, vcc_lo
	global_store_b64 v[60:61], v[29:30], off
.LBB394_140:
	s_or_b32 exec_lo, exec_lo, s1
	v_cmp_lt_u32_e32 vcc_lo, v51, v59
	s_or_b32 s9, s18, vcc_lo
	s_delay_alu instid0(SALU_CYCLE_1)
	s_and_saveexec_b32 s1, s9
	s_cbranch_execz .LBB394_143
; %bb.141:
	v_and_b32_e32 v40, 1, v58
	s_delay_alu instid0(VALU_DEP_1)
	v_cmp_eq_u32_e32 vcc_lo, 1, v40
	s_and_b32 exec_lo, exec_lo, vcc_lo
	s_cbranch_execz .LBB394_143
; %bb.142:
	v_mov_b32_e32 v52, 0
	s_delay_alu instid0(VALU_DEP_1) | instskip(NEXT) | instid1(VALU_DEP_1)
	v_lshlrev_b64 v[60:61], 3, v[51:52]
	v_add_co_u32 v60, vcc_lo, s2, v60
	s_delay_alu instid0(VALU_DEP_2)
	v_add_co_ci_u32_e32 v61, vcc_lo, s3, v61, vcc_lo
	global_store_b64 v[60:61], v[31:32], off
.LBB394_143:
	s_or_b32 exec_lo, exec_lo, s1
	v_cmp_lt_u32_e32 vcc_lo, v49, v59
	s_or_b32 s9, s18, vcc_lo
	;; [unrolled: 21-line block ×7, first 2 shown]
	s_delay_alu instid0(SALU_CYCLE_1)
	s_and_saveexec_b32 s1, s9
	s_cbranch_execz .LBB394_161
; %bb.159:
	v_and_b32_e32 v40, 1, v56
	s_delay_alu instid0(VALU_DEP_1)
	v_cmp_eq_u32_e32 vcc_lo, 1, v40
	s_and_b32 exec_lo, exec_lo, vcc_lo
	s_cbranch_execz .LBB394_161
; %bb.160:
	v_mov_b32_e32 v40, 0
	s_delay_alu instid0(VALU_DEP_1) | instskip(NEXT) | instid1(VALU_DEP_1)
	v_lshlrev_b64 v[60:61], 3, v[39:40]
	v_add_co_u32 v60, vcc_lo, s2, v60
	s_delay_alu instid0(VALU_DEP_2)
	v_add_co_ci_u32_e32 v61, vcc_lo, s3, v61, vcc_lo
	global_store_b64 v[60:61], v[19:20], off
.LBB394_161:
	s_or_b32 exec_lo, exec_lo, s1
	s_mov_b32 s2, 0
.LBB394_162:
	v_and_b32_e32 v33, 1, v33
	s_and_b32 vcc_lo, exec_lo, s2
	s_delay_alu instid0(VALU_DEP_1)
	v_cmp_eq_u32_e64 s1, 1, v33
	s_cbranch_vccz .LBB394_183
; %bb.163:
	s_delay_alu instid0(VALU_DEP_1)
	s_and_saveexec_b32 s2, s1
	s_cbranch_execz .LBB394_165
; %bb.164:
	v_subrev_nc_u32_e32 v40, s8, v53
	s_delay_alu instid0(VALU_DEP_1)
	v_lshlrev_b32_e32 v40, 3, v40
	ds_store_b64 v40, v[29:30]
.LBB394_165:
	s_or_b32 exec_lo, exec_lo, s2
	v_and_b32_e32 v29, 1, v58
	s_mov_b32 s1, exec_lo
	s_delay_alu instid0(VALU_DEP_1)
	v_cmpx_eq_u32_e32 1, v29
	s_cbranch_execz .LBB394_167
; %bb.166:
	v_subrev_nc_u32_e32 v29, s8, v51
	s_delay_alu instid0(VALU_DEP_1)
	v_lshlrev_b32_e32 v29, 3, v29
	ds_store_b64 v29, v[31:32]
.LBB394_167:
	s_or_b32 exec_lo, exec_lo, s1
	v_and_b32_e32 v29, 1, v57
	s_mov_b32 s1, exec_lo
	s_delay_alu instid0(VALU_DEP_1)
	v_cmpx_eq_u32_e32 1, v29
	;; [unrolled: 12-line block ×7, first 2 shown]
	s_cbranch_execz .LBB394_179
; %bb.178:
	v_subrev_nc_u32_e32 v17, s8, v39
	s_delay_alu instid0(VALU_DEP_1)
	v_lshlrev_b32_e32 v17, 3, v17
	ds_store_b64 v17, v[19:20]
.LBB394_179:
	s_or_b32 exec_lo, exec_lo, s1
	s_delay_alu instid0(SALU_CYCLE_1)
	s_mov_b32 s2, exec_lo
	s_waitcnt lgkmcnt(0)
	s_waitcnt_vscnt null, 0x0
	s_barrier
	buffer_gl0_inv
	v_cmpx_lt_u32_e64 v0, v35
	s_cbranch_execz .LBB394_182
; %bb.180:
	s_mov_b32 s9, 0
	s_lshl_b64 s[12:13], s[10:11], 3
	s_lshl_b64 s[20:21], s[8:9], 3
	v_dual_mov_b32 v19, v55 :: v_dual_mov_b32 v20, v0
	s_add_u32 s1, s12, s20
	s_addc_u32 s3, s13, s21
	s_add_u32 s1, s4, s1
	s_addc_u32 s3, s5, s3
	v_add_co_u32 v17, s1, s1, v55
	s_delay_alu instid0(VALU_DEP_1)
	v_add_co_ci_u32_e64 v18, null, s3, 0, s1
	.p2align	6
.LBB394_181:                            ; =>This Inner Loop Header: Depth=1
	ds_load_b64 v[21:22], v19
	v_add_nc_u32_e32 v20, 0x200, v20
	v_add_nc_u32_e32 v19, 0x1000, v19
	s_delay_alu instid0(VALU_DEP_2) | instskip(SKIP_4) | instid1(VALU_DEP_1)
	v_cmp_ge_u32_e32 vcc_lo, v20, v35
	s_or_b32 s9, vcc_lo, s9
	s_waitcnt lgkmcnt(0)
	global_store_b64 v[17:18], v[21:22], off
	v_add_co_u32 v17, s1, 0x1000, v17
	v_add_co_ci_u32_e64 v18, s1, 0, v18, s1
	s_and_not1_b32 exec_lo, exec_lo, s9
	s_cbranch_execnz .LBB394_181
.LBB394_182:
	s_or_b32 exec_lo, exec_lo, s2
.LBB394_183:
	s_delay_alu instid0(SALU_CYCLE_1)
	s_and_b32 vcc_lo, exec_lo, s0
	s_mov_b32 s0, -1
	s_waitcnt lgkmcnt(0)
	s_waitcnt_vscnt null, 0x0
	s_barrier
	buffer_gl0_inv
	s_cbranch_vccz .LBB394_211
; %bb.184:
	v_cmp_lt_u32_e32 vcc_lo, v53, v59
	s_lshl_b64 s[0:1], s[10:11], 3
	s_delay_alu instid0(SALU_CYCLE_1) | instskip(SKIP_2) | instid1(SALU_CYCLE_1)
	s_add_u32 s0, s6, s0
	s_addc_u32 s1, s7, s1
	s_or_b32 s3, s18, vcc_lo
	s_and_saveexec_b32 s2, s3
	s_cbranch_execz .LBB394_187
; %bb.185:
	v_cmp_eq_u32_e32 vcc_lo, 1, v33
	s_and_b32 exec_lo, exec_lo, vcc_lo
	s_cbranch_execz .LBB394_187
; %bb.186:
	v_mov_b32_e32 v54, 0
	s_delay_alu instid0(VALU_DEP_1) | instskip(NEXT) | instid1(VALU_DEP_1)
	v_lshlrev_b64 v[17:18], 3, v[53:54]
	v_add_co_u32 v17, vcc_lo, s0, v17
	s_delay_alu instid0(VALU_DEP_2)
	v_add_co_ci_u32_e32 v18, vcc_lo, s1, v18, vcc_lo
	global_store_b64 v[17:18], v[13:14], off
.LBB394_187:
	s_or_b32 exec_lo, exec_lo, s2
	v_cmp_lt_u32_e32 vcc_lo, v51, v59
	s_or_b32 s3, s18, vcc_lo
	s_delay_alu instid0(SALU_CYCLE_1)
	s_and_saveexec_b32 s2, s3
	s_cbranch_execz .LBB394_190
; %bb.188:
	v_and_b32_e32 v17, 1, v58
	s_delay_alu instid0(VALU_DEP_1)
	v_cmp_eq_u32_e32 vcc_lo, 1, v17
	s_and_b32 exec_lo, exec_lo, vcc_lo
	s_cbranch_execz .LBB394_190
; %bb.189:
	v_mov_b32_e32 v52, 0
	s_delay_alu instid0(VALU_DEP_1) | instskip(NEXT) | instid1(VALU_DEP_1)
	v_lshlrev_b64 v[17:18], 3, v[51:52]
	v_add_co_u32 v17, vcc_lo, s0, v17
	s_delay_alu instid0(VALU_DEP_2)
	v_add_co_ci_u32_e32 v18, vcc_lo, s1, v18, vcc_lo
	global_store_b64 v[17:18], v[15:16], off
.LBB394_190:
	s_or_b32 exec_lo, exec_lo, s2
	v_cmp_lt_u32_e32 vcc_lo, v49, v59
	s_or_b32 s3, s18, vcc_lo
	s_delay_alu instid0(SALU_CYCLE_1)
	s_and_saveexec_b32 s2, s3
	s_cbranch_execz .LBB394_193
; %bb.191:
	v_and_b32_e32 v17, 1, v57
	s_delay_alu instid0(VALU_DEP_1)
	v_cmp_eq_u32_e32 vcc_lo, 1, v17
	s_and_b32 exec_lo, exec_lo, vcc_lo
	s_cbranch_execz .LBB394_193
; %bb.192:
	v_mov_b32_e32 v50, 0
	s_delay_alu instid0(VALU_DEP_1) | instskip(NEXT) | instid1(VALU_DEP_1)
	v_lshlrev_b64 v[17:18], 3, v[49:50]
	v_add_co_u32 v17, vcc_lo, s0, v17
	s_delay_alu instid0(VALU_DEP_2)
	v_add_co_ci_u32_e32 v18, vcc_lo, s1, v18, vcc_lo
	global_store_b64 v[17:18], v[9:10], off
.LBB394_193:
	;; [unrolled: 21-line block ×7, first 2 shown]
	s_or_b32 exec_lo, exec_lo, s2
.LBB394_209:
	v_cmp_eq_u32_e32 vcc_lo, 0, v0
	s_and_b32 s0, vcc_lo, s14
	s_delay_alu instid0(SALU_CYCLE_1)
	s_and_saveexec_b32 s1, s0
	s_cbranch_execz .LBB394_232
.LBB394_210:
	v_add_co_u32 v0, s0, s10, v35
	s_delay_alu instid0(VALU_DEP_1) | instskip(SKIP_1) | instid1(VALU_DEP_3)
	v_add_co_ci_u32_e64 v1, null, s11, 0, s0
	v_mov_b32_e32 v2, 0
	v_add_co_u32 v0, vcc_lo, v0, s8
	s_delay_alu instid0(VALU_DEP_3)
	v_add_co_ci_u32_e32 v1, vcc_lo, 0, v1, vcc_lo
	global_store_b64 v2, v[0:1], s[16:17]
	s_nop 0
	s_sendmsg sendmsg(MSG_DEALLOC_VGPRS)
	s_endpgm
.LBB394_211:
	s_and_b32 vcc_lo, exec_lo, s0
	s_cbranch_vccz .LBB394_209
; %bb.212:
	s_mov_b32 s0, exec_lo
	v_cmpx_eq_u32_e32 1, v33
	s_cbranch_execz .LBB394_214
; %bb.213:
	v_subrev_nc_u32_e32 v17, s8, v53
	s_delay_alu instid0(VALU_DEP_1)
	v_lshlrev_b32_e32 v17, 3, v17
	ds_store_b64 v17, v[13:14]
.LBB394_214:
	s_or_b32 exec_lo, exec_lo, s0
	v_and_b32_e32 v13, 1, v58
	s_mov_b32 s0, exec_lo
	s_delay_alu instid0(VALU_DEP_1)
	v_cmpx_eq_u32_e32 1, v13
	s_cbranch_execz .LBB394_216
; %bb.215:
	v_subrev_nc_u32_e32 v13, s8, v51
	s_delay_alu instid0(VALU_DEP_1)
	v_lshlrev_b32_e32 v13, 3, v13
	ds_store_b64 v13, v[15:16]
.LBB394_216:
	s_or_b32 exec_lo, exec_lo, s0
	v_and_b32_e32 v13, 1, v57
	s_mov_b32 s0, exec_lo
	s_delay_alu instid0(VALU_DEP_1)
	;; [unrolled: 12-line block ×7, first 2 shown]
	v_cmpx_eq_u32_e32 1, v1
	s_cbranch_execz .LBB394_228
; %bb.227:
	v_subrev_nc_u32_e32 v1, s8, v39
	s_delay_alu instid0(VALU_DEP_1)
	v_lshlrev_b32_e32 v1, 3, v1
	ds_store_b64 v1, v[3:4]
.LBB394_228:
	s_or_b32 exec_lo, exec_lo, s0
	s_delay_alu instid0(SALU_CYCLE_1)
	s_mov_b32 s1, exec_lo
	s_waitcnt lgkmcnt(0)
	s_waitcnt_vscnt null, 0x0
	s_barrier
	buffer_gl0_inv
	v_cmpx_lt_u32_e64 v0, v35
	s_cbranch_execz .LBB394_231
; %bb.229:
	s_mov_b32 s9, 0
	s_lshl_b64 s[2:3], s[10:11], 3
	s_lshl_b64 s[4:5], s[8:9], 3
	v_mov_b32_e32 v3, v0
	s_add_u32 s0, s2, s4
	s_addc_u32 s2, s3, s5
	s_add_u32 s0, s6, s0
	s_addc_u32 s2, s7, s2
	v_add_co_u32 v1, s0, s0, v55
	s_delay_alu instid0(VALU_DEP_1)
	v_add_co_ci_u32_e64 v2, null, s2, 0, s0
	.p2align	6
.LBB394_230:                            ; =>This Inner Loop Header: Depth=1
	ds_load_b64 v[4:5], v55
	v_add_nc_u32_e32 v3, 0x200, v3
	v_add_nc_u32_e32 v55, 0x1000, v55
	s_delay_alu instid0(VALU_DEP_2) | instskip(SKIP_4) | instid1(VALU_DEP_1)
	v_cmp_ge_u32_e32 vcc_lo, v3, v35
	s_or_b32 s9, vcc_lo, s9
	s_waitcnt lgkmcnt(0)
	global_store_b64 v[1:2], v[4:5], off
	v_add_co_u32 v1, s0, 0x1000, v1
	v_add_co_ci_u32_e64 v2, s0, 0, v2, s0
	s_and_not1_b32 exec_lo, exec_lo, s9
	s_cbranch_execnz .LBB394_230
.LBB394_231:
	s_or_b32 exec_lo, exec_lo, s1
	v_cmp_eq_u32_e32 vcc_lo, 0, v0
	s_and_b32 s0, vcc_lo, s14
	s_delay_alu instid0(SALU_CYCLE_1)
	s_and_saveexec_b32 s1, s0
	s_cbranch_execnz .LBB394_210
.LBB394_232:
	s_nop 0
	s_sendmsg sendmsg(MSG_DEALLOC_VGPRS)
	s_endpgm
	.section	.rodata,"a",@progbits
	.p2align	6, 0x0
	.amdhsa_kernel _ZN7rocprim17ROCPRIM_400000_NS6detail17trampoline_kernelINS0_14default_configENS1_25partition_config_selectorILNS1_17partition_subalgoE9ExxbEEZZNS1_14partition_implILS5_9ELb0ES3_jN6thrust23THRUST_200600_302600_NS6detail15normal_iteratorINS9_10device_ptrIxEEEESE_PNS0_10empty_typeENS0_5tupleIJSE_SF_EEENSH_IJSE_SG_EEENS0_18inequality_wrapperI22is_equal_div_10_uniqueIxEEEPmJSF_EEE10hipError_tPvRmT3_T4_T5_T6_T7_T9_mT8_P12ihipStream_tbDpT10_ENKUlT_T0_E_clISt17integral_constantIbLb1EES17_IbLb0EEEEDaS13_S14_EUlS13_E_NS1_11comp_targetILNS1_3genE9ELNS1_11target_archE1100ELNS1_3gpuE3ELNS1_3repE0EEENS1_30default_config_static_selectorELNS0_4arch9wavefront6targetE0EEEvT1_
		.amdhsa_group_segment_fixed_size 33800
		.amdhsa_private_segment_fixed_size 0
		.amdhsa_kernarg_size 112
		.amdhsa_user_sgpr_count 15
		.amdhsa_user_sgpr_dispatch_ptr 0
		.amdhsa_user_sgpr_queue_ptr 0
		.amdhsa_user_sgpr_kernarg_segment_ptr 1
		.amdhsa_user_sgpr_dispatch_id 0
		.amdhsa_user_sgpr_private_segment_size 0
		.amdhsa_wavefront_size32 1
		.amdhsa_uses_dynamic_stack 0
		.amdhsa_enable_private_segment 0
		.amdhsa_system_sgpr_workgroup_id_x 1
		.amdhsa_system_sgpr_workgroup_id_y 0
		.amdhsa_system_sgpr_workgroup_id_z 0
		.amdhsa_system_sgpr_workgroup_info 0
		.amdhsa_system_vgpr_workitem_id 0
		.amdhsa_next_free_vgpr 68
		.amdhsa_next_free_sgpr 25
		.amdhsa_reserve_vcc 1
		.amdhsa_float_round_mode_32 0
		.amdhsa_float_round_mode_16_64 0
		.amdhsa_float_denorm_mode_32 3
		.amdhsa_float_denorm_mode_16_64 3
		.amdhsa_dx10_clamp 1
		.amdhsa_ieee_mode 1
		.amdhsa_fp16_overflow 0
		.amdhsa_workgroup_processor_mode 1
		.amdhsa_memory_ordered 1
		.amdhsa_forward_progress 0
		.amdhsa_shared_vgpr_count 0
		.amdhsa_exception_fp_ieee_invalid_op 0
		.amdhsa_exception_fp_denorm_src 0
		.amdhsa_exception_fp_ieee_div_zero 0
		.amdhsa_exception_fp_ieee_overflow 0
		.amdhsa_exception_fp_ieee_underflow 0
		.amdhsa_exception_fp_ieee_inexact 0
		.amdhsa_exception_int_div_zero 0
	.end_amdhsa_kernel
	.section	.text._ZN7rocprim17ROCPRIM_400000_NS6detail17trampoline_kernelINS0_14default_configENS1_25partition_config_selectorILNS1_17partition_subalgoE9ExxbEEZZNS1_14partition_implILS5_9ELb0ES3_jN6thrust23THRUST_200600_302600_NS6detail15normal_iteratorINS9_10device_ptrIxEEEESE_PNS0_10empty_typeENS0_5tupleIJSE_SF_EEENSH_IJSE_SG_EEENS0_18inequality_wrapperI22is_equal_div_10_uniqueIxEEEPmJSF_EEE10hipError_tPvRmT3_T4_T5_T6_T7_T9_mT8_P12ihipStream_tbDpT10_ENKUlT_T0_E_clISt17integral_constantIbLb1EES17_IbLb0EEEEDaS13_S14_EUlS13_E_NS1_11comp_targetILNS1_3genE9ELNS1_11target_archE1100ELNS1_3gpuE3ELNS1_3repE0EEENS1_30default_config_static_selectorELNS0_4arch9wavefront6targetE0EEEvT1_,"axG",@progbits,_ZN7rocprim17ROCPRIM_400000_NS6detail17trampoline_kernelINS0_14default_configENS1_25partition_config_selectorILNS1_17partition_subalgoE9ExxbEEZZNS1_14partition_implILS5_9ELb0ES3_jN6thrust23THRUST_200600_302600_NS6detail15normal_iteratorINS9_10device_ptrIxEEEESE_PNS0_10empty_typeENS0_5tupleIJSE_SF_EEENSH_IJSE_SG_EEENS0_18inequality_wrapperI22is_equal_div_10_uniqueIxEEEPmJSF_EEE10hipError_tPvRmT3_T4_T5_T6_T7_T9_mT8_P12ihipStream_tbDpT10_ENKUlT_T0_E_clISt17integral_constantIbLb1EES17_IbLb0EEEEDaS13_S14_EUlS13_E_NS1_11comp_targetILNS1_3genE9ELNS1_11target_archE1100ELNS1_3gpuE3ELNS1_3repE0EEENS1_30default_config_static_selectorELNS0_4arch9wavefront6targetE0EEEvT1_,comdat
.Lfunc_end394:
	.size	_ZN7rocprim17ROCPRIM_400000_NS6detail17trampoline_kernelINS0_14default_configENS1_25partition_config_selectorILNS1_17partition_subalgoE9ExxbEEZZNS1_14partition_implILS5_9ELb0ES3_jN6thrust23THRUST_200600_302600_NS6detail15normal_iteratorINS9_10device_ptrIxEEEESE_PNS0_10empty_typeENS0_5tupleIJSE_SF_EEENSH_IJSE_SG_EEENS0_18inequality_wrapperI22is_equal_div_10_uniqueIxEEEPmJSF_EEE10hipError_tPvRmT3_T4_T5_T6_T7_T9_mT8_P12ihipStream_tbDpT10_ENKUlT_T0_E_clISt17integral_constantIbLb1EES17_IbLb0EEEEDaS13_S14_EUlS13_E_NS1_11comp_targetILNS1_3genE9ELNS1_11target_archE1100ELNS1_3gpuE3ELNS1_3repE0EEENS1_30default_config_static_selectorELNS0_4arch9wavefront6targetE0EEEvT1_, .Lfunc_end394-_ZN7rocprim17ROCPRIM_400000_NS6detail17trampoline_kernelINS0_14default_configENS1_25partition_config_selectorILNS1_17partition_subalgoE9ExxbEEZZNS1_14partition_implILS5_9ELb0ES3_jN6thrust23THRUST_200600_302600_NS6detail15normal_iteratorINS9_10device_ptrIxEEEESE_PNS0_10empty_typeENS0_5tupleIJSE_SF_EEENSH_IJSE_SG_EEENS0_18inequality_wrapperI22is_equal_div_10_uniqueIxEEEPmJSF_EEE10hipError_tPvRmT3_T4_T5_T6_T7_T9_mT8_P12ihipStream_tbDpT10_ENKUlT_T0_E_clISt17integral_constantIbLb1EES17_IbLb0EEEEDaS13_S14_EUlS13_E_NS1_11comp_targetILNS1_3genE9ELNS1_11target_archE1100ELNS1_3gpuE3ELNS1_3repE0EEENS1_30default_config_static_selectorELNS0_4arch9wavefront6targetE0EEEvT1_
                                        ; -- End function
	.section	.AMDGPU.csdata,"",@progbits
; Kernel info:
; codeLenInByte = 10908
; NumSgprs: 27
; NumVgprs: 68
; ScratchSize: 0
; MemoryBound: 0
; FloatMode: 240
; IeeeMode: 1
; LDSByteSize: 33800 bytes/workgroup (compile time only)
; SGPRBlocks: 3
; VGPRBlocks: 8
; NumSGPRsForWavesPerEU: 27
; NumVGPRsForWavesPerEU: 68
; Occupancy: 12
; WaveLimiterHint : 1
; COMPUTE_PGM_RSRC2:SCRATCH_EN: 0
; COMPUTE_PGM_RSRC2:USER_SGPR: 15
; COMPUTE_PGM_RSRC2:TRAP_HANDLER: 0
; COMPUTE_PGM_RSRC2:TGID_X_EN: 1
; COMPUTE_PGM_RSRC2:TGID_Y_EN: 0
; COMPUTE_PGM_RSRC2:TGID_Z_EN: 0
; COMPUTE_PGM_RSRC2:TIDIG_COMP_CNT: 0
	.section	.text._ZN7rocprim17ROCPRIM_400000_NS6detail17trampoline_kernelINS0_14default_configENS1_25partition_config_selectorILNS1_17partition_subalgoE9ExxbEEZZNS1_14partition_implILS5_9ELb0ES3_jN6thrust23THRUST_200600_302600_NS6detail15normal_iteratorINS9_10device_ptrIxEEEESE_PNS0_10empty_typeENS0_5tupleIJSE_SF_EEENSH_IJSE_SG_EEENS0_18inequality_wrapperI22is_equal_div_10_uniqueIxEEEPmJSF_EEE10hipError_tPvRmT3_T4_T5_T6_T7_T9_mT8_P12ihipStream_tbDpT10_ENKUlT_T0_E_clISt17integral_constantIbLb1EES17_IbLb0EEEEDaS13_S14_EUlS13_E_NS1_11comp_targetILNS1_3genE8ELNS1_11target_archE1030ELNS1_3gpuE2ELNS1_3repE0EEENS1_30default_config_static_selectorELNS0_4arch9wavefront6targetE0EEEvT1_,"axG",@progbits,_ZN7rocprim17ROCPRIM_400000_NS6detail17trampoline_kernelINS0_14default_configENS1_25partition_config_selectorILNS1_17partition_subalgoE9ExxbEEZZNS1_14partition_implILS5_9ELb0ES3_jN6thrust23THRUST_200600_302600_NS6detail15normal_iteratorINS9_10device_ptrIxEEEESE_PNS0_10empty_typeENS0_5tupleIJSE_SF_EEENSH_IJSE_SG_EEENS0_18inequality_wrapperI22is_equal_div_10_uniqueIxEEEPmJSF_EEE10hipError_tPvRmT3_T4_T5_T6_T7_T9_mT8_P12ihipStream_tbDpT10_ENKUlT_T0_E_clISt17integral_constantIbLb1EES17_IbLb0EEEEDaS13_S14_EUlS13_E_NS1_11comp_targetILNS1_3genE8ELNS1_11target_archE1030ELNS1_3gpuE2ELNS1_3repE0EEENS1_30default_config_static_selectorELNS0_4arch9wavefront6targetE0EEEvT1_,comdat
	.protected	_ZN7rocprim17ROCPRIM_400000_NS6detail17trampoline_kernelINS0_14default_configENS1_25partition_config_selectorILNS1_17partition_subalgoE9ExxbEEZZNS1_14partition_implILS5_9ELb0ES3_jN6thrust23THRUST_200600_302600_NS6detail15normal_iteratorINS9_10device_ptrIxEEEESE_PNS0_10empty_typeENS0_5tupleIJSE_SF_EEENSH_IJSE_SG_EEENS0_18inequality_wrapperI22is_equal_div_10_uniqueIxEEEPmJSF_EEE10hipError_tPvRmT3_T4_T5_T6_T7_T9_mT8_P12ihipStream_tbDpT10_ENKUlT_T0_E_clISt17integral_constantIbLb1EES17_IbLb0EEEEDaS13_S14_EUlS13_E_NS1_11comp_targetILNS1_3genE8ELNS1_11target_archE1030ELNS1_3gpuE2ELNS1_3repE0EEENS1_30default_config_static_selectorELNS0_4arch9wavefront6targetE0EEEvT1_ ; -- Begin function _ZN7rocprim17ROCPRIM_400000_NS6detail17trampoline_kernelINS0_14default_configENS1_25partition_config_selectorILNS1_17partition_subalgoE9ExxbEEZZNS1_14partition_implILS5_9ELb0ES3_jN6thrust23THRUST_200600_302600_NS6detail15normal_iteratorINS9_10device_ptrIxEEEESE_PNS0_10empty_typeENS0_5tupleIJSE_SF_EEENSH_IJSE_SG_EEENS0_18inequality_wrapperI22is_equal_div_10_uniqueIxEEEPmJSF_EEE10hipError_tPvRmT3_T4_T5_T6_T7_T9_mT8_P12ihipStream_tbDpT10_ENKUlT_T0_E_clISt17integral_constantIbLb1EES17_IbLb0EEEEDaS13_S14_EUlS13_E_NS1_11comp_targetILNS1_3genE8ELNS1_11target_archE1030ELNS1_3gpuE2ELNS1_3repE0EEENS1_30default_config_static_selectorELNS0_4arch9wavefront6targetE0EEEvT1_
	.globl	_ZN7rocprim17ROCPRIM_400000_NS6detail17trampoline_kernelINS0_14default_configENS1_25partition_config_selectorILNS1_17partition_subalgoE9ExxbEEZZNS1_14partition_implILS5_9ELb0ES3_jN6thrust23THRUST_200600_302600_NS6detail15normal_iteratorINS9_10device_ptrIxEEEESE_PNS0_10empty_typeENS0_5tupleIJSE_SF_EEENSH_IJSE_SG_EEENS0_18inequality_wrapperI22is_equal_div_10_uniqueIxEEEPmJSF_EEE10hipError_tPvRmT3_T4_T5_T6_T7_T9_mT8_P12ihipStream_tbDpT10_ENKUlT_T0_E_clISt17integral_constantIbLb1EES17_IbLb0EEEEDaS13_S14_EUlS13_E_NS1_11comp_targetILNS1_3genE8ELNS1_11target_archE1030ELNS1_3gpuE2ELNS1_3repE0EEENS1_30default_config_static_selectorELNS0_4arch9wavefront6targetE0EEEvT1_
	.p2align	8
	.type	_ZN7rocprim17ROCPRIM_400000_NS6detail17trampoline_kernelINS0_14default_configENS1_25partition_config_selectorILNS1_17partition_subalgoE9ExxbEEZZNS1_14partition_implILS5_9ELb0ES3_jN6thrust23THRUST_200600_302600_NS6detail15normal_iteratorINS9_10device_ptrIxEEEESE_PNS0_10empty_typeENS0_5tupleIJSE_SF_EEENSH_IJSE_SG_EEENS0_18inequality_wrapperI22is_equal_div_10_uniqueIxEEEPmJSF_EEE10hipError_tPvRmT3_T4_T5_T6_T7_T9_mT8_P12ihipStream_tbDpT10_ENKUlT_T0_E_clISt17integral_constantIbLb1EES17_IbLb0EEEEDaS13_S14_EUlS13_E_NS1_11comp_targetILNS1_3genE8ELNS1_11target_archE1030ELNS1_3gpuE2ELNS1_3repE0EEENS1_30default_config_static_selectorELNS0_4arch9wavefront6targetE0EEEvT1_,@function
_ZN7rocprim17ROCPRIM_400000_NS6detail17trampoline_kernelINS0_14default_configENS1_25partition_config_selectorILNS1_17partition_subalgoE9ExxbEEZZNS1_14partition_implILS5_9ELb0ES3_jN6thrust23THRUST_200600_302600_NS6detail15normal_iteratorINS9_10device_ptrIxEEEESE_PNS0_10empty_typeENS0_5tupleIJSE_SF_EEENSH_IJSE_SG_EEENS0_18inequality_wrapperI22is_equal_div_10_uniqueIxEEEPmJSF_EEE10hipError_tPvRmT3_T4_T5_T6_T7_T9_mT8_P12ihipStream_tbDpT10_ENKUlT_T0_E_clISt17integral_constantIbLb1EES17_IbLb0EEEEDaS13_S14_EUlS13_E_NS1_11comp_targetILNS1_3genE8ELNS1_11target_archE1030ELNS1_3gpuE2ELNS1_3repE0EEENS1_30default_config_static_selectorELNS0_4arch9wavefront6targetE0EEEvT1_: ; @_ZN7rocprim17ROCPRIM_400000_NS6detail17trampoline_kernelINS0_14default_configENS1_25partition_config_selectorILNS1_17partition_subalgoE9ExxbEEZZNS1_14partition_implILS5_9ELb0ES3_jN6thrust23THRUST_200600_302600_NS6detail15normal_iteratorINS9_10device_ptrIxEEEESE_PNS0_10empty_typeENS0_5tupleIJSE_SF_EEENSH_IJSE_SG_EEENS0_18inequality_wrapperI22is_equal_div_10_uniqueIxEEEPmJSF_EEE10hipError_tPvRmT3_T4_T5_T6_T7_T9_mT8_P12ihipStream_tbDpT10_ENKUlT_T0_E_clISt17integral_constantIbLb1EES17_IbLb0EEEEDaS13_S14_EUlS13_E_NS1_11comp_targetILNS1_3genE8ELNS1_11target_archE1030ELNS1_3gpuE2ELNS1_3repE0EEENS1_30default_config_static_selectorELNS0_4arch9wavefront6targetE0EEEvT1_
; %bb.0:
	.section	.rodata,"a",@progbits
	.p2align	6, 0x0
	.amdhsa_kernel _ZN7rocprim17ROCPRIM_400000_NS6detail17trampoline_kernelINS0_14default_configENS1_25partition_config_selectorILNS1_17partition_subalgoE9ExxbEEZZNS1_14partition_implILS5_9ELb0ES3_jN6thrust23THRUST_200600_302600_NS6detail15normal_iteratorINS9_10device_ptrIxEEEESE_PNS0_10empty_typeENS0_5tupleIJSE_SF_EEENSH_IJSE_SG_EEENS0_18inequality_wrapperI22is_equal_div_10_uniqueIxEEEPmJSF_EEE10hipError_tPvRmT3_T4_T5_T6_T7_T9_mT8_P12ihipStream_tbDpT10_ENKUlT_T0_E_clISt17integral_constantIbLb1EES17_IbLb0EEEEDaS13_S14_EUlS13_E_NS1_11comp_targetILNS1_3genE8ELNS1_11target_archE1030ELNS1_3gpuE2ELNS1_3repE0EEENS1_30default_config_static_selectorELNS0_4arch9wavefront6targetE0EEEvT1_
		.amdhsa_group_segment_fixed_size 0
		.amdhsa_private_segment_fixed_size 0
		.amdhsa_kernarg_size 112
		.amdhsa_user_sgpr_count 15
		.amdhsa_user_sgpr_dispatch_ptr 0
		.amdhsa_user_sgpr_queue_ptr 0
		.amdhsa_user_sgpr_kernarg_segment_ptr 1
		.amdhsa_user_sgpr_dispatch_id 0
		.amdhsa_user_sgpr_private_segment_size 0
		.amdhsa_wavefront_size32 1
		.amdhsa_uses_dynamic_stack 0
		.amdhsa_enable_private_segment 0
		.amdhsa_system_sgpr_workgroup_id_x 1
		.amdhsa_system_sgpr_workgroup_id_y 0
		.amdhsa_system_sgpr_workgroup_id_z 0
		.amdhsa_system_sgpr_workgroup_info 0
		.amdhsa_system_vgpr_workitem_id 0
		.amdhsa_next_free_vgpr 1
		.amdhsa_next_free_sgpr 1
		.amdhsa_reserve_vcc 0
		.amdhsa_float_round_mode_32 0
		.amdhsa_float_round_mode_16_64 0
		.amdhsa_float_denorm_mode_32 3
		.amdhsa_float_denorm_mode_16_64 3
		.amdhsa_dx10_clamp 1
		.amdhsa_ieee_mode 1
		.amdhsa_fp16_overflow 0
		.amdhsa_workgroup_processor_mode 1
		.amdhsa_memory_ordered 1
		.amdhsa_forward_progress 0
		.amdhsa_shared_vgpr_count 0
		.amdhsa_exception_fp_ieee_invalid_op 0
		.amdhsa_exception_fp_denorm_src 0
		.amdhsa_exception_fp_ieee_div_zero 0
		.amdhsa_exception_fp_ieee_overflow 0
		.amdhsa_exception_fp_ieee_underflow 0
		.amdhsa_exception_fp_ieee_inexact 0
		.amdhsa_exception_int_div_zero 0
	.end_amdhsa_kernel
	.section	.text._ZN7rocprim17ROCPRIM_400000_NS6detail17trampoline_kernelINS0_14default_configENS1_25partition_config_selectorILNS1_17partition_subalgoE9ExxbEEZZNS1_14partition_implILS5_9ELb0ES3_jN6thrust23THRUST_200600_302600_NS6detail15normal_iteratorINS9_10device_ptrIxEEEESE_PNS0_10empty_typeENS0_5tupleIJSE_SF_EEENSH_IJSE_SG_EEENS0_18inequality_wrapperI22is_equal_div_10_uniqueIxEEEPmJSF_EEE10hipError_tPvRmT3_T4_T5_T6_T7_T9_mT8_P12ihipStream_tbDpT10_ENKUlT_T0_E_clISt17integral_constantIbLb1EES17_IbLb0EEEEDaS13_S14_EUlS13_E_NS1_11comp_targetILNS1_3genE8ELNS1_11target_archE1030ELNS1_3gpuE2ELNS1_3repE0EEENS1_30default_config_static_selectorELNS0_4arch9wavefront6targetE0EEEvT1_,"axG",@progbits,_ZN7rocprim17ROCPRIM_400000_NS6detail17trampoline_kernelINS0_14default_configENS1_25partition_config_selectorILNS1_17partition_subalgoE9ExxbEEZZNS1_14partition_implILS5_9ELb0ES3_jN6thrust23THRUST_200600_302600_NS6detail15normal_iteratorINS9_10device_ptrIxEEEESE_PNS0_10empty_typeENS0_5tupleIJSE_SF_EEENSH_IJSE_SG_EEENS0_18inequality_wrapperI22is_equal_div_10_uniqueIxEEEPmJSF_EEE10hipError_tPvRmT3_T4_T5_T6_T7_T9_mT8_P12ihipStream_tbDpT10_ENKUlT_T0_E_clISt17integral_constantIbLb1EES17_IbLb0EEEEDaS13_S14_EUlS13_E_NS1_11comp_targetILNS1_3genE8ELNS1_11target_archE1030ELNS1_3gpuE2ELNS1_3repE0EEENS1_30default_config_static_selectorELNS0_4arch9wavefront6targetE0EEEvT1_,comdat
.Lfunc_end395:
	.size	_ZN7rocprim17ROCPRIM_400000_NS6detail17trampoline_kernelINS0_14default_configENS1_25partition_config_selectorILNS1_17partition_subalgoE9ExxbEEZZNS1_14partition_implILS5_9ELb0ES3_jN6thrust23THRUST_200600_302600_NS6detail15normal_iteratorINS9_10device_ptrIxEEEESE_PNS0_10empty_typeENS0_5tupleIJSE_SF_EEENSH_IJSE_SG_EEENS0_18inequality_wrapperI22is_equal_div_10_uniqueIxEEEPmJSF_EEE10hipError_tPvRmT3_T4_T5_T6_T7_T9_mT8_P12ihipStream_tbDpT10_ENKUlT_T0_E_clISt17integral_constantIbLb1EES17_IbLb0EEEEDaS13_S14_EUlS13_E_NS1_11comp_targetILNS1_3genE8ELNS1_11target_archE1030ELNS1_3gpuE2ELNS1_3repE0EEENS1_30default_config_static_selectorELNS0_4arch9wavefront6targetE0EEEvT1_, .Lfunc_end395-_ZN7rocprim17ROCPRIM_400000_NS6detail17trampoline_kernelINS0_14default_configENS1_25partition_config_selectorILNS1_17partition_subalgoE9ExxbEEZZNS1_14partition_implILS5_9ELb0ES3_jN6thrust23THRUST_200600_302600_NS6detail15normal_iteratorINS9_10device_ptrIxEEEESE_PNS0_10empty_typeENS0_5tupleIJSE_SF_EEENSH_IJSE_SG_EEENS0_18inequality_wrapperI22is_equal_div_10_uniqueIxEEEPmJSF_EEE10hipError_tPvRmT3_T4_T5_T6_T7_T9_mT8_P12ihipStream_tbDpT10_ENKUlT_T0_E_clISt17integral_constantIbLb1EES17_IbLb0EEEEDaS13_S14_EUlS13_E_NS1_11comp_targetILNS1_3genE8ELNS1_11target_archE1030ELNS1_3gpuE2ELNS1_3repE0EEENS1_30default_config_static_selectorELNS0_4arch9wavefront6targetE0EEEvT1_
                                        ; -- End function
	.section	.AMDGPU.csdata,"",@progbits
; Kernel info:
; codeLenInByte = 0
; NumSgprs: 0
; NumVgprs: 0
; ScratchSize: 0
; MemoryBound: 0
; FloatMode: 240
; IeeeMode: 1
; LDSByteSize: 0 bytes/workgroup (compile time only)
; SGPRBlocks: 0
; VGPRBlocks: 0
; NumSGPRsForWavesPerEU: 1
; NumVGPRsForWavesPerEU: 1
; Occupancy: 16
; WaveLimiterHint : 0
; COMPUTE_PGM_RSRC2:SCRATCH_EN: 0
; COMPUTE_PGM_RSRC2:USER_SGPR: 15
; COMPUTE_PGM_RSRC2:TRAP_HANDLER: 0
; COMPUTE_PGM_RSRC2:TGID_X_EN: 1
; COMPUTE_PGM_RSRC2:TGID_Y_EN: 0
; COMPUTE_PGM_RSRC2:TGID_Z_EN: 0
; COMPUTE_PGM_RSRC2:TIDIG_COMP_CNT: 0
	.section	.text._ZN7rocprim17ROCPRIM_400000_NS6detail17trampoline_kernelINS0_14default_configENS1_25partition_config_selectorILNS1_17partition_subalgoE9ExxbEEZZNS1_14partition_implILS5_9ELb0ES3_jN6thrust23THRUST_200600_302600_NS6detail15normal_iteratorINS9_10device_ptrIxEEEESE_PNS0_10empty_typeENS0_5tupleIJSE_SF_EEENSH_IJSE_SG_EEENS0_18inequality_wrapperI22is_equal_div_10_uniqueIxEEEPmJSF_EEE10hipError_tPvRmT3_T4_T5_T6_T7_T9_mT8_P12ihipStream_tbDpT10_ENKUlT_T0_E_clISt17integral_constantIbLb0EES17_IbLb1EEEEDaS13_S14_EUlS13_E_NS1_11comp_targetILNS1_3genE0ELNS1_11target_archE4294967295ELNS1_3gpuE0ELNS1_3repE0EEENS1_30default_config_static_selectorELNS0_4arch9wavefront6targetE0EEEvT1_,"axG",@progbits,_ZN7rocprim17ROCPRIM_400000_NS6detail17trampoline_kernelINS0_14default_configENS1_25partition_config_selectorILNS1_17partition_subalgoE9ExxbEEZZNS1_14partition_implILS5_9ELb0ES3_jN6thrust23THRUST_200600_302600_NS6detail15normal_iteratorINS9_10device_ptrIxEEEESE_PNS0_10empty_typeENS0_5tupleIJSE_SF_EEENSH_IJSE_SG_EEENS0_18inequality_wrapperI22is_equal_div_10_uniqueIxEEEPmJSF_EEE10hipError_tPvRmT3_T4_T5_T6_T7_T9_mT8_P12ihipStream_tbDpT10_ENKUlT_T0_E_clISt17integral_constantIbLb0EES17_IbLb1EEEEDaS13_S14_EUlS13_E_NS1_11comp_targetILNS1_3genE0ELNS1_11target_archE4294967295ELNS1_3gpuE0ELNS1_3repE0EEENS1_30default_config_static_selectorELNS0_4arch9wavefront6targetE0EEEvT1_,comdat
	.protected	_ZN7rocprim17ROCPRIM_400000_NS6detail17trampoline_kernelINS0_14default_configENS1_25partition_config_selectorILNS1_17partition_subalgoE9ExxbEEZZNS1_14partition_implILS5_9ELb0ES3_jN6thrust23THRUST_200600_302600_NS6detail15normal_iteratorINS9_10device_ptrIxEEEESE_PNS0_10empty_typeENS0_5tupleIJSE_SF_EEENSH_IJSE_SG_EEENS0_18inequality_wrapperI22is_equal_div_10_uniqueIxEEEPmJSF_EEE10hipError_tPvRmT3_T4_T5_T6_T7_T9_mT8_P12ihipStream_tbDpT10_ENKUlT_T0_E_clISt17integral_constantIbLb0EES17_IbLb1EEEEDaS13_S14_EUlS13_E_NS1_11comp_targetILNS1_3genE0ELNS1_11target_archE4294967295ELNS1_3gpuE0ELNS1_3repE0EEENS1_30default_config_static_selectorELNS0_4arch9wavefront6targetE0EEEvT1_ ; -- Begin function _ZN7rocprim17ROCPRIM_400000_NS6detail17trampoline_kernelINS0_14default_configENS1_25partition_config_selectorILNS1_17partition_subalgoE9ExxbEEZZNS1_14partition_implILS5_9ELb0ES3_jN6thrust23THRUST_200600_302600_NS6detail15normal_iteratorINS9_10device_ptrIxEEEESE_PNS0_10empty_typeENS0_5tupleIJSE_SF_EEENSH_IJSE_SG_EEENS0_18inequality_wrapperI22is_equal_div_10_uniqueIxEEEPmJSF_EEE10hipError_tPvRmT3_T4_T5_T6_T7_T9_mT8_P12ihipStream_tbDpT10_ENKUlT_T0_E_clISt17integral_constantIbLb0EES17_IbLb1EEEEDaS13_S14_EUlS13_E_NS1_11comp_targetILNS1_3genE0ELNS1_11target_archE4294967295ELNS1_3gpuE0ELNS1_3repE0EEENS1_30default_config_static_selectorELNS0_4arch9wavefront6targetE0EEEvT1_
	.globl	_ZN7rocprim17ROCPRIM_400000_NS6detail17trampoline_kernelINS0_14default_configENS1_25partition_config_selectorILNS1_17partition_subalgoE9ExxbEEZZNS1_14partition_implILS5_9ELb0ES3_jN6thrust23THRUST_200600_302600_NS6detail15normal_iteratorINS9_10device_ptrIxEEEESE_PNS0_10empty_typeENS0_5tupleIJSE_SF_EEENSH_IJSE_SG_EEENS0_18inequality_wrapperI22is_equal_div_10_uniqueIxEEEPmJSF_EEE10hipError_tPvRmT3_T4_T5_T6_T7_T9_mT8_P12ihipStream_tbDpT10_ENKUlT_T0_E_clISt17integral_constantIbLb0EES17_IbLb1EEEEDaS13_S14_EUlS13_E_NS1_11comp_targetILNS1_3genE0ELNS1_11target_archE4294967295ELNS1_3gpuE0ELNS1_3repE0EEENS1_30default_config_static_selectorELNS0_4arch9wavefront6targetE0EEEvT1_
	.p2align	8
	.type	_ZN7rocprim17ROCPRIM_400000_NS6detail17trampoline_kernelINS0_14default_configENS1_25partition_config_selectorILNS1_17partition_subalgoE9ExxbEEZZNS1_14partition_implILS5_9ELb0ES3_jN6thrust23THRUST_200600_302600_NS6detail15normal_iteratorINS9_10device_ptrIxEEEESE_PNS0_10empty_typeENS0_5tupleIJSE_SF_EEENSH_IJSE_SG_EEENS0_18inequality_wrapperI22is_equal_div_10_uniqueIxEEEPmJSF_EEE10hipError_tPvRmT3_T4_T5_T6_T7_T9_mT8_P12ihipStream_tbDpT10_ENKUlT_T0_E_clISt17integral_constantIbLb0EES17_IbLb1EEEEDaS13_S14_EUlS13_E_NS1_11comp_targetILNS1_3genE0ELNS1_11target_archE4294967295ELNS1_3gpuE0ELNS1_3repE0EEENS1_30default_config_static_selectorELNS0_4arch9wavefront6targetE0EEEvT1_,@function
_ZN7rocprim17ROCPRIM_400000_NS6detail17trampoline_kernelINS0_14default_configENS1_25partition_config_selectorILNS1_17partition_subalgoE9ExxbEEZZNS1_14partition_implILS5_9ELb0ES3_jN6thrust23THRUST_200600_302600_NS6detail15normal_iteratorINS9_10device_ptrIxEEEESE_PNS0_10empty_typeENS0_5tupleIJSE_SF_EEENSH_IJSE_SG_EEENS0_18inequality_wrapperI22is_equal_div_10_uniqueIxEEEPmJSF_EEE10hipError_tPvRmT3_T4_T5_T6_T7_T9_mT8_P12ihipStream_tbDpT10_ENKUlT_T0_E_clISt17integral_constantIbLb0EES17_IbLb1EEEEDaS13_S14_EUlS13_E_NS1_11comp_targetILNS1_3genE0ELNS1_11target_archE4294967295ELNS1_3gpuE0ELNS1_3repE0EEENS1_30default_config_static_selectorELNS0_4arch9wavefront6targetE0EEEvT1_: ; @_ZN7rocprim17ROCPRIM_400000_NS6detail17trampoline_kernelINS0_14default_configENS1_25partition_config_selectorILNS1_17partition_subalgoE9ExxbEEZZNS1_14partition_implILS5_9ELb0ES3_jN6thrust23THRUST_200600_302600_NS6detail15normal_iteratorINS9_10device_ptrIxEEEESE_PNS0_10empty_typeENS0_5tupleIJSE_SF_EEENSH_IJSE_SG_EEENS0_18inequality_wrapperI22is_equal_div_10_uniqueIxEEEPmJSF_EEE10hipError_tPvRmT3_T4_T5_T6_T7_T9_mT8_P12ihipStream_tbDpT10_ENKUlT_T0_E_clISt17integral_constantIbLb0EES17_IbLb1EEEEDaS13_S14_EUlS13_E_NS1_11comp_targetILNS1_3genE0ELNS1_11target_archE4294967295ELNS1_3gpuE0ELNS1_3repE0EEENS1_30default_config_static_selectorELNS0_4arch9wavefront6targetE0EEEvT1_
; %bb.0:
	.section	.rodata,"a",@progbits
	.p2align	6, 0x0
	.amdhsa_kernel _ZN7rocprim17ROCPRIM_400000_NS6detail17trampoline_kernelINS0_14default_configENS1_25partition_config_selectorILNS1_17partition_subalgoE9ExxbEEZZNS1_14partition_implILS5_9ELb0ES3_jN6thrust23THRUST_200600_302600_NS6detail15normal_iteratorINS9_10device_ptrIxEEEESE_PNS0_10empty_typeENS0_5tupleIJSE_SF_EEENSH_IJSE_SG_EEENS0_18inequality_wrapperI22is_equal_div_10_uniqueIxEEEPmJSF_EEE10hipError_tPvRmT3_T4_T5_T6_T7_T9_mT8_P12ihipStream_tbDpT10_ENKUlT_T0_E_clISt17integral_constantIbLb0EES17_IbLb1EEEEDaS13_S14_EUlS13_E_NS1_11comp_targetILNS1_3genE0ELNS1_11target_archE4294967295ELNS1_3gpuE0ELNS1_3repE0EEENS1_30default_config_static_selectorELNS0_4arch9wavefront6targetE0EEEvT1_
		.amdhsa_group_segment_fixed_size 0
		.amdhsa_private_segment_fixed_size 0
		.amdhsa_kernarg_size 128
		.amdhsa_user_sgpr_count 15
		.amdhsa_user_sgpr_dispatch_ptr 0
		.amdhsa_user_sgpr_queue_ptr 0
		.amdhsa_user_sgpr_kernarg_segment_ptr 1
		.amdhsa_user_sgpr_dispatch_id 0
		.amdhsa_user_sgpr_private_segment_size 0
		.amdhsa_wavefront_size32 1
		.amdhsa_uses_dynamic_stack 0
		.amdhsa_enable_private_segment 0
		.amdhsa_system_sgpr_workgroup_id_x 1
		.amdhsa_system_sgpr_workgroup_id_y 0
		.amdhsa_system_sgpr_workgroup_id_z 0
		.amdhsa_system_sgpr_workgroup_info 0
		.amdhsa_system_vgpr_workitem_id 0
		.amdhsa_next_free_vgpr 1
		.amdhsa_next_free_sgpr 1
		.amdhsa_reserve_vcc 0
		.amdhsa_float_round_mode_32 0
		.amdhsa_float_round_mode_16_64 0
		.amdhsa_float_denorm_mode_32 3
		.amdhsa_float_denorm_mode_16_64 3
		.amdhsa_dx10_clamp 1
		.amdhsa_ieee_mode 1
		.amdhsa_fp16_overflow 0
		.amdhsa_workgroup_processor_mode 1
		.amdhsa_memory_ordered 1
		.amdhsa_forward_progress 0
		.amdhsa_shared_vgpr_count 0
		.amdhsa_exception_fp_ieee_invalid_op 0
		.amdhsa_exception_fp_denorm_src 0
		.amdhsa_exception_fp_ieee_div_zero 0
		.amdhsa_exception_fp_ieee_overflow 0
		.amdhsa_exception_fp_ieee_underflow 0
		.amdhsa_exception_fp_ieee_inexact 0
		.amdhsa_exception_int_div_zero 0
	.end_amdhsa_kernel
	.section	.text._ZN7rocprim17ROCPRIM_400000_NS6detail17trampoline_kernelINS0_14default_configENS1_25partition_config_selectorILNS1_17partition_subalgoE9ExxbEEZZNS1_14partition_implILS5_9ELb0ES3_jN6thrust23THRUST_200600_302600_NS6detail15normal_iteratorINS9_10device_ptrIxEEEESE_PNS0_10empty_typeENS0_5tupleIJSE_SF_EEENSH_IJSE_SG_EEENS0_18inequality_wrapperI22is_equal_div_10_uniqueIxEEEPmJSF_EEE10hipError_tPvRmT3_T4_T5_T6_T7_T9_mT8_P12ihipStream_tbDpT10_ENKUlT_T0_E_clISt17integral_constantIbLb0EES17_IbLb1EEEEDaS13_S14_EUlS13_E_NS1_11comp_targetILNS1_3genE0ELNS1_11target_archE4294967295ELNS1_3gpuE0ELNS1_3repE0EEENS1_30default_config_static_selectorELNS0_4arch9wavefront6targetE0EEEvT1_,"axG",@progbits,_ZN7rocprim17ROCPRIM_400000_NS6detail17trampoline_kernelINS0_14default_configENS1_25partition_config_selectorILNS1_17partition_subalgoE9ExxbEEZZNS1_14partition_implILS5_9ELb0ES3_jN6thrust23THRUST_200600_302600_NS6detail15normal_iteratorINS9_10device_ptrIxEEEESE_PNS0_10empty_typeENS0_5tupleIJSE_SF_EEENSH_IJSE_SG_EEENS0_18inequality_wrapperI22is_equal_div_10_uniqueIxEEEPmJSF_EEE10hipError_tPvRmT3_T4_T5_T6_T7_T9_mT8_P12ihipStream_tbDpT10_ENKUlT_T0_E_clISt17integral_constantIbLb0EES17_IbLb1EEEEDaS13_S14_EUlS13_E_NS1_11comp_targetILNS1_3genE0ELNS1_11target_archE4294967295ELNS1_3gpuE0ELNS1_3repE0EEENS1_30default_config_static_selectorELNS0_4arch9wavefront6targetE0EEEvT1_,comdat
.Lfunc_end396:
	.size	_ZN7rocprim17ROCPRIM_400000_NS6detail17trampoline_kernelINS0_14default_configENS1_25partition_config_selectorILNS1_17partition_subalgoE9ExxbEEZZNS1_14partition_implILS5_9ELb0ES3_jN6thrust23THRUST_200600_302600_NS6detail15normal_iteratorINS9_10device_ptrIxEEEESE_PNS0_10empty_typeENS0_5tupleIJSE_SF_EEENSH_IJSE_SG_EEENS0_18inequality_wrapperI22is_equal_div_10_uniqueIxEEEPmJSF_EEE10hipError_tPvRmT3_T4_T5_T6_T7_T9_mT8_P12ihipStream_tbDpT10_ENKUlT_T0_E_clISt17integral_constantIbLb0EES17_IbLb1EEEEDaS13_S14_EUlS13_E_NS1_11comp_targetILNS1_3genE0ELNS1_11target_archE4294967295ELNS1_3gpuE0ELNS1_3repE0EEENS1_30default_config_static_selectorELNS0_4arch9wavefront6targetE0EEEvT1_, .Lfunc_end396-_ZN7rocprim17ROCPRIM_400000_NS6detail17trampoline_kernelINS0_14default_configENS1_25partition_config_selectorILNS1_17partition_subalgoE9ExxbEEZZNS1_14partition_implILS5_9ELb0ES3_jN6thrust23THRUST_200600_302600_NS6detail15normal_iteratorINS9_10device_ptrIxEEEESE_PNS0_10empty_typeENS0_5tupleIJSE_SF_EEENSH_IJSE_SG_EEENS0_18inequality_wrapperI22is_equal_div_10_uniqueIxEEEPmJSF_EEE10hipError_tPvRmT3_T4_T5_T6_T7_T9_mT8_P12ihipStream_tbDpT10_ENKUlT_T0_E_clISt17integral_constantIbLb0EES17_IbLb1EEEEDaS13_S14_EUlS13_E_NS1_11comp_targetILNS1_3genE0ELNS1_11target_archE4294967295ELNS1_3gpuE0ELNS1_3repE0EEENS1_30default_config_static_selectorELNS0_4arch9wavefront6targetE0EEEvT1_
                                        ; -- End function
	.section	.AMDGPU.csdata,"",@progbits
; Kernel info:
; codeLenInByte = 0
; NumSgprs: 0
; NumVgprs: 0
; ScratchSize: 0
; MemoryBound: 0
; FloatMode: 240
; IeeeMode: 1
; LDSByteSize: 0 bytes/workgroup (compile time only)
; SGPRBlocks: 0
; VGPRBlocks: 0
; NumSGPRsForWavesPerEU: 1
; NumVGPRsForWavesPerEU: 1
; Occupancy: 16
; WaveLimiterHint : 0
; COMPUTE_PGM_RSRC2:SCRATCH_EN: 0
; COMPUTE_PGM_RSRC2:USER_SGPR: 15
; COMPUTE_PGM_RSRC2:TRAP_HANDLER: 0
; COMPUTE_PGM_RSRC2:TGID_X_EN: 1
; COMPUTE_PGM_RSRC2:TGID_Y_EN: 0
; COMPUTE_PGM_RSRC2:TGID_Z_EN: 0
; COMPUTE_PGM_RSRC2:TIDIG_COMP_CNT: 0
	.section	.text._ZN7rocprim17ROCPRIM_400000_NS6detail17trampoline_kernelINS0_14default_configENS1_25partition_config_selectorILNS1_17partition_subalgoE9ExxbEEZZNS1_14partition_implILS5_9ELb0ES3_jN6thrust23THRUST_200600_302600_NS6detail15normal_iteratorINS9_10device_ptrIxEEEESE_PNS0_10empty_typeENS0_5tupleIJSE_SF_EEENSH_IJSE_SG_EEENS0_18inequality_wrapperI22is_equal_div_10_uniqueIxEEEPmJSF_EEE10hipError_tPvRmT3_T4_T5_T6_T7_T9_mT8_P12ihipStream_tbDpT10_ENKUlT_T0_E_clISt17integral_constantIbLb0EES17_IbLb1EEEEDaS13_S14_EUlS13_E_NS1_11comp_targetILNS1_3genE5ELNS1_11target_archE942ELNS1_3gpuE9ELNS1_3repE0EEENS1_30default_config_static_selectorELNS0_4arch9wavefront6targetE0EEEvT1_,"axG",@progbits,_ZN7rocprim17ROCPRIM_400000_NS6detail17trampoline_kernelINS0_14default_configENS1_25partition_config_selectorILNS1_17partition_subalgoE9ExxbEEZZNS1_14partition_implILS5_9ELb0ES3_jN6thrust23THRUST_200600_302600_NS6detail15normal_iteratorINS9_10device_ptrIxEEEESE_PNS0_10empty_typeENS0_5tupleIJSE_SF_EEENSH_IJSE_SG_EEENS0_18inequality_wrapperI22is_equal_div_10_uniqueIxEEEPmJSF_EEE10hipError_tPvRmT3_T4_T5_T6_T7_T9_mT8_P12ihipStream_tbDpT10_ENKUlT_T0_E_clISt17integral_constantIbLb0EES17_IbLb1EEEEDaS13_S14_EUlS13_E_NS1_11comp_targetILNS1_3genE5ELNS1_11target_archE942ELNS1_3gpuE9ELNS1_3repE0EEENS1_30default_config_static_selectorELNS0_4arch9wavefront6targetE0EEEvT1_,comdat
	.protected	_ZN7rocprim17ROCPRIM_400000_NS6detail17trampoline_kernelINS0_14default_configENS1_25partition_config_selectorILNS1_17partition_subalgoE9ExxbEEZZNS1_14partition_implILS5_9ELb0ES3_jN6thrust23THRUST_200600_302600_NS6detail15normal_iteratorINS9_10device_ptrIxEEEESE_PNS0_10empty_typeENS0_5tupleIJSE_SF_EEENSH_IJSE_SG_EEENS0_18inequality_wrapperI22is_equal_div_10_uniqueIxEEEPmJSF_EEE10hipError_tPvRmT3_T4_T5_T6_T7_T9_mT8_P12ihipStream_tbDpT10_ENKUlT_T0_E_clISt17integral_constantIbLb0EES17_IbLb1EEEEDaS13_S14_EUlS13_E_NS1_11comp_targetILNS1_3genE5ELNS1_11target_archE942ELNS1_3gpuE9ELNS1_3repE0EEENS1_30default_config_static_selectorELNS0_4arch9wavefront6targetE0EEEvT1_ ; -- Begin function _ZN7rocprim17ROCPRIM_400000_NS6detail17trampoline_kernelINS0_14default_configENS1_25partition_config_selectorILNS1_17partition_subalgoE9ExxbEEZZNS1_14partition_implILS5_9ELb0ES3_jN6thrust23THRUST_200600_302600_NS6detail15normal_iteratorINS9_10device_ptrIxEEEESE_PNS0_10empty_typeENS0_5tupleIJSE_SF_EEENSH_IJSE_SG_EEENS0_18inequality_wrapperI22is_equal_div_10_uniqueIxEEEPmJSF_EEE10hipError_tPvRmT3_T4_T5_T6_T7_T9_mT8_P12ihipStream_tbDpT10_ENKUlT_T0_E_clISt17integral_constantIbLb0EES17_IbLb1EEEEDaS13_S14_EUlS13_E_NS1_11comp_targetILNS1_3genE5ELNS1_11target_archE942ELNS1_3gpuE9ELNS1_3repE0EEENS1_30default_config_static_selectorELNS0_4arch9wavefront6targetE0EEEvT1_
	.globl	_ZN7rocprim17ROCPRIM_400000_NS6detail17trampoline_kernelINS0_14default_configENS1_25partition_config_selectorILNS1_17partition_subalgoE9ExxbEEZZNS1_14partition_implILS5_9ELb0ES3_jN6thrust23THRUST_200600_302600_NS6detail15normal_iteratorINS9_10device_ptrIxEEEESE_PNS0_10empty_typeENS0_5tupleIJSE_SF_EEENSH_IJSE_SG_EEENS0_18inequality_wrapperI22is_equal_div_10_uniqueIxEEEPmJSF_EEE10hipError_tPvRmT3_T4_T5_T6_T7_T9_mT8_P12ihipStream_tbDpT10_ENKUlT_T0_E_clISt17integral_constantIbLb0EES17_IbLb1EEEEDaS13_S14_EUlS13_E_NS1_11comp_targetILNS1_3genE5ELNS1_11target_archE942ELNS1_3gpuE9ELNS1_3repE0EEENS1_30default_config_static_selectorELNS0_4arch9wavefront6targetE0EEEvT1_
	.p2align	8
	.type	_ZN7rocprim17ROCPRIM_400000_NS6detail17trampoline_kernelINS0_14default_configENS1_25partition_config_selectorILNS1_17partition_subalgoE9ExxbEEZZNS1_14partition_implILS5_9ELb0ES3_jN6thrust23THRUST_200600_302600_NS6detail15normal_iteratorINS9_10device_ptrIxEEEESE_PNS0_10empty_typeENS0_5tupleIJSE_SF_EEENSH_IJSE_SG_EEENS0_18inequality_wrapperI22is_equal_div_10_uniqueIxEEEPmJSF_EEE10hipError_tPvRmT3_T4_T5_T6_T7_T9_mT8_P12ihipStream_tbDpT10_ENKUlT_T0_E_clISt17integral_constantIbLb0EES17_IbLb1EEEEDaS13_S14_EUlS13_E_NS1_11comp_targetILNS1_3genE5ELNS1_11target_archE942ELNS1_3gpuE9ELNS1_3repE0EEENS1_30default_config_static_selectorELNS0_4arch9wavefront6targetE0EEEvT1_,@function
_ZN7rocprim17ROCPRIM_400000_NS6detail17trampoline_kernelINS0_14default_configENS1_25partition_config_selectorILNS1_17partition_subalgoE9ExxbEEZZNS1_14partition_implILS5_9ELb0ES3_jN6thrust23THRUST_200600_302600_NS6detail15normal_iteratorINS9_10device_ptrIxEEEESE_PNS0_10empty_typeENS0_5tupleIJSE_SF_EEENSH_IJSE_SG_EEENS0_18inequality_wrapperI22is_equal_div_10_uniqueIxEEEPmJSF_EEE10hipError_tPvRmT3_T4_T5_T6_T7_T9_mT8_P12ihipStream_tbDpT10_ENKUlT_T0_E_clISt17integral_constantIbLb0EES17_IbLb1EEEEDaS13_S14_EUlS13_E_NS1_11comp_targetILNS1_3genE5ELNS1_11target_archE942ELNS1_3gpuE9ELNS1_3repE0EEENS1_30default_config_static_selectorELNS0_4arch9wavefront6targetE0EEEvT1_: ; @_ZN7rocprim17ROCPRIM_400000_NS6detail17trampoline_kernelINS0_14default_configENS1_25partition_config_selectorILNS1_17partition_subalgoE9ExxbEEZZNS1_14partition_implILS5_9ELb0ES3_jN6thrust23THRUST_200600_302600_NS6detail15normal_iteratorINS9_10device_ptrIxEEEESE_PNS0_10empty_typeENS0_5tupleIJSE_SF_EEENSH_IJSE_SG_EEENS0_18inequality_wrapperI22is_equal_div_10_uniqueIxEEEPmJSF_EEE10hipError_tPvRmT3_T4_T5_T6_T7_T9_mT8_P12ihipStream_tbDpT10_ENKUlT_T0_E_clISt17integral_constantIbLb0EES17_IbLb1EEEEDaS13_S14_EUlS13_E_NS1_11comp_targetILNS1_3genE5ELNS1_11target_archE942ELNS1_3gpuE9ELNS1_3repE0EEENS1_30default_config_static_selectorELNS0_4arch9wavefront6targetE0EEEvT1_
; %bb.0:
	.section	.rodata,"a",@progbits
	.p2align	6, 0x0
	.amdhsa_kernel _ZN7rocprim17ROCPRIM_400000_NS6detail17trampoline_kernelINS0_14default_configENS1_25partition_config_selectorILNS1_17partition_subalgoE9ExxbEEZZNS1_14partition_implILS5_9ELb0ES3_jN6thrust23THRUST_200600_302600_NS6detail15normal_iteratorINS9_10device_ptrIxEEEESE_PNS0_10empty_typeENS0_5tupleIJSE_SF_EEENSH_IJSE_SG_EEENS0_18inequality_wrapperI22is_equal_div_10_uniqueIxEEEPmJSF_EEE10hipError_tPvRmT3_T4_T5_T6_T7_T9_mT8_P12ihipStream_tbDpT10_ENKUlT_T0_E_clISt17integral_constantIbLb0EES17_IbLb1EEEEDaS13_S14_EUlS13_E_NS1_11comp_targetILNS1_3genE5ELNS1_11target_archE942ELNS1_3gpuE9ELNS1_3repE0EEENS1_30default_config_static_selectorELNS0_4arch9wavefront6targetE0EEEvT1_
		.amdhsa_group_segment_fixed_size 0
		.amdhsa_private_segment_fixed_size 0
		.amdhsa_kernarg_size 128
		.amdhsa_user_sgpr_count 15
		.amdhsa_user_sgpr_dispatch_ptr 0
		.amdhsa_user_sgpr_queue_ptr 0
		.amdhsa_user_sgpr_kernarg_segment_ptr 1
		.amdhsa_user_sgpr_dispatch_id 0
		.amdhsa_user_sgpr_private_segment_size 0
		.amdhsa_wavefront_size32 1
		.amdhsa_uses_dynamic_stack 0
		.amdhsa_enable_private_segment 0
		.amdhsa_system_sgpr_workgroup_id_x 1
		.amdhsa_system_sgpr_workgroup_id_y 0
		.amdhsa_system_sgpr_workgroup_id_z 0
		.amdhsa_system_sgpr_workgroup_info 0
		.amdhsa_system_vgpr_workitem_id 0
		.amdhsa_next_free_vgpr 1
		.amdhsa_next_free_sgpr 1
		.amdhsa_reserve_vcc 0
		.amdhsa_float_round_mode_32 0
		.amdhsa_float_round_mode_16_64 0
		.amdhsa_float_denorm_mode_32 3
		.amdhsa_float_denorm_mode_16_64 3
		.amdhsa_dx10_clamp 1
		.amdhsa_ieee_mode 1
		.amdhsa_fp16_overflow 0
		.amdhsa_workgroup_processor_mode 1
		.amdhsa_memory_ordered 1
		.amdhsa_forward_progress 0
		.amdhsa_shared_vgpr_count 0
		.amdhsa_exception_fp_ieee_invalid_op 0
		.amdhsa_exception_fp_denorm_src 0
		.amdhsa_exception_fp_ieee_div_zero 0
		.amdhsa_exception_fp_ieee_overflow 0
		.amdhsa_exception_fp_ieee_underflow 0
		.amdhsa_exception_fp_ieee_inexact 0
		.amdhsa_exception_int_div_zero 0
	.end_amdhsa_kernel
	.section	.text._ZN7rocprim17ROCPRIM_400000_NS6detail17trampoline_kernelINS0_14default_configENS1_25partition_config_selectorILNS1_17partition_subalgoE9ExxbEEZZNS1_14partition_implILS5_9ELb0ES3_jN6thrust23THRUST_200600_302600_NS6detail15normal_iteratorINS9_10device_ptrIxEEEESE_PNS0_10empty_typeENS0_5tupleIJSE_SF_EEENSH_IJSE_SG_EEENS0_18inequality_wrapperI22is_equal_div_10_uniqueIxEEEPmJSF_EEE10hipError_tPvRmT3_T4_T5_T6_T7_T9_mT8_P12ihipStream_tbDpT10_ENKUlT_T0_E_clISt17integral_constantIbLb0EES17_IbLb1EEEEDaS13_S14_EUlS13_E_NS1_11comp_targetILNS1_3genE5ELNS1_11target_archE942ELNS1_3gpuE9ELNS1_3repE0EEENS1_30default_config_static_selectorELNS0_4arch9wavefront6targetE0EEEvT1_,"axG",@progbits,_ZN7rocprim17ROCPRIM_400000_NS6detail17trampoline_kernelINS0_14default_configENS1_25partition_config_selectorILNS1_17partition_subalgoE9ExxbEEZZNS1_14partition_implILS5_9ELb0ES3_jN6thrust23THRUST_200600_302600_NS6detail15normal_iteratorINS9_10device_ptrIxEEEESE_PNS0_10empty_typeENS0_5tupleIJSE_SF_EEENSH_IJSE_SG_EEENS0_18inequality_wrapperI22is_equal_div_10_uniqueIxEEEPmJSF_EEE10hipError_tPvRmT3_T4_T5_T6_T7_T9_mT8_P12ihipStream_tbDpT10_ENKUlT_T0_E_clISt17integral_constantIbLb0EES17_IbLb1EEEEDaS13_S14_EUlS13_E_NS1_11comp_targetILNS1_3genE5ELNS1_11target_archE942ELNS1_3gpuE9ELNS1_3repE0EEENS1_30default_config_static_selectorELNS0_4arch9wavefront6targetE0EEEvT1_,comdat
.Lfunc_end397:
	.size	_ZN7rocprim17ROCPRIM_400000_NS6detail17trampoline_kernelINS0_14default_configENS1_25partition_config_selectorILNS1_17partition_subalgoE9ExxbEEZZNS1_14partition_implILS5_9ELb0ES3_jN6thrust23THRUST_200600_302600_NS6detail15normal_iteratorINS9_10device_ptrIxEEEESE_PNS0_10empty_typeENS0_5tupleIJSE_SF_EEENSH_IJSE_SG_EEENS0_18inequality_wrapperI22is_equal_div_10_uniqueIxEEEPmJSF_EEE10hipError_tPvRmT3_T4_T5_T6_T7_T9_mT8_P12ihipStream_tbDpT10_ENKUlT_T0_E_clISt17integral_constantIbLb0EES17_IbLb1EEEEDaS13_S14_EUlS13_E_NS1_11comp_targetILNS1_3genE5ELNS1_11target_archE942ELNS1_3gpuE9ELNS1_3repE0EEENS1_30default_config_static_selectorELNS0_4arch9wavefront6targetE0EEEvT1_, .Lfunc_end397-_ZN7rocprim17ROCPRIM_400000_NS6detail17trampoline_kernelINS0_14default_configENS1_25partition_config_selectorILNS1_17partition_subalgoE9ExxbEEZZNS1_14partition_implILS5_9ELb0ES3_jN6thrust23THRUST_200600_302600_NS6detail15normal_iteratorINS9_10device_ptrIxEEEESE_PNS0_10empty_typeENS0_5tupleIJSE_SF_EEENSH_IJSE_SG_EEENS0_18inequality_wrapperI22is_equal_div_10_uniqueIxEEEPmJSF_EEE10hipError_tPvRmT3_T4_T5_T6_T7_T9_mT8_P12ihipStream_tbDpT10_ENKUlT_T0_E_clISt17integral_constantIbLb0EES17_IbLb1EEEEDaS13_S14_EUlS13_E_NS1_11comp_targetILNS1_3genE5ELNS1_11target_archE942ELNS1_3gpuE9ELNS1_3repE0EEENS1_30default_config_static_selectorELNS0_4arch9wavefront6targetE0EEEvT1_
                                        ; -- End function
	.section	.AMDGPU.csdata,"",@progbits
; Kernel info:
; codeLenInByte = 0
; NumSgprs: 0
; NumVgprs: 0
; ScratchSize: 0
; MemoryBound: 0
; FloatMode: 240
; IeeeMode: 1
; LDSByteSize: 0 bytes/workgroup (compile time only)
; SGPRBlocks: 0
; VGPRBlocks: 0
; NumSGPRsForWavesPerEU: 1
; NumVGPRsForWavesPerEU: 1
; Occupancy: 16
; WaveLimiterHint : 0
; COMPUTE_PGM_RSRC2:SCRATCH_EN: 0
; COMPUTE_PGM_RSRC2:USER_SGPR: 15
; COMPUTE_PGM_RSRC2:TRAP_HANDLER: 0
; COMPUTE_PGM_RSRC2:TGID_X_EN: 1
; COMPUTE_PGM_RSRC2:TGID_Y_EN: 0
; COMPUTE_PGM_RSRC2:TGID_Z_EN: 0
; COMPUTE_PGM_RSRC2:TIDIG_COMP_CNT: 0
	.section	.text._ZN7rocprim17ROCPRIM_400000_NS6detail17trampoline_kernelINS0_14default_configENS1_25partition_config_selectorILNS1_17partition_subalgoE9ExxbEEZZNS1_14partition_implILS5_9ELb0ES3_jN6thrust23THRUST_200600_302600_NS6detail15normal_iteratorINS9_10device_ptrIxEEEESE_PNS0_10empty_typeENS0_5tupleIJSE_SF_EEENSH_IJSE_SG_EEENS0_18inequality_wrapperI22is_equal_div_10_uniqueIxEEEPmJSF_EEE10hipError_tPvRmT3_T4_T5_T6_T7_T9_mT8_P12ihipStream_tbDpT10_ENKUlT_T0_E_clISt17integral_constantIbLb0EES17_IbLb1EEEEDaS13_S14_EUlS13_E_NS1_11comp_targetILNS1_3genE4ELNS1_11target_archE910ELNS1_3gpuE8ELNS1_3repE0EEENS1_30default_config_static_selectorELNS0_4arch9wavefront6targetE0EEEvT1_,"axG",@progbits,_ZN7rocprim17ROCPRIM_400000_NS6detail17trampoline_kernelINS0_14default_configENS1_25partition_config_selectorILNS1_17partition_subalgoE9ExxbEEZZNS1_14partition_implILS5_9ELb0ES3_jN6thrust23THRUST_200600_302600_NS6detail15normal_iteratorINS9_10device_ptrIxEEEESE_PNS0_10empty_typeENS0_5tupleIJSE_SF_EEENSH_IJSE_SG_EEENS0_18inequality_wrapperI22is_equal_div_10_uniqueIxEEEPmJSF_EEE10hipError_tPvRmT3_T4_T5_T6_T7_T9_mT8_P12ihipStream_tbDpT10_ENKUlT_T0_E_clISt17integral_constantIbLb0EES17_IbLb1EEEEDaS13_S14_EUlS13_E_NS1_11comp_targetILNS1_3genE4ELNS1_11target_archE910ELNS1_3gpuE8ELNS1_3repE0EEENS1_30default_config_static_selectorELNS0_4arch9wavefront6targetE0EEEvT1_,comdat
	.protected	_ZN7rocprim17ROCPRIM_400000_NS6detail17trampoline_kernelINS0_14default_configENS1_25partition_config_selectorILNS1_17partition_subalgoE9ExxbEEZZNS1_14partition_implILS5_9ELb0ES3_jN6thrust23THRUST_200600_302600_NS6detail15normal_iteratorINS9_10device_ptrIxEEEESE_PNS0_10empty_typeENS0_5tupleIJSE_SF_EEENSH_IJSE_SG_EEENS0_18inequality_wrapperI22is_equal_div_10_uniqueIxEEEPmJSF_EEE10hipError_tPvRmT3_T4_T5_T6_T7_T9_mT8_P12ihipStream_tbDpT10_ENKUlT_T0_E_clISt17integral_constantIbLb0EES17_IbLb1EEEEDaS13_S14_EUlS13_E_NS1_11comp_targetILNS1_3genE4ELNS1_11target_archE910ELNS1_3gpuE8ELNS1_3repE0EEENS1_30default_config_static_selectorELNS0_4arch9wavefront6targetE0EEEvT1_ ; -- Begin function _ZN7rocprim17ROCPRIM_400000_NS6detail17trampoline_kernelINS0_14default_configENS1_25partition_config_selectorILNS1_17partition_subalgoE9ExxbEEZZNS1_14partition_implILS5_9ELb0ES3_jN6thrust23THRUST_200600_302600_NS6detail15normal_iteratorINS9_10device_ptrIxEEEESE_PNS0_10empty_typeENS0_5tupleIJSE_SF_EEENSH_IJSE_SG_EEENS0_18inequality_wrapperI22is_equal_div_10_uniqueIxEEEPmJSF_EEE10hipError_tPvRmT3_T4_T5_T6_T7_T9_mT8_P12ihipStream_tbDpT10_ENKUlT_T0_E_clISt17integral_constantIbLb0EES17_IbLb1EEEEDaS13_S14_EUlS13_E_NS1_11comp_targetILNS1_3genE4ELNS1_11target_archE910ELNS1_3gpuE8ELNS1_3repE0EEENS1_30default_config_static_selectorELNS0_4arch9wavefront6targetE0EEEvT1_
	.globl	_ZN7rocprim17ROCPRIM_400000_NS6detail17trampoline_kernelINS0_14default_configENS1_25partition_config_selectorILNS1_17partition_subalgoE9ExxbEEZZNS1_14partition_implILS5_9ELb0ES3_jN6thrust23THRUST_200600_302600_NS6detail15normal_iteratorINS9_10device_ptrIxEEEESE_PNS0_10empty_typeENS0_5tupleIJSE_SF_EEENSH_IJSE_SG_EEENS0_18inequality_wrapperI22is_equal_div_10_uniqueIxEEEPmJSF_EEE10hipError_tPvRmT3_T4_T5_T6_T7_T9_mT8_P12ihipStream_tbDpT10_ENKUlT_T0_E_clISt17integral_constantIbLb0EES17_IbLb1EEEEDaS13_S14_EUlS13_E_NS1_11comp_targetILNS1_3genE4ELNS1_11target_archE910ELNS1_3gpuE8ELNS1_3repE0EEENS1_30default_config_static_selectorELNS0_4arch9wavefront6targetE0EEEvT1_
	.p2align	8
	.type	_ZN7rocprim17ROCPRIM_400000_NS6detail17trampoline_kernelINS0_14default_configENS1_25partition_config_selectorILNS1_17partition_subalgoE9ExxbEEZZNS1_14partition_implILS5_9ELb0ES3_jN6thrust23THRUST_200600_302600_NS6detail15normal_iteratorINS9_10device_ptrIxEEEESE_PNS0_10empty_typeENS0_5tupleIJSE_SF_EEENSH_IJSE_SG_EEENS0_18inequality_wrapperI22is_equal_div_10_uniqueIxEEEPmJSF_EEE10hipError_tPvRmT3_T4_T5_T6_T7_T9_mT8_P12ihipStream_tbDpT10_ENKUlT_T0_E_clISt17integral_constantIbLb0EES17_IbLb1EEEEDaS13_S14_EUlS13_E_NS1_11comp_targetILNS1_3genE4ELNS1_11target_archE910ELNS1_3gpuE8ELNS1_3repE0EEENS1_30default_config_static_selectorELNS0_4arch9wavefront6targetE0EEEvT1_,@function
_ZN7rocprim17ROCPRIM_400000_NS6detail17trampoline_kernelINS0_14default_configENS1_25partition_config_selectorILNS1_17partition_subalgoE9ExxbEEZZNS1_14partition_implILS5_9ELb0ES3_jN6thrust23THRUST_200600_302600_NS6detail15normal_iteratorINS9_10device_ptrIxEEEESE_PNS0_10empty_typeENS0_5tupleIJSE_SF_EEENSH_IJSE_SG_EEENS0_18inequality_wrapperI22is_equal_div_10_uniqueIxEEEPmJSF_EEE10hipError_tPvRmT3_T4_T5_T6_T7_T9_mT8_P12ihipStream_tbDpT10_ENKUlT_T0_E_clISt17integral_constantIbLb0EES17_IbLb1EEEEDaS13_S14_EUlS13_E_NS1_11comp_targetILNS1_3genE4ELNS1_11target_archE910ELNS1_3gpuE8ELNS1_3repE0EEENS1_30default_config_static_selectorELNS0_4arch9wavefront6targetE0EEEvT1_: ; @_ZN7rocprim17ROCPRIM_400000_NS6detail17trampoline_kernelINS0_14default_configENS1_25partition_config_selectorILNS1_17partition_subalgoE9ExxbEEZZNS1_14partition_implILS5_9ELb0ES3_jN6thrust23THRUST_200600_302600_NS6detail15normal_iteratorINS9_10device_ptrIxEEEESE_PNS0_10empty_typeENS0_5tupleIJSE_SF_EEENSH_IJSE_SG_EEENS0_18inequality_wrapperI22is_equal_div_10_uniqueIxEEEPmJSF_EEE10hipError_tPvRmT3_T4_T5_T6_T7_T9_mT8_P12ihipStream_tbDpT10_ENKUlT_T0_E_clISt17integral_constantIbLb0EES17_IbLb1EEEEDaS13_S14_EUlS13_E_NS1_11comp_targetILNS1_3genE4ELNS1_11target_archE910ELNS1_3gpuE8ELNS1_3repE0EEENS1_30default_config_static_selectorELNS0_4arch9wavefront6targetE0EEEvT1_
; %bb.0:
	.section	.rodata,"a",@progbits
	.p2align	6, 0x0
	.amdhsa_kernel _ZN7rocprim17ROCPRIM_400000_NS6detail17trampoline_kernelINS0_14default_configENS1_25partition_config_selectorILNS1_17partition_subalgoE9ExxbEEZZNS1_14partition_implILS5_9ELb0ES3_jN6thrust23THRUST_200600_302600_NS6detail15normal_iteratorINS9_10device_ptrIxEEEESE_PNS0_10empty_typeENS0_5tupleIJSE_SF_EEENSH_IJSE_SG_EEENS0_18inequality_wrapperI22is_equal_div_10_uniqueIxEEEPmJSF_EEE10hipError_tPvRmT3_T4_T5_T6_T7_T9_mT8_P12ihipStream_tbDpT10_ENKUlT_T0_E_clISt17integral_constantIbLb0EES17_IbLb1EEEEDaS13_S14_EUlS13_E_NS1_11comp_targetILNS1_3genE4ELNS1_11target_archE910ELNS1_3gpuE8ELNS1_3repE0EEENS1_30default_config_static_selectorELNS0_4arch9wavefront6targetE0EEEvT1_
		.amdhsa_group_segment_fixed_size 0
		.amdhsa_private_segment_fixed_size 0
		.amdhsa_kernarg_size 128
		.amdhsa_user_sgpr_count 15
		.amdhsa_user_sgpr_dispatch_ptr 0
		.amdhsa_user_sgpr_queue_ptr 0
		.amdhsa_user_sgpr_kernarg_segment_ptr 1
		.amdhsa_user_sgpr_dispatch_id 0
		.amdhsa_user_sgpr_private_segment_size 0
		.amdhsa_wavefront_size32 1
		.amdhsa_uses_dynamic_stack 0
		.amdhsa_enable_private_segment 0
		.amdhsa_system_sgpr_workgroup_id_x 1
		.amdhsa_system_sgpr_workgroup_id_y 0
		.amdhsa_system_sgpr_workgroup_id_z 0
		.amdhsa_system_sgpr_workgroup_info 0
		.amdhsa_system_vgpr_workitem_id 0
		.amdhsa_next_free_vgpr 1
		.amdhsa_next_free_sgpr 1
		.amdhsa_reserve_vcc 0
		.amdhsa_float_round_mode_32 0
		.amdhsa_float_round_mode_16_64 0
		.amdhsa_float_denorm_mode_32 3
		.amdhsa_float_denorm_mode_16_64 3
		.amdhsa_dx10_clamp 1
		.amdhsa_ieee_mode 1
		.amdhsa_fp16_overflow 0
		.amdhsa_workgroup_processor_mode 1
		.amdhsa_memory_ordered 1
		.amdhsa_forward_progress 0
		.amdhsa_shared_vgpr_count 0
		.amdhsa_exception_fp_ieee_invalid_op 0
		.amdhsa_exception_fp_denorm_src 0
		.amdhsa_exception_fp_ieee_div_zero 0
		.amdhsa_exception_fp_ieee_overflow 0
		.amdhsa_exception_fp_ieee_underflow 0
		.amdhsa_exception_fp_ieee_inexact 0
		.amdhsa_exception_int_div_zero 0
	.end_amdhsa_kernel
	.section	.text._ZN7rocprim17ROCPRIM_400000_NS6detail17trampoline_kernelINS0_14default_configENS1_25partition_config_selectorILNS1_17partition_subalgoE9ExxbEEZZNS1_14partition_implILS5_9ELb0ES3_jN6thrust23THRUST_200600_302600_NS6detail15normal_iteratorINS9_10device_ptrIxEEEESE_PNS0_10empty_typeENS0_5tupleIJSE_SF_EEENSH_IJSE_SG_EEENS0_18inequality_wrapperI22is_equal_div_10_uniqueIxEEEPmJSF_EEE10hipError_tPvRmT3_T4_T5_T6_T7_T9_mT8_P12ihipStream_tbDpT10_ENKUlT_T0_E_clISt17integral_constantIbLb0EES17_IbLb1EEEEDaS13_S14_EUlS13_E_NS1_11comp_targetILNS1_3genE4ELNS1_11target_archE910ELNS1_3gpuE8ELNS1_3repE0EEENS1_30default_config_static_selectorELNS0_4arch9wavefront6targetE0EEEvT1_,"axG",@progbits,_ZN7rocprim17ROCPRIM_400000_NS6detail17trampoline_kernelINS0_14default_configENS1_25partition_config_selectorILNS1_17partition_subalgoE9ExxbEEZZNS1_14partition_implILS5_9ELb0ES3_jN6thrust23THRUST_200600_302600_NS6detail15normal_iteratorINS9_10device_ptrIxEEEESE_PNS0_10empty_typeENS0_5tupleIJSE_SF_EEENSH_IJSE_SG_EEENS0_18inequality_wrapperI22is_equal_div_10_uniqueIxEEEPmJSF_EEE10hipError_tPvRmT3_T4_T5_T6_T7_T9_mT8_P12ihipStream_tbDpT10_ENKUlT_T0_E_clISt17integral_constantIbLb0EES17_IbLb1EEEEDaS13_S14_EUlS13_E_NS1_11comp_targetILNS1_3genE4ELNS1_11target_archE910ELNS1_3gpuE8ELNS1_3repE0EEENS1_30default_config_static_selectorELNS0_4arch9wavefront6targetE0EEEvT1_,comdat
.Lfunc_end398:
	.size	_ZN7rocprim17ROCPRIM_400000_NS6detail17trampoline_kernelINS0_14default_configENS1_25partition_config_selectorILNS1_17partition_subalgoE9ExxbEEZZNS1_14partition_implILS5_9ELb0ES3_jN6thrust23THRUST_200600_302600_NS6detail15normal_iteratorINS9_10device_ptrIxEEEESE_PNS0_10empty_typeENS0_5tupleIJSE_SF_EEENSH_IJSE_SG_EEENS0_18inequality_wrapperI22is_equal_div_10_uniqueIxEEEPmJSF_EEE10hipError_tPvRmT3_T4_T5_T6_T7_T9_mT8_P12ihipStream_tbDpT10_ENKUlT_T0_E_clISt17integral_constantIbLb0EES17_IbLb1EEEEDaS13_S14_EUlS13_E_NS1_11comp_targetILNS1_3genE4ELNS1_11target_archE910ELNS1_3gpuE8ELNS1_3repE0EEENS1_30default_config_static_selectorELNS0_4arch9wavefront6targetE0EEEvT1_, .Lfunc_end398-_ZN7rocprim17ROCPRIM_400000_NS6detail17trampoline_kernelINS0_14default_configENS1_25partition_config_selectorILNS1_17partition_subalgoE9ExxbEEZZNS1_14partition_implILS5_9ELb0ES3_jN6thrust23THRUST_200600_302600_NS6detail15normal_iteratorINS9_10device_ptrIxEEEESE_PNS0_10empty_typeENS0_5tupleIJSE_SF_EEENSH_IJSE_SG_EEENS0_18inequality_wrapperI22is_equal_div_10_uniqueIxEEEPmJSF_EEE10hipError_tPvRmT3_T4_T5_T6_T7_T9_mT8_P12ihipStream_tbDpT10_ENKUlT_T0_E_clISt17integral_constantIbLb0EES17_IbLb1EEEEDaS13_S14_EUlS13_E_NS1_11comp_targetILNS1_3genE4ELNS1_11target_archE910ELNS1_3gpuE8ELNS1_3repE0EEENS1_30default_config_static_selectorELNS0_4arch9wavefront6targetE0EEEvT1_
                                        ; -- End function
	.section	.AMDGPU.csdata,"",@progbits
; Kernel info:
; codeLenInByte = 0
; NumSgprs: 0
; NumVgprs: 0
; ScratchSize: 0
; MemoryBound: 0
; FloatMode: 240
; IeeeMode: 1
; LDSByteSize: 0 bytes/workgroup (compile time only)
; SGPRBlocks: 0
; VGPRBlocks: 0
; NumSGPRsForWavesPerEU: 1
; NumVGPRsForWavesPerEU: 1
; Occupancy: 16
; WaveLimiterHint : 0
; COMPUTE_PGM_RSRC2:SCRATCH_EN: 0
; COMPUTE_PGM_RSRC2:USER_SGPR: 15
; COMPUTE_PGM_RSRC2:TRAP_HANDLER: 0
; COMPUTE_PGM_RSRC2:TGID_X_EN: 1
; COMPUTE_PGM_RSRC2:TGID_Y_EN: 0
; COMPUTE_PGM_RSRC2:TGID_Z_EN: 0
; COMPUTE_PGM_RSRC2:TIDIG_COMP_CNT: 0
	.section	.text._ZN7rocprim17ROCPRIM_400000_NS6detail17trampoline_kernelINS0_14default_configENS1_25partition_config_selectorILNS1_17partition_subalgoE9ExxbEEZZNS1_14partition_implILS5_9ELb0ES3_jN6thrust23THRUST_200600_302600_NS6detail15normal_iteratorINS9_10device_ptrIxEEEESE_PNS0_10empty_typeENS0_5tupleIJSE_SF_EEENSH_IJSE_SG_EEENS0_18inequality_wrapperI22is_equal_div_10_uniqueIxEEEPmJSF_EEE10hipError_tPvRmT3_T4_T5_T6_T7_T9_mT8_P12ihipStream_tbDpT10_ENKUlT_T0_E_clISt17integral_constantIbLb0EES17_IbLb1EEEEDaS13_S14_EUlS13_E_NS1_11comp_targetILNS1_3genE3ELNS1_11target_archE908ELNS1_3gpuE7ELNS1_3repE0EEENS1_30default_config_static_selectorELNS0_4arch9wavefront6targetE0EEEvT1_,"axG",@progbits,_ZN7rocprim17ROCPRIM_400000_NS6detail17trampoline_kernelINS0_14default_configENS1_25partition_config_selectorILNS1_17partition_subalgoE9ExxbEEZZNS1_14partition_implILS5_9ELb0ES3_jN6thrust23THRUST_200600_302600_NS6detail15normal_iteratorINS9_10device_ptrIxEEEESE_PNS0_10empty_typeENS0_5tupleIJSE_SF_EEENSH_IJSE_SG_EEENS0_18inequality_wrapperI22is_equal_div_10_uniqueIxEEEPmJSF_EEE10hipError_tPvRmT3_T4_T5_T6_T7_T9_mT8_P12ihipStream_tbDpT10_ENKUlT_T0_E_clISt17integral_constantIbLb0EES17_IbLb1EEEEDaS13_S14_EUlS13_E_NS1_11comp_targetILNS1_3genE3ELNS1_11target_archE908ELNS1_3gpuE7ELNS1_3repE0EEENS1_30default_config_static_selectorELNS0_4arch9wavefront6targetE0EEEvT1_,comdat
	.protected	_ZN7rocprim17ROCPRIM_400000_NS6detail17trampoline_kernelINS0_14default_configENS1_25partition_config_selectorILNS1_17partition_subalgoE9ExxbEEZZNS1_14partition_implILS5_9ELb0ES3_jN6thrust23THRUST_200600_302600_NS6detail15normal_iteratorINS9_10device_ptrIxEEEESE_PNS0_10empty_typeENS0_5tupleIJSE_SF_EEENSH_IJSE_SG_EEENS0_18inequality_wrapperI22is_equal_div_10_uniqueIxEEEPmJSF_EEE10hipError_tPvRmT3_T4_T5_T6_T7_T9_mT8_P12ihipStream_tbDpT10_ENKUlT_T0_E_clISt17integral_constantIbLb0EES17_IbLb1EEEEDaS13_S14_EUlS13_E_NS1_11comp_targetILNS1_3genE3ELNS1_11target_archE908ELNS1_3gpuE7ELNS1_3repE0EEENS1_30default_config_static_selectorELNS0_4arch9wavefront6targetE0EEEvT1_ ; -- Begin function _ZN7rocprim17ROCPRIM_400000_NS6detail17trampoline_kernelINS0_14default_configENS1_25partition_config_selectorILNS1_17partition_subalgoE9ExxbEEZZNS1_14partition_implILS5_9ELb0ES3_jN6thrust23THRUST_200600_302600_NS6detail15normal_iteratorINS9_10device_ptrIxEEEESE_PNS0_10empty_typeENS0_5tupleIJSE_SF_EEENSH_IJSE_SG_EEENS0_18inequality_wrapperI22is_equal_div_10_uniqueIxEEEPmJSF_EEE10hipError_tPvRmT3_T4_T5_T6_T7_T9_mT8_P12ihipStream_tbDpT10_ENKUlT_T0_E_clISt17integral_constantIbLb0EES17_IbLb1EEEEDaS13_S14_EUlS13_E_NS1_11comp_targetILNS1_3genE3ELNS1_11target_archE908ELNS1_3gpuE7ELNS1_3repE0EEENS1_30default_config_static_selectorELNS0_4arch9wavefront6targetE0EEEvT1_
	.globl	_ZN7rocprim17ROCPRIM_400000_NS6detail17trampoline_kernelINS0_14default_configENS1_25partition_config_selectorILNS1_17partition_subalgoE9ExxbEEZZNS1_14partition_implILS5_9ELb0ES3_jN6thrust23THRUST_200600_302600_NS6detail15normal_iteratorINS9_10device_ptrIxEEEESE_PNS0_10empty_typeENS0_5tupleIJSE_SF_EEENSH_IJSE_SG_EEENS0_18inequality_wrapperI22is_equal_div_10_uniqueIxEEEPmJSF_EEE10hipError_tPvRmT3_T4_T5_T6_T7_T9_mT8_P12ihipStream_tbDpT10_ENKUlT_T0_E_clISt17integral_constantIbLb0EES17_IbLb1EEEEDaS13_S14_EUlS13_E_NS1_11comp_targetILNS1_3genE3ELNS1_11target_archE908ELNS1_3gpuE7ELNS1_3repE0EEENS1_30default_config_static_selectorELNS0_4arch9wavefront6targetE0EEEvT1_
	.p2align	8
	.type	_ZN7rocprim17ROCPRIM_400000_NS6detail17trampoline_kernelINS0_14default_configENS1_25partition_config_selectorILNS1_17partition_subalgoE9ExxbEEZZNS1_14partition_implILS5_9ELb0ES3_jN6thrust23THRUST_200600_302600_NS6detail15normal_iteratorINS9_10device_ptrIxEEEESE_PNS0_10empty_typeENS0_5tupleIJSE_SF_EEENSH_IJSE_SG_EEENS0_18inequality_wrapperI22is_equal_div_10_uniqueIxEEEPmJSF_EEE10hipError_tPvRmT3_T4_T5_T6_T7_T9_mT8_P12ihipStream_tbDpT10_ENKUlT_T0_E_clISt17integral_constantIbLb0EES17_IbLb1EEEEDaS13_S14_EUlS13_E_NS1_11comp_targetILNS1_3genE3ELNS1_11target_archE908ELNS1_3gpuE7ELNS1_3repE0EEENS1_30default_config_static_selectorELNS0_4arch9wavefront6targetE0EEEvT1_,@function
_ZN7rocprim17ROCPRIM_400000_NS6detail17trampoline_kernelINS0_14default_configENS1_25partition_config_selectorILNS1_17partition_subalgoE9ExxbEEZZNS1_14partition_implILS5_9ELb0ES3_jN6thrust23THRUST_200600_302600_NS6detail15normal_iteratorINS9_10device_ptrIxEEEESE_PNS0_10empty_typeENS0_5tupleIJSE_SF_EEENSH_IJSE_SG_EEENS0_18inequality_wrapperI22is_equal_div_10_uniqueIxEEEPmJSF_EEE10hipError_tPvRmT3_T4_T5_T6_T7_T9_mT8_P12ihipStream_tbDpT10_ENKUlT_T0_E_clISt17integral_constantIbLb0EES17_IbLb1EEEEDaS13_S14_EUlS13_E_NS1_11comp_targetILNS1_3genE3ELNS1_11target_archE908ELNS1_3gpuE7ELNS1_3repE0EEENS1_30default_config_static_selectorELNS0_4arch9wavefront6targetE0EEEvT1_: ; @_ZN7rocprim17ROCPRIM_400000_NS6detail17trampoline_kernelINS0_14default_configENS1_25partition_config_selectorILNS1_17partition_subalgoE9ExxbEEZZNS1_14partition_implILS5_9ELb0ES3_jN6thrust23THRUST_200600_302600_NS6detail15normal_iteratorINS9_10device_ptrIxEEEESE_PNS0_10empty_typeENS0_5tupleIJSE_SF_EEENSH_IJSE_SG_EEENS0_18inequality_wrapperI22is_equal_div_10_uniqueIxEEEPmJSF_EEE10hipError_tPvRmT3_T4_T5_T6_T7_T9_mT8_P12ihipStream_tbDpT10_ENKUlT_T0_E_clISt17integral_constantIbLb0EES17_IbLb1EEEEDaS13_S14_EUlS13_E_NS1_11comp_targetILNS1_3genE3ELNS1_11target_archE908ELNS1_3gpuE7ELNS1_3repE0EEENS1_30default_config_static_selectorELNS0_4arch9wavefront6targetE0EEEvT1_
; %bb.0:
	.section	.rodata,"a",@progbits
	.p2align	6, 0x0
	.amdhsa_kernel _ZN7rocprim17ROCPRIM_400000_NS6detail17trampoline_kernelINS0_14default_configENS1_25partition_config_selectorILNS1_17partition_subalgoE9ExxbEEZZNS1_14partition_implILS5_9ELb0ES3_jN6thrust23THRUST_200600_302600_NS6detail15normal_iteratorINS9_10device_ptrIxEEEESE_PNS0_10empty_typeENS0_5tupleIJSE_SF_EEENSH_IJSE_SG_EEENS0_18inequality_wrapperI22is_equal_div_10_uniqueIxEEEPmJSF_EEE10hipError_tPvRmT3_T4_T5_T6_T7_T9_mT8_P12ihipStream_tbDpT10_ENKUlT_T0_E_clISt17integral_constantIbLb0EES17_IbLb1EEEEDaS13_S14_EUlS13_E_NS1_11comp_targetILNS1_3genE3ELNS1_11target_archE908ELNS1_3gpuE7ELNS1_3repE0EEENS1_30default_config_static_selectorELNS0_4arch9wavefront6targetE0EEEvT1_
		.amdhsa_group_segment_fixed_size 0
		.amdhsa_private_segment_fixed_size 0
		.amdhsa_kernarg_size 128
		.amdhsa_user_sgpr_count 15
		.amdhsa_user_sgpr_dispatch_ptr 0
		.amdhsa_user_sgpr_queue_ptr 0
		.amdhsa_user_sgpr_kernarg_segment_ptr 1
		.amdhsa_user_sgpr_dispatch_id 0
		.amdhsa_user_sgpr_private_segment_size 0
		.amdhsa_wavefront_size32 1
		.amdhsa_uses_dynamic_stack 0
		.amdhsa_enable_private_segment 0
		.amdhsa_system_sgpr_workgroup_id_x 1
		.amdhsa_system_sgpr_workgroup_id_y 0
		.amdhsa_system_sgpr_workgroup_id_z 0
		.amdhsa_system_sgpr_workgroup_info 0
		.amdhsa_system_vgpr_workitem_id 0
		.amdhsa_next_free_vgpr 1
		.amdhsa_next_free_sgpr 1
		.amdhsa_reserve_vcc 0
		.amdhsa_float_round_mode_32 0
		.amdhsa_float_round_mode_16_64 0
		.amdhsa_float_denorm_mode_32 3
		.amdhsa_float_denorm_mode_16_64 3
		.amdhsa_dx10_clamp 1
		.amdhsa_ieee_mode 1
		.amdhsa_fp16_overflow 0
		.amdhsa_workgroup_processor_mode 1
		.amdhsa_memory_ordered 1
		.amdhsa_forward_progress 0
		.amdhsa_shared_vgpr_count 0
		.amdhsa_exception_fp_ieee_invalid_op 0
		.amdhsa_exception_fp_denorm_src 0
		.amdhsa_exception_fp_ieee_div_zero 0
		.amdhsa_exception_fp_ieee_overflow 0
		.amdhsa_exception_fp_ieee_underflow 0
		.amdhsa_exception_fp_ieee_inexact 0
		.amdhsa_exception_int_div_zero 0
	.end_amdhsa_kernel
	.section	.text._ZN7rocprim17ROCPRIM_400000_NS6detail17trampoline_kernelINS0_14default_configENS1_25partition_config_selectorILNS1_17partition_subalgoE9ExxbEEZZNS1_14partition_implILS5_9ELb0ES3_jN6thrust23THRUST_200600_302600_NS6detail15normal_iteratorINS9_10device_ptrIxEEEESE_PNS0_10empty_typeENS0_5tupleIJSE_SF_EEENSH_IJSE_SG_EEENS0_18inequality_wrapperI22is_equal_div_10_uniqueIxEEEPmJSF_EEE10hipError_tPvRmT3_T4_T5_T6_T7_T9_mT8_P12ihipStream_tbDpT10_ENKUlT_T0_E_clISt17integral_constantIbLb0EES17_IbLb1EEEEDaS13_S14_EUlS13_E_NS1_11comp_targetILNS1_3genE3ELNS1_11target_archE908ELNS1_3gpuE7ELNS1_3repE0EEENS1_30default_config_static_selectorELNS0_4arch9wavefront6targetE0EEEvT1_,"axG",@progbits,_ZN7rocprim17ROCPRIM_400000_NS6detail17trampoline_kernelINS0_14default_configENS1_25partition_config_selectorILNS1_17partition_subalgoE9ExxbEEZZNS1_14partition_implILS5_9ELb0ES3_jN6thrust23THRUST_200600_302600_NS6detail15normal_iteratorINS9_10device_ptrIxEEEESE_PNS0_10empty_typeENS0_5tupleIJSE_SF_EEENSH_IJSE_SG_EEENS0_18inequality_wrapperI22is_equal_div_10_uniqueIxEEEPmJSF_EEE10hipError_tPvRmT3_T4_T5_T6_T7_T9_mT8_P12ihipStream_tbDpT10_ENKUlT_T0_E_clISt17integral_constantIbLb0EES17_IbLb1EEEEDaS13_S14_EUlS13_E_NS1_11comp_targetILNS1_3genE3ELNS1_11target_archE908ELNS1_3gpuE7ELNS1_3repE0EEENS1_30default_config_static_selectorELNS0_4arch9wavefront6targetE0EEEvT1_,comdat
.Lfunc_end399:
	.size	_ZN7rocprim17ROCPRIM_400000_NS6detail17trampoline_kernelINS0_14default_configENS1_25partition_config_selectorILNS1_17partition_subalgoE9ExxbEEZZNS1_14partition_implILS5_9ELb0ES3_jN6thrust23THRUST_200600_302600_NS6detail15normal_iteratorINS9_10device_ptrIxEEEESE_PNS0_10empty_typeENS0_5tupleIJSE_SF_EEENSH_IJSE_SG_EEENS0_18inequality_wrapperI22is_equal_div_10_uniqueIxEEEPmJSF_EEE10hipError_tPvRmT3_T4_T5_T6_T7_T9_mT8_P12ihipStream_tbDpT10_ENKUlT_T0_E_clISt17integral_constantIbLb0EES17_IbLb1EEEEDaS13_S14_EUlS13_E_NS1_11comp_targetILNS1_3genE3ELNS1_11target_archE908ELNS1_3gpuE7ELNS1_3repE0EEENS1_30default_config_static_selectorELNS0_4arch9wavefront6targetE0EEEvT1_, .Lfunc_end399-_ZN7rocprim17ROCPRIM_400000_NS6detail17trampoline_kernelINS0_14default_configENS1_25partition_config_selectorILNS1_17partition_subalgoE9ExxbEEZZNS1_14partition_implILS5_9ELb0ES3_jN6thrust23THRUST_200600_302600_NS6detail15normal_iteratorINS9_10device_ptrIxEEEESE_PNS0_10empty_typeENS0_5tupleIJSE_SF_EEENSH_IJSE_SG_EEENS0_18inequality_wrapperI22is_equal_div_10_uniqueIxEEEPmJSF_EEE10hipError_tPvRmT3_T4_T5_T6_T7_T9_mT8_P12ihipStream_tbDpT10_ENKUlT_T0_E_clISt17integral_constantIbLb0EES17_IbLb1EEEEDaS13_S14_EUlS13_E_NS1_11comp_targetILNS1_3genE3ELNS1_11target_archE908ELNS1_3gpuE7ELNS1_3repE0EEENS1_30default_config_static_selectorELNS0_4arch9wavefront6targetE0EEEvT1_
                                        ; -- End function
	.section	.AMDGPU.csdata,"",@progbits
; Kernel info:
; codeLenInByte = 0
; NumSgprs: 0
; NumVgprs: 0
; ScratchSize: 0
; MemoryBound: 0
; FloatMode: 240
; IeeeMode: 1
; LDSByteSize: 0 bytes/workgroup (compile time only)
; SGPRBlocks: 0
; VGPRBlocks: 0
; NumSGPRsForWavesPerEU: 1
; NumVGPRsForWavesPerEU: 1
; Occupancy: 16
; WaveLimiterHint : 0
; COMPUTE_PGM_RSRC2:SCRATCH_EN: 0
; COMPUTE_PGM_RSRC2:USER_SGPR: 15
; COMPUTE_PGM_RSRC2:TRAP_HANDLER: 0
; COMPUTE_PGM_RSRC2:TGID_X_EN: 1
; COMPUTE_PGM_RSRC2:TGID_Y_EN: 0
; COMPUTE_PGM_RSRC2:TGID_Z_EN: 0
; COMPUTE_PGM_RSRC2:TIDIG_COMP_CNT: 0
	.section	.text._ZN7rocprim17ROCPRIM_400000_NS6detail17trampoline_kernelINS0_14default_configENS1_25partition_config_selectorILNS1_17partition_subalgoE9ExxbEEZZNS1_14partition_implILS5_9ELb0ES3_jN6thrust23THRUST_200600_302600_NS6detail15normal_iteratorINS9_10device_ptrIxEEEESE_PNS0_10empty_typeENS0_5tupleIJSE_SF_EEENSH_IJSE_SG_EEENS0_18inequality_wrapperI22is_equal_div_10_uniqueIxEEEPmJSF_EEE10hipError_tPvRmT3_T4_T5_T6_T7_T9_mT8_P12ihipStream_tbDpT10_ENKUlT_T0_E_clISt17integral_constantIbLb0EES17_IbLb1EEEEDaS13_S14_EUlS13_E_NS1_11comp_targetILNS1_3genE2ELNS1_11target_archE906ELNS1_3gpuE6ELNS1_3repE0EEENS1_30default_config_static_selectorELNS0_4arch9wavefront6targetE0EEEvT1_,"axG",@progbits,_ZN7rocprim17ROCPRIM_400000_NS6detail17trampoline_kernelINS0_14default_configENS1_25partition_config_selectorILNS1_17partition_subalgoE9ExxbEEZZNS1_14partition_implILS5_9ELb0ES3_jN6thrust23THRUST_200600_302600_NS6detail15normal_iteratorINS9_10device_ptrIxEEEESE_PNS0_10empty_typeENS0_5tupleIJSE_SF_EEENSH_IJSE_SG_EEENS0_18inequality_wrapperI22is_equal_div_10_uniqueIxEEEPmJSF_EEE10hipError_tPvRmT3_T4_T5_T6_T7_T9_mT8_P12ihipStream_tbDpT10_ENKUlT_T0_E_clISt17integral_constantIbLb0EES17_IbLb1EEEEDaS13_S14_EUlS13_E_NS1_11comp_targetILNS1_3genE2ELNS1_11target_archE906ELNS1_3gpuE6ELNS1_3repE0EEENS1_30default_config_static_selectorELNS0_4arch9wavefront6targetE0EEEvT1_,comdat
	.protected	_ZN7rocprim17ROCPRIM_400000_NS6detail17trampoline_kernelINS0_14default_configENS1_25partition_config_selectorILNS1_17partition_subalgoE9ExxbEEZZNS1_14partition_implILS5_9ELb0ES3_jN6thrust23THRUST_200600_302600_NS6detail15normal_iteratorINS9_10device_ptrIxEEEESE_PNS0_10empty_typeENS0_5tupleIJSE_SF_EEENSH_IJSE_SG_EEENS0_18inequality_wrapperI22is_equal_div_10_uniqueIxEEEPmJSF_EEE10hipError_tPvRmT3_T4_T5_T6_T7_T9_mT8_P12ihipStream_tbDpT10_ENKUlT_T0_E_clISt17integral_constantIbLb0EES17_IbLb1EEEEDaS13_S14_EUlS13_E_NS1_11comp_targetILNS1_3genE2ELNS1_11target_archE906ELNS1_3gpuE6ELNS1_3repE0EEENS1_30default_config_static_selectorELNS0_4arch9wavefront6targetE0EEEvT1_ ; -- Begin function _ZN7rocprim17ROCPRIM_400000_NS6detail17trampoline_kernelINS0_14default_configENS1_25partition_config_selectorILNS1_17partition_subalgoE9ExxbEEZZNS1_14partition_implILS5_9ELb0ES3_jN6thrust23THRUST_200600_302600_NS6detail15normal_iteratorINS9_10device_ptrIxEEEESE_PNS0_10empty_typeENS0_5tupleIJSE_SF_EEENSH_IJSE_SG_EEENS0_18inequality_wrapperI22is_equal_div_10_uniqueIxEEEPmJSF_EEE10hipError_tPvRmT3_T4_T5_T6_T7_T9_mT8_P12ihipStream_tbDpT10_ENKUlT_T0_E_clISt17integral_constantIbLb0EES17_IbLb1EEEEDaS13_S14_EUlS13_E_NS1_11comp_targetILNS1_3genE2ELNS1_11target_archE906ELNS1_3gpuE6ELNS1_3repE0EEENS1_30default_config_static_selectorELNS0_4arch9wavefront6targetE0EEEvT1_
	.globl	_ZN7rocprim17ROCPRIM_400000_NS6detail17trampoline_kernelINS0_14default_configENS1_25partition_config_selectorILNS1_17partition_subalgoE9ExxbEEZZNS1_14partition_implILS5_9ELb0ES3_jN6thrust23THRUST_200600_302600_NS6detail15normal_iteratorINS9_10device_ptrIxEEEESE_PNS0_10empty_typeENS0_5tupleIJSE_SF_EEENSH_IJSE_SG_EEENS0_18inequality_wrapperI22is_equal_div_10_uniqueIxEEEPmJSF_EEE10hipError_tPvRmT3_T4_T5_T6_T7_T9_mT8_P12ihipStream_tbDpT10_ENKUlT_T0_E_clISt17integral_constantIbLb0EES17_IbLb1EEEEDaS13_S14_EUlS13_E_NS1_11comp_targetILNS1_3genE2ELNS1_11target_archE906ELNS1_3gpuE6ELNS1_3repE0EEENS1_30default_config_static_selectorELNS0_4arch9wavefront6targetE0EEEvT1_
	.p2align	8
	.type	_ZN7rocprim17ROCPRIM_400000_NS6detail17trampoline_kernelINS0_14default_configENS1_25partition_config_selectorILNS1_17partition_subalgoE9ExxbEEZZNS1_14partition_implILS5_9ELb0ES3_jN6thrust23THRUST_200600_302600_NS6detail15normal_iteratorINS9_10device_ptrIxEEEESE_PNS0_10empty_typeENS0_5tupleIJSE_SF_EEENSH_IJSE_SG_EEENS0_18inequality_wrapperI22is_equal_div_10_uniqueIxEEEPmJSF_EEE10hipError_tPvRmT3_T4_T5_T6_T7_T9_mT8_P12ihipStream_tbDpT10_ENKUlT_T0_E_clISt17integral_constantIbLb0EES17_IbLb1EEEEDaS13_S14_EUlS13_E_NS1_11comp_targetILNS1_3genE2ELNS1_11target_archE906ELNS1_3gpuE6ELNS1_3repE0EEENS1_30default_config_static_selectorELNS0_4arch9wavefront6targetE0EEEvT1_,@function
_ZN7rocprim17ROCPRIM_400000_NS6detail17trampoline_kernelINS0_14default_configENS1_25partition_config_selectorILNS1_17partition_subalgoE9ExxbEEZZNS1_14partition_implILS5_9ELb0ES3_jN6thrust23THRUST_200600_302600_NS6detail15normal_iteratorINS9_10device_ptrIxEEEESE_PNS0_10empty_typeENS0_5tupleIJSE_SF_EEENSH_IJSE_SG_EEENS0_18inequality_wrapperI22is_equal_div_10_uniqueIxEEEPmJSF_EEE10hipError_tPvRmT3_T4_T5_T6_T7_T9_mT8_P12ihipStream_tbDpT10_ENKUlT_T0_E_clISt17integral_constantIbLb0EES17_IbLb1EEEEDaS13_S14_EUlS13_E_NS1_11comp_targetILNS1_3genE2ELNS1_11target_archE906ELNS1_3gpuE6ELNS1_3repE0EEENS1_30default_config_static_selectorELNS0_4arch9wavefront6targetE0EEEvT1_: ; @_ZN7rocprim17ROCPRIM_400000_NS6detail17trampoline_kernelINS0_14default_configENS1_25partition_config_selectorILNS1_17partition_subalgoE9ExxbEEZZNS1_14partition_implILS5_9ELb0ES3_jN6thrust23THRUST_200600_302600_NS6detail15normal_iteratorINS9_10device_ptrIxEEEESE_PNS0_10empty_typeENS0_5tupleIJSE_SF_EEENSH_IJSE_SG_EEENS0_18inequality_wrapperI22is_equal_div_10_uniqueIxEEEPmJSF_EEE10hipError_tPvRmT3_T4_T5_T6_T7_T9_mT8_P12ihipStream_tbDpT10_ENKUlT_T0_E_clISt17integral_constantIbLb0EES17_IbLb1EEEEDaS13_S14_EUlS13_E_NS1_11comp_targetILNS1_3genE2ELNS1_11target_archE906ELNS1_3gpuE6ELNS1_3repE0EEENS1_30default_config_static_selectorELNS0_4arch9wavefront6targetE0EEEvT1_
; %bb.0:
	.section	.rodata,"a",@progbits
	.p2align	6, 0x0
	.amdhsa_kernel _ZN7rocprim17ROCPRIM_400000_NS6detail17trampoline_kernelINS0_14default_configENS1_25partition_config_selectorILNS1_17partition_subalgoE9ExxbEEZZNS1_14partition_implILS5_9ELb0ES3_jN6thrust23THRUST_200600_302600_NS6detail15normal_iteratorINS9_10device_ptrIxEEEESE_PNS0_10empty_typeENS0_5tupleIJSE_SF_EEENSH_IJSE_SG_EEENS0_18inequality_wrapperI22is_equal_div_10_uniqueIxEEEPmJSF_EEE10hipError_tPvRmT3_T4_T5_T6_T7_T9_mT8_P12ihipStream_tbDpT10_ENKUlT_T0_E_clISt17integral_constantIbLb0EES17_IbLb1EEEEDaS13_S14_EUlS13_E_NS1_11comp_targetILNS1_3genE2ELNS1_11target_archE906ELNS1_3gpuE6ELNS1_3repE0EEENS1_30default_config_static_selectorELNS0_4arch9wavefront6targetE0EEEvT1_
		.amdhsa_group_segment_fixed_size 0
		.amdhsa_private_segment_fixed_size 0
		.amdhsa_kernarg_size 128
		.amdhsa_user_sgpr_count 15
		.amdhsa_user_sgpr_dispatch_ptr 0
		.amdhsa_user_sgpr_queue_ptr 0
		.amdhsa_user_sgpr_kernarg_segment_ptr 1
		.amdhsa_user_sgpr_dispatch_id 0
		.amdhsa_user_sgpr_private_segment_size 0
		.amdhsa_wavefront_size32 1
		.amdhsa_uses_dynamic_stack 0
		.amdhsa_enable_private_segment 0
		.amdhsa_system_sgpr_workgroup_id_x 1
		.amdhsa_system_sgpr_workgroup_id_y 0
		.amdhsa_system_sgpr_workgroup_id_z 0
		.amdhsa_system_sgpr_workgroup_info 0
		.amdhsa_system_vgpr_workitem_id 0
		.amdhsa_next_free_vgpr 1
		.amdhsa_next_free_sgpr 1
		.amdhsa_reserve_vcc 0
		.amdhsa_float_round_mode_32 0
		.amdhsa_float_round_mode_16_64 0
		.amdhsa_float_denorm_mode_32 3
		.amdhsa_float_denorm_mode_16_64 3
		.amdhsa_dx10_clamp 1
		.amdhsa_ieee_mode 1
		.amdhsa_fp16_overflow 0
		.amdhsa_workgroup_processor_mode 1
		.amdhsa_memory_ordered 1
		.amdhsa_forward_progress 0
		.amdhsa_shared_vgpr_count 0
		.amdhsa_exception_fp_ieee_invalid_op 0
		.amdhsa_exception_fp_denorm_src 0
		.amdhsa_exception_fp_ieee_div_zero 0
		.amdhsa_exception_fp_ieee_overflow 0
		.amdhsa_exception_fp_ieee_underflow 0
		.amdhsa_exception_fp_ieee_inexact 0
		.amdhsa_exception_int_div_zero 0
	.end_amdhsa_kernel
	.section	.text._ZN7rocprim17ROCPRIM_400000_NS6detail17trampoline_kernelINS0_14default_configENS1_25partition_config_selectorILNS1_17partition_subalgoE9ExxbEEZZNS1_14partition_implILS5_9ELb0ES3_jN6thrust23THRUST_200600_302600_NS6detail15normal_iteratorINS9_10device_ptrIxEEEESE_PNS0_10empty_typeENS0_5tupleIJSE_SF_EEENSH_IJSE_SG_EEENS0_18inequality_wrapperI22is_equal_div_10_uniqueIxEEEPmJSF_EEE10hipError_tPvRmT3_T4_T5_T6_T7_T9_mT8_P12ihipStream_tbDpT10_ENKUlT_T0_E_clISt17integral_constantIbLb0EES17_IbLb1EEEEDaS13_S14_EUlS13_E_NS1_11comp_targetILNS1_3genE2ELNS1_11target_archE906ELNS1_3gpuE6ELNS1_3repE0EEENS1_30default_config_static_selectorELNS0_4arch9wavefront6targetE0EEEvT1_,"axG",@progbits,_ZN7rocprim17ROCPRIM_400000_NS6detail17trampoline_kernelINS0_14default_configENS1_25partition_config_selectorILNS1_17partition_subalgoE9ExxbEEZZNS1_14partition_implILS5_9ELb0ES3_jN6thrust23THRUST_200600_302600_NS6detail15normal_iteratorINS9_10device_ptrIxEEEESE_PNS0_10empty_typeENS0_5tupleIJSE_SF_EEENSH_IJSE_SG_EEENS0_18inequality_wrapperI22is_equal_div_10_uniqueIxEEEPmJSF_EEE10hipError_tPvRmT3_T4_T5_T6_T7_T9_mT8_P12ihipStream_tbDpT10_ENKUlT_T0_E_clISt17integral_constantIbLb0EES17_IbLb1EEEEDaS13_S14_EUlS13_E_NS1_11comp_targetILNS1_3genE2ELNS1_11target_archE906ELNS1_3gpuE6ELNS1_3repE0EEENS1_30default_config_static_selectorELNS0_4arch9wavefront6targetE0EEEvT1_,comdat
.Lfunc_end400:
	.size	_ZN7rocprim17ROCPRIM_400000_NS6detail17trampoline_kernelINS0_14default_configENS1_25partition_config_selectorILNS1_17partition_subalgoE9ExxbEEZZNS1_14partition_implILS5_9ELb0ES3_jN6thrust23THRUST_200600_302600_NS6detail15normal_iteratorINS9_10device_ptrIxEEEESE_PNS0_10empty_typeENS0_5tupleIJSE_SF_EEENSH_IJSE_SG_EEENS0_18inequality_wrapperI22is_equal_div_10_uniqueIxEEEPmJSF_EEE10hipError_tPvRmT3_T4_T5_T6_T7_T9_mT8_P12ihipStream_tbDpT10_ENKUlT_T0_E_clISt17integral_constantIbLb0EES17_IbLb1EEEEDaS13_S14_EUlS13_E_NS1_11comp_targetILNS1_3genE2ELNS1_11target_archE906ELNS1_3gpuE6ELNS1_3repE0EEENS1_30default_config_static_selectorELNS0_4arch9wavefront6targetE0EEEvT1_, .Lfunc_end400-_ZN7rocprim17ROCPRIM_400000_NS6detail17trampoline_kernelINS0_14default_configENS1_25partition_config_selectorILNS1_17partition_subalgoE9ExxbEEZZNS1_14partition_implILS5_9ELb0ES3_jN6thrust23THRUST_200600_302600_NS6detail15normal_iteratorINS9_10device_ptrIxEEEESE_PNS0_10empty_typeENS0_5tupleIJSE_SF_EEENSH_IJSE_SG_EEENS0_18inequality_wrapperI22is_equal_div_10_uniqueIxEEEPmJSF_EEE10hipError_tPvRmT3_T4_T5_T6_T7_T9_mT8_P12ihipStream_tbDpT10_ENKUlT_T0_E_clISt17integral_constantIbLb0EES17_IbLb1EEEEDaS13_S14_EUlS13_E_NS1_11comp_targetILNS1_3genE2ELNS1_11target_archE906ELNS1_3gpuE6ELNS1_3repE0EEENS1_30default_config_static_selectorELNS0_4arch9wavefront6targetE0EEEvT1_
                                        ; -- End function
	.section	.AMDGPU.csdata,"",@progbits
; Kernel info:
; codeLenInByte = 0
; NumSgprs: 0
; NumVgprs: 0
; ScratchSize: 0
; MemoryBound: 0
; FloatMode: 240
; IeeeMode: 1
; LDSByteSize: 0 bytes/workgroup (compile time only)
; SGPRBlocks: 0
; VGPRBlocks: 0
; NumSGPRsForWavesPerEU: 1
; NumVGPRsForWavesPerEU: 1
; Occupancy: 15
; WaveLimiterHint : 0
; COMPUTE_PGM_RSRC2:SCRATCH_EN: 0
; COMPUTE_PGM_RSRC2:USER_SGPR: 15
; COMPUTE_PGM_RSRC2:TRAP_HANDLER: 0
; COMPUTE_PGM_RSRC2:TGID_X_EN: 1
; COMPUTE_PGM_RSRC2:TGID_Y_EN: 0
; COMPUTE_PGM_RSRC2:TGID_Z_EN: 0
; COMPUTE_PGM_RSRC2:TIDIG_COMP_CNT: 0
	.section	.text._ZN7rocprim17ROCPRIM_400000_NS6detail17trampoline_kernelINS0_14default_configENS1_25partition_config_selectorILNS1_17partition_subalgoE9ExxbEEZZNS1_14partition_implILS5_9ELb0ES3_jN6thrust23THRUST_200600_302600_NS6detail15normal_iteratorINS9_10device_ptrIxEEEESE_PNS0_10empty_typeENS0_5tupleIJSE_SF_EEENSH_IJSE_SG_EEENS0_18inequality_wrapperI22is_equal_div_10_uniqueIxEEEPmJSF_EEE10hipError_tPvRmT3_T4_T5_T6_T7_T9_mT8_P12ihipStream_tbDpT10_ENKUlT_T0_E_clISt17integral_constantIbLb0EES17_IbLb1EEEEDaS13_S14_EUlS13_E_NS1_11comp_targetILNS1_3genE10ELNS1_11target_archE1200ELNS1_3gpuE4ELNS1_3repE0EEENS1_30default_config_static_selectorELNS0_4arch9wavefront6targetE0EEEvT1_,"axG",@progbits,_ZN7rocprim17ROCPRIM_400000_NS6detail17trampoline_kernelINS0_14default_configENS1_25partition_config_selectorILNS1_17partition_subalgoE9ExxbEEZZNS1_14partition_implILS5_9ELb0ES3_jN6thrust23THRUST_200600_302600_NS6detail15normal_iteratorINS9_10device_ptrIxEEEESE_PNS0_10empty_typeENS0_5tupleIJSE_SF_EEENSH_IJSE_SG_EEENS0_18inequality_wrapperI22is_equal_div_10_uniqueIxEEEPmJSF_EEE10hipError_tPvRmT3_T4_T5_T6_T7_T9_mT8_P12ihipStream_tbDpT10_ENKUlT_T0_E_clISt17integral_constantIbLb0EES17_IbLb1EEEEDaS13_S14_EUlS13_E_NS1_11comp_targetILNS1_3genE10ELNS1_11target_archE1200ELNS1_3gpuE4ELNS1_3repE0EEENS1_30default_config_static_selectorELNS0_4arch9wavefront6targetE0EEEvT1_,comdat
	.protected	_ZN7rocprim17ROCPRIM_400000_NS6detail17trampoline_kernelINS0_14default_configENS1_25partition_config_selectorILNS1_17partition_subalgoE9ExxbEEZZNS1_14partition_implILS5_9ELb0ES3_jN6thrust23THRUST_200600_302600_NS6detail15normal_iteratorINS9_10device_ptrIxEEEESE_PNS0_10empty_typeENS0_5tupleIJSE_SF_EEENSH_IJSE_SG_EEENS0_18inequality_wrapperI22is_equal_div_10_uniqueIxEEEPmJSF_EEE10hipError_tPvRmT3_T4_T5_T6_T7_T9_mT8_P12ihipStream_tbDpT10_ENKUlT_T0_E_clISt17integral_constantIbLb0EES17_IbLb1EEEEDaS13_S14_EUlS13_E_NS1_11comp_targetILNS1_3genE10ELNS1_11target_archE1200ELNS1_3gpuE4ELNS1_3repE0EEENS1_30default_config_static_selectorELNS0_4arch9wavefront6targetE0EEEvT1_ ; -- Begin function _ZN7rocprim17ROCPRIM_400000_NS6detail17trampoline_kernelINS0_14default_configENS1_25partition_config_selectorILNS1_17partition_subalgoE9ExxbEEZZNS1_14partition_implILS5_9ELb0ES3_jN6thrust23THRUST_200600_302600_NS6detail15normal_iteratorINS9_10device_ptrIxEEEESE_PNS0_10empty_typeENS0_5tupleIJSE_SF_EEENSH_IJSE_SG_EEENS0_18inequality_wrapperI22is_equal_div_10_uniqueIxEEEPmJSF_EEE10hipError_tPvRmT3_T4_T5_T6_T7_T9_mT8_P12ihipStream_tbDpT10_ENKUlT_T0_E_clISt17integral_constantIbLb0EES17_IbLb1EEEEDaS13_S14_EUlS13_E_NS1_11comp_targetILNS1_3genE10ELNS1_11target_archE1200ELNS1_3gpuE4ELNS1_3repE0EEENS1_30default_config_static_selectorELNS0_4arch9wavefront6targetE0EEEvT1_
	.globl	_ZN7rocprim17ROCPRIM_400000_NS6detail17trampoline_kernelINS0_14default_configENS1_25partition_config_selectorILNS1_17partition_subalgoE9ExxbEEZZNS1_14partition_implILS5_9ELb0ES3_jN6thrust23THRUST_200600_302600_NS6detail15normal_iteratorINS9_10device_ptrIxEEEESE_PNS0_10empty_typeENS0_5tupleIJSE_SF_EEENSH_IJSE_SG_EEENS0_18inequality_wrapperI22is_equal_div_10_uniqueIxEEEPmJSF_EEE10hipError_tPvRmT3_T4_T5_T6_T7_T9_mT8_P12ihipStream_tbDpT10_ENKUlT_T0_E_clISt17integral_constantIbLb0EES17_IbLb1EEEEDaS13_S14_EUlS13_E_NS1_11comp_targetILNS1_3genE10ELNS1_11target_archE1200ELNS1_3gpuE4ELNS1_3repE0EEENS1_30default_config_static_selectorELNS0_4arch9wavefront6targetE0EEEvT1_
	.p2align	8
	.type	_ZN7rocprim17ROCPRIM_400000_NS6detail17trampoline_kernelINS0_14default_configENS1_25partition_config_selectorILNS1_17partition_subalgoE9ExxbEEZZNS1_14partition_implILS5_9ELb0ES3_jN6thrust23THRUST_200600_302600_NS6detail15normal_iteratorINS9_10device_ptrIxEEEESE_PNS0_10empty_typeENS0_5tupleIJSE_SF_EEENSH_IJSE_SG_EEENS0_18inequality_wrapperI22is_equal_div_10_uniqueIxEEEPmJSF_EEE10hipError_tPvRmT3_T4_T5_T6_T7_T9_mT8_P12ihipStream_tbDpT10_ENKUlT_T0_E_clISt17integral_constantIbLb0EES17_IbLb1EEEEDaS13_S14_EUlS13_E_NS1_11comp_targetILNS1_3genE10ELNS1_11target_archE1200ELNS1_3gpuE4ELNS1_3repE0EEENS1_30default_config_static_selectorELNS0_4arch9wavefront6targetE0EEEvT1_,@function
_ZN7rocprim17ROCPRIM_400000_NS6detail17trampoline_kernelINS0_14default_configENS1_25partition_config_selectorILNS1_17partition_subalgoE9ExxbEEZZNS1_14partition_implILS5_9ELb0ES3_jN6thrust23THRUST_200600_302600_NS6detail15normal_iteratorINS9_10device_ptrIxEEEESE_PNS0_10empty_typeENS0_5tupleIJSE_SF_EEENSH_IJSE_SG_EEENS0_18inequality_wrapperI22is_equal_div_10_uniqueIxEEEPmJSF_EEE10hipError_tPvRmT3_T4_T5_T6_T7_T9_mT8_P12ihipStream_tbDpT10_ENKUlT_T0_E_clISt17integral_constantIbLb0EES17_IbLb1EEEEDaS13_S14_EUlS13_E_NS1_11comp_targetILNS1_3genE10ELNS1_11target_archE1200ELNS1_3gpuE4ELNS1_3repE0EEENS1_30default_config_static_selectorELNS0_4arch9wavefront6targetE0EEEvT1_: ; @_ZN7rocprim17ROCPRIM_400000_NS6detail17trampoline_kernelINS0_14default_configENS1_25partition_config_selectorILNS1_17partition_subalgoE9ExxbEEZZNS1_14partition_implILS5_9ELb0ES3_jN6thrust23THRUST_200600_302600_NS6detail15normal_iteratorINS9_10device_ptrIxEEEESE_PNS0_10empty_typeENS0_5tupleIJSE_SF_EEENSH_IJSE_SG_EEENS0_18inequality_wrapperI22is_equal_div_10_uniqueIxEEEPmJSF_EEE10hipError_tPvRmT3_T4_T5_T6_T7_T9_mT8_P12ihipStream_tbDpT10_ENKUlT_T0_E_clISt17integral_constantIbLb0EES17_IbLb1EEEEDaS13_S14_EUlS13_E_NS1_11comp_targetILNS1_3genE10ELNS1_11target_archE1200ELNS1_3gpuE4ELNS1_3repE0EEENS1_30default_config_static_selectorELNS0_4arch9wavefront6targetE0EEEvT1_
; %bb.0:
	.section	.rodata,"a",@progbits
	.p2align	6, 0x0
	.amdhsa_kernel _ZN7rocprim17ROCPRIM_400000_NS6detail17trampoline_kernelINS0_14default_configENS1_25partition_config_selectorILNS1_17partition_subalgoE9ExxbEEZZNS1_14partition_implILS5_9ELb0ES3_jN6thrust23THRUST_200600_302600_NS6detail15normal_iteratorINS9_10device_ptrIxEEEESE_PNS0_10empty_typeENS0_5tupleIJSE_SF_EEENSH_IJSE_SG_EEENS0_18inequality_wrapperI22is_equal_div_10_uniqueIxEEEPmJSF_EEE10hipError_tPvRmT3_T4_T5_T6_T7_T9_mT8_P12ihipStream_tbDpT10_ENKUlT_T0_E_clISt17integral_constantIbLb0EES17_IbLb1EEEEDaS13_S14_EUlS13_E_NS1_11comp_targetILNS1_3genE10ELNS1_11target_archE1200ELNS1_3gpuE4ELNS1_3repE0EEENS1_30default_config_static_selectorELNS0_4arch9wavefront6targetE0EEEvT1_
		.amdhsa_group_segment_fixed_size 0
		.amdhsa_private_segment_fixed_size 0
		.amdhsa_kernarg_size 128
		.amdhsa_user_sgpr_count 15
		.amdhsa_user_sgpr_dispatch_ptr 0
		.amdhsa_user_sgpr_queue_ptr 0
		.amdhsa_user_sgpr_kernarg_segment_ptr 1
		.amdhsa_user_sgpr_dispatch_id 0
		.amdhsa_user_sgpr_private_segment_size 0
		.amdhsa_wavefront_size32 1
		.amdhsa_uses_dynamic_stack 0
		.amdhsa_enable_private_segment 0
		.amdhsa_system_sgpr_workgroup_id_x 1
		.amdhsa_system_sgpr_workgroup_id_y 0
		.amdhsa_system_sgpr_workgroup_id_z 0
		.amdhsa_system_sgpr_workgroup_info 0
		.amdhsa_system_vgpr_workitem_id 0
		.amdhsa_next_free_vgpr 1
		.amdhsa_next_free_sgpr 1
		.amdhsa_reserve_vcc 0
		.amdhsa_float_round_mode_32 0
		.amdhsa_float_round_mode_16_64 0
		.amdhsa_float_denorm_mode_32 3
		.amdhsa_float_denorm_mode_16_64 3
		.amdhsa_dx10_clamp 1
		.amdhsa_ieee_mode 1
		.amdhsa_fp16_overflow 0
		.amdhsa_workgroup_processor_mode 1
		.amdhsa_memory_ordered 1
		.amdhsa_forward_progress 0
		.amdhsa_shared_vgpr_count 0
		.amdhsa_exception_fp_ieee_invalid_op 0
		.amdhsa_exception_fp_denorm_src 0
		.amdhsa_exception_fp_ieee_div_zero 0
		.amdhsa_exception_fp_ieee_overflow 0
		.amdhsa_exception_fp_ieee_underflow 0
		.amdhsa_exception_fp_ieee_inexact 0
		.amdhsa_exception_int_div_zero 0
	.end_amdhsa_kernel
	.section	.text._ZN7rocprim17ROCPRIM_400000_NS6detail17trampoline_kernelINS0_14default_configENS1_25partition_config_selectorILNS1_17partition_subalgoE9ExxbEEZZNS1_14partition_implILS5_9ELb0ES3_jN6thrust23THRUST_200600_302600_NS6detail15normal_iteratorINS9_10device_ptrIxEEEESE_PNS0_10empty_typeENS0_5tupleIJSE_SF_EEENSH_IJSE_SG_EEENS0_18inequality_wrapperI22is_equal_div_10_uniqueIxEEEPmJSF_EEE10hipError_tPvRmT3_T4_T5_T6_T7_T9_mT8_P12ihipStream_tbDpT10_ENKUlT_T0_E_clISt17integral_constantIbLb0EES17_IbLb1EEEEDaS13_S14_EUlS13_E_NS1_11comp_targetILNS1_3genE10ELNS1_11target_archE1200ELNS1_3gpuE4ELNS1_3repE0EEENS1_30default_config_static_selectorELNS0_4arch9wavefront6targetE0EEEvT1_,"axG",@progbits,_ZN7rocprim17ROCPRIM_400000_NS6detail17trampoline_kernelINS0_14default_configENS1_25partition_config_selectorILNS1_17partition_subalgoE9ExxbEEZZNS1_14partition_implILS5_9ELb0ES3_jN6thrust23THRUST_200600_302600_NS6detail15normal_iteratorINS9_10device_ptrIxEEEESE_PNS0_10empty_typeENS0_5tupleIJSE_SF_EEENSH_IJSE_SG_EEENS0_18inequality_wrapperI22is_equal_div_10_uniqueIxEEEPmJSF_EEE10hipError_tPvRmT3_T4_T5_T6_T7_T9_mT8_P12ihipStream_tbDpT10_ENKUlT_T0_E_clISt17integral_constantIbLb0EES17_IbLb1EEEEDaS13_S14_EUlS13_E_NS1_11comp_targetILNS1_3genE10ELNS1_11target_archE1200ELNS1_3gpuE4ELNS1_3repE0EEENS1_30default_config_static_selectorELNS0_4arch9wavefront6targetE0EEEvT1_,comdat
.Lfunc_end401:
	.size	_ZN7rocprim17ROCPRIM_400000_NS6detail17trampoline_kernelINS0_14default_configENS1_25partition_config_selectorILNS1_17partition_subalgoE9ExxbEEZZNS1_14partition_implILS5_9ELb0ES3_jN6thrust23THRUST_200600_302600_NS6detail15normal_iteratorINS9_10device_ptrIxEEEESE_PNS0_10empty_typeENS0_5tupleIJSE_SF_EEENSH_IJSE_SG_EEENS0_18inequality_wrapperI22is_equal_div_10_uniqueIxEEEPmJSF_EEE10hipError_tPvRmT3_T4_T5_T6_T7_T9_mT8_P12ihipStream_tbDpT10_ENKUlT_T0_E_clISt17integral_constantIbLb0EES17_IbLb1EEEEDaS13_S14_EUlS13_E_NS1_11comp_targetILNS1_3genE10ELNS1_11target_archE1200ELNS1_3gpuE4ELNS1_3repE0EEENS1_30default_config_static_selectorELNS0_4arch9wavefront6targetE0EEEvT1_, .Lfunc_end401-_ZN7rocprim17ROCPRIM_400000_NS6detail17trampoline_kernelINS0_14default_configENS1_25partition_config_selectorILNS1_17partition_subalgoE9ExxbEEZZNS1_14partition_implILS5_9ELb0ES3_jN6thrust23THRUST_200600_302600_NS6detail15normal_iteratorINS9_10device_ptrIxEEEESE_PNS0_10empty_typeENS0_5tupleIJSE_SF_EEENSH_IJSE_SG_EEENS0_18inequality_wrapperI22is_equal_div_10_uniqueIxEEEPmJSF_EEE10hipError_tPvRmT3_T4_T5_T6_T7_T9_mT8_P12ihipStream_tbDpT10_ENKUlT_T0_E_clISt17integral_constantIbLb0EES17_IbLb1EEEEDaS13_S14_EUlS13_E_NS1_11comp_targetILNS1_3genE10ELNS1_11target_archE1200ELNS1_3gpuE4ELNS1_3repE0EEENS1_30default_config_static_selectorELNS0_4arch9wavefront6targetE0EEEvT1_
                                        ; -- End function
	.section	.AMDGPU.csdata,"",@progbits
; Kernel info:
; codeLenInByte = 0
; NumSgprs: 0
; NumVgprs: 0
; ScratchSize: 0
; MemoryBound: 0
; FloatMode: 240
; IeeeMode: 1
; LDSByteSize: 0 bytes/workgroup (compile time only)
; SGPRBlocks: 0
; VGPRBlocks: 0
; NumSGPRsForWavesPerEU: 1
; NumVGPRsForWavesPerEU: 1
; Occupancy: 15
; WaveLimiterHint : 0
; COMPUTE_PGM_RSRC2:SCRATCH_EN: 0
; COMPUTE_PGM_RSRC2:USER_SGPR: 15
; COMPUTE_PGM_RSRC2:TRAP_HANDLER: 0
; COMPUTE_PGM_RSRC2:TGID_X_EN: 1
; COMPUTE_PGM_RSRC2:TGID_Y_EN: 0
; COMPUTE_PGM_RSRC2:TGID_Z_EN: 0
; COMPUTE_PGM_RSRC2:TIDIG_COMP_CNT: 0
	.section	.text._ZN7rocprim17ROCPRIM_400000_NS6detail17trampoline_kernelINS0_14default_configENS1_25partition_config_selectorILNS1_17partition_subalgoE9ExxbEEZZNS1_14partition_implILS5_9ELb0ES3_jN6thrust23THRUST_200600_302600_NS6detail15normal_iteratorINS9_10device_ptrIxEEEESE_PNS0_10empty_typeENS0_5tupleIJSE_SF_EEENSH_IJSE_SG_EEENS0_18inequality_wrapperI22is_equal_div_10_uniqueIxEEEPmJSF_EEE10hipError_tPvRmT3_T4_T5_T6_T7_T9_mT8_P12ihipStream_tbDpT10_ENKUlT_T0_E_clISt17integral_constantIbLb0EES17_IbLb1EEEEDaS13_S14_EUlS13_E_NS1_11comp_targetILNS1_3genE9ELNS1_11target_archE1100ELNS1_3gpuE3ELNS1_3repE0EEENS1_30default_config_static_selectorELNS0_4arch9wavefront6targetE0EEEvT1_,"axG",@progbits,_ZN7rocprim17ROCPRIM_400000_NS6detail17trampoline_kernelINS0_14default_configENS1_25partition_config_selectorILNS1_17partition_subalgoE9ExxbEEZZNS1_14partition_implILS5_9ELb0ES3_jN6thrust23THRUST_200600_302600_NS6detail15normal_iteratorINS9_10device_ptrIxEEEESE_PNS0_10empty_typeENS0_5tupleIJSE_SF_EEENSH_IJSE_SG_EEENS0_18inequality_wrapperI22is_equal_div_10_uniqueIxEEEPmJSF_EEE10hipError_tPvRmT3_T4_T5_T6_T7_T9_mT8_P12ihipStream_tbDpT10_ENKUlT_T0_E_clISt17integral_constantIbLb0EES17_IbLb1EEEEDaS13_S14_EUlS13_E_NS1_11comp_targetILNS1_3genE9ELNS1_11target_archE1100ELNS1_3gpuE3ELNS1_3repE0EEENS1_30default_config_static_selectorELNS0_4arch9wavefront6targetE0EEEvT1_,comdat
	.protected	_ZN7rocprim17ROCPRIM_400000_NS6detail17trampoline_kernelINS0_14default_configENS1_25partition_config_selectorILNS1_17partition_subalgoE9ExxbEEZZNS1_14partition_implILS5_9ELb0ES3_jN6thrust23THRUST_200600_302600_NS6detail15normal_iteratorINS9_10device_ptrIxEEEESE_PNS0_10empty_typeENS0_5tupleIJSE_SF_EEENSH_IJSE_SG_EEENS0_18inequality_wrapperI22is_equal_div_10_uniqueIxEEEPmJSF_EEE10hipError_tPvRmT3_T4_T5_T6_T7_T9_mT8_P12ihipStream_tbDpT10_ENKUlT_T0_E_clISt17integral_constantIbLb0EES17_IbLb1EEEEDaS13_S14_EUlS13_E_NS1_11comp_targetILNS1_3genE9ELNS1_11target_archE1100ELNS1_3gpuE3ELNS1_3repE0EEENS1_30default_config_static_selectorELNS0_4arch9wavefront6targetE0EEEvT1_ ; -- Begin function _ZN7rocprim17ROCPRIM_400000_NS6detail17trampoline_kernelINS0_14default_configENS1_25partition_config_selectorILNS1_17partition_subalgoE9ExxbEEZZNS1_14partition_implILS5_9ELb0ES3_jN6thrust23THRUST_200600_302600_NS6detail15normal_iteratorINS9_10device_ptrIxEEEESE_PNS0_10empty_typeENS0_5tupleIJSE_SF_EEENSH_IJSE_SG_EEENS0_18inequality_wrapperI22is_equal_div_10_uniqueIxEEEPmJSF_EEE10hipError_tPvRmT3_T4_T5_T6_T7_T9_mT8_P12ihipStream_tbDpT10_ENKUlT_T0_E_clISt17integral_constantIbLb0EES17_IbLb1EEEEDaS13_S14_EUlS13_E_NS1_11comp_targetILNS1_3genE9ELNS1_11target_archE1100ELNS1_3gpuE3ELNS1_3repE0EEENS1_30default_config_static_selectorELNS0_4arch9wavefront6targetE0EEEvT1_
	.globl	_ZN7rocprim17ROCPRIM_400000_NS6detail17trampoline_kernelINS0_14default_configENS1_25partition_config_selectorILNS1_17partition_subalgoE9ExxbEEZZNS1_14partition_implILS5_9ELb0ES3_jN6thrust23THRUST_200600_302600_NS6detail15normal_iteratorINS9_10device_ptrIxEEEESE_PNS0_10empty_typeENS0_5tupleIJSE_SF_EEENSH_IJSE_SG_EEENS0_18inequality_wrapperI22is_equal_div_10_uniqueIxEEEPmJSF_EEE10hipError_tPvRmT3_T4_T5_T6_T7_T9_mT8_P12ihipStream_tbDpT10_ENKUlT_T0_E_clISt17integral_constantIbLb0EES17_IbLb1EEEEDaS13_S14_EUlS13_E_NS1_11comp_targetILNS1_3genE9ELNS1_11target_archE1100ELNS1_3gpuE3ELNS1_3repE0EEENS1_30default_config_static_selectorELNS0_4arch9wavefront6targetE0EEEvT1_
	.p2align	8
	.type	_ZN7rocprim17ROCPRIM_400000_NS6detail17trampoline_kernelINS0_14default_configENS1_25partition_config_selectorILNS1_17partition_subalgoE9ExxbEEZZNS1_14partition_implILS5_9ELb0ES3_jN6thrust23THRUST_200600_302600_NS6detail15normal_iteratorINS9_10device_ptrIxEEEESE_PNS0_10empty_typeENS0_5tupleIJSE_SF_EEENSH_IJSE_SG_EEENS0_18inequality_wrapperI22is_equal_div_10_uniqueIxEEEPmJSF_EEE10hipError_tPvRmT3_T4_T5_T6_T7_T9_mT8_P12ihipStream_tbDpT10_ENKUlT_T0_E_clISt17integral_constantIbLb0EES17_IbLb1EEEEDaS13_S14_EUlS13_E_NS1_11comp_targetILNS1_3genE9ELNS1_11target_archE1100ELNS1_3gpuE3ELNS1_3repE0EEENS1_30default_config_static_selectorELNS0_4arch9wavefront6targetE0EEEvT1_,@function
_ZN7rocprim17ROCPRIM_400000_NS6detail17trampoline_kernelINS0_14default_configENS1_25partition_config_selectorILNS1_17partition_subalgoE9ExxbEEZZNS1_14partition_implILS5_9ELb0ES3_jN6thrust23THRUST_200600_302600_NS6detail15normal_iteratorINS9_10device_ptrIxEEEESE_PNS0_10empty_typeENS0_5tupleIJSE_SF_EEENSH_IJSE_SG_EEENS0_18inequality_wrapperI22is_equal_div_10_uniqueIxEEEPmJSF_EEE10hipError_tPvRmT3_T4_T5_T6_T7_T9_mT8_P12ihipStream_tbDpT10_ENKUlT_T0_E_clISt17integral_constantIbLb0EES17_IbLb1EEEEDaS13_S14_EUlS13_E_NS1_11comp_targetILNS1_3genE9ELNS1_11target_archE1100ELNS1_3gpuE3ELNS1_3repE0EEENS1_30default_config_static_selectorELNS0_4arch9wavefront6targetE0EEEvT1_: ; @_ZN7rocprim17ROCPRIM_400000_NS6detail17trampoline_kernelINS0_14default_configENS1_25partition_config_selectorILNS1_17partition_subalgoE9ExxbEEZZNS1_14partition_implILS5_9ELb0ES3_jN6thrust23THRUST_200600_302600_NS6detail15normal_iteratorINS9_10device_ptrIxEEEESE_PNS0_10empty_typeENS0_5tupleIJSE_SF_EEENSH_IJSE_SG_EEENS0_18inequality_wrapperI22is_equal_div_10_uniqueIxEEEPmJSF_EEE10hipError_tPvRmT3_T4_T5_T6_T7_T9_mT8_P12ihipStream_tbDpT10_ENKUlT_T0_E_clISt17integral_constantIbLb0EES17_IbLb1EEEEDaS13_S14_EUlS13_E_NS1_11comp_targetILNS1_3genE9ELNS1_11target_archE1100ELNS1_3gpuE3ELNS1_3repE0EEENS1_30default_config_static_selectorELNS0_4arch9wavefront6targetE0EEEvT1_
; %bb.0:
	s_clause 0x4
	s_load_b128 s[4:7], s[0:1], 0x8
	s_load_b64 s[18:19], s[0:1], 0x18
	s_load_b128 s[8:11], s[0:1], 0x40
	s_load_b64 s[22:23], s[0:1], 0x50
	s_load_b64 s[16:17], s[0:1], 0x60
	v_cmp_ne_u32_e64 s3, 0, v0
	v_cmp_eq_u32_e64 s2, 0, v0
	s_delay_alu instid0(VALU_DEP_1)
	s_and_saveexec_b32 s12, s2
	s_cbranch_execz .LBB402_4
; %bb.1:
	s_mov_b32 s14, exec_lo
	s_mov_b32 s13, exec_lo
	v_mbcnt_lo_u32_b32 v1, s14, 0
                                        ; implicit-def: $vgpr2
	s_delay_alu instid0(VALU_DEP_1)
	v_cmpx_eq_u32_e32 0, v1
	s_cbranch_execz .LBB402_3
; %bb.2:
	s_load_b64 s[20:21], s[0:1], 0x70
	s_bcnt1_i32_b32 s14, s14
	s_delay_alu instid0(SALU_CYCLE_1)
	v_dual_mov_b32 v2, 0 :: v_dual_mov_b32 v3, s14
	s_waitcnt lgkmcnt(0)
	global_atomic_add_u32 v2, v2, v3, s[20:21] glc
.LBB402_3:
	s_or_b32 exec_lo, exec_lo, s13
	s_waitcnt vmcnt(0)
	v_readfirstlane_b32 s13, v2
	s_delay_alu instid0(VALU_DEP_1)
	v_dual_mov_b32 v2, 0 :: v_dual_add_nc_u32 v1, s13, v1
	ds_store_b32 v2, v1
.LBB402_4:
	s_or_b32 exec_lo, exec_lo, s12
	v_mov_b32_e32 v1, 0
	s_clause 0x1
	s_load_b128 s[12:15], s[0:1], 0x28
	s_load_b32 s0, s[0:1], 0x68
	s_waitcnt lgkmcnt(0)
	s_barrier
	buffer_gl0_inv
	ds_load_b32 v3, v1
	s_waitcnt lgkmcnt(0)
	s_barrier
	buffer_gl0_inv
	global_load_b64 v[1:2], v1, s[10:11]
	s_lshl_b64 s[20:21], s[6:7], 3
	s_mov_b32 s11, 0
	s_add_u32 s26, s4, s20
	s_addc_u32 s28, s5, s21
	v_lshlrev_b32_e32 v55, 3, v0
	v_lshrrev_b32_e32 v34, 2, v0
	v_or_b32_e32 v39, 0x200, v0
	v_or_b32_e32 v38, 0x400, v0
	;; [unrolled: 1-line block ×5, first 2 shown]
	s_add_i32 s4, s0, -1
	s_lshl_b32 s0, s0, 12
	s_lshl_b32 s1, s4, 12
	v_or_b32_e32 v33, 0xc00, v0
	v_readfirstlane_b32 s24, v3
	s_add_i32 s1, s6, s1
	v_or_b32_e32 v36, 0xe00, v0
	s_sub_i32 s25, s22, s1
	s_delay_alu instid0(VALU_DEP_2)
	s_lshl_b32 s10, s24, 12
	s_add_u32 s0, s6, s0
	s_addc_u32 s1, s7, 0
	s_cmp_eq_u32 s24, s4
	v_cmp_ge_u64_e64 s0, s[0:1], s[22:23]
	s_cselect_b32 s22, -1, 0
	s_lshl_b64 s[4:5], s[10:11], 3
	s_delay_alu instid0(VALU_DEP_1) | instskip(NEXT) | instid1(SALU_CYCLE_1)
	s_and_b32 s1, s0, s22
	s_xor_b32 s23, s1, -1
	s_add_u32 s27, s26, s4
	s_addc_u32 s26, s28, s5
	s_and_b32 vcc_lo, exec_lo, s23
	s_mov_b32 s28, -1
	s_waitcnt vmcnt(0)
	v_readfirstlane_b32 s10, v1
	v_readfirstlane_b32 s11, v2
	s_cbranch_vccz .LBB402_6
; %bb.5:
	v_add_co_u32 v1, s0, s27, v55
	s_delay_alu instid0(VALU_DEP_1) | instskip(SKIP_1) | instid1(VALU_DEP_3)
	v_add_co_ci_u32_e64 v2, null, s26, 0, s0
	v_lshrrev_b32_e32 v18, 2, v39
	v_add_co_u32 v3, vcc_lo, 0x1000, v1
	s_delay_alu instid0(VALU_DEP_3)
	v_add_co_ci_u32_e32 v4, vcc_lo, 0, v2, vcc_lo
	v_add_co_u32 v5, vcc_lo, 0x2000, v1
	v_add_co_ci_u32_e32 v6, vcc_lo, 0, v2, vcc_lo
	v_add_co_u32 v7, vcc_lo, 0x3000, v1
	;; [unrolled: 2-line block ×6, first 2 shown]
	v_add_co_ci_u32_e32 v16, vcc_lo, 0, v2, vcc_lo
	s_clause 0x7
	flat_load_b64 v[1:2], v[1:2]
	flat_load_b64 v[3:4], v[3:4]
	;; [unrolled: 1-line block ×8, first 2 shown]
	v_lshrrev_b32_e32 v19, 2, v38
	v_lshrrev_b32_e32 v20, 2, v40
	;; [unrolled: 1-line block ×3, first 2 shown]
	v_and_b32_e32 v17, 0x78, v34
	v_lshrrev_b32_e32 v22, 2, v35
	v_lshrrev_b32_e32 v23, 2, v33
	;; [unrolled: 1-line block ×3, first 2 shown]
	v_and_b32_e32 v18, 0xf8, v18
	v_and_b32_e32 v19, 0x178, v19
	;; [unrolled: 1-line block ×4, first 2 shown]
	v_add_nc_u32_e32 v17, v17, v55
	v_and_b32_e32 v22, 0x2f8, v22
	v_and_b32_e32 v23, 0x378, v23
	v_and_b32_e32 v24, 0x3f8, v24
	v_add_nc_u32_e32 v18, v18, v55
	v_add_nc_u32_e32 v19, v19, v55
	;; [unrolled: 1-line block ×4, first 2 shown]
	s_mov_b32 s28, 0
	v_add_nc_u32_e32 v22, v22, v55
	v_add_nc_u32_e32 v23, v23, v55
	;; [unrolled: 1-line block ×3, first 2 shown]
	s_waitcnt vmcnt(7) lgkmcnt(7)
	ds_store_b64 v17, v[1:2]
	s_waitcnt vmcnt(6) lgkmcnt(7)
	ds_store_b64 v18, v[3:4] offset:4096
	s_waitcnt vmcnt(5) lgkmcnt(7)
	ds_store_b64 v19, v[5:6] offset:8192
	;; [unrolled: 2-line block ×7, first 2 shown]
	s_waitcnt lgkmcnt(0)
	s_barrier
.LBB402_6:
	v_cmp_gt_u32_e64 s0, s25, v0
	s_and_not1_b32 vcc_lo, exec_lo, s28
	s_cbranch_vccnz .LBB402_24
; %bb.7:
                                        ; implicit-def: $vgpr1_vgpr2_vgpr3_vgpr4_vgpr5_vgpr6_vgpr7_vgpr8_vgpr9_vgpr10_vgpr11_vgpr12_vgpr13_vgpr14_vgpr15_vgpr16
	s_delay_alu instid0(VALU_DEP_1)
	s_and_saveexec_b32 s28, s0
	s_cbranch_execz .LBB402_15
; %bb.8:
	v_add_co_u32 v1, s0, s27, v55
	s_delay_alu instid0(VALU_DEP_1) | instskip(SKIP_2) | instid1(SALU_CYCLE_1)
	v_add_co_ci_u32_e64 v2, null, s26, 0, s0
	flat_load_b64 v[1:2], v[1:2]
	s_or_b32 exec_lo, exec_lo, s28
	s_mov_b32 s0, exec_lo
	v_cmpx_gt_u32_e64 s25, v39
	s_cbranch_execnz .LBB402_16
.LBB402_9:
	s_or_b32 exec_lo, exec_lo, s0
	s_delay_alu instid0(SALU_CYCLE_1)
	s_mov_b32 s0, exec_lo
	v_cmpx_gt_u32_e64 s25, v38
	s_cbranch_execz .LBB402_17
.LBB402_10:
	v_lshlrev_b32_e32 v5, 3, v38
	s_delay_alu instid0(VALU_DEP_1) | instskip(NEXT) | instid1(VALU_DEP_1)
	v_add_co_u32 v5, s28, s27, v5
	v_add_co_ci_u32_e64 v6, null, s26, 0, s28
	flat_load_b64 v[5:6], v[5:6]
	s_or_b32 exec_lo, exec_lo, s0
	s_delay_alu instid0(SALU_CYCLE_1)
	s_mov_b32 s0, exec_lo
	v_cmpx_gt_u32_e64 s25, v40
	s_cbranch_execnz .LBB402_18
.LBB402_11:
	s_or_b32 exec_lo, exec_lo, s0
	s_delay_alu instid0(SALU_CYCLE_1)
	s_mov_b32 s0, exec_lo
	v_cmpx_gt_u32_e64 s25, v37
	s_cbranch_execz .LBB402_19
.LBB402_12:
	v_lshlrev_b32_e32 v9, 3, v37
	s_delay_alu instid0(VALU_DEP_1) | instskip(NEXT) | instid1(VALU_DEP_1)
	v_add_co_u32 v9, s28, s27, v9
	v_add_co_ci_u32_e64 v10, null, s26, 0, s28
	flat_load_b64 v[9:10], v[9:10]
	s_or_b32 exec_lo, exec_lo, s0
	s_delay_alu instid0(SALU_CYCLE_1)
	s_mov_b32 s0, exec_lo
	v_cmpx_gt_u32_e64 s25, v35
	s_cbranch_execnz .LBB402_20
.LBB402_13:
	s_or_b32 exec_lo, exec_lo, s0
	s_delay_alu instid0(SALU_CYCLE_1)
	s_mov_b32 s0, exec_lo
	v_cmpx_gt_u32_e64 s25, v33
	s_cbranch_execz .LBB402_21
.LBB402_14:
	v_lshlrev_b32_e32 v13, 3, v33
	s_delay_alu instid0(VALU_DEP_1) | instskip(NEXT) | instid1(VALU_DEP_1)
	v_add_co_u32 v13, s28, s27, v13
	v_add_co_ci_u32_e64 v14, null, s26, 0, s28
	flat_load_b64 v[13:14], v[13:14]
	s_or_b32 exec_lo, exec_lo, s0
	s_delay_alu instid0(SALU_CYCLE_1)
	s_mov_b32 s0, exec_lo
	v_cmpx_gt_u32_e64 s25, v36
	s_cbranch_execnz .LBB402_22
	s_branch .LBB402_23
.LBB402_15:
	s_or_b32 exec_lo, exec_lo, s28
	s_delay_alu instid0(SALU_CYCLE_1)
	s_mov_b32 s0, exec_lo
	v_cmpx_gt_u32_e64 s25, v39
	s_cbranch_execz .LBB402_9
.LBB402_16:
	v_lshlrev_b32_e32 v3, 3, v39
	s_delay_alu instid0(VALU_DEP_1) | instskip(NEXT) | instid1(VALU_DEP_1)
	v_add_co_u32 v3, s28, s27, v3
	v_add_co_ci_u32_e64 v4, null, s26, 0, s28
	flat_load_b64 v[3:4], v[3:4]
	s_or_b32 exec_lo, exec_lo, s0
	s_delay_alu instid0(SALU_CYCLE_1)
	s_mov_b32 s0, exec_lo
	v_cmpx_gt_u32_e64 s25, v38
	s_cbranch_execnz .LBB402_10
.LBB402_17:
	s_or_b32 exec_lo, exec_lo, s0
	s_delay_alu instid0(SALU_CYCLE_1)
	s_mov_b32 s0, exec_lo
	v_cmpx_gt_u32_e64 s25, v40
	s_cbranch_execz .LBB402_11
.LBB402_18:
	v_lshlrev_b32_e32 v7, 3, v40
	s_delay_alu instid0(VALU_DEP_1) | instskip(NEXT) | instid1(VALU_DEP_1)
	v_add_co_u32 v7, s28, s27, v7
	v_add_co_ci_u32_e64 v8, null, s26, 0, s28
	flat_load_b64 v[7:8], v[7:8]
	s_or_b32 exec_lo, exec_lo, s0
	s_delay_alu instid0(SALU_CYCLE_1)
	s_mov_b32 s0, exec_lo
	v_cmpx_gt_u32_e64 s25, v37
	s_cbranch_execnz .LBB402_12
.LBB402_19:
	s_or_b32 exec_lo, exec_lo, s0
	s_delay_alu instid0(SALU_CYCLE_1)
	s_mov_b32 s0, exec_lo
	v_cmpx_gt_u32_e64 s25, v35
	s_cbranch_execz .LBB402_13
.LBB402_20:
	v_lshlrev_b32_e32 v11, 3, v35
	s_delay_alu instid0(VALU_DEP_1) | instskip(NEXT) | instid1(VALU_DEP_1)
	v_add_co_u32 v11, s28, s27, v11
	v_add_co_ci_u32_e64 v12, null, s26, 0, s28
	flat_load_b64 v[11:12], v[11:12]
	s_or_b32 exec_lo, exec_lo, s0
	s_delay_alu instid0(SALU_CYCLE_1)
	s_mov_b32 s0, exec_lo
	v_cmpx_gt_u32_e64 s25, v33
	s_cbranch_execnz .LBB402_14
.LBB402_21:
	s_or_b32 exec_lo, exec_lo, s0
	s_delay_alu instid0(SALU_CYCLE_1)
	s_mov_b32 s0, exec_lo
	v_cmpx_gt_u32_e64 s25, v36
	s_cbranch_execz .LBB402_23
.LBB402_22:
	v_lshlrev_b32_e32 v15, 3, v36
	s_delay_alu instid0(VALU_DEP_1) | instskip(NEXT) | instid1(VALU_DEP_1)
	v_add_co_u32 v15, s28, s27, v15
	v_add_co_ci_u32_e64 v16, null, s26, 0, s28
	flat_load_b64 v[15:16], v[15:16]
.LBB402_23:
	s_or_b32 exec_lo, exec_lo, s0
	v_lshrrev_b32_e32 v17, 2, v39
	v_lshrrev_b32_e32 v18, 2, v38
	;; [unrolled: 1-line block ×4, first 2 shown]
	v_and_b32_e32 v19, 0x78, v34
	v_lshrrev_b32_e32 v22, 2, v35
	v_lshrrev_b32_e32 v23, 2, v33
	;; [unrolled: 1-line block ×3, first 2 shown]
	v_and_b32_e32 v17, 0xf8, v17
	v_and_b32_e32 v18, 0x1f8, v18
	;; [unrolled: 1-line block ×4, first 2 shown]
	v_add_nc_u32_e32 v19, v19, v55
	v_and_b32_e32 v22, 0x3f8, v22
	v_and_b32_e32 v23, 0x3f8, v23
	;; [unrolled: 1-line block ×3, first 2 shown]
	v_add_nc_u32_e32 v17, v17, v55
	v_add_nc_u32_e32 v18, v18, v55
	;; [unrolled: 1-line block ×7, first 2 shown]
	s_waitcnt vmcnt(0) lgkmcnt(0)
	ds_store_b64 v19, v[1:2]
	ds_store_b64 v17, v[3:4] offset:4096
	ds_store_b64 v18, v[5:6] offset:8192
	;; [unrolled: 1-line block ×7, first 2 shown]
	s_waitcnt lgkmcnt(0)
	s_barrier
.LBB402_24:
	v_add_lshl_u32 v41, v34, v55, 3
	buffer_gl0_inv
	s_add_u32 s0, s18, s20
	s_addc_u32 s18, s19, s21
	s_add_u32 s0, s0, s4
	ds_load_2addr_b64 v[29:32], v41 offset1:1
	ds_load_2addr_b64 v[25:28], v41 offset0:2 offset1:3
	ds_load_2addr_b64 v[21:24], v41 offset0:4 offset1:5
	;; [unrolled: 1-line block ×3, first 2 shown]
	s_addc_u32 s4, s18, s5
	s_and_b32 vcc_lo, exec_lo, s23
	s_mov_b32 s5, -1
	s_waitcnt lgkmcnt(0)
	s_barrier
	buffer_gl0_inv
	s_cbranch_vccz .LBB402_26
; %bb.25:
	v_add_co_u32 v1, s5, s0, v55
	s_delay_alu instid0(VALU_DEP_1) | instskip(SKIP_1) | instid1(VALU_DEP_3)
	v_add_co_ci_u32_e64 v2, null, s4, 0, s5
	v_lshrrev_b32_e32 v43, 2, v39
	v_add_co_u32 v3, vcc_lo, 0x1000, v1
	s_delay_alu instid0(VALU_DEP_3)
	v_add_co_ci_u32_e32 v4, vcc_lo, 0, v2, vcc_lo
	v_add_co_u32 v5, vcc_lo, 0x2000, v1
	v_add_co_ci_u32_e32 v6, vcc_lo, 0, v2, vcc_lo
	v_add_co_u32 v7, vcc_lo, 0x3000, v1
	;; [unrolled: 2-line block ×6, first 2 shown]
	v_add_co_ci_u32_e32 v16, vcc_lo, 0, v2, vcc_lo
	s_clause 0x7
	flat_load_b64 v[1:2], v[1:2]
	flat_load_b64 v[3:4], v[3:4]
	;; [unrolled: 1-line block ×8, first 2 shown]
	v_lshrrev_b32_e32 v44, 2, v38
	v_lshrrev_b32_e32 v45, 2, v40
	;; [unrolled: 1-line block ×3, first 2 shown]
	v_and_b32_e32 v42, 0x78, v34
	v_lshrrev_b32_e32 v47, 2, v35
	v_lshrrev_b32_e32 v48, 2, v33
	;; [unrolled: 1-line block ×3, first 2 shown]
	v_and_b32_e32 v43, 0xf8, v43
	v_and_b32_e32 v44, 0x178, v44
	;; [unrolled: 1-line block ×4, first 2 shown]
	v_add_nc_u32_e32 v42, v42, v55
	v_and_b32_e32 v47, 0x2f8, v47
	v_and_b32_e32 v48, 0x378, v48
	;; [unrolled: 1-line block ×3, first 2 shown]
	v_add_nc_u32_e32 v43, v43, v55
	v_add_nc_u32_e32 v44, v44, v55
	v_add_nc_u32_e32 v45, v45, v55
	v_add_nc_u32_e32 v46, v46, v55
	s_mov_b32 s5, 0
	v_add_nc_u32_e32 v47, v47, v55
	v_add_nc_u32_e32 v48, v48, v55
	;; [unrolled: 1-line block ×3, first 2 shown]
	s_waitcnt vmcnt(7) lgkmcnt(7)
	ds_store_b64 v42, v[1:2]
	s_waitcnt vmcnt(6) lgkmcnt(7)
	ds_store_b64 v43, v[3:4] offset:4096
	s_waitcnt vmcnt(5) lgkmcnt(7)
	ds_store_b64 v44, v[5:6] offset:8192
	;; [unrolled: 2-line block ×7, first 2 shown]
	s_waitcnt lgkmcnt(0)
	s_barrier
.LBB402_26:
	s_and_not1_b32 vcc_lo, exec_lo, s5
	s_cbranch_vccnz .LBB402_44
; %bb.27:
	s_mov_b32 s5, exec_lo
                                        ; implicit-def: $vgpr1_vgpr2
	v_cmpx_gt_u32_e64 s25, v0
	s_cbranch_execz .LBB402_29
; %bb.28:
	v_add_co_u32 v1, s18, s0, v55
	s_delay_alu instid0(VALU_DEP_1)
	v_add_co_ci_u32_e64 v2, null, s4, 0, s18
	flat_load_b64 v[1:2], v[1:2]
.LBB402_29:
	s_or_b32 exec_lo, exec_lo, s5
	s_delay_alu instid0(SALU_CYCLE_1)
	s_mov_b32 s5, exec_lo
                                        ; implicit-def: $vgpr3_vgpr4
	v_cmpx_gt_u32_e64 s25, v39
	s_cbranch_execz .LBB402_31
; %bb.30:
	v_lshlrev_b32_e32 v3, 3, v39
	s_delay_alu instid0(VALU_DEP_1) | instskip(NEXT) | instid1(VALU_DEP_1)
	v_add_co_u32 v3, s18, s0, v3
	v_add_co_ci_u32_e64 v4, null, s4, 0, s18
	flat_load_b64 v[3:4], v[3:4]
.LBB402_31:
	s_or_b32 exec_lo, exec_lo, s5
	s_delay_alu instid0(SALU_CYCLE_1)
	s_mov_b32 s5, exec_lo
                                        ; implicit-def: $vgpr5_vgpr6
	v_cmpx_gt_u32_e64 s25, v38
	s_cbranch_execz .LBB402_33
; %bb.32:
	v_lshlrev_b32_e32 v5, 3, v38
	s_delay_alu instid0(VALU_DEP_1) | instskip(NEXT) | instid1(VALU_DEP_1)
	v_add_co_u32 v5, s18, s0, v5
	v_add_co_ci_u32_e64 v6, null, s4, 0, s18
	flat_load_b64 v[5:6], v[5:6]
.LBB402_33:
	s_or_b32 exec_lo, exec_lo, s5
	s_delay_alu instid0(SALU_CYCLE_1)
	s_mov_b32 s5, exec_lo
                                        ; implicit-def: $vgpr7_vgpr8
	v_cmpx_gt_u32_e64 s25, v40
	s_cbranch_execz .LBB402_35
; %bb.34:
	v_lshlrev_b32_e32 v7, 3, v40
	s_delay_alu instid0(VALU_DEP_1) | instskip(NEXT) | instid1(VALU_DEP_1)
	v_add_co_u32 v7, s18, s0, v7
	v_add_co_ci_u32_e64 v8, null, s4, 0, s18
	flat_load_b64 v[7:8], v[7:8]
.LBB402_35:
	s_or_b32 exec_lo, exec_lo, s5
	s_delay_alu instid0(SALU_CYCLE_1)
	s_mov_b32 s5, exec_lo
                                        ; implicit-def: $vgpr9_vgpr10
	v_cmpx_gt_u32_e64 s25, v37
	s_cbranch_execz .LBB402_37
; %bb.36:
	v_lshlrev_b32_e32 v9, 3, v37
	s_delay_alu instid0(VALU_DEP_1) | instskip(NEXT) | instid1(VALU_DEP_1)
	v_add_co_u32 v9, s18, s0, v9
	v_add_co_ci_u32_e64 v10, null, s4, 0, s18
	flat_load_b64 v[9:10], v[9:10]
.LBB402_37:
	s_or_b32 exec_lo, exec_lo, s5
	s_delay_alu instid0(SALU_CYCLE_1)
	s_mov_b32 s5, exec_lo
                                        ; implicit-def: $vgpr11_vgpr12
	v_cmpx_gt_u32_e64 s25, v35
	s_cbranch_execz .LBB402_39
; %bb.38:
	v_lshlrev_b32_e32 v11, 3, v35
	s_delay_alu instid0(VALU_DEP_1) | instskip(NEXT) | instid1(VALU_DEP_1)
	v_add_co_u32 v11, s18, s0, v11
	v_add_co_ci_u32_e64 v12, null, s4, 0, s18
	flat_load_b64 v[11:12], v[11:12]
.LBB402_39:
	s_or_b32 exec_lo, exec_lo, s5
	s_delay_alu instid0(SALU_CYCLE_1)
	s_mov_b32 s5, exec_lo
                                        ; implicit-def: $vgpr13_vgpr14
	v_cmpx_gt_u32_e64 s25, v33
	s_cbranch_execz .LBB402_41
; %bb.40:
	v_lshlrev_b32_e32 v13, 3, v33
	s_delay_alu instid0(VALU_DEP_1) | instskip(NEXT) | instid1(VALU_DEP_1)
	v_add_co_u32 v13, s18, s0, v13
	v_add_co_ci_u32_e64 v14, null, s4, 0, s18
	flat_load_b64 v[13:14], v[13:14]
.LBB402_41:
	s_or_b32 exec_lo, exec_lo, s5
	s_delay_alu instid0(SALU_CYCLE_1)
	s_mov_b32 s5, exec_lo
                                        ; implicit-def: $vgpr15_vgpr16
	v_cmpx_gt_u32_e64 s25, v36
	s_cbranch_execz .LBB402_43
; %bb.42:
	v_lshlrev_b32_e32 v15, 3, v36
	s_delay_alu instid0(VALU_DEP_1) | instskip(NEXT) | instid1(VALU_DEP_1)
	v_add_co_u32 v15, s0, s0, v15
	v_add_co_ci_u32_e64 v16, null, s4, 0, s0
	flat_load_b64 v[15:16], v[15:16]
.LBB402_43:
	s_or_b32 exec_lo, exec_lo, s5
	v_lshrrev_b32_e32 v39, 2, v39
	v_lshrrev_b32_e32 v38, 2, v38
	;; [unrolled: 1-line block ×4, first 2 shown]
	v_and_b32_e32 v34, 0x78, v34
	v_lshrrev_b32_e32 v35, 2, v35
	v_lshrrev_b32_e32 v33, 2, v33
	;; [unrolled: 1-line block ×3, first 2 shown]
	v_and_b32_e32 v39, 0xf8, v39
	v_and_b32_e32 v38, 0x1f8, v38
	;; [unrolled: 1-line block ×4, first 2 shown]
	v_add_nc_u32_e32 v34, v34, v55
	v_and_b32_e32 v35, 0x3f8, v35
	v_and_b32_e32 v33, 0x3f8, v33
	;; [unrolled: 1-line block ×3, first 2 shown]
	v_add_nc_u32_e32 v39, v39, v55
	v_add_nc_u32_e32 v38, v38, v55
	;; [unrolled: 1-line block ×7, first 2 shown]
	s_waitcnt vmcnt(0) lgkmcnt(0)
	ds_store_b64 v34, v[1:2]
	ds_store_b64 v39, v[3:4] offset:4096
	ds_store_b64 v38, v[5:6] offset:8192
	;; [unrolled: 1-line block ×7, first 2 shown]
	s_waitcnt lgkmcnt(0)
	s_barrier
.LBB402_44:
	buffer_gl0_inv
	ds_load_2addr_b64 v[13:16], v41 offset1:1
	ds_load_2addr_b64 v[9:12], v41 offset0:2 offset1:3
	ds_load_2addr_b64 v[5:8], v41 offset0:4 offset1:5
	;; [unrolled: 1-line block ×3, first 2 shown]
	s_cmp_lg_u32 s24, 0
	s_waitcnt lgkmcnt(0)
	s_cselect_b32 s18, -1, 0
	s_cmp_lg_u64 s[6:7], 0
	s_barrier
	s_cselect_b32 s0, -1, 0
	buffer_gl0_inv
	s_or_b32 s0, s0, s18
	s_delay_alu instid0(SALU_CYCLE_1)
	s_and_b32 vcc_lo, exec_lo, s0
	s_mov_b32 s0, 0
	s_cbranch_vccz .LBB402_49
; %bb.45:
	v_add_co_u32 v33, s0, -8, s27
	s_delay_alu instid0(VALU_DEP_1)
	v_add_co_ci_u32_e64 v34, null, -1, s26, s0
	s_mov_b32 s0, -1
	s_and_b32 vcc_lo, exec_lo, s23
	flat_load_b64 v[35:36], v[33:34]
	ds_store_b64 v55, v[19:20]
	s_cbranch_vccz .LBB402_50
; %bb.46:
	s_waitcnt vmcnt(0) lgkmcnt(1)
	v_dual_mov_b32 v33, v35 :: v_dual_mov_b32 v34, v36
	s_waitcnt lgkmcnt(0)
	s_barrier
	buffer_gl0_inv
	s_and_saveexec_b32 s0, s3
	s_cbranch_execz .LBB402_48
; %bb.47:
	v_add_nc_u32_e32 v33, -8, v55
	ds_load_b64 v[33:34], v33
.LBB402_48:
	s_or_b32 exec_lo, exec_lo, s0
	s_waitcnt lgkmcnt(0)
	v_mul_hi_i32 v34, 0x66666667, v17
	v_mul_hi_i32 v36, 0x66666667, v19
	;; [unrolled: 1-line block ×6, first 2 shown]
	v_lshrrev_b32_e32 v40, 31, v34
	v_ashrrev_i32_e32 v34, 2, v34
	v_lshrrev_b32_e32 v41, 31, v36
	v_ashrrev_i32_e32 v36, 2, v36
	;; [unrolled: 2-line block ×3, first 2 shown]
	v_add_nc_u32_e32 v34, v34, v40
	v_lshrrev_b32_e32 v43, 31, v38
	v_add_nc_u32_e32 v36, v36, v41
	v_ashrrev_i32_e32 v38, 2, v38
	v_add_nc_u32_e32 v37, v37, v42
	v_mul_hi_i32 v41, 0x66666667, v25
	v_lshrrev_b32_e32 v40, 31, v39
	v_cmp_ne_u32_e32 vcc_lo, v34, v36
	v_add_nc_u32_e32 v38, v38, v43
	v_ashrrev_i32_e32 v39, 2, v39
	v_mul_hi_i32 v42, 0x66666667, v31
	v_mul_hi_i32 v43, 0x66666667, v29
	v_cndmask_b32_e64 v36, 0, 1, vcc_lo
	v_cmp_ne_u32_e32 vcc_lo, v37, v34
	v_add_nc_u32_e32 v39, v39, v40
	v_lshrrev_b32_e32 v40, 31, v41
	v_ashrrev_i32_e32 v41, 2, v41
	v_lshlrev_b16 v36, 8, v36
	v_cndmask_b32_e64 v34, 0, 1, vcc_lo
	v_cmp_ne_u32_e32 vcc_lo, v38, v37
	v_lshrrev_b32_e32 v44, 31, v42
	v_ashrrev_i32_e32 v42, 2, v42
	v_add_nc_u32_e32 v40, v41, v40
	v_lshrrev_b32_e32 v45, 31, v43
	v_cndmask_b32_e64 v37, 0, 1, vcc_lo
	v_cmp_ne_u32_e32 vcc_lo, v39, v38
	v_ashrrev_i32_e32 v43, 2, v43
	v_add_nc_u32_e32 v41, v42, v44
	v_or_b32_e32 v34, v34, v36
	v_lshlrev_b16 v37, 8, v37
	v_cndmask_b32_e64 v38, 0, 1, vcc_lo
	v_cmp_ne_u32_e32 vcc_lo, v40, v39
	v_add_nc_u32_e32 v42, v43, v45
	v_lshrrev_b32_e32 v43, 31, v33
	v_ashrrev_i32_e32 v33, 2, v33
	v_or_b32_e32 v37, v38, v37
	v_cndmask_b32_e64 v39, 0, 1, vcc_lo
	v_cmp_ne_u32_e32 vcc_lo, v41, v40
	v_lshlrev_b32_e32 v34, 16, v34
	v_add_nc_u32_e32 v33, v33, v43
	v_and_b32_e32 v37, 0xffff, v37
	v_lshlrev_b16 v39, 8, v39
	v_cndmask_b32_e64 v40, 0, 1, vcc_lo
	v_cmp_ne_u32_e32 vcc_lo, v42, v41
	v_cmp_ne_u32_e64 s4, v33, v42
	v_or_b32_e32 v34, v37, v34
	s_delay_alu instid0(VALU_DEP_4) | instskip(SKIP_1) | instid1(VALU_DEP_2)
	v_or_b32_e32 v39, v40, v39
	v_cndmask_b32_e64 v41, 0, 1, vcc_lo
	v_lshlrev_b32_e32 v36, 16, v39
	s_delay_alu instid0(VALU_DEP_2) | instskip(NEXT) | instid1(VALU_DEP_1)
	v_lshlrev_b16 v40, 8, v41
	v_and_b32_e32 v38, 0xffff, v40
	s_delay_alu instid0(VALU_DEP_1)
	v_or_b32_e32 v33, v38, v36
	s_branch .LBB402_70
.LBB402_49:
                                        ; implicit-def: $sgpr4
                                        ; implicit-def: $vgpr34
	s_branch .LBB402_71
.LBB402_50:
                                        ; implicit-def: $sgpr4
                                        ; implicit-def: $vgpr34
	s_and_b32 vcc_lo, exec_lo, s0
	s_cbranch_vccz .LBB402_70
; %bb.51:
	v_or_b32_e32 v33, 7, v55
	s_mov_b32 s0, 0
	s_mov_b32 s4, 0
	s_mov_b32 s5, exec_lo
	s_delay_alu instid0(VALU_DEP_1)
	v_cmpx_gt_u32_e64 s25, v33
	s_cbranch_execz .LBB402_53
; %bb.52:
	v_mul_hi_i32 v33, 0x66666667, v17
	v_mul_hi_i32 v34, 0x66666667, v19
	s_waitcnt vmcnt(0) lgkmcnt(1)
	s_delay_alu instid0(VALU_DEP_2) | instskip(SKIP_1) | instid1(VALU_DEP_3)
	v_lshrrev_b32_e32 v36, 31, v33
	v_ashrrev_i32_e32 v33, 2, v33
	v_lshrrev_b32_e32 v37, 31, v34
	v_ashrrev_i32_e32 v34, 2, v34
	s_delay_alu instid0(VALU_DEP_3) | instskip(NEXT) | instid1(VALU_DEP_2)
	v_add_nc_u32_e32 v33, v33, v36
	v_add_nc_u32_e32 v34, v34, v37
	s_delay_alu instid0(VALU_DEP_1)
	v_cmp_ne_u32_e32 vcc_lo, v33, v34
	s_and_b32 s4, vcc_lo, exec_lo
.LBB402_53:
	s_or_b32 exec_lo, exec_lo, s5
	v_or_b32_e32 v33, 6, v55
	s_mov_b32 s5, exec_lo
	s_delay_alu instid0(VALU_DEP_1)
	v_cmpx_gt_u32_e64 s25, v33
	s_cbranch_execz .LBB402_55
; %bb.54:
	v_mul_hi_i32 v33, 0x66666667, v23
	v_mul_hi_i32 v34, 0x66666667, v17
	s_waitcnt vmcnt(0) lgkmcnt(1)
	s_delay_alu instid0(VALU_DEP_2) | instskip(SKIP_1) | instid1(VALU_DEP_3)
	v_lshrrev_b32_e32 v36, 31, v33
	v_ashrrev_i32_e32 v33, 2, v33
	v_lshrrev_b32_e32 v37, 31, v34
	v_ashrrev_i32_e32 v34, 2, v34
	s_delay_alu instid0(VALU_DEP_3) | instskip(NEXT) | instid1(VALU_DEP_2)
	v_add_nc_u32_e32 v33, v33, v36
	v_add_nc_u32_e32 v34, v34, v37
	s_delay_alu instid0(VALU_DEP_1)
	v_cmp_ne_u32_e32 vcc_lo, v33, v34
	s_and_b32 s0, vcc_lo, exec_lo
.LBB402_55:
	s_or_b32 exec_lo, exec_lo, s5
	v_or_b32_e32 v33, 5, v55
	s_mov_b32 s6, 0
	s_mov_b32 s5, 0
	s_mov_b32 s7, exec_lo
	s_delay_alu instid0(VALU_DEP_1)
	v_cmpx_gt_u32_e64 s25, v33
	s_cbranch_execz .LBB402_57
; %bb.56:
	v_mul_hi_i32 v33, 0x66666667, v21
	v_mul_hi_i32 v34, 0x66666667, v23
	s_waitcnt vmcnt(0) lgkmcnt(1)
	s_delay_alu instid0(VALU_DEP_2) | instskip(SKIP_1) | instid1(VALU_DEP_3)
	v_lshrrev_b32_e32 v36, 31, v33
	v_ashrrev_i32_e32 v33, 2, v33
	v_lshrrev_b32_e32 v37, 31, v34
	v_ashrrev_i32_e32 v34, 2, v34
	s_delay_alu instid0(VALU_DEP_3) | instskip(NEXT) | instid1(VALU_DEP_2)
	v_add_nc_u32_e32 v33, v33, v36
	v_add_nc_u32_e32 v34, v34, v37
	s_delay_alu instid0(VALU_DEP_1)
	v_cmp_ne_u32_e32 vcc_lo, v33, v34
	s_and_b32 s5, vcc_lo, exec_lo
.LBB402_57:
	s_or_b32 exec_lo, exec_lo, s7
	v_or_b32_e32 v33, 4, v55
	s_mov_b32 s7, exec_lo
	s_delay_alu instid0(VALU_DEP_1)
	v_cmpx_gt_u32_e64 s25, v33
	s_cbranch_execz .LBB402_59
; %bb.58:
	v_mul_hi_i32 v33, 0x66666667, v27
	v_mul_hi_i32 v34, 0x66666667, v21
	s_waitcnt vmcnt(0) lgkmcnt(1)
	s_delay_alu instid0(VALU_DEP_2) | instskip(SKIP_1) | instid1(VALU_DEP_3)
	v_lshrrev_b32_e32 v36, 31, v33
	v_ashrrev_i32_e32 v33, 2, v33
	v_lshrrev_b32_e32 v37, 31, v34
	v_ashrrev_i32_e32 v34, 2, v34
	s_delay_alu instid0(VALU_DEP_3) | instskip(NEXT) | instid1(VALU_DEP_2)
	v_add_nc_u32_e32 v33, v33, v36
	v_add_nc_u32_e32 v34, v34, v37
	s_delay_alu instid0(VALU_DEP_1)
	v_cmp_ne_u32_e32 vcc_lo, v33, v34
	s_and_b32 s6, vcc_lo, exec_lo
.LBB402_59:
	s_or_b32 exec_lo, exec_lo, s7
	;; [unrolled: 46-line block ×3, first 2 shown]
	v_or_b32_e32 v33, 1, v55
	s_mov_b32 s20, 0
	s_mov_b32 s21, exec_lo
	s_delay_alu instid0(VALU_DEP_1)
	v_cmpx_gt_u32_e64 s25, v33
	s_cbranch_execz .LBB402_65
; %bb.64:
	v_mul_hi_i32 v33, 0x66666667, v29
	v_mul_hi_i32 v34, 0x66666667, v31
	s_waitcnt vmcnt(0) lgkmcnt(1)
	s_delay_alu instid0(VALU_DEP_2) | instskip(SKIP_1) | instid1(VALU_DEP_3)
	v_lshrrev_b32_e32 v36, 31, v33
	v_ashrrev_i32_e32 v33, 2, v33
	v_lshrrev_b32_e32 v37, 31, v34
	v_ashrrev_i32_e32 v34, 2, v34
	s_delay_alu instid0(VALU_DEP_3) | instskip(NEXT) | instid1(VALU_DEP_2)
	v_add_nc_u32_e32 v33, v33, v36
	v_add_nc_u32_e32 v34, v34, v37
	s_delay_alu instid0(VALU_DEP_1)
	v_cmp_ne_u32_e32 vcc_lo, v33, v34
	s_and_b32 s20, vcc_lo, exec_lo
.LBB402_65:
	s_or_b32 exec_lo, exec_lo, s21
	s_waitcnt vmcnt(0) lgkmcnt(0)
	s_barrier
	buffer_gl0_inv
	s_and_saveexec_b32 s21, s3
	s_cbranch_execz .LBB402_67
; %bb.66:
	v_add_nc_u32_e32 v33, -8, v55
	ds_load_b64 v[35:36], v33
.LBB402_67:
	s_or_b32 exec_lo, exec_lo, s21
	v_cndmask_b32_e64 v34, 0, 1, s7
	v_cndmask_b32_e64 v37, 0, 1, s5
	;; [unrolled: 1-line block ×4, first 2 shown]
	s_waitcnt lgkmcnt(0)
	v_cndmask_b32_e64 v36, 0, 1, s6
	v_cndmask_b32_e64 v39, 0, 1, s0
	v_cndmask_b32_e64 v40, 0, 1, s20
	v_lshlrev_b16 v34, 8, v34
	v_lshlrev_b16 v37, 8, v37
	v_lshlrev_b16 v38, 8, v38
	s_mov_b32 s4, 0
	v_lshlrev_b16 v40, 8, v40
	v_or_b32_e32 v34, v33, v34
	v_or_b32_e32 v36, v36, v37
	;; [unrolled: 1-line block ×3, first 2 shown]
	s_mov_b32 s0, exec_lo
	v_and_b32_e32 v33, 0xffff, v40
	v_lshlrev_b32_e32 v34, 16, v34
	v_and_b32_e32 v36, 0xffff, v36
	v_lshlrev_b32_e32 v37, 16, v37
	v_cmpx_gt_u32_e64 s25, v55
; %bb.68:
	v_mul_hi_i32 v35, 0x66666667, v35
	v_mul_hi_i32 v38, 0x66666667, v29
	s_delay_alu instid0(VALU_DEP_2) | instskip(SKIP_1) | instid1(VALU_DEP_3)
	v_lshrrev_b32_e32 v39, 31, v35
	v_ashrrev_i32_e32 v35, 2, v35
	v_lshrrev_b32_e32 v40, 31, v38
	v_ashrrev_i32_e32 v38, 2, v38
	s_delay_alu instid0(VALU_DEP_3) | instskip(NEXT) | instid1(VALU_DEP_2)
	v_add_nc_u32_e32 v35, v35, v39
	v_add_nc_u32_e32 v38, v38, v40
	s_delay_alu instid0(VALU_DEP_1)
	v_cmp_ne_u32_e32 vcc_lo, v35, v38
	s_and_b32 s4, vcc_lo, exec_lo
; %bb.69:
	s_or_b32 exec_lo, exec_lo, s0
	v_or_b32_e32 v33, v33, v34
	v_or_b32_e32 v34, v36, v37
.LBB402_70:
	s_mov_b32 s0, -1
	s_cbranch_execnz .LBB402_95
.LBB402_71:
	v_mul_hi_i32 v40, 0x66666667, v17
	v_mul_hi_i32 v39, 0x66666667, v23
	;; [unrolled: 1-line block ×4, first 2 shown]
	s_waitcnt vmcnt(0) lgkmcnt(1)
	v_mul_hi_i32 v36, 0x66666667, v25
	v_mul_hi_i32 v35, 0x66666667, v31
	s_and_b32 vcc_lo, exec_lo, s23
	ds_store_b64 v55, v[19:20]
	s_cbranch_vccz .LBB402_75
; %bb.72:
	v_mul_hi_i32 v33, 0x66666667, v19
	v_lshrrev_b32_e32 v34, 31, v40
	v_ashrrev_i32_e32 v41, 2, v40
	v_lshrrev_b32_e32 v42, 31, v39
	v_ashrrev_i32_e32 v43, 2, v39
	;; [unrolled: 2-line block ×3, first 2 shown]
	v_add_nc_u32_e32 v34, v41, v34
	v_lshrrev_b32_e32 v45, 31, v33
	v_ashrrev_i32_e32 v33, 2, v33
	v_add_nc_u32_e32 v41, v43, v42
	v_lshrrev_b32_e32 v42, 31, v37
	v_ashrrev_i32_e32 v43, 2, v37
	v_ashrrev_i32_e32 v48, 2, v35
	v_add_nc_u32_e32 v33, v33, v45
	v_cmp_ne_u32_e32 vcc_lo, v41, v34
	v_mul_hi_i32 v45, 0x66666667, v29
	v_add_nc_u32_e32 v42, v43, v42
	v_lshrrev_b32_e32 v43, 31, v36
	s_waitcnt lgkmcnt(0)
	v_cndmask_b32_e64 v47, 0, 1, vcc_lo
	v_cmp_ne_u32_e32 vcc_lo, v34, v33
	v_add_nc_u32_e32 v34, v46, v44
	v_ashrrev_i32_e32 v44, 2, v36
	v_lshrrev_b32_e32 v46, 31, v35
	v_lshrrev_b32_e32 v49, 31, v45
	v_cndmask_b32_e64 v33, 0, 1, vcc_lo
	v_cmp_ne_u32_e32 vcc_lo, v34, v41
	v_ashrrev_i32_e32 v45, 2, v45
	v_add_nc_u32_e32 v43, v44, v43
	v_add_nc_u32_e32 v44, v48, v46
	v_lshlrev_b16 v33, 8, v33
	v_cndmask_b32_e64 v50, 0, 1, vcc_lo
	v_cmp_ne_u32_e32 vcc_lo, v42, v34
	v_add_nc_u32_e32 v41, v45, v49
	s_barrier
	v_or_b32_e32 v33, v47, v33
	buffer_gl0_inv
	v_cndmask_b32_e64 v34, 0, 1, vcc_lo
	v_cmp_ne_u32_e32 vcc_lo, v43, v42
                                        ; implicit-def: $sgpr4
	v_lshlrev_b32_e32 v33, 16, v33
	v_cndmask_b32_e64 v42, 0, 1, vcc_lo
	v_cmp_ne_u32_e32 vcc_lo, v41, v44
	s_delay_alu instid0(VALU_DEP_2) | instskip(SKIP_3) | instid1(VALU_DEP_3)
	v_lshlrev_b16 v42, 8, v42
	v_cndmask_b32_e64 v45, 0, 1, vcc_lo
	v_cmp_ne_u32_e32 vcc_lo, v44, v43
	v_lshlrev_b16 v44, 8, v50
	v_lshlrev_b16 v45, 8, v45
	v_cndmask_b32_e64 v43, 0, 1, vcc_lo
	s_delay_alu instid0(VALU_DEP_3) | instskip(NEXT) | instid1(VALU_DEP_2)
	v_or_b32_e32 v34, v34, v44
	v_or_b32_e32 v42, v43, v42
	s_delay_alu instid0(VALU_DEP_4) | instskip(NEXT) | instid1(VALU_DEP_3)
	v_or_b32_e32 v43, 1, v45
	v_and_b32_e32 v34, 0xffff, v34
	s_delay_alu instid0(VALU_DEP_3) | instskip(NEXT) | instid1(VALU_DEP_3)
	v_lshlrev_b32_e32 v42, 16, v42
	v_and_b32_e32 v43, 0xffff, v43
	s_delay_alu instid0(VALU_DEP_3) | instskip(NEXT) | instid1(VALU_DEP_2)
	v_or_b32_e32 v34, v34, v33
	v_or_b32_e32 v33, v43, v42
	s_and_saveexec_b32 s5, s3
	s_delay_alu instid0(SALU_CYCLE_1)
	s_xor_b32 s5, exec_lo, s5
	s_cbranch_execz .LBB402_74
; %bb.73:
	v_add_nc_u32_e32 v42, -8, v55
	s_or_b32 s0, s0, exec_lo
	ds_load_b32 v42, v42
	s_waitcnt lgkmcnt(0)
	v_mul_hi_i32 v42, 0x66666667, v42
	s_delay_alu instid0(VALU_DEP_1) | instskip(SKIP_1) | instid1(VALU_DEP_1)
	v_lshrrev_b32_e32 v43, 31, v42
	v_ashrrev_i32_e32 v42, 2, v42
	v_add_nc_u32_e32 v42, v42, v43
	s_delay_alu instid0(VALU_DEP_1)
	v_cmp_ne_u32_e32 vcc_lo, v42, v41
	s_and_b32 s4, vcc_lo, exec_lo
.LBB402_74:
	s_or_b32 exec_lo, exec_lo, s5
	s_branch .LBB402_95
.LBB402_75:
                                        ; implicit-def: $sgpr4
                                        ; implicit-def: $vgpr34
	s_cbranch_execz .LBB402_95
; %bb.76:
	v_or_b32_e32 v33, 7, v55
	s_mov_b32 s4, 0
	s_mov_b32 s5, 0
	s_mov_b32 s6, exec_lo
	s_delay_alu instid0(VALU_DEP_1)
	v_cmpx_gt_u32_e64 s25, v33
; %bb.77:
	v_mul_hi_i32 v33, 0x66666667, v19
	v_lshrrev_b32_e32 v34, 31, v40
	v_ashrrev_i32_e32 v41, 2, v40
	s_delay_alu instid0(VALU_DEP_1) | instskip(NEXT) | instid1(VALU_DEP_4)
	v_add_nc_u32_e32 v34, v41, v34
	v_lshrrev_b32_e32 v42, 31, v33
	v_ashrrev_i32_e32 v33, 2, v33
	s_delay_alu instid0(VALU_DEP_1) | instskip(NEXT) | instid1(VALU_DEP_1)
	v_add_nc_u32_e32 v33, v33, v42
	v_cmp_ne_u32_e32 vcc_lo, v34, v33
	s_and_b32 s5, vcc_lo, exec_lo
; %bb.78:
	s_or_b32 exec_lo, exec_lo, s6
	v_or_b32_e32 v33, 6, v55
	s_mov_b32 s6, exec_lo
	s_delay_alu instid0(VALU_DEP_1)
	v_cmpx_gt_u32_e64 s25, v33
; %bb.79:
	v_lshrrev_b32_e32 v33, 31, v39
	v_ashrrev_i32_e32 v34, 2, v39
	v_lshrrev_b32_e32 v41, 31, v40
	v_ashrrev_i32_e32 v40, 2, v40
	s_delay_alu instid0(VALU_DEP_3) | instskip(NEXT) | instid1(VALU_DEP_2)
	v_add_nc_u32_e32 v33, v34, v33
	v_add_nc_u32_e32 v34, v40, v41
	s_delay_alu instid0(VALU_DEP_1)
	v_cmp_ne_u32_e32 vcc_lo, v33, v34
	s_and_b32 s4, vcc_lo, exec_lo
; %bb.80:
	s_or_b32 exec_lo, exec_lo, s6
	v_or_b32_e32 v33, 5, v55
	s_mov_b32 s6, 0
	s_mov_b32 s7, 0
	s_mov_b32 s19, exec_lo
	s_delay_alu instid0(VALU_DEP_1)
	v_cmpx_gt_u32_e64 s25, v33
; %bb.81:
	v_lshrrev_b32_e32 v33, 31, v38
	v_ashrrev_i32_e32 v34, 2, v38
	v_lshrrev_b32_e32 v40, 31, v39
	v_ashrrev_i32_e32 v39, 2, v39
	s_delay_alu instid0(VALU_DEP_3) | instskip(NEXT) | instid1(VALU_DEP_2)
	v_add_nc_u32_e32 v33, v34, v33
	v_add_nc_u32_e32 v34, v39, v40
	s_delay_alu instid0(VALU_DEP_1)
	v_cmp_ne_u32_e32 vcc_lo, v33, v34
	s_and_b32 s7, vcc_lo, exec_lo
; %bb.82:
	s_or_b32 exec_lo, exec_lo, s19
	v_or_b32_e32 v33, 4, v55
	s_mov_b32 s19, exec_lo
	s_delay_alu instid0(VALU_DEP_1)
	v_cmpx_gt_u32_e64 s25, v33
; %bb.83:
	v_lshrrev_b32_e32 v33, 31, v37
	v_ashrrev_i32_e32 v34, 2, v37
	v_lshrrev_b32_e32 v39, 31, v38
	v_ashrrev_i32_e32 v38, 2, v38
	s_delay_alu instid0(VALU_DEP_3) | instskip(NEXT) | instid1(VALU_DEP_2)
	v_add_nc_u32_e32 v33, v34, v33
	v_add_nc_u32_e32 v34, v38, v39
	s_delay_alu instid0(VALU_DEP_1)
	v_cmp_ne_u32_e32 vcc_lo, v33, v34
	s_and_b32 s6, vcc_lo, exec_lo
; %bb.84:
	s_or_b32 exec_lo, exec_lo, s19
	v_or_b32_e32 v33, 3, v55
	s_mov_b32 s20, 0
	s_mov_b32 s19, 0
	s_mov_b32 s21, exec_lo
	s_delay_alu instid0(VALU_DEP_1)
	v_cmpx_gt_u32_e64 s25, v33
; %bb.85:
	v_lshrrev_b32_e32 v33, 31, v36
	v_ashrrev_i32_e32 v34, 2, v36
	v_lshrrev_b32_e32 v38, 31, v37
	v_ashrrev_i32_e32 v37, 2, v37
	s_delay_alu instid0(VALU_DEP_3) | instskip(NEXT) | instid1(VALU_DEP_2)
	v_add_nc_u32_e32 v33, v34, v33
	v_add_nc_u32_e32 v34, v37, v38
	s_delay_alu instid0(VALU_DEP_1)
	v_cmp_ne_u32_e32 vcc_lo, v33, v34
	s_and_b32 s19, vcc_lo, exec_lo
; %bb.86:
	s_or_b32 exec_lo, exec_lo, s21
	v_or_b32_e32 v33, 2, v55
	s_mov_b32 s21, exec_lo
	s_delay_alu instid0(VALU_DEP_1)
	v_cmpx_gt_u32_e64 s25, v33
; %bb.87:
	v_lshrrev_b32_e32 v33, 31, v35
	v_ashrrev_i32_e32 v34, 2, v35
	v_lshrrev_b32_e32 v37, 31, v36
	v_ashrrev_i32_e32 v36, 2, v36
	s_delay_alu instid0(VALU_DEP_3) | instskip(NEXT) | instid1(VALU_DEP_2)
	v_add_nc_u32_e32 v33, v34, v33
	v_add_nc_u32_e32 v34, v36, v37
	s_delay_alu instid0(VALU_DEP_1)
	v_cmp_ne_u32_e32 vcc_lo, v33, v34
	s_and_b32 s20, vcc_lo, exec_lo
; %bb.88:
	s_or_b32 exec_lo, exec_lo, s21
	v_or_b32_e32 v33, 1, v55
	s_mov_b32 s26, 0
	s_mov_b32 s21, exec_lo
	s_delay_alu instid0(VALU_DEP_1)
	v_cmpx_gt_u32_e64 s25, v33
; %bb.89:
	v_mul_hi_i32 v33, 0x66666667, v29
	v_lshrrev_b32_e32 v34, 31, v35
	v_ashrrev_i32_e32 v35, 2, v35
	s_delay_alu instid0(VALU_DEP_1) | instskip(NEXT) | instid1(VALU_DEP_4)
	v_add_nc_u32_e32 v34, v35, v34
	v_lshrrev_b32_e32 v36, 31, v33
	v_ashrrev_i32_e32 v33, 2, v33
	s_delay_alu instid0(VALU_DEP_1) | instskip(NEXT) | instid1(VALU_DEP_1)
	v_add_nc_u32_e32 v33, v33, v36
	v_cmp_ne_u32_e32 vcc_lo, v33, v34
	s_and_b32 s26, vcc_lo, exec_lo
; %bb.90:
	s_or_b32 exec_lo, exec_lo, s21
	v_cndmask_b32_e64 v34, 0, 1, s19
	v_cndmask_b32_e64 v35, 0, 1, s7
	;; [unrolled: 1-line block ×7, first 2 shown]
	v_lshlrev_b16 v35, 8, v35
	v_lshlrev_b16 v36, 8, v36
	;; [unrolled: 1-line block ×4, first 2 shown]
	s_waitcnt lgkmcnt(0)
	v_or_b32_e32 v35, v38, v35
	v_or_b32_e32 v36, v39, v36
	;; [unrolled: 1-line block ×4, first 2 shown]
	s_barrier
	v_and_b32_e32 v34, 0xffff, v35
	v_lshlrev_b32_e32 v35, 16, v36
	v_and_b32_e32 v36, 0xffff, v37
	v_lshlrev_b32_e32 v33, 16, v33
	buffer_gl0_inv
                                        ; implicit-def: $sgpr4
	v_or_b32_e32 v34, v34, v35
	v_or_b32_e32 v33, v36, v33
	s_and_saveexec_b32 s5, s3
	s_cbranch_execz .LBB402_94
; %bb.91:
	s_mov_b32 s4, 0
	s_mov_b32 s3, exec_lo
	v_cmpx_gt_u32_e64 s25, v55
	s_cbranch_execz .LBB402_93
; %bb.92:
	v_add_nc_u32_e32 v35, -8, v55
	v_mul_hi_i32 v36, 0x66666667, v29
	ds_load_b32 v35, v35
	v_lshrrev_b32_e32 v37, 31, v36
	v_ashrrev_i32_e32 v36, 2, v36
	s_delay_alu instid0(VALU_DEP_1) | instskip(SKIP_2) | instid1(VALU_DEP_1)
	v_add_nc_u32_e32 v36, v36, v37
	s_waitcnt lgkmcnt(0)
	v_mul_hi_i32 v35, 0x66666667, v35
	v_lshrrev_b32_e32 v38, 31, v35
	v_ashrrev_i32_e32 v35, 2, v35
	s_delay_alu instid0(VALU_DEP_1) | instskip(NEXT) | instid1(VALU_DEP_1)
	v_add_nc_u32_e32 v35, v35, v38
	v_cmp_ne_u32_e32 vcc_lo, v35, v36
	s_and_b32 s4, vcc_lo, exec_lo
.LBB402_93:
	s_or_b32 exec_lo, exec_lo, s3
	s_delay_alu instid0(SALU_CYCLE_1)
	s_and_b32 s4, s4, exec_lo
	s_or_b32 s0, s0, exec_lo
.LBB402_94:
	s_or_b32 exec_lo, exec_lo, s5
.LBB402_95:
	s_and_saveexec_b32 s3, s0
	s_cbranch_execz .LBB402_97
; %bb.96:
	s_waitcnt vmcnt(0) lgkmcnt(1)
	v_and_b32_e32 v35, 0xffffff00, v33
	v_cndmask_b32_e64 v36, 0, 1, s4
	s_delay_alu instid0(VALU_DEP_1) | instskip(NEXT) | instid1(VALU_DEP_1)
	v_or_b32_e32 v35, v36, v35
	v_and_b32_e32 v35, 0xffff, v35
	s_delay_alu instid0(VALU_DEP_1)
	v_and_or_b32 v33, 0xffff0000, v33, v35
.LBB402_97:
	s_or_b32 exec_lo, exec_lo, s3
	s_delay_alu instid0(SALU_CYCLE_1)
	s_and_not1_b32 vcc_lo, exec_lo, s1
	s_cbranch_vccnz .LBB402_99
; %bb.98:
	v_cmp_gt_u32_e32 vcc_lo, s25, v55
	s_waitcnt vmcnt(0) lgkmcnt(1)
	v_or_b32_e32 v36, 1, v55
	v_and_b32_e32 v37, 0xffffff00, v34
	v_or_b32_e32 v38, 2, v55
	v_cndmask_b32_e32 v35, 0, v33, vcc_lo
	s_delay_alu instid0(VALU_DEP_4) | instskip(SKIP_1) | instid1(VALU_DEP_4)
	v_cmp_gt_u32_e32 vcc_lo, s25, v36
	v_or_b32_e32 v36, 4, v55
	v_cmp_gt_u32_e64 s0, s25, v38
	v_or_b32_e32 v38, 3, v55
	v_and_b32_e32 v35, 0xff, v35
	s_delay_alu instid0(VALU_DEP_2) | instskip(NEXT) | instid1(VALU_DEP_2)
	v_cmp_gt_u32_e64 s1, s25, v38
	v_cndmask_b32_e32 v35, v35, v33, vcc_lo
	v_cmp_gt_u32_e32 vcc_lo, s25, v36
	v_cndmask_b32_e32 v36, v37, v34, vcc_lo
	v_or_b32_e32 v37, 5, v55
	s_delay_alu instid0(VALU_DEP_2) | instskip(SKIP_1) | instid1(VALU_DEP_1)
	v_and_b32_e32 v36, 0xffff00ff, v36
	v_and_b32_e32 v35, 0xffff, v35
	v_cndmask_b32_e64 v35, v35, v33, s0
	s_delay_alu instid0(VALU_DEP_4) | instskip(SKIP_1) | instid1(VALU_DEP_3)
	v_cmp_gt_u32_e64 s0, s25, v37
	v_or_b32_e32 v37, 6, v55
	v_and_b32_e32 v35, 0xffffff, v35
	s_delay_alu instid0(VALU_DEP_3) | instskip(NEXT) | instid1(VALU_DEP_2)
	v_cndmask_b32_e64 v36, v36, v34, s0
	v_cndmask_b32_e64 v35, v35, v33, s1
	s_delay_alu instid0(VALU_DEP_1) | instskip(SKIP_2) | instid1(VALU_DEP_3)
	v_dual_cndmask_b32 v35, v35, v33 :: v_dual_and_b32 v36, 0xff00ffff, v36
	v_cmp_gt_u32_e32 vcc_lo, s25, v37
	v_or_b32_e32 v37, 7, v55
	v_cndmask_b32_e64 v35, v35, v33, s0
	s_delay_alu instid0(VALU_DEP_1) | instskip(NEXT) | instid1(VALU_DEP_1)
	v_dual_cndmask_b32 v36, v36, v34 :: v_dual_cndmask_b32 v35, v35, v33
	v_and_b32_e32 v36, 0xffffff, v36
	s_delay_alu instid0(VALU_DEP_4) | instskip(NEXT) | instid1(VALU_DEP_2)
	v_cmp_gt_u32_e32 vcc_lo, s25, v37
	v_dual_cndmask_b32 v34, v36, v34 :: v_dual_cndmask_b32 v33, v35, v33
.LBB402_99:
	s_delay_alu instid0(VALU_DEP_1) | instskip(SKIP_1) | instid1(VALU_DEP_2)
	v_and_b32_e32 v44, 0xff, v33
	s_waitcnt vmcnt(0) lgkmcnt(1)
	v_alignbit_b32 v35, v34, v33, 24
	v_bfe_u32 v46, v33, 8, 8
	v_bfe_u32 v48, v33, 16, 8
	v_and_b32_e32 v52, 0xff, v34
	v_bfe_u32 v54, v34, 8, 8
	v_and_b32_e32 v50, 0xff, v35
	v_add_nc_u32_e32 v35, v46, v44
	v_mbcnt_lo_u32_b32 v58, -1, 0
	v_bfe_u32 v57, v34, 16, 8
	v_lshrrev_b32_e32 v56, 24, v34
	v_lshrrev_b32_e32 v59, 5, v0
	v_add3_u32 v35, v35, v48, v50
	v_and_b32_e32 v36, 15, v58
	v_and_b32_e32 v37, 16, v58
	s_and_b32 vcc_lo, exec_lo, s18
	s_mov_b32 s7, -1
	v_add3_u32 v35, v35, v52, v54
	v_cmp_eq_u32_e64 s3, 0, v36
	v_cmp_lt_u32_e64 s0, 1, v36
	v_cmp_lt_u32_e64 s4, 3, v36
	;; [unrolled: 1-line block ×3, first 2 shown]
	v_add3_u32 v60, v35, v57, v56
	v_or_b32_e32 v35, 31, v0
	v_cmp_eq_u32_e64 s6, 0, v37
	s_waitcnt lgkmcnt(0)
	s_barrier
	buffer_gl0_inv
	v_cmp_eq_u32_e64 s5, v35, v0
	s_cbranch_vccz .LBB402_125
; %bb.100:
	v_mov_b32_dpp v35, v60 row_shr:1 row_mask:0xf bank_mask:0xf
	s_delay_alu instid0(VALU_DEP_1) | instskip(NEXT) | instid1(VALU_DEP_1)
	v_cndmask_b32_e64 v35, v35, 0, s3
	v_add_nc_u32_e32 v35, v35, v60
	s_delay_alu instid0(VALU_DEP_1) | instskip(NEXT) | instid1(VALU_DEP_1)
	v_mov_b32_dpp v36, v35 row_shr:2 row_mask:0xf bank_mask:0xf
	v_cndmask_b32_e64 v36, 0, v36, s0
	s_delay_alu instid0(VALU_DEP_1) | instskip(NEXT) | instid1(VALU_DEP_1)
	v_add_nc_u32_e32 v35, v35, v36
	v_mov_b32_dpp v36, v35 row_shr:4 row_mask:0xf bank_mask:0xf
	s_delay_alu instid0(VALU_DEP_1) | instskip(NEXT) | instid1(VALU_DEP_1)
	v_cndmask_b32_e64 v36, 0, v36, s4
	v_add_nc_u32_e32 v35, v35, v36
	s_delay_alu instid0(VALU_DEP_1) | instskip(NEXT) | instid1(VALU_DEP_1)
	v_mov_b32_dpp v36, v35 row_shr:8 row_mask:0xf bank_mask:0xf
	v_cndmask_b32_e64 v36, 0, v36, s1
	s_delay_alu instid0(VALU_DEP_1) | instskip(SKIP_3) | instid1(VALU_DEP_1)
	v_add_nc_u32_e32 v35, v35, v36
	ds_swizzle_b32 v36, v35 offset:swizzle(BROADCAST,32,15)
	s_waitcnt lgkmcnt(0)
	v_cndmask_b32_e64 v36, v36, 0, s6
	v_add_nc_u32_e32 v35, v35, v36
	s_and_saveexec_b32 s7, s5
	s_cbranch_execz .LBB402_102
; %bb.101:
	v_lshlrev_b32_e32 v36, 2, v59
	ds_store_b32 v36, v35
.LBB402_102:
	s_or_b32 exec_lo, exec_lo, s7
	s_delay_alu instid0(SALU_CYCLE_1)
	s_mov_b32 s7, exec_lo
	s_waitcnt lgkmcnt(0)
	s_barrier
	buffer_gl0_inv
	v_cmpx_gt_u32_e32 16, v0
	s_cbranch_execz .LBB402_104
; %bb.103:
	v_lshlrev_b32_e32 v36, 2, v0
	ds_load_b32 v37, v36
	s_waitcnt lgkmcnt(0)
	v_mov_b32_dpp v38, v37 row_shr:1 row_mask:0xf bank_mask:0xf
	s_delay_alu instid0(VALU_DEP_1) | instskip(NEXT) | instid1(VALU_DEP_1)
	v_cndmask_b32_e64 v38, v38, 0, s3
	v_add_nc_u32_e32 v37, v38, v37
	s_delay_alu instid0(VALU_DEP_1) | instskip(NEXT) | instid1(VALU_DEP_1)
	v_mov_b32_dpp v38, v37 row_shr:2 row_mask:0xf bank_mask:0xf
	v_cndmask_b32_e64 v38, 0, v38, s0
	s_delay_alu instid0(VALU_DEP_1) | instskip(NEXT) | instid1(VALU_DEP_1)
	v_add_nc_u32_e32 v37, v37, v38
	v_mov_b32_dpp v38, v37 row_shr:4 row_mask:0xf bank_mask:0xf
	s_delay_alu instid0(VALU_DEP_1) | instskip(NEXT) | instid1(VALU_DEP_1)
	v_cndmask_b32_e64 v38, 0, v38, s4
	v_add_nc_u32_e32 v37, v37, v38
	s_delay_alu instid0(VALU_DEP_1) | instskip(NEXT) | instid1(VALU_DEP_1)
	v_mov_b32_dpp v38, v37 row_shr:8 row_mask:0xf bank_mask:0xf
	v_cndmask_b32_e64 v38, 0, v38, s1
	s_delay_alu instid0(VALU_DEP_1)
	v_add_nc_u32_e32 v37, v37, v38
	ds_store_b32 v36, v37
.LBB402_104:
	s_or_b32 exec_lo, exec_lo, s7
	v_cmp_gt_u32_e32 vcc_lo, 32, v0
	s_mov_b32 s18, exec_lo
	s_waitcnt lgkmcnt(0)
	s_barrier
	buffer_gl0_inv
                                        ; implicit-def: $vgpr43
	v_cmpx_lt_u32_e32 31, v0
	s_cbranch_execz .LBB402_106
; %bb.105:
	v_lshl_add_u32 v36, v59, 2, -4
	ds_load_b32 v43, v36
	s_waitcnt lgkmcnt(0)
	v_add_nc_u32_e32 v35, v43, v35
.LBB402_106:
	s_or_b32 exec_lo, exec_lo, s18
	v_add_nc_u32_e32 v36, -1, v58
	s_delay_alu instid0(VALU_DEP_1) | instskip(NEXT) | instid1(VALU_DEP_1)
	v_cmp_gt_i32_e64 s7, 0, v36
	v_cndmask_b32_e64 v36, v36, v58, s7
	v_cmp_eq_u32_e64 s7, 0, v58
	s_delay_alu instid0(VALU_DEP_2)
	v_lshlrev_b32_e32 v36, 2, v36
	ds_bpermute_b32 v45, v36, v35
	s_and_saveexec_b32 s18, vcc_lo
	s_cbranch_execz .LBB402_124
; %bb.107:
	v_mov_b32_e32 v39, 0
	ds_load_b32 v35, v39 offset:60
	s_and_saveexec_b32 s19, s7
	s_cbranch_execz .LBB402_109
; %bb.108:
	s_add_i32 s20, s24, 32
	s_mov_b32 s21, 0
	v_mov_b32_e32 v36, 1
	s_lshl_b64 s[20:21], s[20:21], 3
	s_delay_alu instid0(SALU_CYCLE_1)
	s_add_u32 s20, s16, s20
	s_addc_u32 s21, s17, s21
	s_waitcnt lgkmcnt(0)
	global_store_b64 v39, v[35:36], s[20:21]
.LBB402_109:
	s_or_b32 exec_lo, exec_lo, s19
	v_xad_u32 v37, v58, -1, s24
	s_mov_b32 s20, 0
	s_mov_b32 s19, exec_lo
	s_delay_alu instid0(VALU_DEP_1) | instskip(NEXT) | instid1(VALU_DEP_1)
	v_add_nc_u32_e32 v38, 32, v37
	v_lshlrev_b64 v[38:39], 3, v[38:39]
	s_delay_alu instid0(VALU_DEP_1) | instskip(NEXT) | instid1(VALU_DEP_2)
	v_add_co_u32 v41, vcc_lo, s16, v38
	v_add_co_ci_u32_e32 v42, vcc_lo, s17, v39, vcc_lo
	global_load_b64 v[39:40], v[41:42], off glc
	s_waitcnt vmcnt(0)
	v_and_b32_e32 v36, 0xff, v40
	s_delay_alu instid0(VALU_DEP_1)
	v_cmpx_eq_u16_e32 0, v36
	s_cbranch_execz .LBB402_112
.LBB402_110:                            ; =>This Inner Loop Header: Depth=1
	global_load_b64 v[39:40], v[41:42], off glc
	s_waitcnt vmcnt(0)
	v_and_b32_e32 v36, 0xff, v40
	s_delay_alu instid0(VALU_DEP_1) | instskip(SKIP_1) | instid1(SALU_CYCLE_1)
	v_cmp_ne_u16_e32 vcc_lo, 0, v36
	s_or_b32 s20, vcc_lo, s20
	s_and_not1_b32 exec_lo, exec_lo, s20
	s_cbranch_execnz .LBB402_110
; %bb.111:
	s_or_b32 exec_lo, exec_lo, s20
.LBB402_112:
	s_delay_alu instid0(SALU_CYCLE_1)
	s_or_b32 exec_lo, exec_lo, s19
	v_cmp_ne_u32_e32 vcc_lo, 31, v58
	v_lshlrev_b32_e64 v49, v58, -1
	v_add_nc_u32_e32 v53, 2, v58
	v_add_nc_u32_e32 v66, 16, v58
	v_add_co_ci_u32_e32 v36, vcc_lo, 0, v58, vcc_lo
	s_delay_alu instid0(VALU_DEP_1)
	v_lshlrev_b32_e32 v47, 2, v36
	v_and_b32_e32 v36, 0xff, v40
	ds_bpermute_b32 v38, v47, v39
	v_cmp_eq_u16_e32 vcc_lo, 2, v36
	v_and_or_b32 v36, vcc_lo, v49, 0x80000000
	v_cmp_gt_u32_e32 vcc_lo, 30, v58
	s_delay_alu instid0(VALU_DEP_2) | instskip(SKIP_1) | instid1(VALU_DEP_2)
	v_ctz_i32_b32_e32 v36, v36
	v_cndmask_b32_e64 v41, 0, 1, vcc_lo
	v_cmp_lt_u32_e32 vcc_lo, v58, v36
	s_waitcnt lgkmcnt(0)
	s_delay_alu instid0(VALU_DEP_2) | instskip(NEXT) | instid1(VALU_DEP_1)
	v_dual_cndmask_b32 v38, 0, v38 :: v_dual_lshlrev_b32 v41, 1, v41
	v_add_lshl_u32 v51, v41, v58, 2
	v_cmp_gt_u32_e32 vcc_lo, 28, v58
	s_delay_alu instid0(VALU_DEP_3) | instskip(SKIP_4) | instid1(VALU_DEP_1)
	v_add_nc_u32_e32 v38, v38, v39
	v_cndmask_b32_e64 v41, 0, 1, vcc_lo
	v_cmp_le_u32_e32 vcc_lo, v53, v36
	ds_bpermute_b32 v39, v51, v38
	v_lshlrev_b32_e32 v41, 2, v41
	v_add_lshl_u32 v61, v41, v58, 2
	s_waitcnt lgkmcnt(0)
	v_cndmask_b32_e32 v39, 0, v39, vcc_lo
	v_cmp_gt_u32_e32 vcc_lo, 24, v58
	s_delay_alu instid0(VALU_DEP_2) | instskip(SKIP_4) | instid1(VALU_DEP_2)
	v_add_nc_u32_e32 v38, v38, v39
	v_cndmask_b32_e64 v41, 0, 1, vcc_lo
	ds_bpermute_b32 v39, v61, v38
	v_add_nc_u32_e32 v62, 4, v58
	v_lshlrev_b32_e32 v41, 3, v41
	v_cmp_le_u32_e32 vcc_lo, v62, v36
	s_delay_alu instid0(VALU_DEP_2) | instskip(SKIP_3) | instid1(VALU_DEP_2)
	v_add_lshl_u32 v63, v41, v58, 2
	s_waitcnt lgkmcnt(0)
	v_cndmask_b32_e32 v39, 0, v39, vcc_lo
	v_cmp_gt_u32_e32 vcc_lo, 16, v58
	v_add_nc_u32_e32 v38, v38, v39
	v_cndmask_b32_e64 v41, 0, 1, vcc_lo
	ds_bpermute_b32 v39, v63, v38
	v_add_nc_u32_e32 v64, 8, v58
	v_lshlrev_b32_e32 v41, 4, v41
	s_delay_alu instid0(VALU_DEP_2) | instskip(NEXT) | instid1(VALU_DEP_2)
	v_cmp_le_u32_e32 vcc_lo, v64, v36
	v_add_lshl_u32 v65, v41, v58, 2
	s_waitcnt lgkmcnt(0)
	v_cndmask_b32_e32 v39, 0, v39, vcc_lo
	v_cmp_le_u32_e32 vcc_lo, v66, v36
	s_delay_alu instid0(VALU_DEP_2) | instskip(SKIP_3) | instid1(VALU_DEP_1)
	v_add_nc_u32_e32 v38, v38, v39
	ds_bpermute_b32 v39, v65, v38
	s_waitcnt lgkmcnt(0)
	v_cndmask_b32_e32 v36, 0, v39, vcc_lo
	v_dual_mov_b32 v38, 0 :: v_dual_add_nc_u32 v39, v38, v36
	s_branch .LBB402_114
.LBB402_113:                            ;   in Loop: Header=BB402_114 Depth=1
	s_or_b32 exec_lo, exec_lo, s19
	ds_bpermute_b32 v42, v47, v39
	v_and_b32_e32 v41, 0xff, v40
	v_subrev_nc_u32_e32 v37, 32, v37
	s_delay_alu instid0(VALU_DEP_2) | instskip(SKIP_1) | instid1(VALU_DEP_1)
	v_cmp_eq_u16_e32 vcc_lo, 2, v41
	v_and_or_b32 v41, vcc_lo, v49, 0x80000000
	v_ctz_i32_b32_e32 v41, v41
	s_delay_alu instid0(VALU_DEP_1) | instskip(SKIP_3) | instid1(VALU_DEP_2)
	v_cmp_lt_u32_e32 vcc_lo, v58, v41
	s_waitcnt lgkmcnt(0)
	v_cndmask_b32_e32 v42, 0, v42, vcc_lo
	v_cmp_le_u32_e32 vcc_lo, v53, v41
	v_add_nc_u32_e32 v39, v42, v39
	ds_bpermute_b32 v42, v51, v39
	s_waitcnt lgkmcnt(0)
	v_cndmask_b32_e32 v42, 0, v42, vcc_lo
	v_cmp_le_u32_e32 vcc_lo, v62, v41
	s_delay_alu instid0(VALU_DEP_2) | instskip(SKIP_4) | instid1(VALU_DEP_2)
	v_add_nc_u32_e32 v39, v39, v42
	ds_bpermute_b32 v42, v61, v39
	s_waitcnt lgkmcnt(0)
	v_cndmask_b32_e32 v42, 0, v42, vcc_lo
	v_cmp_le_u32_e32 vcc_lo, v64, v41
	v_add_nc_u32_e32 v39, v39, v42
	ds_bpermute_b32 v42, v63, v39
	s_waitcnt lgkmcnt(0)
	v_cndmask_b32_e32 v42, 0, v42, vcc_lo
	v_cmp_le_u32_e32 vcc_lo, v66, v41
	s_delay_alu instid0(VALU_DEP_2) | instskip(SKIP_3) | instid1(VALU_DEP_1)
	v_add_nc_u32_e32 v39, v39, v42
	ds_bpermute_b32 v42, v65, v39
	s_waitcnt lgkmcnt(0)
	v_cndmask_b32_e32 v41, 0, v42, vcc_lo
	v_add3_u32 v39, v41, v36, v39
.LBB402_114:                            ; =>This Loop Header: Depth=1
                                        ;     Child Loop BB402_117 Depth 2
	v_and_b32_e32 v36, 0xff, v40
	s_delay_alu instid0(VALU_DEP_1) | instskip(SKIP_2) | instid1(VALU_DEP_1)
	v_cmp_ne_u16_e32 vcc_lo, 2, v36
	v_cndmask_b32_e64 v36, 0, 1, vcc_lo
	;;#ASMSTART
	;;#ASMEND
	v_cmp_ne_u32_e32 vcc_lo, 0, v36
	v_mov_b32_e32 v36, v39
	s_cmp_lg_u32 vcc_lo, exec_lo
	s_cbranch_scc1 .LBB402_119
; %bb.115:                              ;   in Loop: Header=BB402_114 Depth=1
	v_lshlrev_b64 v[39:40], 3, v[37:38]
	s_mov_b32 s19, exec_lo
	s_delay_alu instid0(VALU_DEP_1) | instskip(NEXT) | instid1(VALU_DEP_2)
	v_add_co_u32 v41, vcc_lo, s16, v39
	v_add_co_ci_u32_e32 v42, vcc_lo, s17, v40, vcc_lo
	global_load_b64 v[39:40], v[41:42], off glc
	s_waitcnt vmcnt(0)
	v_and_b32_e32 v67, 0xff, v40
	s_delay_alu instid0(VALU_DEP_1)
	v_cmpx_eq_u16_e32 0, v67
	s_cbranch_execz .LBB402_113
; %bb.116:                              ;   in Loop: Header=BB402_114 Depth=1
	s_mov_b32 s20, 0
.LBB402_117:                            ;   Parent Loop BB402_114 Depth=1
                                        ; =>  This Inner Loop Header: Depth=2
	global_load_b64 v[39:40], v[41:42], off glc
	s_waitcnt vmcnt(0)
	v_and_b32_e32 v67, 0xff, v40
	s_delay_alu instid0(VALU_DEP_1) | instskip(SKIP_1) | instid1(SALU_CYCLE_1)
	v_cmp_ne_u16_e32 vcc_lo, 0, v67
	s_or_b32 s20, vcc_lo, s20
	s_and_not1_b32 exec_lo, exec_lo, s20
	s_cbranch_execnz .LBB402_117
; %bb.118:                              ;   in Loop: Header=BB402_114 Depth=1
	s_or_b32 exec_lo, exec_lo, s20
	s_branch .LBB402_113
.LBB402_119:                            ;   in Loop: Header=BB402_114 Depth=1
                                        ; implicit-def: $vgpr39
                                        ; implicit-def: $vgpr40
	s_cbranch_execz .LBB402_114
; %bb.120:
	s_and_saveexec_b32 s19, s7
	s_cbranch_execz .LBB402_122
; %bb.121:
	s_add_i32 s20, s24, 32
	s_mov_b32 s21, 0
	v_dual_mov_b32 v38, 2 :: v_dual_add_nc_u32 v37, v36, v35
	s_lshl_b64 s[20:21], s[20:21], 3
	v_mov_b32_e32 v39, 0
	s_add_u32 s20, s16, s20
	s_addc_u32 s21, s17, s21
	global_store_b64 v39, v[37:38], s[20:21]
	ds_store_b64 v39, v[35:36] offset:33792
.LBB402_122:
	s_or_b32 exec_lo, exec_lo, s19
	s_delay_alu instid0(SALU_CYCLE_1)
	s_and_b32 exec_lo, exec_lo, s2
	s_cbranch_execz .LBB402_124
; %bb.123:
	v_mov_b32_e32 v35, 0
	ds_store_b32 v35, v36 offset:60
.LBB402_124:
	s_or_b32 exec_lo, exec_lo, s18
	v_mov_b32_e32 v35, 0
	s_waitcnt lgkmcnt(0)
	s_waitcnt_vscnt null, 0x0
	s_barrier
	buffer_gl0_inv
	v_cndmask_b32_e64 v37, v45, v43, s7
	ds_load_b32 v36, v35 offset:60
	s_waitcnt lgkmcnt(0)
	s_barrier
	buffer_gl0_inv
	v_cndmask_b32_e64 v37, v37, 0, s2
	s_delay_alu instid0(VALU_DEP_1) | instskip(SKIP_2) | instid1(VALU_DEP_1)
	v_add_nc_u32_e32 v53, v36, v37
	ds_load_b64 v[35:36], v35 offset:33792
	v_add_nc_u32_e32 v51, v53, v44
	v_add_nc_u32_e32 v49, v51, v46
	s_delay_alu instid0(VALU_DEP_1) | instskip(NEXT) | instid1(VALU_DEP_1)
	v_add_nc_u32_e32 v47, v49, v48
	v_add_nc_u32_e32 v45, v47, v50
	s_waitcnt lgkmcnt(0)
	v_readfirstlane_b32 s18, v36
	s_delay_alu instid0(VALU_DEP_2) | instskip(NEXT) | instid1(VALU_DEP_1)
	v_add_nc_u32_e32 v43, v45, v52
	v_add_nc_u32_e32 v41, v43, v54
	s_delay_alu instid0(VALU_DEP_1)
	v_add_nc_u32_e32 v39, v41, v57
	v_lshrrev_b64 v[37:38], 24, v[33:34]
	s_branch .LBB402_135
.LBB402_125:
                                        ; implicit-def: $vgpr39
                                        ; implicit-def: $vgpr41
                                        ; implicit-def: $vgpr43
                                        ; implicit-def: $vgpr45
                                        ; implicit-def: $vgpr47
                                        ; implicit-def: $vgpr49
                                        ; implicit-def: $vgpr51
                                        ; implicit-def: $vgpr53
                                        ; implicit-def: $sgpr18
                                        ; implicit-def: $vgpr35
	v_lshrrev_b64 v[37:38], 24, v[33:34]
	s_and_b32 vcc_lo, exec_lo, s7
	s_cbranch_vccz .LBB402_135
; %bb.126:
	v_mov_b32_dpp v35, v60 row_shr:1 row_mask:0xf bank_mask:0xf
	s_delay_alu instid0(VALU_DEP_1) | instskip(NEXT) | instid1(VALU_DEP_1)
	v_cndmask_b32_e64 v35, v35, 0, s3
	v_add_nc_u32_e32 v35, v35, v60
	s_delay_alu instid0(VALU_DEP_1) | instskip(NEXT) | instid1(VALU_DEP_1)
	v_mov_b32_dpp v36, v35 row_shr:2 row_mask:0xf bank_mask:0xf
	v_cndmask_b32_e64 v36, 0, v36, s0
	s_delay_alu instid0(VALU_DEP_1) | instskip(NEXT) | instid1(VALU_DEP_1)
	v_add_nc_u32_e32 v35, v35, v36
	v_mov_b32_dpp v36, v35 row_shr:4 row_mask:0xf bank_mask:0xf
	s_delay_alu instid0(VALU_DEP_1) | instskip(NEXT) | instid1(VALU_DEP_1)
	v_cndmask_b32_e64 v36, 0, v36, s4
	v_add_nc_u32_e32 v35, v35, v36
	s_delay_alu instid0(VALU_DEP_1) | instskip(NEXT) | instid1(VALU_DEP_1)
	v_mov_b32_dpp v36, v35 row_shr:8 row_mask:0xf bank_mask:0xf
	v_cndmask_b32_e64 v36, 0, v36, s1
	s_delay_alu instid0(VALU_DEP_1) | instskip(SKIP_3) | instid1(VALU_DEP_1)
	v_add_nc_u32_e32 v35, v35, v36
	ds_swizzle_b32 v36, v35 offset:swizzle(BROADCAST,32,15)
	s_waitcnt lgkmcnt(0)
	v_cndmask_b32_e64 v36, v36, 0, s6
	v_add_nc_u32_e32 v35, v35, v36
	s_and_saveexec_b32 s6, s5
	s_cbranch_execz .LBB402_128
; %bb.127:
	v_lshlrev_b32_e32 v36, 2, v59
	ds_store_b32 v36, v35
.LBB402_128:
	s_or_b32 exec_lo, exec_lo, s6
	s_delay_alu instid0(SALU_CYCLE_1)
	s_mov_b32 s5, exec_lo
	s_waitcnt lgkmcnt(0)
	s_barrier
	buffer_gl0_inv
	v_cmpx_gt_u32_e32 16, v0
	s_cbranch_execz .LBB402_130
; %bb.129:
	v_lshlrev_b32_e32 v36, 2, v0
	ds_load_b32 v38, v36
	s_waitcnt lgkmcnt(0)
	v_mov_b32_dpp v39, v38 row_shr:1 row_mask:0xf bank_mask:0xf
	s_delay_alu instid0(VALU_DEP_1) | instskip(NEXT) | instid1(VALU_DEP_1)
	v_cndmask_b32_e64 v39, v39, 0, s3
	v_add_nc_u32_e32 v38, v39, v38
	s_delay_alu instid0(VALU_DEP_1) | instskip(NEXT) | instid1(VALU_DEP_1)
	v_mov_b32_dpp v39, v38 row_shr:2 row_mask:0xf bank_mask:0xf
	v_cndmask_b32_e64 v39, 0, v39, s0
	s_delay_alu instid0(VALU_DEP_1) | instskip(NEXT) | instid1(VALU_DEP_1)
	v_add_nc_u32_e32 v38, v38, v39
	v_mov_b32_dpp v39, v38 row_shr:4 row_mask:0xf bank_mask:0xf
	s_delay_alu instid0(VALU_DEP_1) | instskip(NEXT) | instid1(VALU_DEP_1)
	v_cndmask_b32_e64 v39, 0, v39, s4
	v_add_nc_u32_e32 v38, v38, v39
	s_delay_alu instid0(VALU_DEP_1) | instskip(NEXT) | instid1(VALU_DEP_1)
	v_mov_b32_dpp v39, v38 row_shr:8 row_mask:0xf bank_mask:0xf
	v_cndmask_b32_e64 v39, 0, v39, s1
	s_delay_alu instid0(VALU_DEP_1)
	v_add_nc_u32_e32 v38, v38, v39
	ds_store_b32 v36, v38
.LBB402_130:
	s_or_b32 exec_lo, exec_lo, s5
	v_mov_b32_e32 v36, 0
	v_mov_b32_e32 v38, 0
	s_mov_b32 s0, exec_lo
	s_waitcnt lgkmcnt(0)
	s_barrier
	buffer_gl0_inv
	v_cmpx_lt_u32_e32 31, v0
	s_cbranch_execz .LBB402_132
; %bb.131:
	v_lshl_add_u32 v38, v59, 2, -4
	ds_load_b32 v38, v38
.LBB402_132:
	s_or_b32 exec_lo, exec_lo, s0
	v_add_nc_u32_e32 v39, -1, v58
	s_waitcnt lgkmcnt(0)
	v_add_nc_u32_e32 v35, v38, v35
	s_mov_b32 s18, 0
	s_delay_alu instid0(VALU_DEP_2) | instskip(SKIP_1) | instid1(VALU_DEP_1)
	v_cmp_gt_i32_e32 vcc_lo, 0, v39
	v_cndmask_b32_e32 v39, v39, v58, vcc_lo
	v_lshlrev_b32_e32 v39, 2, v39
	ds_bpermute_b32 v39, v39, v35
	ds_load_b32 v35, v36 offset:60
	s_and_saveexec_b32 s0, s2
	s_cbranch_execz .LBB402_134
; %bb.133:
	v_mov_b32_e32 v40, 0
	v_mov_b32_e32 v36, 2
	s_waitcnt lgkmcnt(0)
	global_store_b64 v40, v[35:36], s[16:17] offset:256
.LBB402_134:
	s_or_b32 exec_lo, exec_lo, s0
	v_cmp_eq_u32_e32 vcc_lo, 0, v58
	s_waitcnt lgkmcnt(0)
	s_waitcnt_vscnt null, 0x0
	s_barrier
	buffer_gl0_inv
	v_cndmask_b32_e32 v36, v39, v38, vcc_lo
	s_delay_alu instid0(VALU_DEP_1) | instskip(NEXT) | instid1(VALU_DEP_1)
	v_cndmask_b32_e64 v53, v36, 0, s2
	v_add_nc_u32_e32 v51, v53, v44
	s_delay_alu instid0(VALU_DEP_1) | instskip(NEXT) | instid1(VALU_DEP_1)
	v_add_nc_u32_e32 v49, v51, v46
	v_add_nc_u32_e32 v47, v49, v48
	s_delay_alu instid0(VALU_DEP_1) | instskip(NEXT) | instid1(VALU_DEP_1)
	v_add_nc_u32_e32 v45, v47, v50
	;; [unrolled: 3-line block ×3, first 2 shown]
	v_add_nc_u32_e32 v39, v41, v57
.LBB402_135:
	v_add_nc_u32_e32 v59, s18, v35
	v_cmp_gt_u32_e64 s0, 0x201, v35
	v_lshrrev_b32_e32 v58, 8, v33
	v_lshrrev_b32_e32 v57, 16, v33
	;; [unrolled: 1-line block ×4, first 2 shown]
	v_cmp_lt_u32_e64 s1, v53, v59
	s_and_b32 vcc_lo, exec_lo, s0
	s_mov_b32 s3, -1
	s_cbranch_vccz .LBB402_161
; %bb.136:
	s_lshl_b64 s[4:5], s[10:11], 3
	s_delay_alu instid0(SALU_CYCLE_1) | instskip(SKIP_2) | instid1(SALU_CYCLE_1)
	s_add_u32 s3, s12, s4
	s_addc_u32 s4, s13, s5
	s_or_b32 s5, s23, s1
	s_and_saveexec_b32 s1, s5
	s_cbranch_execz .LBB402_139
; %bb.137:
	v_and_b32_e32 v40, 1, v33
	s_delay_alu instid0(VALU_DEP_1)
	v_cmp_eq_u32_e32 vcc_lo, 1, v40
	s_and_b32 exec_lo, exec_lo, vcc_lo
	s_cbranch_execz .LBB402_139
; %bb.138:
	v_mov_b32_e32 v54, 0
	s_delay_alu instid0(VALU_DEP_1) | instskip(NEXT) | instid1(VALU_DEP_1)
	v_lshlrev_b64 v[60:61], 3, v[53:54]
	v_add_co_u32 v60, vcc_lo, s3, v60
	s_delay_alu instid0(VALU_DEP_2)
	v_add_co_ci_u32_e32 v61, vcc_lo, s4, v61, vcc_lo
	global_store_b64 v[60:61], v[29:30], off
.LBB402_139:
	s_or_b32 exec_lo, exec_lo, s1
	v_cmp_lt_u32_e32 vcc_lo, v51, v59
	s_or_b32 s5, s23, vcc_lo
	s_delay_alu instid0(SALU_CYCLE_1)
	s_and_saveexec_b32 s1, s5
	s_cbranch_execz .LBB402_142
; %bb.140:
	v_and_b32_e32 v40, 1, v58
	s_delay_alu instid0(VALU_DEP_1)
	v_cmp_eq_u32_e32 vcc_lo, 1, v40
	s_and_b32 exec_lo, exec_lo, vcc_lo
	s_cbranch_execz .LBB402_142
; %bb.141:
	v_mov_b32_e32 v52, 0
	s_delay_alu instid0(VALU_DEP_1) | instskip(NEXT) | instid1(VALU_DEP_1)
	v_lshlrev_b64 v[60:61], 3, v[51:52]
	v_add_co_u32 v60, vcc_lo, s3, v60
	s_delay_alu instid0(VALU_DEP_2)
	v_add_co_ci_u32_e32 v61, vcc_lo, s4, v61, vcc_lo
	global_store_b64 v[60:61], v[31:32], off
.LBB402_142:
	s_or_b32 exec_lo, exec_lo, s1
	v_cmp_lt_u32_e32 vcc_lo, v49, v59
	s_or_b32 s5, s23, vcc_lo
	s_delay_alu instid0(SALU_CYCLE_1)
	s_and_saveexec_b32 s1, s5
	s_cbranch_execz .LBB402_145
; %bb.143:
	v_and_b32_e32 v40, 1, v57
	s_delay_alu instid0(VALU_DEP_1)
	v_cmp_eq_u32_e32 vcc_lo, 1, v40
	s_and_b32 exec_lo, exec_lo, vcc_lo
	s_cbranch_execz .LBB402_145
; %bb.144:
	v_mov_b32_e32 v50, 0
	s_delay_alu instid0(VALU_DEP_1) | instskip(NEXT) | instid1(VALU_DEP_1)
	v_lshlrev_b64 v[60:61], 3, v[49:50]
	v_add_co_u32 v60, vcc_lo, s3, v60
	s_delay_alu instid0(VALU_DEP_2)
	v_add_co_ci_u32_e32 v61, vcc_lo, s4, v61, vcc_lo
	global_store_b64 v[60:61], v[25:26], off
.LBB402_145:
	s_or_b32 exec_lo, exec_lo, s1
	v_cmp_lt_u32_e32 vcc_lo, v47, v59
	s_or_b32 s5, s23, vcc_lo
	s_delay_alu instid0(SALU_CYCLE_1)
	s_and_saveexec_b32 s1, s5
	s_cbranch_execz .LBB402_148
; %bb.146:
	v_and_b32_e32 v40, 1, v37
	s_delay_alu instid0(VALU_DEP_1)
	v_cmp_eq_u32_e32 vcc_lo, 1, v40
	s_and_b32 exec_lo, exec_lo, vcc_lo
	s_cbranch_execz .LBB402_148
; %bb.147:
	v_mov_b32_e32 v48, 0
	s_delay_alu instid0(VALU_DEP_1) | instskip(NEXT) | instid1(VALU_DEP_1)
	v_lshlrev_b64 v[60:61], 3, v[47:48]
	v_add_co_u32 v60, vcc_lo, s3, v60
	s_delay_alu instid0(VALU_DEP_2)
	v_add_co_ci_u32_e32 v61, vcc_lo, s4, v61, vcc_lo
	global_store_b64 v[60:61], v[27:28], off
.LBB402_148:
	s_or_b32 exec_lo, exec_lo, s1
	v_cmp_lt_u32_e32 vcc_lo, v45, v59
	s_or_b32 s5, s23, vcc_lo
	s_delay_alu instid0(SALU_CYCLE_1)
	s_and_saveexec_b32 s1, s5
	s_cbranch_execz .LBB402_151
; %bb.149:
	v_and_b32_e32 v40, 1, v34
	s_delay_alu instid0(VALU_DEP_1)
	v_cmp_eq_u32_e32 vcc_lo, 1, v40
	s_and_b32 exec_lo, exec_lo, vcc_lo
	s_cbranch_execz .LBB402_151
; %bb.150:
	v_mov_b32_e32 v46, 0
	s_delay_alu instid0(VALU_DEP_1) | instskip(NEXT) | instid1(VALU_DEP_1)
	v_lshlrev_b64 v[60:61], 3, v[45:46]
	v_add_co_u32 v60, vcc_lo, s3, v60
	s_delay_alu instid0(VALU_DEP_2)
	v_add_co_ci_u32_e32 v61, vcc_lo, s4, v61, vcc_lo
	global_store_b64 v[60:61], v[21:22], off
.LBB402_151:
	s_or_b32 exec_lo, exec_lo, s1
	v_cmp_lt_u32_e32 vcc_lo, v43, v59
	s_or_b32 s5, s23, vcc_lo
	s_delay_alu instid0(SALU_CYCLE_1)
	s_and_saveexec_b32 s1, s5
	s_cbranch_execz .LBB402_154
; %bb.152:
	v_and_b32_e32 v40, 1, v38
	s_delay_alu instid0(VALU_DEP_1)
	v_cmp_eq_u32_e32 vcc_lo, 1, v40
	s_and_b32 exec_lo, exec_lo, vcc_lo
	s_cbranch_execz .LBB402_154
; %bb.153:
	v_mov_b32_e32 v44, 0
	s_delay_alu instid0(VALU_DEP_1) | instskip(NEXT) | instid1(VALU_DEP_1)
	v_lshlrev_b64 v[60:61], 3, v[43:44]
	v_add_co_u32 v60, vcc_lo, s3, v60
	s_delay_alu instid0(VALU_DEP_2)
	v_add_co_ci_u32_e32 v61, vcc_lo, s4, v61, vcc_lo
	global_store_b64 v[60:61], v[23:24], off
.LBB402_154:
	s_or_b32 exec_lo, exec_lo, s1
	v_cmp_lt_u32_e32 vcc_lo, v41, v59
	s_or_b32 s5, s23, vcc_lo
	s_delay_alu instid0(SALU_CYCLE_1)
	s_and_saveexec_b32 s1, s5
	s_cbranch_execz .LBB402_157
; %bb.155:
	v_and_b32_e32 v40, 1, v36
	s_delay_alu instid0(VALU_DEP_1)
	v_cmp_eq_u32_e32 vcc_lo, 1, v40
	s_and_b32 exec_lo, exec_lo, vcc_lo
	s_cbranch_execz .LBB402_157
; %bb.156:
	v_mov_b32_e32 v42, 0
	s_delay_alu instid0(VALU_DEP_1) | instskip(NEXT) | instid1(VALU_DEP_1)
	v_lshlrev_b64 v[60:61], 3, v[41:42]
	v_add_co_u32 v60, vcc_lo, s3, v60
	s_delay_alu instid0(VALU_DEP_2)
	v_add_co_ci_u32_e32 v61, vcc_lo, s4, v61, vcc_lo
	global_store_b64 v[60:61], v[17:18], off
.LBB402_157:
	s_or_b32 exec_lo, exec_lo, s1
	v_cmp_lt_u32_e32 vcc_lo, v39, v59
	s_or_b32 s5, s23, vcc_lo
	s_delay_alu instid0(SALU_CYCLE_1)
	s_and_saveexec_b32 s1, s5
	s_cbranch_execz .LBB402_160
; %bb.158:
	v_and_b32_e32 v40, 1, v56
	s_delay_alu instid0(VALU_DEP_1)
	v_cmp_eq_u32_e32 vcc_lo, 1, v40
	s_and_b32 exec_lo, exec_lo, vcc_lo
	s_cbranch_execz .LBB402_160
; %bb.159:
	v_mov_b32_e32 v40, 0
	s_delay_alu instid0(VALU_DEP_1) | instskip(NEXT) | instid1(VALU_DEP_1)
	v_lshlrev_b64 v[60:61], 3, v[39:40]
	v_add_co_u32 v60, vcc_lo, s3, v60
	s_delay_alu instid0(VALU_DEP_2)
	v_add_co_ci_u32_e32 v61, vcc_lo, s4, v61, vcc_lo
	global_store_b64 v[60:61], v[19:20], off
.LBB402_160:
	s_or_b32 exec_lo, exec_lo, s1
	s_mov_b32 s3, 0
.LBB402_161:
	v_and_b32_e32 v33, 1, v33
	s_and_b32 vcc_lo, exec_lo, s3
	s_delay_alu instid0(VALU_DEP_1)
	v_cmp_eq_u32_e64 s1, 1, v33
	s_cbranch_vccz .LBB402_182
; %bb.162:
	s_delay_alu instid0(VALU_DEP_1)
	s_and_saveexec_b32 s3, s1
	s_cbranch_execz .LBB402_164
; %bb.163:
	v_subrev_nc_u32_e32 v40, s18, v53
	s_delay_alu instid0(VALU_DEP_1)
	v_lshlrev_b32_e32 v40, 3, v40
	ds_store_b64 v40, v[29:30]
.LBB402_164:
	s_or_b32 exec_lo, exec_lo, s3
	v_and_b32_e32 v29, 1, v58
	s_mov_b32 s1, exec_lo
	s_delay_alu instid0(VALU_DEP_1)
	v_cmpx_eq_u32_e32 1, v29
	s_cbranch_execz .LBB402_166
; %bb.165:
	v_subrev_nc_u32_e32 v29, s18, v51
	s_delay_alu instid0(VALU_DEP_1)
	v_lshlrev_b32_e32 v29, 3, v29
	ds_store_b64 v29, v[31:32]
.LBB402_166:
	s_or_b32 exec_lo, exec_lo, s1
	v_and_b32_e32 v29, 1, v57
	s_mov_b32 s1, exec_lo
	s_delay_alu instid0(VALU_DEP_1)
	v_cmpx_eq_u32_e32 1, v29
	;; [unrolled: 12-line block ×7, first 2 shown]
	s_cbranch_execz .LBB402_178
; %bb.177:
	v_subrev_nc_u32_e32 v17, s18, v39
	s_delay_alu instid0(VALU_DEP_1)
	v_lshlrev_b32_e32 v17, 3, v17
	ds_store_b64 v17, v[19:20]
.LBB402_178:
	s_or_b32 exec_lo, exec_lo, s1
	s_delay_alu instid0(SALU_CYCLE_1)
	s_mov_b32 s3, exec_lo
	s_waitcnt lgkmcnt(0)
	s_waitcnt_vscnt null, 0x0
	s_barrier
	buffer_gl0_inv
	v_cmpx_lt_u32_e64 v0, v35
	s_cbranch_execz .LBB402_181
; %bb.179:
	s_mov_b32 s19, 0
	s_lshl_b64 s[4:5], s[10:11], 3
	s_lshl_b64 s[6:7], s[18:19], 3
	v_dual_mov_b32 v19, v55 :: v_dual_mov_b32 v20, v0
	s_add_u32 s1, s4, s6
	s_addc_u32 s4, s5, s7
	s_add_u32 s1, s12, s1
	s_addc_u32 s4, s13, s4
	v_add_co_u32 v17, s1, s1, v55
	s_delay_alu instid0(VALU_DEP_1)
	v_add_co_ci_u32_e64 v18, null, s4, 0, s1
	.p2align	6
.LBB402_180:                            ; =>This Inner Loop Header: Depth=1
	ds_load_b64 v[21:22], v19
	v_add_nc_u32_e32 v20, 0x200, v20
	v_add_nc_u32_e32 v19, 0x1000, v19
	s_delay_alu instid0(VALU_DEP_2) | instskip(SKIP_4) | instid1(VALU_DEP_1)
	v_cmp_ge_u32_e32 vcc_lo, v20, v35
	s_or_b32 s19, vcc_lo, s19
	s_waitcnt lgkmcnt(0)
	global_store_b64 v[17:18], v[21:22], off
	v_add_co_u32 v17, s1, 0x1000, v17
	v_add_co_ci_u32_e64 v18, s1, 0, v18, s1
	s_and_not1_b32 exec_lo, exec_lo, s19
	s_cbranch_execnz .LBB402_180
.LBB402_181:
	s_or_b32 exec_lo, exec_lo, s3
.LBB402_182:
	s_delay_alu instid0(SALU_CYCLE_1)
	s_and_b32 vcc_lo, exec_lo, s0
	s_mov_b32 s0, -1
	s_waitcnt_vscnt null, 0x0
	s_barrier
	buffer_gl0_inv
	s_cbranch_vccz .LBB402_210
; %bb.183:
	v_cmp_lt_u32_e32 vcc_lo, v53, v59
	s_lshl_b64 s[0:1], s[10:11], 3
	s_delay_alu instid0(SALU_CYCLE_1) | instskip(SKIP_2) | instid1(SALU_CYCLE_1)
	s_add_u32 s0, s14, s0
	s_addc_u32 s1, s15, s1
	s_or_b32 s4, s23, vcc_lo
	s_and_saveexec_b32 s3, s4
	s_cbranch_execz .LBB402_186
; %bb.184:
	v_cmp_eq_u32_e32 vcc_lo, 1, v33
	s_and_b32 exec_lo, exec_lo, vcc_lo
	s_cbranch_execz .LBB402_186
; %bb.185:
	v_mov_b32_e32 v54, 0
	s_delay_alu instid0(VALU_DEP_1) | instskip(NEXT) | instid1(VALU_DEP_1)
	v_lshlrev_b64 v[17:18], 3, v[53:54]
	v_add_co_u32 v17, vcc_lo, s0, v17
	s_delay_alu instid0(VALU_DEP_2)
	v_add_co_ci_u32_e32 v18, vcc_lo, s1, v18, vcc_lo
	global_store_b64 v[17:18], v[13:14], off
.LBB402_186:
	s_or_b32 exec_lo, exec_lo, s3
	v_cmp_lt_u32_e32 vcc_lo, v51, v59
	s_or_b32 s4, s23, vcc_lo
	s_delay_alu instid0(SALU_CYCLE_1)
	s_and_saveexec_b32 s3, s4
	s_cbranch_execz .LBB402_189
; %bb.187:
	v_and_b32_e32 v17, 1, v58
	s_delay_alu instid0(VALU_DEP_1)
	v_cmp_eq_u32_e32 vcc_lo, 1, v17
	s_and_b32 exec_lo, exec_lo, vcc_lo
	s_cbranch_execz .LBB402_189
; %bb.188:
	v_mov_b32_e32 v52, 0
	s_delay_alu instid0(VALU_DEP_1) | instskip(NEXT) | instid1(VALU_DEP_1)
	v_lshlrev_b64 v[17:18], 3, v[51:52]
	v_add_co_u32 v17, vcc_lo, s0, v17
	s_delay_alu instid0(VALU_DEP_2)
	v_add_co_ci_u32_e32 v18, vcc_lo, s1, v18, vcc_lo
	global_store_b64 v[17:18], v[15:16], off
.LBB402_189:
	s_or_b32 exec_lo, exec_lo, s3
	v_cmp_lt_u32_e32 vcc_lo, v49, v59
	s_or_b32 s4, s23, vcc_lo
	s_delay_alu instid0(SALU_CYCLE_1)
	s_and_saveexec_b32 s3, s4
	s_cbranch_execz .LBB402_192
; %bb.190:
	v_and_b32_e32 v17, 1, v57
	s_delay_alu instid0(VALU_DEP_1)
	v_cmp_eq_u32_e32 vcc_lo, 1, v17
	s_and_b32 exec_lo, exec_lo, vcc_lo
	s_cbranch_execz .LBB402_192
; %bb.191:
	v_mov_b32_e32 v50, 0
	s_delay_alu instid0(VALU_DEP_1) | instskip(NEXT) | instid1(VALU_DEP_1)
	v_lshlrev_b64 v[17:18], 3, v[49:50]
	v_add_co_u32 v17, vcc_lo, s0, v17
	s_delay_alu instid0(VALU_DEP_2)
	v_add_co_ci_u32_e32 v18, vcc_lo, s1, v18, vcc_lo
	global_store_b64 v[17:18], v[9:10], off
.LBB402_192:
	;; [unrolled: 21-line block ×7, first 2 shown]
	s_or_b32 exec_lo, exec_lo, s3
.LBB402_208:
	s_and_b32 s0, s2, s22
	s_delay_alu instid0(SALU_CYCLE_1)
	s_and_saveexec_b32 s1, s0
	s_cbranch_execz .LBB402_231
.LBB402_209:
	v_add_co_u32 v0, s0, s10, v35
	s_delay_alu instid0(VALU_DEP_1) | instskip(SKIP_1) | instid1(VALU_DEP_3)
	v_add_co_ci_u32_e64 v1, null, s11, 0, s0
	v_mov_b32_e32 v2, 0
	v_add_co_u32 v0, vcc_lo, v0, s18
	s_delay_alu instid0(VALU_DEP_3)
	v_add_co_ci_u32_e32 v1, vcc_lo, 0, v1, vcc_lo
	global_store_b64 v2, v[0:1], s[8:9]
	s_nop 0
	s_sendmsg sendmsg(MSG_DEALLOC_VGPRS)
	s_endpgm
.LBB402_210:
	s_and_b32 vcc_lo, exec_lo, s0
	s_cbranch_vccz .LBB402_208
; %bb.211:
	s_mov_b32 s0, exec_lo
	v_cmpx_eq_u32_e32 1, v33
	s_cbranch_execz .LBB402_213
; %bb.212:
	v_subrev_nc_u32_e32 v17, s18, v53
	s_delay_alu instid0(VALU_DEP_1)
	v_lshlrev_b32_e32 v17, 3, v17
	ds_store_b64 v17, v[13:14]
.LBB402_213:
	s_or_b32 exec_lo, exec_lo, s0
	v_and_b32_e32 v13, 1, v58
	s_mov_b32 s0, exec_lo
	s_delay_alu instid0(VALU_DEP_1)
	v_cmpx_eq_u32_e32 1, v13
	s_cbranch_execz .LBB402_215
; %bb.214:
	v_subrev_nc_u32_e32 v13, s18, v51
	s_delay_alu instid0(VALU_DEP_1)
	v_lshlrev_b32_e32 v13, 3, v13
	ds_store_b64 v13, v[15:16]
.LBB402_215:
	s_or_b32 exec_lo, exec_lo, s0
	v_and_b32_e32 v13, 1, v57
	s_mov_b32 s0, exec_lo
	s_delay_alu instid0(VALU_DEP_1)
	;; [unrolled: 12-line block ×7, first 2 shown]
	v_cmpx_eq_u32_e32 1, v1
	s_cbranch_execz .LBB402_227
; %bb.226:
	v_subrev_nc_u32_e32 v1, s18, v39
	s_delay_alu instid0(VALU_DEP_1)
	v_lshlrev_b32_e32 v1, 3, v1
	ds_store_b64 v1, v[3:4]
.LBB402_227:
	s_or_b32 exec_lo, exec_lo, s0
	s_delay_alu instid0(SALU_CYCLE_1)
	s_mov_b32 s1, exec_lo
	s_waitcnt lgkmcnt(0)
	s_waitcnt_vscnt null, 0x0
	s_barrier
	buffer_gl0_inv
	v_cmpx_lt_u32_e64 v0, v35
	s_cbranch_execz .LBB402_230
; %bb.228:
	s_mov_b32 s19, 0
	s_lshl_b64 s[4:5], s[10:11], 3
	s_lshl_b64 s[6:7], s[18:19], 3
	s_delay_alu instid0(SALU_CYCLE_1) | instskip(SKIP_4) | instid1(VALU_DEP_1)
	s_add_u32 s0, s4, s6
	s_addc_u32 s3, s5, s7
	s_add_u32 s0, s14, s0
	s_addc_u32 s3, s15, s3
	v_add_co_u32 v1, s0, s0, v55
	v_add_co_ci_u32_e64 v2, null, s3, 0, s0
	.p2align	6
.LBB402_229:                            ; =>This Inner Loop Header: Depth=1
	ds_load_b64 v[3:4], v55
	v_add_nc_u32_e32 v0, 0x200, v0
	v_add_nc_u32_e32 v55, 0x1000, v55
	s_delay_alu instid0(VALU_DEP_2) | instskip(SKIP_4) | instid1(VALU_DEP_1)
	v_cmp_ge_u32_e32 vcc_lo, v0, v35
	s_or_b32 s19, vcc_lo, s19
	s_waitcnt lgkmcnt(0)
	global_store_b64 v[1:2], v[3:4], off
	v_add_co_u32 v1, s0, 0x1000, v1
	v_add_co_ci_u32_e64 v2, s0, 0, v2, s0
	s_and_not1_b32 exec_lo, exec_lo, s19
	s_cbranch_execnz .LBB402_229
.LBB402_230:
	s_or_b32 exec_lo, exec_lo, s1
	s_and_b32 s0, s2, s22
	s_delay_alu instid0(SALU_CYCLE_1)
	s_and_saveexec_b32 s1, s0
	s_cbranch_execnz .LBB402_209
.LBB402_231:
	s_nop 0
	s_sendmsg sendmsg(MSG_DEALLOC_VGPRS)
	s_endpgm
	.section	.rodata,"a",@progbits
	.p2align	6, 0x0
	.amdhsa_kernel _ZN7rocprim17ROCPRIM_400000_NS6detail17trampoline_kernelINS0_14default_configENS1_25partition_config_selectorILNS1_17partition_subalgoE9ExxbEEZZNS1_14partition_implILS5_9ELb0ES3_jN6thrust23THRUST_200600_302600_NS6detail15normal_iteratorINS9_10device_ptrIxEEEESE_PNS0_10empty_typeENS0_5tupleIJSE_SF_EEENSH_IJSE_SG_EEENS0_18inequality_wrapperI22is_equal_div_10_uniqueIxEEEPmJSF_EEE10hipError_tPvRmT3_T4_T5_T6_T7_T9_mT8_P12ihipStream_tbDpT10_ENKUlT_T0_E_clISt17integral_constantIbLb0EES17_IbLb1EEEEDaS13_S14_EUlS13_E_NS1_11comp_targetILNS1_3genE9ELNS1_11target_archE1100ELNS1_3gpuE3ELNS1_3repE0EEENS1_30default_config_static_selectorELNS0_4arch9wavefront6targetE0EEEvT1_
		.amdhsa_group_segment_fixed_size 33800
		.amdhsa_private_segment_fixed_size 0
		.amdhsa_kernarg_size 128
		.amdhsa_user_sgpr_count 15
		.amdhsa_user_sgpr_dispatch_ptr 0
		.amdhsa_user_sgpr_queue_ptr 0
		.amdhsa_user_sgpr_kernarg_segment_ptr 1
		.amdhsa_user_sgpr_dispatch_id 0
		.amdhsa_user_sgpr_private_segment_size 0
		.amdhsa_wavefront_size32 1
		.amdhsa_uses_dynamic_stack 0
		.amdhsa_enable_private_segment 0
		.amdhsa_system_sgpr_workgroup_id_x 1
		.amdhsa_system_sgpr_workgroup_id_y 0
		.amdhsa_system_sgpr_workgroup_id_z 0
		.amdhsa_system_sgpr_workgroup_info 0
		.amdhsa_system_vgpr_workitem_id 0
		.amdhsa_next_free_vgpr 68
		.amdhsa_next_free_sgpr 29
		.amdhsa_reserve_vcc 1
		.amdhsa_float_round_mode_32 0
		.amdhsa_float_round_mode_16_64 0
		.amdhsa_float_denorm_mode_32 3
		.amdhsa_float_denorm_mode_16_64 3
		.amdhsa_dx10_clamp 1
		.amdhsa_ieee_mode 1
		.amdhsa_fp16_overflow 0
		.amdhsa_workgroup_processor_mode 1
		.amdhsa_memory_ordered 1
		.amdhsa_forward_progress 0
		.amdhsa_shared_vgpr_count 0
		.amdhsa_exception_fp_ieee_invalid_op 0
		.amdhsa_exception_fp_denorm_src 0
		.amdhsa_exception_fp_ieee_div_zero 0
		.amdhsa_exception_fp_ieee_overflow 0
		.amdhsa_exception_fp_ieee_underflow 0
		.amdhsa_exception_fp_ieee_inexact 0
		.amdhsa_exception_int_div_zero 0
	.end_amdhsa_kernel
	.section	.text._ZN7rocprim17ROCPRIM_400000_NS6detail17trampoline_kernelINS0_14default_configENS1_25partition_config_selectorILNS1_17partition_subalgoE9ExxbEEZZNS1_14partition_implILS5_9ELb0ES3_jN6thrust23THRUST_200600_302600_NS6detail15normal_iteratorINS9_10device_ptrIxEEEESE_PNS0_10empty_typeENS0_5tupleIJSE_SF_EEENSH_IJSE_SG_EEENS0_18inequality_wrapperI22is_equal_div_10_uniqueIxEEEPmJSF_EEE10hipError_tPvRmT3_T4_T5_T6_T7_T9_mT8_P12ihipStream_tbDpT10_ENKUlT_T0_E_clISt17integral_constantIbLb0EES17_IbLb1EEEEDaS13_S14_EUlS13_E_NS1_11comp_targetILNS1_3genE9ELNS1_11target_archE1100ELNS1_3gpuE3ELNS1_3repE0EEENS1_30default_config_static_selectorELNS0_4arch9wavefront6targetE0EEEvT1_,"axG",@progbits,_ZN7rocprim17ROCPRIM_400000_NS6detail17trampoline_kernelINS0_14default_configENS1_25partition_config_selectorILNS1_17partition_subalgoE9ExxbEEZZNS1_14partition_implILS5_9ELb0ES3_jN6thrust23THRUST_200600_302600_NS6detail15normal_iteratorINS9_10device_ptrIxEEEESE_PNS0_10empty_typeENS0_5tupleIJSE_SF_EEENSH_IJSE_SG_EEENS0_18inequality_wrapperI22is_equal_div_10_uniqueIxEEEPmJSF_EEE10hipError_tPvRmT3_T4_T5_T6_T7_T9_mT8_P12ihipStream_tbDpT10_ENKUlT_T0_E_clISt17integral_constantIbLb0EES17_IbLb1EEEEDaS13_S14_EUlS13_E_NS1_11comp_targetILNS1_3genE9ELNS1_11target_archE1100ELNS1_3gpuE3ELNS1_3repE0EEENS1_30default_config_static_selectorELNS0_4arch9wavefront6targetE0EEEvT1_,comdat
.Lfunc_end402:
	.size	_ZN7rocprim17ROCPRIM_400000_NS6detail17trampoline_kernelINS0_14default_configENS1_25partition_config_selectorILNS1_17partition_subalgoE9ExxbEEZZNS1_14partition_implILS5_9ELb0ES3_jN6thrust23THRUST_200600_302600_NS6detail15normal_iteratorINS9_10device_ptrIxEEEESE_PNS0_10empty_typeENS0_5tupleIJSE_SF_EEENSH_IJSE_SG_EEENS0_18inequality_wrapperI22is_equal_div_10_uniqueIxEEEPmJSF_EEE10hipError_tPvRmT3_T4_T5_T6_T7_T9_mT8_P12ihipStream_tbDpT10_ENKUlT_T0_E_clISt17integral_constantIbLb0EES17_IbLb1EEEEDaS13_S14_EUlS13_E_NS1_11comp_targetILNS1_3genE9ELNS1_11target_archE1100ELNS1_3gpuE3ELNS1_3repE0EEENS1_30default_config_static_selectorELNS0_4arch9wavefront6targetE0EEEvT1_, .Lfunc_end402-_ZN7rocprim17ROCPRIM_400000_NS6detail17trampoline_kernelINS0_14default_configENS1_25partition_config_selectorILNS1_17partition_subalgoE9ExxbEEZZNS1_14partition_implILS5_9ELb0ES3_jN6thrust23THRUST_200600_302600_NS6detail15normal_iteratorINS9_10device_ptrIxEEEESE_PNS0_10empty_typeENS0_5tupleIJSE_SF_EEENSH_IJSE_SG_EEENS0_18inequality_wrapperI22is_equal_div_10_uniqueIxEEEPmJSF_EEE10hipError_tPvRmT3_T4_T5_T6_T7_T9_mT8_P12ihipStream_tbDpT10_ENKUlT_T0_E_clISt17integral_constantIbLb0EES17_IbLb1EEEEDaS13_S14_EUlS13_E_NS1_11comp_targetILNS1_3genE9ELNS1_11target_archE1100ELNS1_3gpuE3ELNS1_3repE0EEENS1_30default_config_static_selectorELNS0_4arch9wavefront6targetE0EEEvT1_
                                        ; -- End function
	.section	.AMDGPU.csdata,"",@progbits
; Kernel info:
; codeLenInByte = 10924
; NumSgprs: 31
; NumVgprs: 68
; ScratchSize: 0
; MemoryBound: 0
; FloatMode: 240
; IeeeMode: 1
; LDSByteSize: 33800 bytes/workgroup (compile time only)
; SGPRBlocks: 3
; VGPRBlocks: 8
; NumSGPRsForWavesPerEU: 31
; NumVGPRsForWavesPerEU: 68
; Occupancy: 12
; WaveLimiterHint : 1
; COMPUTE_PGM_RSRC2:SCRATCH_EN: 0
; COMPUTE_PGM_RSRC2:USER_SGPR: 15
; COMPUTE_PGM_RSRC2:TRAP_HANDLER: 0
; COMPUTE_PGM_RSRC2:TGID_X_EN: 1
; COMPUTE_PGM_RSRC2:TGID_Y_EN: 0
; COMPUTE_PGM_RSRC2:TGID_Z_EN: 0
; COMPUTE_PGM_RSRC2:TIDIG_COMP_CNT: 0
	.section	.text._ZN7rocprim17ROCPRIM_400000_NS6detail17trampoline_kernelINS0_14default_configENS1_25partition_config_selectorILNS1_17partition_subalgoE9ExxbEEZZNS1_14partition_implILS5_9ELb0ES3_jN6thrust23THRUST_200600_302600_NS6detail15normal_iteratorINS9_10device_ptrIxEEEESE_PNS0_10empty_typeENS0_5tupleIJSE_SF_EEENSH_IJSE_SG_EEENS0_18inequality_wrapperI22is_equal_div_10_uniqueIxEEEPmJSF_EEE10hipError_tPvRmT3_T4_T5_T6_T7_T9_mT8_P12ihipStream_tbDpT10_ENKUlT_T0_E_clISt17integral_constantIbLb0EES17_IbLb1EEEEDaS13_S14_EUlS13_E_NS1_11comp_targetILNS1_3genE8ELNS1_11target_archE1030ELNS1_3gpuE2ELNS1_3repE0EEENS1_30default_config_static_selectorELNS0_4arch9wavefront6targetE0EEEvT1_,"axG",@progbits,_ZN7rocprim17ROCPRIM_400000_NS6detail17trampoline_kernelINS0_14default_configENS1_25partition_config_selectorILNS1_17partition_subalgoE9ExxbEEZZNS1_14partition_implILS5_9ELb0ES3_jN6thrust23THRUST_200600_302600_NS6detail15normal_iteratorINS9_10device_ptrIxEEEESE_PNS0_10empty_typeENS0_5tupleIJSE_SF_EEENSH_IJSE_SG_EEENS0_18inequality_wrapperI22is_equal_div_10_uniqueIxEEEPmJSF_EEE10hipError_tPvRmT3_T4_T5_T6_T7_T9_mT8_P12ihipStream_tbDpT10_ENKUlT_T0_E_clISt17integral_constantIbLb0EES17_IbLb1EEEEDaS13_S14_EUlS13_E_NS1_11comp_targetILNS1_3genE8ELNS1_11target_archE1030ELNS1_3gpuE2ELNS1_3repE0EEENS1_30default_config_static_selectorELNS0_4arch9wavefront6targetE0EEEvT1_,comdat
	.protected	_ZN7rocprim17ROCPRIM_400000_NS6detail17trampoline_kernelINS0_14default_configENS1_25partition_config_selectorILNS1_17partition_subalgoE9ExxbEEZZNS1_14partition_implILS5_9ELb0ES3_jN6thrust23THRUST_200600_302600_NS6detail15normal_iteratorINS9_10device_ptrIxEEEESE_PNS0_10empty_typeENS0_5tupleIJSE_SF_EEENSH_IJSE_SG_EEENS0_18inequality_wrapperI22is_equal_div_10_uniqueIxEEEPmJSF_EEE10hipError_tPvRmT3_T4_T5_T6_T7_T9_mT8_P12ihipStream_tbDpT10_ENKUlT_T0_E_clISt17integral_constantIbLb0EES17_IbLb1EEEEDaS13_S14_EUlS13_E_NS1_11comp_targetILNS1_3genE8ELNS1_11target_archE1030ELNS1_3gpuE2ELNS1_3repE0EEENS1_30default_config_static_selectorELNS0_4arch9wavefront6targetE0EEEvT1_ ; -- Begin function _ZN7rocprim17ROCPRIM_400000_NS6detail17trampoline_kernelINS0_14default_configENS1_25partition_config_selectorILNS1_17partition_subalgoE9ExxbEEZZNS1_14partition_implILS5_9ELb0ES3_jN6thrust23THRUST_200600_302600_NS6detail15normal_iteratorINS9_10device_ptrIxEEEESE_PNS0_10empty_typeENS0_5tupleIJSE_SF_EEENSH_IJSE_SG_EEENS0_18inequality_wrapperI22is_equal_div_10_uniqueIxEEEPmJSF_EEE10hipError_tPvRmT3_T4_T5_T6_T7_T9_mT8_P12ihipStream_tbDpT10_ENKUlT_T0_E_clISt17integral_constantIbLb0EES17_IbLb1EEEEDaS13_S14_EUlS13_E_NS1_11comp_targetILNS1_3genE8ELNS1_11target_archE1030ELNS1_3gpuE2ELNS1_3repE0EEENS1_30default_config_static_selectorELNS0_4arch9wavefront6targetE0EEEvT1_
	.globl	_ZN7rocprim17ROCPRIM_400000_NS6detail17trampoline_kernelINS0_14default_configENS1_25partition_config_selectorILNS1_17partition_subalgoE9ExxbEEZZNS1_14partition_implILS5_9ELb0ES3_jN6thrust23THRUST_200600_302600_NS6detail15normal_iteratorINS9_10device_ptrIxEEEESE_PNS0_10empty_typeENS0_5tupleIJSE_SF_EEENSH_IJSE_SG_EEENS0_18inequality_wrapperI22is_equal_div_10_uniqueIxEEEPmJSF_EEE10hipError_tPvRmT3_T4_T5_T6_T7_T9_mT8_P12ihipStream_tbDpT10_ENKUlT_T0_E_clISt17integral_constantIbLb0EES17_IbLb1EEEEDaS13_S14_EUlS13_E_NS1_11comp_targetILNS1_3genE8ELNS1_11target_archE1030ELNS1_3gpuE2ELNS1_3repE0EEENS1_30default_config_static_selectorELNS0_4arch9wavefront6targetE0EEEvT1_
	.p2align	8
	.type	_ZN7rocprim17ROCPRIM_400000_NS6detail17trampoline_kernelINS0_14default_configENS1_25partition_config_selectorILNS1_17partition_subalgoE9ExxbEEZZNS1_14partition_implILS5_9ELb0ES3_jN6thrust23THRUST_200600_302600_NS6detail15normal_iteratorINS9_10device_ptrIxEEEESE_PNS0_10empty_typeENS0_5tupleIJSE_SF_EEENSH_IJSE_SG_EEENS0_18inequality_wrapperI22is_equal_div_10_uniqueIxEEEPmJSF_EEE10hipError_tPvRmT3_T4_T5_T6_T7_T9_mT8_P12ihipStream_tbDpT10_ENKUlT_T0_E_clISt17integral_constantIbLb0EES17_IbLb1EEEEDaS13_S14_EUlS13_E_NS1_11comp_targetILNS1_3genE8ELNS1_11target_archE1030ELNS1_3gpuE2ELNS1_3repE0EEENS1_30default_config_static_selectorELNS0_4arch9wavefront6targetE0EEEvT1_,@function
_ZN7rocprim17ROCPRIM_400000_NS6detail17trampoline_kernelINS0_14default_configENS1_25partition_config_selectorILNS1_17partition_subalgoE9ExxbEEZZNS1_14partition_implILS5_9ELb0ES3_jN6thrust23THRUST_200600_302600_NS6detail15normal_iteratorINS9_10device_ptrIxEEEESE_PNS0_10empty_typeENS0_5tupleIJSE_SF_EEENSH_IJSE_SG_EEENS0_18inequality_wrapperI22is_equal_div_10_uniqueIxEEEPmJSF_EEE10hipError_tPvRmT3_T4_T5_T6_T7_T9_mT8_P12ihipStream_tbDpT10_ENKUlT_T0_E_clISt17integral_constantIbLb0EES17_IbLb1EEEEDaS13_S14_EUlS13_E_NS1_11comp_targetILNS1_3genE8ELNS1_11target_archE1030ELNS1_3gpuE2ELNS1_3repE0EEENS1_30default_config_static_selectorELNS0_4arch9wavefront6targetE0EEEvT1_: ; @_ZN7rocprim17ROCPRIM_400000_NS6detail17trampoline_kernelINS0_14default_configENS1_25partition_config_selectorILNS1_17partition_subalgoE9ExxbEEZZNS1_14partition_implILS5_9ELb0ES3_jN6thrust23THRUST_200600_302600_NS6detail15normal_iteratorINS9_10device_ptrIxEEEESE_PNS0_10empty_typeENS0_5tupleIJSE_SF_EEENSH_IJSE_SG_EEENS0_18inequality_wrapperI22is_equal_div_10_uniqueIxEEEPmJSF_EEE10hipError_tPvRmT3_T4_T5_T6_T7_T9_mT8_P12ihipStream_tbDpT10_ENKUlT_T0_E_clISt17integral_constantIbLb0EES17_IbLb1EEEEDaS13_S14_EUlS13_E_NS1_11comp_targetILNS1_3genE8ELNS1_11target_archE1030ELNS1_3gpuE2ELNS1_3repE0EEENS1_30default_config_static_selectorELNS0_4arch9wavefront6targetE0EEEvT1_
; %bb.0:
	.section	.rodata,"a",@progbits
	.p2align	6, 0x0
	.amdhsa_kernel _ZN7rocprim17ROCPRIM_400000_NS6detail17trampoline_kernelINS0_14default_configENS1_25partition_config_selectorILNS1_17partition_subalgoE9ExxbEEZZNS1_14partition_implILS5_9ELb0ES3_jN6thrust23THRUST_200600_302600_NS6detail15normal_iteratorINS9_10device_ptrIxEEEESE_PNS0_10empty_typeENS0_5tupleIJSE_SF_EEENSH_IJSE_SG_EEENS0_18inequality_wrapperI22is_equal_div_10_uniqueIxEEEPmJSF_EEE10hipError_tPvRmT3_T4_T5_T6_T7_T9_mT8_P12ihipStream_tbDpT10_ENKUlT_T0_E_clISt17integral_constantIbLb0EES17_IbLb1EEEEDaS13_S14_EUlS13_E_NS1_11comp_targetILNS1_3genE8ELNS1_11target_archE1030ELNS1_3gpuE2ELNS1_3repE0EEENS1_30default_config_static_selectorELNS0_4arch9wavefront6targetE0EEEvT1_
		.amdhsa_group_segment_fixed_size 0
		.amdhsa_private_segment_fixed_size 0
		.amdhsa_kernarg_size 128
		.amdhsa_user_sgpr_count 15
		.amdhsa_user_sgpr_dispatch_ptr 0
		.amdhsa_user_sgpr_queue_ptr 0
		.amdhsa_user_sgpr_kernarg_segment_ptr 1
		.amdhsa_user_sgpr_dispatch_id 0
		.amdhsa_user_sgpr_private_segment_size 0
		.amdhsa_wavefront_size32 1
		.amdhsa_uses_dynamic_stack 0
		.amdhsa_enable_private_segment 0
		.amdhsa_system_sgpr_workgroup_id_x 1
		.amdhsa_system_sgpr_workgroup_id_y 0
		.amdhsa_system_sgpr_workgroup_id_z 0
		.amdhsa_system_sgpr_workgroup_info 0
		.amdhsa_system_vgpr_workitem_id 0
		.amdhsa_next_free_vgpr 1
		.amdhsa_next_free_sgpr 1
		.amdhsa_reserve_vcc 0
		.amdhsa_float_round_mode_32 0
		.amdhsa_float_round_mode_16_64 0
		.amdhsa_float_denorm_mode_32 3
		.amdhsa_float_denorm_mode_16_64 3
		.amdhsa_dx10_clamp 1
		.amdhsa_ieee_mode 1
		.amdhsa_fp16_overflow 0
		.amdhsa_workgroup_processor_mode 1
		.amdhsa_memory_ordered 1
		.amdhsa_forward_progress 0
		.amdhsa_shared_vgpr_count 0
		.amdhsa_exception_fp_ieee_invalid_op 0
		.amdhsa_exception_fp_denorm_src 0
		.amdhsa_exception_fp_ieee_div_zero 0
		.amdhsa_exception_fp_ieee_overflow 0
		.amdhsa_exception_fp_ieee_underflow 0
		.amdhsa_exception_fp_ieee_inexact 0
		.amdhsa_exception_int_div_zero 0
	.end_amdhsa_kernel
	.section	.text._ZN7rocprim17ROCPRIM_400000_NS6detail17trampoline_kernelINS0_14default_configENS1_25partition_config_selectorILNS1_17partition_subalgoE9ExxbEEZZNS1_14partition_implILS5_9ELb0ES3_jN6thrust23THRUST_200600_302600_NS6detail15normal_iteratorINS9_10device_ptrIxEEEESE_PNS0_10empty_typeENS0_5tupleIJSE_SF_EEENSH_IJSE_SG_EEENS0_18inequality_wrapperI22is_equal_div_10_uniqueIxEEEPmJSF_EEE10hipError_tPvRmT3_T4_T5_T6_T7_T9_mT8_P12ihipStream_tbDpT10_ENKUlT_T0_E_clISt17integral_constantIbLb0EES17_IbLb1EEEEDaS13_S14_EUlS13_E_NS1_11comp_targetILNS1_3genE8ELNS1_11target_archE1030ELNS1_3gpuE2ELNS1_3repE0EEENS1_30default_config_static_selectorELNS0_4arch9wavefront6targetE0EEEvT1_,"axG",@progbits,_ZN7rocprim17ROCPRIM_400000_NS6detail17trampoline_kernelINS0_14default_configENS1_25partition_config_selectorILNS1_17partition_subalgoE9ExxbEEZZNS1_14partition_implILS5_9ELb0ES3_jN6thrust23THRUST_200600_302600_NS6detail15normal_iteratorINS9_10device_ptrIxEEEESE_PNS0_10empty_typeENS0_5tupleIJSE_SF_EEENSH_IJSE_SG_EEENS0_18inequality_wrapperI22is_equal_div_10_uniqueIxEEEPmJSF_EEE10hipError_tPvRmT3_T4_T5_T6_T7_T9_mT8_P12ihipStream_tbDpT10_ENKUlT_T0_E_clISt17integral_constantIbLb0EES17_IbLb1EEEEDaS13_S14_EUlS13_E_NS1_11comp_targetILNS1_3genE8ELNS1_11target_archE1030ELNS1_3gpuE2ELNS1_3repE0EEENS1_30default_config_static_selectorELNS0_4arch9wavefront6targetE0EEEvT1_,comdat
.Lfunc_end403:
	.size	_ZN7rocprim17ROCPRIM_400000_NS6detail17trampoline_kernelINS0_14default_configENS1_25partition_config_selectorILNS1_17partition_subalgoE9ExxbEEZZNS1_14partition_implILS5_9ELb0ES3_jN6thrust23THRUST_200600_302600_NS6detail15normal_iteratorINS9_10device_ptrIxEEEESE_PNS0_10empty_typeENS0_5tupleIJSE_SF_EEENSH_IJSE_SG_EEENS0_18inequality_wrapperI22is_equal_div_10_uniqueIxEEEPmJSF_EEE10hipError_tPvRmT3_T4_T5_T6_T7_T9_mT8_P12ihipStream_tbDpT10_ENKUlT_T0_E_clISt17integral_constantIbLb0EES17_IbLb1EEEEDaS13_S14_EUlS13_E_NS1_11comp_targetILNS1_3genE8ELNS1_11target_archE1030ELNS1_3gpuE2ELNS1_3repE0EEENS1_30default_config_static_selectorELNS0_4arch9wavefront6targetE0EEEvT1_, .Lfunc_end403-_ZN7rocprim17ROCPRIM_400000_NS6detail17trampoline_kernelINS0_14default_configENS1_25partition_config_selectorILNS1_17partition_subalgoE9ExxbEEZZNS1_14partition_implILS5_9ELb0ES3_jN6thrust23THRUST_200600_302600_NS6detail15normal_iteratorINS9_10device_ptrIxEEEESE_PNS0_10empty_typeENS0_5tupleIJSE_SF_EEENSH_IJSE_SG_EEENS0_18inequality_wrapperI22is_equal_div_10_uniqueIxEEEPmJSF_EEE10hipError_tPvRmT3_T4_T5_T6_T7_T9_mT8_P12ihipStream_tbDpT10_ENKUlT_T0_E_clISt17integral_constantIbLb0EES17_IbLb1EEEEDaS13_S14_EUlS13_E_NS1_11comp_targetILNS1_3genE8ELNS1_11target_archE1030ELNS1_3gpuE2ELNS1_3repE0EEENS1_30default_config_static_selectorELNS0_4arch9wavefront6targetE0EEEvT1_
                                        ; -- End function
	.section	.AMDGPU.csdata,"",@progbits
; Kernel info:
; codeLenInByte = 0
; NumSgprs: 0
; NumVgprs: 0
; ScratchSize: 0
; MemoryBound: 0
; FloatMode: 240
; IeeeMode: 1
; LDSByteSize: 0 bytes/workgroup (compile time only)
; SGPRBlocks: 0
; VGPRBlocks: 0
; NumSGPRsForWavesPerEU: 1
; NumVGPRsForWavesPerEU: 1
; Occupancy: 16
; WaveLimiterHint : 0
; COMPUTE_PGM_RSRC2:SCRATCH_EN: 0
; COMPUTE_PGM_RSRC2:USER_SGPR: 15
; COMPUTE_PGM_RSRC2:TRAP_HANDLER: 0
; COMPUTE_PGM_RSRC2:TGID_X_EN: 1
; COMPUTE_PGM_RSRC2:TGID_Y_EN: 0
; COMPUTE_PGM_RSRC2:TGID_Z_EN: 0
; COMPUTE_PGM_RSRC2:TIDIG_COMP_CNT: 0
	.section	.text._ZN7rocprim17ROCPRIM_400000_NS6detail17trampoline_kernelINS0_14default_configENS1_25partition_config_selectorILNS1_17partition_subalgoE9EiibEEZZNS1_14partition_implILS5_9ELb0ES3_jN6thrust23THRUST_200600_302600_NS6detail15normal_iteratorINS9_10device_ptrIiEEEESE_PNS0_10empty_typeENS0_5tupleIJSE_SF_EEENSH_IJSE_SG_EEENS0_18inequality_wrapperINS9_8equal_toIiEEEEPmJSF_EEE10hipError_tPvRmT3_T4_T5_T6_T7_T9_mT8_P12ihipStream_tbDpT10_ENKUlT_T0_E_clISt17integral_constantIbLb0EES18_EEDaS13_S14_EUlS13_E_NS1_11comp_targetILNS1_3genE0ELNS1_11target_archE4294967295ELNS1_3gpuE0ELNS1_3repE0EEENS1_30default_config_static_selectorELNS0_4arch9wavefront6targetE0EEEvT1_,"axG",@progbits,_ZN7rocprim17ROCPRIM_400000_NS6detail17trampoline_kernelINS0_14default_configENS1_25partition_config_selectorILNS1_17partition_subalgoE9EiibEEZZNS1_14partition_implILS5_9ELb0ES3_jN6thrust23THRUST_200600_302600_NS6detail15normal_iteratorINS9_10device_ptrIiEEEESE_PNS0_10empty_typeENS0_5tupleIJSE_SF_EEENSH_IJSE_SG_EEENS0_18inequality_wrapperINS9_8equal_toIiEEEEPmJSF_EEE10hipError_tPvRmT3_T4_T5_T6_T7_T9_mT8_P12ihipStream_tbDpT10_ENKUlT_T0_E_clISt17integral_constantIbLb0EES18_EEDaS13_S14_EUlS13_E_NS1_11comp_targetILNS1_3genE0ELNS1_11target_archE4294967295ELNS1_3gpuE0ELNS1_3repE0EEENS1_30default_config_static_selectorELNS0_4arch9wavefront6targetE0EEEvT1_,comdat
	.protected	_ZN7rocprim17ROCPRIM_400000_NS6detail17trampoline_kernelINS0_14default_configENS1_25partition_config_selectorILNS1_17partition_subalgoE9EiibEEZZNS1_14partition_implILS5_9ELb0ES3_jN6thrust23THRUST_200600_302600_NS6detail15normal_iteratorINS9_10device_ptrIiEEEESE_PNS0_10empty_typeENS0_5tupleIJSE_SF_EEENSH_IJSE_SG_EEENS0_18inequality_wrapperINS9_8equal_toIiEEEEPmJSF_EEE10hipError_tPvRmT3_T4_T5_T6_T7_T9_mT8_P12ihipStream_tbDpT10_ENKUlT_T0_E_clISt17integral_constantIbLb0EES18_EEDaS13_S14_EUlS13_E_NS1_11comp_targetILNS1_3genE0ELNS1_11target_archE4294967295ELNS1_3gpuE0ELNS1_3repE0EEENS1_30default_config_static_selectorELNS0_4arch9wavefront6targetE0EEEvT1_ ; -- Begin function _ZN7rocprim17ROCPRIM_400000_NS6detail17trampoline_kernelINS0_14default_configENS1_25partition_config_selectorILNS1_17partition_subalgoE9EiibEEZZNS1_14partition_implILS5_9ELb0ES3_jN6thrust23THRUST_200600_302600_NS6detail15normal_iteratorINS9_10device_ptrIiEEEESE_PNS0_10empty_typeENS0_5tupleIJSE_SF_EEENSH_IJSE_SG_EEENS0_18inequality_wrapperINS9_8equal_toIiEEEEPmJSF_EEE10hipError_tPvRmT3_T4_T5_T6_T7_T9_mT8_P12ihipStream_tbDpT10_ENKUlT_T0_E_clISt17integral_constantIbLb0EES18_EEDaS13_S14_EUlS13_E_NS1_11comp_targetILNS1_3genE0ELNS1_11target_archE4294967295ELNS1_3gpuE0ELNS1_3repE0EEENS1_30default_config_static_selectorELNS0_4arch9wavefront6targetE0EEEvT1_
	.globl	_ZN7rocprim17ROCPRIM_400000_NS6detail17trampoline_kernelINS0_14default_configENS1_25partition_config_selectorILNS1_17partition_subalgoE9EiibEEZZNS1_14partition_implILS5_9ELb0ES3_jN6thrust23THRUST_200600_302600_NS6detail15normal_iteratorINS9_10device_ptrIiEEEESE_PNS0_10empty_typeENS0_5tupleIJSE_SF_EEENSH_IJSE_SG_EEENS0_18inequality_wrapperINS9_8equal_toIiEEEEPmJSF_EEE10hipError_tPvRmT3_T4_T5_T6_T7_T9_mT8_P12ihipStream_tbDpT10_ENKUlT_T0_E_clISt17integral_constantIbLb0EES18_EEDaS13_S14_EUlS13_E_NS1_11comp_targetILNS1_3genE0ELNS1_11target_archE4294967295ELNS1_3gpuE0ELNS1_3repE0EEENS1_30default_config_static_selectorELNS0_4arch9wavefront6targetE0EEEvT1_
	.p2align	8
	.type	_ZN7rocprim17ROCPRIM_400000_NS6detail17trampoline_kernelINS0_14default_configENS1_25partition_config_selectorILNS1_17partition_subalgoE9EiibEEZZNS1_14partition_implILS5_9ELb0ES3_jN6thrust23THRUST_200600_302600_NS6detail15normal_iteratorINS9_10device_ptrIiEEEESE_PNS0_10empty_typeENS0_5tupleIJSE_SF_EEENSH_IJSE_SG_EEENS0_18inequality_wrapperINS9_8equal_toIiEEEEPmJSF_EEE10hipError_tPvRmT3_T4_T5_T6_T7_T9_mT8_P12ihipStream_tbDpT10_ENKUlT_T0_E_clISt17integral_constantIbLb0EES18_EEDaS13_S14_EUlS13_E_NS1_11comp_targetILNS1_3genE0ELNS1_11target_archE4294967295ELNS1_3gpuE0ELNS1_3repE0EEENS1_30default_config_static_selectorELNS0_4arch9wavefront6targetE0EEEvT1_,@function
_ZN7rocprim17ROCPRIM_400000_NS6detail17trampoline_kernelINS0_14default_configENS1_25partition_config_selectorILNS1_17partition_subalgoE9EiibEEZZNS1_14partition_implILS5_9ELb0ES3_jN6thrust23THRUST_200600_302600_NS6detail15normal_iteratorINS9_10device_ptrIiEEEESE_PNS0_10empty_typeENS0_5tupleIJSE_SF_EEENSH_IJSE_SG_EEENS0_18inequality_wrapperINS9_8equal_toIiEEEEPmJSF_EEE10hipError_tPvRmT3_T4_T5_T6_T7_T9_mT8_P12ihipStream_tbDpT10_ENKUlT_T0_E_clISt17integral_constantIbLb0EES18_EEDaS13_S14_EUlS13_E_NS1_11comp_targetILNS1_3genE0ELNS1_11target_archE4294967295ELNS1_3gpuE0ELNS1_3repE0EEENS1_30default_config_static_selectorELNS0_4arch9wavefront6targetE0EEEvT1_: ; @_ZN7rocprim17ROCPRIM_400000_NS6detail17trampoline_kernelINS0_14default_configENS1_25partition_config_selectorILNS1_17partition_subalgoE9EiibEEZZNS1_14partition_implILS5_9ELb0ES3_jN6thrust23THRUST_200600_302600_NS6detail15normal_iteratorINS9_10device_ptrIiEEEESE_PNS0_10empty_typeENS0_5tupleIJSE_SF_EEENSH_IJSE_SG_EEENS0_18inequality_wrapperINS9_8equal_toIiEEEEPmJSF_EEE10hipError_tPvRmT3_T4_T5_T6_T7_T9_mT8_P12ihipStream_tbDpT10_ENKUlT_T0_E_clISt17integral_constantIbLb0EES18_EEDaS13_S14_EUlS13_E_NS1_11comp_targetILNS1_3genE0ELNS1_11target_archE4294967295ELNS1_3gpuE0ELNS1_3repE0EEENS1_30default_config_static_selectorELNS0_4arch9wavefront6targetE0EEEvT1_
; %bb.0:
	.section	.rodata,"a",@progbits
	.p2align	6, 0x0
	.amdhsa_kernel _ZN7rocprim17ROCPRIM_400000_NS6detail17trampoline_kernelINS0_14default_configENS1_25partition_config_selectorILNS1_17partition_subalgoE9EiibEEZZNS1_14partition_implILS5_9ELb0ES3_jN6thrust23THRUST_200600_302600_NS6detail15normal_iteratorINS9_10device_ptrIiEEEESE_PNS0_10empty_typeENS0_5tupleIJSE_SF_EEENSH_IJSE_SG_EEENS0_18inequality_wrapperINS9_8equal_toIiEEEEPmJSF_EEE10hipError_tPvRmT3_T4_T5_T6_T7_T9_mT8_P12ihipStream_tbDpT10_ENKUlT_T0_E_clISt17integral_constantIbLb0EES18_EEDaS13_S14_EUlS13_E_NS1_11comp_targetILNS1_3genE0ELNS1_11target_archE4294967295ELNS1_3gpuE0ELNS1_3repE0EEENS1_30default_config_static_selectorELNS0_4arch9wavefront6targetE0EEEvT1_
		.amdhsa_group_segment_fixed_size 0
		.amdhsa_private_segment_fixed_size 0
		.amdhsa_kernarg_size 112
		.amdhsa_user_sgpr_count 15
		.amdhsa_user_sgpr_dispatch_ptr 0
		.amdhsa_user_sgpr_queue_ptr 0
		.amdhsa_user_sgpr_kernarg_segment_ptr 1
		.amdhsa_user_sgpr_dispatch_id 0
		.amdhsa_user_sgpr_private_segment_size 0
		.amdhsa_wavefront_size32 1
		.amdhsa_uses_dynamic_stack 0
		.amdhsa_enable_private_segment 0
		.amdhsa_system_sgpr_workgroup_id_x 1
		.amdhsa_system_sgpr_workgroup_id_y 0
		.amdhsa_system_sgpr_workgroup_id_z 0
		.amdhsa_system_sgpr_workgroup_info 0
		.amdhsa_system_vgpr_workitem_id 0
		.amdhsa_next_free_vgpr 1
		.amdhsa_next_free_sgpr 1
		.amdhsa_reserve_vcc 0
		.amdhsa_float_round_mode_32 0
		.amdhsa_float_round_mode_16_64 0
		.amdhsa_float_denorm_mode_32 3
		.amdhsa_float_denorm_mode_16_64 3
		.amdhsa_dx10_clamp 1
		.amdhsa_ieee_mode 1
		.amdhsa_fp16_overflow 0
		.amdhsa_workgroup_processor_mode 1
		.amdhsa_memory_ordered 1
		.amdhsa_forward_progress 0
		.amdhsa_shared_vgpr_count 0
		.amdhsa_exception_fp_ieee_invalid_op 0
		.amdhsa_exception_fp_denorm_src 0
		.amdhsa_exception_fp_ieee_div_zero 0
		.amdhsa_exception_fp_ieee_overflow 0
		.amdhsa_exception_fp_ieee_underflow 0
		.amdhsa_exception_fp_ieee_inexact 0
		.amdhsa_exception_int_div_zero 0
	.end_amdhsa_kernel
	.section	.text._ZN7rocprim17ROCPRIM_400000_NS6detail17trampoline_kernelINS0_14default_configENS1_25partition_config_selectorILNS1_17partition_subalgoE9EiibEEZZNS1_14partition_implILS5_9ELb0ES3_jN6thrust23THRUST_200600_302600_NS6detail15normal_iteratorINS9_10device_ptrIiEEEESE_PNS0_10empty_typeENS0_5tupleIJSE_SF_EEENSH_IJSE_SG_EEENS0_18inequality_wrapperINS9_8equal_toIiEEEEPmJSF_EEE10hipError_tPvRmT3_T4_T5_T6_T7_T9_mT8_P12ihipStream_tbDpT10_ENKUlT_T0_E_clISt17integral_constantIbLb0EES18_EEDaS13_S14_EUlS13_E_NS1_11comp_targetILNS1_3genE0ELNS1_11target_archE4294967295ELNS1_3gpuE0ELNS1_3repE0EEENS1_30default_config_static_selectorELNS0_4arch9wavefront6targetE0EEEvT1_,"axG",@progbits,_ZN7rocprim17ROCPRIM_400000_NS6detail17trampoline_kernelINS0_14default_configENS1_25partition_config_selectorILNS1_17partition_subalgoE9EiibEEZZNS1_14partition_implILS5_9ELb0ES3_jN6thrust23THRUST_200600_302600_NS6detail15normal_iteratorINS9_10device_ptrIiEEEESE_PNS0_10empty_typeENS0_5tupleIJSE_SF_EEENSH_IJSE_SG_EEENS0_18inequality_wrapperINS9_8equal_toIiEEEEPmJSF_EEE10hipError_tPvRmT3_T4_T5_T6_T7_T9_mT8_P12ihipStream_tbDpT10_ENKUlT_T0_E_clISt17integral_constantIbLb0EES18_EEDaS13_S14_EUlS13_E_NS1_11comp_targetILNS1_3genE0ELNS1_11target_archE4294967295ELNS1_3gpuE0ELNS1_3repE0EEENS1_30default_config_static_selectorELNS0_4arch9wavefront6targetE0EEEvT1_,comdat
.Lfunc_end404:
	.size	_ZN7rocprim17ROCPRIM_400000_NS6detail17trampoline_kernelINS0_14default_configENS1_25partition_config_selectorILNS1_17partition_subalgoE9EiibEEZZNS1_14partition_implILS5_9ELb0ES3_jN6thrust23THRUST_200600_302600_NS6detail15normal_iteratorINS9_10device_ptrIiEEEESE_PNS0_10empty_typeENS0_5tupleIJSE_SF_EEENSH_IJSE_SG_EEENS0_18inequality_wrapperINS9_8equal_toIiEEEEPmJSF_EEE10hipError_tPvRmT3_T4_T5_T6_T7_T9_mT8_P12ihipStream_tbDpT10_ENKUlT_T0_E_clISt17integral_constantIbLb0EES18_EEDaS13_S14_EUlS13_E_NS1_11comp_targetILNS1_3genE0ELNS1_11target_archE4294967295ELNS1_3gpuE0ELNS1_3repE0EEENS1_30default_config_static_selectorELNS0_4arch9wavefront6targetE0EEEvT1_, .Lfunc_end404-_ZN7rocprim17ROCPRIM_400000_NS6detail17trampoline_kernelINS0_14default_configENS1_25partition_config_selectorILNS1_17partition_subalgoE9EiibEEZZNS1_14partition_implILS5_9ELb0ES3_jN6thrust23THRUST_200600_302600_NS6detail15normal_iteratorINS9_10device_ptrIiEEEESE_PNS0_10empty_typeENS0_5tupleIJSE_SF_EEENSH_IJSE_SG_EEENS0_18inequality_wrapperINS9_8equal_toIiEEEEPmJSF_EEE10hipError_tPvRmT3_T4_T5_T6_T7_T9_mT8_P12ihipStream_tbDpT10_ENKUlT_T0_E_clISt17integral_constantIbLb0EES18_EEDaS13_S14_EUlS13_E_NS1_11comp_targetILNS1_3genE0ELNS1_11target_archE4294967295ELNS1_3gpuE0ELNS1_3repE0EEENS1_30default_config_static_selectorELNS0_4arch9wavefront6targetE0EEEvT1_
                                        ; -- End function
	.section	.AMDGPU.csdata,"",@progbits
; Kernel info:
; codeLenInByte = 0
; NumSgprs: 0
; NumVgprs: 0
; ScratchSize: 0
; MemoryBound: 0
; FloatMode: 240
; IeeeMode: 1
; LDSByteSize: 0 bytes/workgroup (compile time only)
; SGPRBlocks: 0
; VGPRBlocks: 0
; NumSGPRsForWavesPerEU: 1
; NumVGPRsForWavesPerEU: 1
; Occupancy: 16
; WaveLimiterHint : 0
; COMPUTE_PGM_RSRC2:SCRATCH_EN: 0
; COMPUTE_PGM_RSRC2:USER_SGPR: 15
; COMPUTE_PGM_RSRC2:TRAP_HANDLER: 0
; COMPUTE_PGM_RSRC2:TGID_X_EN: 1
; COMPUTE_PGM_RSRC2:TGID_Y_EN: 0
; COMPUTE_PGM_RSRC2:TGID_Z_EN: 0
; COMPUTE_PGM_RSRC2:TIDIG_COMP_CNT: 0
	.section	.text._ZN7rocprim17ROCPRIM_400000_NS6detail17trampoline_kernelINS0_14default_configENS1_25partition_config_selectorILNS1_17partition_subalgoE9EiibEEZZNS1_14partition_implILS5_9ELb0ES3_jN6thrust23THRUST_200600_302600_NS6detail15normal_iteratorINS9_10device_ptrIiEEEESE_PNS0_10empty_typeENS0_5tupleIJSE_SF_EEENSH_IJSE_SG_EEENS0_18inequality_wrapperINS9_8equal_toIiEEEEPmJSF_EEE10hipError_tPvRmT3_T4_T5_T6_T7_T9_mT8_P12ihipStream_tbDpT10_ENKUlT_T0_E_clISt17integral_constantIbLb0EES18_EEDaS13_S14_EUlS13_E_NS1_11comp_targetILNS1_3genE5ELNS1_11target_archE942ELNS1_3gpuE9ELNS1_3repE0EEENS1_30default_config_static_selectorELNS0_4arch9wavefront6targetE0EEEvT1_,"axG",@progbits,_ZN7rocprim17ROCPRIM_400000_NS6detail17trampoline_kernelINS0_14default_configENS1_25partition_config_selectorILNS1_17partition_subalgoE9EiibEEZZNS1_14partition_implILS5_9ELb0ES3_jN6thrust23THRUST_200600_302600_NS6detail15normal_iteratorINS9_10device_ptrIiEEEESE_PNS0_10empty_typeENS0_5tupleIJSE_SF_EEENSH_IJSE_SG_EEENS0_18inequality_wrapperINS9_8equal_toIiEEEEPmJSF_EEE10hipError_tPvRmT3_T4_T5_T6_T7_T9_mT8_P12ihipStream_tbDpT10_ENKUlT_T0_E_clISt17integral_constantIbLb0EES18_EEDaS13_S14_EUlS13_E_NS1_11comp_targetILNS1_3genE5ELNS1_11target_archE942ELNS1_3gpuE9ELNS1_3repE0EEENS1_30default_config_static_selectorELNS0_4arch9wavefront6targetE0EEEvT1_,comdat
	.protected	_ZN7rocprim17ROCPRIM_400000_NS6detail17trampoline_kernelINS0_14default_configENS1_25partition_config_selectorILNS1_17partition_subalgoE9EiibEEZZNS1_14partition_implILS5_9ELb0ES3_jN6thrust23THRUST_200600_302600_NS6detail15normal_iteratorINS9_10device_ptrIiEEEESE_PNS0_10empty_typeENS0_5tupleIJSE_SF_EEENSH_IJSE_SG_EEENS0_18inequality_wrapperINS9_8equal_toIiEEEEPmJSF_EEE10hipError_tPvRmT3_T4_T5_T6_T7_T9_mT8_P12ihipStream_tbDpT10_ENKUlT_T0_E_clISt17integral_constantIbLb0EES18_EEDaS13_S14_EUlS13_E_NS1_11comp_targetILNS1_3genE5ELNS1_11target_archE942ELNS1_3gpuE9ELNS1_3repE0EEENS1_30default_config_static_selectorELNS0_4arch9wavefront6targetE0EEEvT1_ ; -- Begin function _ZN7rocprim17ROCPRIM_400000_NS6detail17trampoline_kernelINS0_14default_configENS1_25partition_config_selectorILNS1_17partition_subalgoE9EiibEEZZNS1_14partition_implILS5_9ELb0ES3_jN6thrust23THRUST_200600_302600_NS6detail15normal_iteratorINS9_10device_ptrIiEEEESE_PNS0_10empty_typeENS0_5tupleIJSE_SF_EEENSH_IJSE_SG_EEENS0_18inequality_wrapperINS9_8equal_toIiEEEEPmJSF_EEE10hipError_tPvRmT3_T4_T5_T6_T7_T9_mT8_P12ihipStream_tbDpT10_ENKUlT_T0_E_clISt17integral_constantIbLb0EES18_EEDaS13_S14_EUlS13_E_NS1_11comp_targetILNS1_3genE5ELNS1_11target_archE942ELNS1_3gpuE9ELNS1_3repE0EEENS1_30default_config_static_selectorELNS0_4arch9wavefront6targetE0EEEvT1_
	.globl	_ZN7rocprim17ROCPRIM_400000_NS6detail17trampoline_kernelINS0_14default_configENS1_25partition_config_selectorILNS1_17partition_subalgoE9EiibEEZZNS1_14partition_implILS5_9ELb0ES3_jN6thrust23THRUST_200600_302600_NS6detail15normal_iteratorINS9_10device_ptrIiEEEESE_PNS0_10empty_typeENS0_5tupleIJSE_SF_EEENSH_IJSE_SG_EEENS0_18inequality_wrapperINS9_8equal_toIiEEEEPmJSF_EEE10hipError_tPvRmT3_T4_T5_T6_T7_T9_mT8_P12ihipStream_tbDpT10_ENKUlT_T0_E_clISt17integral_constantIbLb0EES18_EEDaS13_S14_EUlS13_E_NS1_11comp_targetILNS1_3genE5ELNS1_11target_archE942ELNS1_3gpuE9ELNS1_3repE0EEENS1_30default_config_static_selectorELNS0_4arch9wavefront6targetE0EEEvT1_
	.p2align	8
	.type	_ZN7rocprim17ROCPRIM_400000_NS6detail17trampoline_kernelINS0_14default_configENS1_25partition_config_selectorILNS1_17partition_subalgoE9EiibEEZZNS1_14partition_implILS5_9ELb0ES3_jN6thrust23THRUST_200600_302600_NS6detail15normal_iteratorINS9_10device_ptrIiEEEESE_PNS0_10empty_typeENS0_5tupleIJSE_SF_EEENSH_IJSE_SG_EEENS0_18inequality_wrapperINS9_8equal_toIiEEEEPmJSF_EEE10hipError_tPvRmT3_T4_T5_T6_T7_T9_mT8_P12ihipStream_tbDpT10_ENKUlT_T0_E_clISt17integral_constantIbLb0EES18_EEDaS13_S14_EUlS13_E_NS1_11comp_targetILNS1_3genE5ELNS1_11target_archE942ELNS1_3gpuE9ELNS1_3repE0EEENS1_30default_config_static_selectorELNS0_4arch9wavefront6targetE0EEEvT1_,@function
_ZN7rocprim17ROCPRIM_400000_NS6detail17trampoline_kernelINS0_14default_configENS1_25partition_config_selectorILNS1_17partition_subalgoE9EiibEEZZNS1_14partition_implILS5_9ELb0ES3_jN6thrust23THRUST_200600_302600_NS6detail15normal_iteratorINS9_10device_ptrIiEEEESE_PNS0_10empty_typeENS0_5tupleIJSE_SF_EEENSH_IJSE_SG_EEENS0_18inequality_wrapperINS9_8equal_toIiEEEEPmJSF_EEE10hipError_tPvRmT3_T4_T5_T6_T7_T9_mT8_P12ihipStream_tbDpT10_ENKUlT_T0_E_clISt17integral_constantIbLb0EES18_EEDaS13_S14_EUlS13_E_NS1_11comp_targetILNS1_3genE5ELNS1_11target_archE942ELNS1_3gpuE9ELNS1_3repE0EEENS1_30default_config_static_selectorELNS0_4arch9wavefront6targetE0EEEvT1_: ; @_ZN7rocprim17ROCPRIM_400000_NS6detail17trampoline_kernelINS0_14default_configENS1_25partition_config_selectorILNS1_17partition_subalgoE9EiibEEZZNS1_14partition_implILS5_9ELb0ES3_jN6thrust23THRUST_200600_302600_NS6detail15normal_iteratorINS9_10device_ptrIiEEEESE_PNS0_10empty_typeENS0_5tupleIJSE_SF_EEENSH_IJSE_SG_EEENS0_18inequality_wrapperINS9_8equal_toIiEEEEPmJSF_EEE10hipError_tPvRmT3_T4_T5_T6_T7_T9_mT8_P12ihipStream_tbDpT10_ENKUlT_T0_E_clISt17integral_constantIbLb0EES18_EEDaS13_S14_EUlS13_E_NS1_11comp_targetILNS1_3genE5ELNS1_11target_archE942ELNS1_3gpuE9ELNS1_3repE0EEENS1_30default_config_static_selectorELNS0_4arch9wavefront6targetE0EEEvT1_
; %bb.0:
	.section	.rodata,"a",@progbits
	.p2align	6, 0x0
	.amdhsa_kernel _ZN7rocprim17ROCPRIM_400000_NS6detail17trampoline_kernelINS0_14default_configENS1_25partition_config_selectorILNS1_17partition_subalgoE9EiibEEZZNS1_14partition_implILS5_9ELb0ES3_jN6thrust23THRUST_200600_302600_NS6detail15normal_iteratorINS9_10device_ptrIiEEEESE_PNS0_10empty_typeENS0_5tupleIJSE_SF_EEENSH_IJSE_SG_EEENS0_18inequality_wrapperINS9_8equal_toIiEEEEPmJSF_EEE10hipError_tPvRmT3_T4_T5_T6_T7_T9_mT8_P12ihipStream_tbDpT10_ENKUlT_T0_E_clISt17integral_constantIbLb0EES18_EEDaS13_S14_EUlS13_E_NS1_11comp_targetILNS1_3genE5ELNS1_11target_archE942ELNS1_3gpuE9ELNS1_3repE0EEENS1_30default_config_static_selectorELNS0_4arch9wavefront6targetE0EEEvT1_
		.amdhsa_group_segment_fixed_size 0
		.amdhsa_private_segment_fixed_size 0
		.amdhsa_kernarg_size 112
		.amdhsa_user_sgpr_count 15
		.amdhsa_user_sgpr_dispatch_ptr 0
		.amdhsa_user_sgpr_queue_ptr 0
		.amdhsa_user_sgpr_kernarg_segment_ptr 1
		.amdhsa_user_sgpr_dispatch_id 0
		.amdhsa_user_sgpr_private_segment_size 0
		.amdhsa_wavefront_size32 1
		.amdhsa_uses_dynamic_stack 0
		.amdhsa_enable_private_segment 0
		.amdhsa_system_sgpr_workgroup_id_x 1
		.amdhsa_system_sgpr_workgroup_id_y 0
		.amdhsa_system_sgpr_workgroup_id_z 0
		.amdhsa_system_sgpr_workgroup_info 0
		.amdhsa_system_vgpr_workitem_id 0
		.amdhsa_next_free_vgpr 1
		.amdhsa_next_free_sgpr 1
		.amdhsa_reserve_vcc 0
		.amdhsa_float_round_mode_32 0
		.amdhsa_float_round_mode_16_64 0
		.amdhsa_float_denorm_mode_32 3
		.amdhsa_float_denorm_mode_16_64 3
		.amdhsa_dx10_clamp 1
		.amdhsa_ieee_mode 1
		.amdhsa_fp16_overflow 0
		.amdhsa_workgroup_processor_mode 1
		.amdhsa_memory_ordered 1
		.amdhsa_forward_progress 0
		.amdhsa_shared_vgpr_count 0
		.amdhsa_exception_fp_ieee_invalid_op 0
		.amdhsa_exception_fp_denorm_src 0
		.amdhsa_exception_fp_ieee_div_zero 0
		.amdhsa_exception_fp_ieee_overflow 0
		.amdhsa_exception_fp_ieee_underflow 0
		.amdhsa_exception_fp_ieee_inexact 0
		.amdhsa_exception_int_div_zero 0
	.end_amdhsa_kernel
	.section	.text._ZN7rocprim17ROCPRIM_400000_NS6detail17trampoline_kernelINS0_14default_configENS1_25partition_config_selectorILNS1_17partition_subalgoE9EiibEEZZNS1_14partition_implILS5_9ELb0ES3_jN6thrust23THRUST_200600_302600_NS6detail15normal_iteratorINS9_10device_ptrIiEEEESE_PNS0_10empty_typeENS0_5tupleIJSE_SF_EEENSH_IJSE_SG_EEENS0_18inequality_wrapperINS9_8equal_toIiEEEEPmJSF_EEE10hipError_tPvRmT3_T4_T5_T6_T7_T9_mT8_P12ihipStream_tbDpT10_ENKUlT_T0_E_clISt17integral_constantIbLb0EES18_EEDaS13_S14_EUlS13_E_NS1_11comp_targetILNS1_3genE5ELNS1_11target_archE942ELNS1_3gpuE9ELNS1_3repE0EEENS1_30default_config_static_selectorELNS0_4arch9wavefront6targetE0EEEvT1_,"axG",@progbits,_ZN7rocprim17ROCPRIM_400000_NS6detail17trampoline_kernelINS0_14default_configENS1_25partition_config_selectorILNS1_17partition_subalgoE9EiibEEZZNS1_14partition_implILS5_9ELb0ES3_jN6thrust23THRUST_200600_302600_NS6detail15normal_iteratorINS9_10device_ptrIiEEEESE_PNS0_10empty_typeENS0_5tupleIJSE_SF_EEENSH_IJSE_SG_EEENS0_18inequality_wrapperINS9_8equal_toIiEEEEPmJSF_EEE10hipError_tPvRmT3_T4_T5_T6_T7_T9_mT8_P12ihipStream_tbDpT10_ENKUlT_T0_E_clISt17integral_constantIbLb0EES18_EEDaS13_S14_EUlS13_E_NS1_11comp_targetILNS1_3genE5ELNS1_11target_archE942ELNS1_3gpuE9ELNS1_3repE0EEENS1_30default_config_static_selectorELNS0_4arch9wavefront6targetE0EEEvT1_,comdat
.Lfunc_end405:
	.size	_ZN7rocprim17ROCPRIM_400000_NS6detail17trampoline_kernelINS0_14default_configENS1_25partition_config_selectorILNS1_17partition_subalgoE9EiibEEZZNS1_14partition_implILS5_9ELb0ES3_jN6thrust23THRUST_200600_302600_NS6detail15normal_iteratorINS9_10device_ptrIiEEEESE_PNS0_10empty_typeENS0_5tupleIJSE_SF_EEENSH_IJSE_SG_EEENS0_18inequality_wrapperINS9_8equal_toIiEEEEPmJSF_EEE10hipError_tPvRmT3_T4_T5_T6_T7_T9_mT8_P12ihipStream_tbDpT10_ENKUlT_T0_E_clISt17integral_constantIbLb0EES18_EEDaS13_S14_EUlS13_E_NS1_11comp_targetILNS1_3genE5ELNS1_11target_archE942ELNS1_3gpuE9ELNS1_3repE0EEENS1_30default_config_static_selectorELNS0_4arch9wavefront6targetE0EEEvT1_, .Lfunc_end405-_ZN7rocprim17ROCPRIM_400000_NS6detail17trampoline_kernelINS0_14default_configENS1_25partition_config_selectorILNS1_17partition_subalgoE9EiibEEZZNS1_14partition_implILS5_9ELb0ES3_jN6thrust23THRUST_200600_302600_NS6detail15normal_iteratorINS9_10device_ptrIiEEEESE_PNS0_10empty_typeENS0_5tupleIJSE_SF_EEENSH_IJSE_SG_EEENS0_18inequality_wrapperINS9_8equal_toIiEEEEPmJSF_EEE10hipError_tPvRmT3_T4_T5_T6_T7_T9_mT8_P12ihipStream_tbDpT10_ENKUlT_T0_E_clISt17integral_constantIbLb0EES18_EEDaS13_S14_EUlS13_E_NS1_11comp_targetILNS1_3genE5ELNS1_11target_archE942ELNS1_3gpuE9ELNS1_3repE0EEENS1_30default_config_static_selectorELNS0_4arch9wavefront6targetE0EEEvT1_
                                        ; -- End function
	.section	.AMDGPU.csdata,"",@progbits
; Kernel info:
; codeLenInByte = 0
; NumSgprs: 0
; NumVgprs: 0
; ScratchSize: 0
; MemoryBound: 0
; FloatMode: 240
; IeeeMode: 1
; LDSByteSize: 0 bytes/workgroup (compile time only)
; SGPRBlocks: 0
; VGPRBlocks: 0
; NumSGPRsForWavesPerEU: 1
; NumVGPRsForWavesPerEU: 1
; Occupancy: 16
; WaveLimiterHint : 0
; COMPUTE_PGM_RSRC2:SCRATCH_EN: 0
; COMPUTE_PGM_RSRC2:USER_SGPR: 15
; COMPUTE_PGM_RSRC2:TRAP_HANDLER: 0
; COMPUTE_PGM_RSRC2:TGID_X_EN: 1
; COMPUTE_PGM_RSRC2:TGID_Y_EN: 0
; COMPUTE_PGM_RSRC2:TGID_Z_EN: 0
; COMPUTE_PGM_RSRC2:TIDIG_COMP_CNT: 0
	.section	.text._ZN7rocprim17ROCPRIM_400000_NS6detail17trampoline_kernelINS0_14default_configENS1_25partition_config_selectorILNS1_17partition_subalgoE9EiibEEZZNS1_14partition_implILS5_9ELb0ES3_jN6thrust23THRUST_200600_302600_NS6detail15normal_iteratorINS9_10device_ptrIiEEEESE_PNS0_10empty_typeENS0_5tupleIJSE_SF_EEENSH_IJSE_SG_EEENS0_18inequality_wrapperINS9_8equal_toIiEEEEPmJSF_EEE10hipError_tPvRmT3_T4_T5_T6_T7_T9_mT8_P12ihipStream_tbDpT10_ENKUlT_T0_E_clISt17integral_constantIbLb0EES18_EEDaS13_S14_EUlS13_E_NS1_11comp_targetILNS1_3genE4ELNS1_11target_archE910ELNS1_3gpuE8ELNS1_3repE0EEENS1_30default_config_static_selectorELNS0_4arch9wavefront6targetE0EEEvT1_,"axG",@progbits,_ZN7rocprim17ROCPRIM_400000_NS6detail17trampoline_kernelINS0_14default_configENS1_25partition_config_selectorILNS1_17partition_subalgoE9EiibEEZZNS1_14partition_implILS5_9ELb0ES3_jN6thrust23THRUST_200600_302600_NS6detail15normal_iteratorINS9_10device_ptrIiEEEESE_PNS0_10empty_typeENS0_5tupleIJSE_SF_EEENSH_IJSE_SG_EEENS0_18inequality_wrapperINS9_8equal_toIiEEEEPmJSF_EEE10hipError_tPvRmT3_T4_T5_T6_T7_T9_mT8_P12ihipStream_tbDpT10_ENKUlT_T0_E_clISt17integral_constantIbLb0EES18_EEDaS13_S14_EUlS13_E_NS1_11comp_targetILNS1_3genE4ELNS1_11target_archE910ELNS1_3gpuE8ELNS1_3repE0EEENS1_30default_config_static_selectorELNS0_4arch9wavefront6targetE0EEEvT1_,comdat
	.protected	_ZN7rocprim17ROCPRIM_400000_NS6detail17trampoline_kernelINS0_14default_configENS1_25partition_config_selectorILNS1_17partition_subalgoE9EiibEEZZNS1_14partition_implILS5_9ELb0ES3_jN6thrust23THRUST_200600_302600_NS6detail15normal_iteratorINS9_10device_ptrIiEEEESE_PNS0_10empty_typeENS0_5tupleIJSE_SF_EEENSH_IJSE_SG_EEENS0_18inequality_wrapperINS9_8equal_toIiEEEEPmJSF_EEE10hipError_tPvRmT3_T4_T5_T6_T7_T9_mT8_P12ihipStream_tbDpT10_ENKUlT_T0_E_clISt17integral_constantIbLb0EES18_EEDaS13_S14_EUlS13_E_NS1_11comp_targetILNS1_3genE4ELNS1_11target_archE910ELNS1_3gpuE8ELNS1_3repE0EEENS1_30default_config_static_selectorELNS0_4arch9wavefront6targetE0EEEvT1_ ; -- Begin function _ZN7rocprim17ROCPRIM_400000_NS6detail17trampoline_kernelINS0_14default_configENS1_25partition_config_selectorILNS1_17partition_subalgoE9EiibEEZZNS1_14partition_implILS5_9ELb0ES3_jN6thrust23THRUST_200600_302600_NS6detail15normal_iteratorINS9_10device_ptrIiEEEESE_PNS0_10empty_typeENS0_5tupleIJSE_SF_EEENSH_IJSE_SG_EEENS0_18inequality_wrapperINS9_8equal_toIiEEEEPmJSF_EEE10hipError_tPvRmT3_T4_T5_T6_T7_T9_mT8_P12ihipStream_tbDpT10_ENKUlT_T0_E_clISt17integral_constantIbLb0EES18_EEDaS13_S14_EUlS13_E_NS1_11comp_targetILNS1_3genE4ELNS1_11target_archE910ELNS1_3gpuE8ELNS1_3repE0EEENS1_30default_config_static_selectorELNS0_4arch9wavefront6targetE0EEEvT1_
	.globl	_ZN7rocprim17ROCPRIM_400000_NS6detail17trampoline_kernelINS0_14default_configENS1_25partition_config_selectorILNS1_17partition_subalgoE9EiibEEZZNS1_14partition_implILS5_9ELb0ES3_jN6thrust23THRUST_200600_302600_NS6detail15normal_iteratorINS9_10device_ptrIiEEEESE_PNS0_10empty_typeENS0_5tupleIJSE_SF_EEENSH_IJSE_SG_EEENS0_18inequality_wrapperINS9_8equal_toIiEEEEPmJSF_EEE10hipError_tPvRmT3_T4_T5_T6_T7_T9_mT8_P12ihipStream_tbDpT10_ENKUlT_T0_E_clISt17integral_constantIbLb0EES18_EEDaS13_S14_EUlS13_E_NS1_11comp_targetILNS1_3genE4ELNS1_11target_archE910ELNS1_3gpuE8ELNS1_3repE0EEENS1_30default_config_static_selectorELNS0_4arch9wavefront6targetE0EEEvT1_
	.p2align	8
	.type	_ZN7rocprim17ROCPRIM_400000_NS6detail17trampoline_kernelINS0_14default_configENS1_25partition_config_selectorILNS1_17partition_subalgoE9EiibEEZZNS1_14partition_implILS5_9ELb0ES3_jN6thrust23THRUST_200600_302600_NS6detail15normal_iteratorINS9_10device_ptrIiEEEESE_PNS0_10empty_typeENS0_5tupleIJSE_SF_EEENSH_IJSE_SG_EEENS0_18inequality_wrapperINS9_8equal_toIiEEEEPmJSF_EEE10hipError_tPvRmT3_T4_T5_T6_T7_T9_mT8_P12ihipStream_tbDpT10_ENKUlT_T0_E_clISt17integral_constantIbLb0EES18_EEDaS13_S14_EUlS13_E_NS1_11comp_targetILNS1_3genE4ELNS1_11target_archE910ELNS1_3gpuE8ELNS1_3repE0EEENS1_30default_config_static_selectorELNS0_4arch9wavefront6targetE0EEEvT1_,@function
_ZN7rocprim17ROCPRIM_400000_NS6detail17trampoline_kernelINS0_14default_configENS1_25partition_config_selectorILNS1_17partition_subalgoE9EiibEEZZNS1_14partition_implILS5_9ELb0ES3_jN6thrust23THRUST_200600_302600_NS6detail15normal_iteratorINS9_10device_ptrIiEEEESE_PNS0_10empty_typeENS0_5tupleIJSE_SF_EEENSH_IJSE_SG_EEENS0_18inequality_wrapperINS9_8equal_toIiEEEEPmJSF_EEE10hipError_tPvRmT3_T4_T5_T6_T7_T9_mT8_P12ihipStream_tbDpT10_ENKUlT_T0_E_clISt17integral_constantIbLb0EES18_EEDaS13_S14_EUlS13_E_NS1_11comp_targetILNS1_3genE4ELNS1_11target_archE910ELNS1_3gpuE8ELNS1_3repE0EEENS1_30default_config_static_selectorELNS0_4arch9wavefront6targetE0EEEvT1_: ; @_ZN7rocprim17ROCPRIM_400000_NS6detail17trampoline_kernelINS0_14default_configENS1_25partition_config_selectorILNS1_17partition_subalgoE9EiibEEZZNS1_14partition_implILS5_9ELb0ES3_jN6thrust23THRUST_200600_302600_NS6detail15normal_iteratorINS9_10device_ptrIiEEEESE_PNS0_10empty_typeENS0_5tupleIJSE_SF_EEENSH_IJSE_SG_EEENS0_18inequality_wrapperINS9_8equal_toIiEEEEPmJSF_EEE10hipError_tPvRmT3_T4_T5_T6_T7_T9_mT8_P12ihipStream_tbDpT10_ENKUlT_T0_E_clISt17integral_constantIbLb0EES18_EEDaS13_S14_EUlS13_E_NS1_11comp_targetILNS1_3genE4ELNS1_11target_archE910ELNS1_3gpuE8ELNS1_3repE0EEENS1_30default_config_static_selectorELNS0_4arch9wavefront6targetE0EEEvT1_
; %bb.0:
	.section	.rodata,"a",@progbits
	.p2align	6, 0x0
	.amdhsa_kernel _ZN7rocprim17ROCPRIM_400000_NS6detail17trampoline_kernelINS0_14default_configENS1_25partition_config_selectorILNS1_17partition_subalgoE9EiibEEZZNS1_14partition_implILS5_9ELb0ES3_jN6thrust23THRUST_200600_302600_NS6detail15normal_iteratorINS9_10device_ptrIiEEEESE_PNS0_10empty_typeENS0_5tupleIJSE_SF_EEENSH_IJSE_SG_EEENS0_18inequality_wrapperINS9_8equal_toIiEEEEPmJSF_EEE10hipError_tPvRmT3_T4_T5_T6_T7_T9_mT8_P12ihipStream_tbDpT10_ENKUlT_T0_E_clISt17integral_constantIbLb0EES18_EEDaS13_S14_EUlS13_E_NS1_11comp_targetILNS1_3genE4ELNS1_11target_archE910ELNS1_3gpuE8ELNS1_3repE0EEENS1_30default_config_static_selectorELNS0_4arch9wavefront6targetE0EEEvT1_
		.amdhsa_group_segment_fixed_size 0
		.amdhsa_private_segment_fixed_size 0
		.amdhsa_kernarg_size 112
		.amdhsa_user_sgpr_count 15
		.amdhsa_user_sgpr_dispatch_ptr 0
		.amdhsa_user_sgpr_queue_ptr 0
		.amdhsa_user_sgpr_kernarg_segment_ptr 1
		.amdhsa_user_sgpr_dispatch_id 0
		.amdhsa_user_sgpr_private_segment_size 0
		.amdhsa_wavefront_size32 1
		.amdhsa_uses_dynamic_stack 0
		.amdhsa_enable_private_segment 0
		.amdhsa_system_sgpr_workgroup_id_x 1
		.amdhsa_system_sgpr_workgroup_id_y 0
		.amdhsa_system_sgpr_workgroup_id_z 0
		.amdhsa_system_sgpr_workgroup_info 0
		.amdhsa_system_vgpr_workitem_id 0
		.amdhsa_next_free_vgpr 1
		.amdhsa_next_free_sgpr 1
		.amdhsa_reserve_vcc 0
		.amdhsa_float_round_mode_32 0
		.amdhsa_float_round_mode_16_64 0
		.amdhsa_float_denorm_mode_32 3
		.amdhsa_float_denorm_mode_16_64 3
		.amdhsa_dx10_clamp 1
		.amdhsa_ieee_mode 1
		.amdhsa_fp16_overflow 0
		.amdhsa_workgroup_processor_mode 1
		.amdhsa_memory_ordered 1
		.amdhsa_forward_progress 0
		.amdhsa_shared_vgpr_count 0
		.amdhsa_exception_fp_ieee_invalid_op 0
		.amdhsa_exception_fp_denorm_src 0
		.amdhsa_exception_fp_ieee_div_zero 0
		.amdhsa_exception_fp_ieee_overflow 0
		.amdhsa_exception_fp_ieee_underflow 0
		.amdhsa_exception_fp_ieee_inexact 0
		.amdhsa_exception_int_div_zero 0
	.end_amdhsa_kernel
	.section	.text._ZN7rocprim17ROCPRIM_400000_NS6detail17trampoline_kernelINS0_14default_configENS1_25partition_config_selectorILNS1_17partition_subalgoE9EiibEEZZNS1_14partition_implILS5_9ELb0ES3_jN6thrust23THRUST_200600_302600_NS6detail15normal_iteratorINS9_10device_ptrIiEEEESE_PNS0_10empty_typeENS0_5tupleIJSE_SF_EEENSH_IJSE_SG_EEENS0_18inequality_wrapperINS9_8equal_toIiEEEEPmJSF_EEE10hipError_tPvRmT3_T4_T5_T6_T7_T9_mT8_P12ihipStream_tbDpT10_ENKUlT_T0_E_clISt17integral_constantIbLb0EES18_EEDaS13_S14_EUlS13_E_NS1_11comp_targetILNS1_3genE4ELNS1_11target_archE910ELNS1_3gpuE8ELNS1_3repE0EEENS1_30default_config_static_selectorELNS0_4arch9wavefront6targetE0EEEvT1_,"axG",@progbits,_ZN7rocprim17ROCPRIM_400000_NS6detail17trampoline_kernelINS0_14default_configENS1_25partition_config_selectorILNS1_17partition_subalgoE9EiibEEZZNS1_14partition_implILS5_9ELb0ES3_jN6thrust23THRUST_200600_302600_NS6detail15normal_iteratorINS9_10device_ptrIiEEEESE_PNS0_10empty_typeENS0_5tupleIJSE_SF_EEENSH_IJSE_SG_EEENS0_18inequality_wrapperINS9_8equal_toIiEEEEPmJSF_EEE10hipError_tPvRmT3_T4_T5_T6_T7_T9_mT8_P12ihipStream_tbDpT10_ENKUlT_T0_E_clISt17integral_constantIbLb0EES18_EEDaS13_S14_EUlS13_E_NS1_11comp_targetILNS1_3genE4ELNS1_11target_archE910ELNS1_3gpuE8ELNS1_3repE0EEENS1_30default_config_static_selectorELNS0_4arch9wavefront6targetE0EEEvT1_,comdat
.Lfunc_end406:
	.size	_ZN7rocprim17ROCPRIM_400000_NS6detail17trampoline_kernelINS0_14default_configENS1_25partition_config_selectorILNS1_17partition_subalgoE9EiibEEZZNS1_14partition_implILS5_9ELb0ES3_jN6thrust23THRUST_200600_302600_NS6detail15normal_iteratorINS9_10device_ptrIiEEEESE_PNS0_10empty_typeENS0_5tupleIJSE_SF_EEENSH_IJSE_SG_EEENS0_18inequality_wrapperINS9_8equal_toIiEEEEPmJSF_EEE10hipError_tPvRmT3_T4_T5_T6_T7_T9_mT8_P12ihipStream_tbDpT10_ENKUlT_T0_E_clISt17integral_constantIbLb0EES18_EEDaS13_S14_EUlS13_E_NS1_11comp_targetILNS1_3genE4ELNS1_11target_archE910ELNS1_3gpuE8ELNS1_3repE0EEENS1_30default_config_static_selectorELNS0_4arch9wavefront6targetE0EEEvT1_, .Lfunc_end406-_ZN7rocprim17ROCPRIM_400000_NS6detail17trampoline_kernelINS0_14default_configENS1_25partition_config_selectorILNS1_17partition_subalgoE9EiibEEZZNS1_14partition_implILS5_9ELb0ES3_jN6thrust23THRUST_200600_302600_NS6detail15normal_iteratorINS9_10device_ptrIiEEEESE_PNS0_10empty_typeENS0_5tupleIJSE_SF_EEENSH_IJSE_SG_EEENS0_18inequality_wrapperINS9_8equal_toIiEEEEPmJSF_EEE10hipError_tPvRmT3_T4_T5_T6_T7_T9_mT8_P12ihipStream_tbDpT10_ENKUlT_T0_E_clISt17integral_constantIbLb0EES18_EEDaS13_S14_EUlS13_E_NS1_11comp_targetILNS1_3genE4ELNS1_11target_archE910ELNS1_3gpuE8ELNS1_3repE0EEENS1_30default_config_static_selectorELNS0_4arch9wavefront6targetE0EEEvT1_
                                        ; -- End function
	.section	.AMDGPU.csdata,"",@progbits
; Kernel info:
; codeLenInByte = 0
; NumSgprs: 0
; NumVgprs: 0
; ScratchSize: 0
; MemoryBound: 0
; FloatMode: 240
; IeeeMode: 1
; LDSByteSize: 0 bytes/workgroup (compile time only)
; SGPRBlocks: 0
; VGPRBlocks: 0
; NumSGPRsForWavesPerEU: 1
; NumVGPRsForWavesPerEU: 1
; Occupancy: 15
; WaveLimiterHint : 0
; COMPUTE_PGM_RSRC2:SCRATCH_EN: 0
; COMPUTE_PGM_RSRC2:USER_SGPR: 15
; COMPUTE_PGM_RSRC2:TRAP_HANDLER: 0
; COMPUTE_PGM_RSRC2:TGID_X_EN: 1
; COMPUTE_PGM_RSRC2:TGID_Y_EN: 0
; COMPUTE_PGM_RSRC2:TGID_Z_EN: 0
; COMPUTE_PGM_RSRC2:TIDIG_COMP_CNT: 0
	.section	.text._ZN7rocprim17ROCPRIM_400000_NS6detail17trampoline_kernelINS0_14default_configENS1_25partition_config_selectorILNS1_17partition_subalgoE9EiibEEZZNS1_14partition_implILS5_9ELb0ES3_jN6thrust23THRUST_200600_302600_NS6detail15normal_iteratorINS9_10device_ptrIiEEEESE_PNS0_10empty_typeENS0_5tupleIJSE_SF_EEENSH_IJSE_SG_EEENS0_18inequality_wrapperINS9_8equal_toIiEEEEPmJSF_EEE10hipError_tPvRmT3_T4_T5_T6_T7_T9_mT8_P12ihipStream_tbDpT10_ENKUlT_T0_E_clISt17integral_constantIbLb0EES18_EEDaS13_S14_EUlS13_E_NS1_11comp_targetILNS1_3genE3ELNS1_11target_archE908ELNS1_3gpuE7ELNS1_3repE0EEENS1_30default_config_static_selectorELNS0_4arch9wavefront6targetE0EEEvT1_,"axG",@progbits,_ZN7rocprim17ROCPRIM_400000_NS6detail17trampoline_kernelINS0_14default_configENS1_25partition_config_selectorILNS1_17partition_subalgoE9EiibEEZZNS1_14partition_implILS5_9ELb0ES3_jN6thrust23THRUST_200600_302600_NS6detail15normal_iteratorINS9_10device_ptrIiEEEESE_PNS0_10empty_typeENS0_5tupleIJSE_SF_EEENSH_IJSE_SG_EEENS0_18inequality_wrapperINS9_8equal_toIiEEEEPmJSF_EEE10hipError_tPvRmT3_T4_T5_T6_T7_T9_mT8_P12ihipStream_tbDpT10_ENKUlT_T0_E_clISt17integral_constantIbLb0EES18_EEDaS13_S14_EUlS13_E_NS1_11comp_targetILNS1_3genE3ELNS1_11target_archE908ELNS1_3gpuE7ELNS1_3repE0EEENS1_30default_config_static_selectorELNS0_4arch9wavefront6targetE0EEEvT1_,comdat
	.protected	_ZN7rocprim17ROCPRIM_400000_NS6detail17trampoline_kernelINS0_14default_configENS1_25partition_config_selectorILNS1_17partition_subalgoE9EiibEEZZNS1_14partition_implILS5_9ELb0ES3_jN6thrust23THRUST_200600_302600_NS6detail15normal_iteratorINS9_10device_ptrIiEEEESE_PNS0_10empty_typeENS0_5tupleIJSE_SF_EEENSH_IJSE_SG_EEENS0_18inequality_wrapperINS9_8equal_toIiEEEEPmJSF_EEE10hipError_tPvRmT3_T4_T5_T6_T7_T9_mT8_P12ihipStream_tbDpT10_ENKUlT_T0_E_clISt17integral_constantIbLb0EES18_EEDaS13_S14_EUlS13_E_NS1_11comp_targetILNS1_3genE3ELNS1_11target_archE908ELNS1_3gpuE7ELNS1_3repE0EEENS1_30default_config_static_selectorELNS0_4arch9wavefront6targetE0EEEvT1_ ; -- Begin function _ZN7rocprim17ROCPRIM_400000_NS6detail17trampoline_kernelINS0_14default_configENS1_25partition_config_selectorILNS1_17partition_subalgoE9EiibEEZZNS1_14partition_implILS5_9ELb0ES3_jN6thrust23THRUST_200600_302600_NS6detail15normal_iteratorINS9_10device_ptrIiEEEESE_PNS0_10empty_typeENS0_5tupleIJSE_SF_EEENSH_IJSE_SG_EEENS0_18inequality_wrapperINS9_8equal_toIiEEEEPmJSF_EEE10hipError_tPvRmT3_T4_T5_T6_T7_T9_mT8_P12ihipStream_tbDpT10_ENKUlT_T0_E_clISt17integral_constantIbLb0EES18_EEDaS13_S14_EUlS13_E_NS1_11comp_targetILNS1_3genE3ELNS1_11target_archE908ELNS1_3gpuE7ELNS1_3repE0EEENS1_30default_config_static_selectorELNS0_4arch9wavefront6targetE0EEEvT1_
	.globl	_ZN7rocprim17ROCPRIM_400000_NS6detail17trampoline_kernelINS0_14default_configENS1_25partition_config_selectorILNS1_17partition_subalgoE9EiibEEZZNS1_14partition_implILS5_9ELb0ES3_jN6thrust23THRUST_200600_302600_NS6detail15normal_iteratorINS9_10device_ptrIiEEEESE_PNS0_10empty_typeENS0_5tupleIJSE_SF_EEENSH_IJSE_SG_EEENS0_18inequality_wrapperINS9_8equal_toIiEEEEPmJSF_EEE10hipError_tPvRmT3_T4_T5_T6_T7_T9_mT8_P12ihipStream_tbDpT10_ENKUlT_T0_E_clISt17integral_constantIbLb0EES18_EEDaS13_S14_EUlS13_E_NS1_11comp_targetILNS1_3genE3ELNS1_11target_archE908ELNS1_3gpuE7ELNS1_3repE0EEENS1_30default_config_static_selectorELNS0_4arch9wavefront6targetE0EEEvT1_
	.p2align	8
	.type	_ZN7rocprim17ROCPRIM_400000_NS6detail17trampoline_kernelINS0_14default_configENS1_25partition_config_selectorILNS1_17partition_subalgoE9EiibEEZZNS1_14partition_implILS5_9ELb0ES3_jN6thrust23THRUST_200600_302600_NS6detail15normal_iteratorINS9_10device_ptrIiEEEESE_PNS0_10empty_typeENS0_5tupleIJSE_SF_EEENSH_IJSE_SG_EEENS0_18inequality_wrapperINS9_8equal_toIiEEEEPmJSF_EEE10hipError_tPvRmT3_T4_T5_T6_T7_T9_mT8_P12ihipStream_tbDpT10_ENKUlT_T0_E_clISt17integral_constantIbLb0EES18_EEDaS13_S14_EUlS13_E_NS1_11comp_targetILNS1_3genE3ELNS1_11target_archE908ELNS1_3gpuE7ELNS1_3repE0EEENS1_30default_config_static_selectorELNS0_4arch9wavefront6targetE0EEEvT1_,@function
_ZN7rocprim17ROCPRIM_400000_NS6detail17trampoline_kernelINS0_14default_configENS1_25partition_config_selectorILNS1_17partition_subalgoE9EiibEEZZNS1_14partition_implILS5_9ELb0ES3_jN6thrust23THRUST_200600_302600_NS6detail15normal_iteratorINS9_10device_ptrIiEEEESE_PNS0_10empty_typeENS0_5tupleIJSE_SF_EEENSH_IJSE_SG_EEENS0_18inequality_wrapperINS9_8equal_toIiEEEEPmJSF_EEE10hipError_tPvRmT3_T4_T5_T6_T7_T9_mT8_P12ihipStream_tbDpT10_ENKUlT_T0_E_clISt17integral_constantIbLb0EES18_EEDaS13_S14_EUlS13_E_NS1_11comp_targetILNS1_3genE3ELNS1_11target_archE908ELNS1_3gpuE7ELNS1_3repE0EEENS1_30default_config_static_selectorELNS0_4arch9wavefront6targetE0EEEvT1_: ; @_ZN7rocprim17ROCPRIM_400000_NS6detail17trampoline_kernelINS0_14default_configENS1_25partition_config_selectorILNS1_17partition_subalgoE9EiibEEZZNS1_14partition_implILS5_9ELb0ES3_jN6thrust23THRUST_200600_302600_NS6detail15normal_iteratorINS9_10device_ptrIiEEEESE_PNS0_10empty_typeENS0_5tupleIJSE_SF_EEENSH_IJSE_SG_EEENS0_18inequality_wrapperINS9_8equal_toIiEEEEPmJSF_EEE10hipError_tPvRmT3_T4_T5_T6_T7_T9_mT8_P12ihipStream_tbDpT10_ENKUlT_T0_E_clISt17integral_constantIbLb0EES18_EEDaS13_S14_EUlS13_E_NS1_11comp_targetILNS1_3genE3ELNS1_11target_archE908ELNS1_3gpuE7ELNS1_3repE0EEENS1_30default_config_static_selectorELNS0_4arch9wavefront6targetE0EEEvT1_
; %bb.0:
	.section	.rodata,"a",@progbits
	.p2align	6, 0x0
	.amdhsa_kernel _ZN7rocprim17ROCPRIM_400000_NS6detail17trampoline_kernelINS0_14default_configENS1_25partition_config_selectorILNS1_17partition_subalgoE9EiibEEZZNS1_14partition_implILS5_9ELb0ES3_jN6thrust23THRUST_200600_302600_NS6detail15normal_iteratorINS9_10device_ptrIiEEEESE_PNS0_10empty_typeENS0_5tupleIJSE_SF_EEENSH_IJSE_SG_EEENS0_18inequality_wrapperINS9_8equal_toIiEEEEPmJSF_EEE10hipError_tPvRmT3_T4_T5_T6_T7_T9_mT8_P12ihipStream_tbDpT10_ENKUlT_T0_E_clISt17integral_constantIbLb0EES18_EEDaS13_S14_EUlS13_E_NS1_11comp_targetILNS1_3genE3ELNS1_11target_archE908ELNS1_3gpuE7ELNS1_3repE0EEENS1_30default_config_static_selectorELNS0_4arch9wavefront6targetE0EEEvT1_
		.amdhsa_group_segment_fixed_size 0
		.amdhsa_private_segment_fixed_size 0
		.amdhsa_kernarg_size 112
		.amdhsa_user_sgpr_count 15
		.amdhsa_user_sgpr_dispatch_ptr 0
		.amdhsa_user_sgpr_queue_ptr 0
		.amdhsa_user_sgpr_kernarg_segment_ptr 1
		.amdhsa_user_sgpr_dispatch_id 0
		.amdhsa_user_sgpr_private_segment_size 0
		.amdhsa_wavefront_size32 1
		.amdhsa_uses_dynamic_stack 0
		.amdhsa_enable_private_segment 0
		.amdhsa_system_sgpr_workgroup_id_x 1
		.amdhsa_system_sgpr_workgroup_id_y 0
		.amdhsa_system_sgpr_workgroup_id_z 0
		.amdhsa_system_sgpr_workgroup_info 0
		.amdhsa_system_vgpr_workitem_id 0
		.amdhsa_next_free_vgpr 1
		.amdhsa_next_free_sgpr 1
		.amdhsa_reserve_vcc 0
		.amdhsa_float_round_mode_32 0
		.amdhsa_float_round_mode_16_64 0
		.amdhsa_float_denorm_mode_32 3
		.amdhsa_float_denorm_mode_16_64 3
		.amdhsa_dx10_clamp 1
		.amdhsa_ieee_mode 1
		.amdhsa_fp16_overflow 0
		.amdhsa_workgroup_processor_mode 1
		.amdhsa_memory_ordered 1
		.amdhsa_forward_progress 0
		.amdhsa_shared_vgpr_count 0
		.amdhsa_exception_fp_ieee_invalid_op 0
		.amdhsa_exception_fp_denorm_src 0
		.amdhsa_exception_fp_ieee_div_zero 0
		.amdhsa_exception_fp_ieee_overflow 0
		.amdhsa_exception_fp_ieee_underflow 0
		.amdhsa_exception_fp_ieee_inexact 0
		.amdhsa_exception_int_div_zero 0
	.end_amdhsa_kernel
	.section	.text._ZN7rocprim17ROCPRIM_400000_NS6detail17trampoline_kernelINS0_14default_configENS1_25partition_config_selectorILNS1_17partition_subalgoE9EiibEEZZNS1_14partition_implILS5_9ELb0ES3_jN6thrust23THRUST_200600_302600_NS6detail15normal_iteratorINS9_10device_ptrIiEEEESE_PNS0_10empty_typeENS0_5tupleIJSE_SF_EEENSH_IJSE_SG_EEENS0_18inequality_wrapperINS9_8equal_toIiEEEEPmJSF_EEE10hipError_tPvRmT3_T4_T5_T6_T7_T9_mT8_P12ihipStream_tbDpT10_ENKUlT_T0_E_clISt17integral_constantIbLb0EES18_EEDaS13_S14_EUlS13_E_NS1_11comp_targetILNS1_3genE3ELNS1_11target_archE908ELNS1_3gpuE7ELNS1_3repE0EEENS1_30default_config_static_selectorELNS0_4arch9wavefront6targetE0EEEvT1_,"axG",@progbits,_ZN7rocprim17ROCPRIM_400000_NS6detail17trampoline_kernelINS0_14default_configENS1_25partition_config_selectorILNS1_17partition_subalgoE9EiibEEZZNS1_14partition_implILS5_9ELb0ES3_jN6thrust23THRUST_200600_302600_NS6detail15normal_iteratorINS9_10device_ptrIiEEEESE_PNS0_10empty_typeENS0_5tupleIJSE_SF_EEENSH_IJSE_SG_EEENS0_18inequality_wrapperINS9_8equal_toIiEEEEPmJSF_EEE10hipError_tPvRmT3_T4_T5_T6_T7_T9_mT8_P12ihipStream_tbDpT10_ENKUlT_T0_E_clISt17integral_constantIbLb0EES18_EEDaS13_S14_EUlS13_E_NS1_11comp_targetILNS1_3genE3ELNS1_11target_archE908ELNS1_3gpuE7ELNS1_3repE0EEENS1_30default_config_static_selectorELNS0_4arch9wavefront6targetE0EEEvT1_,comdat
.Lfunc_end407:
	.size	_ZN7rocprim17ROCPRIM_400000_NS6detail17trampoline_kernelINS0_14default_configENS1_25partition_config_selectorILNS1_17partition_subalgoE9EiibEEZZNS1_14partition_implILS5_9ELb0ES3_jN6thrust23THRUST_200600_302600_NS6detail15normal_iteratorINS9_10device_ptrIiEEEESE_PNS0_10empty_typeENS0_5tupleIJSE_SF_EEENSH_IJSE_SG_EEENS0_18inequality_wrapperINS9_8equal_toIiEEEEPmJSF_EEE10hipError_tPvRmT3_T4_T5_T6_T7_T9_mT8_P12ihipStream_tbDpT10_ENKUlT_T0_E_clISt17integral_constantIbLb0EES18_EEDaS13_S14_EUlS13_E_NS1_11comp_targetILNS1_3genE3ELNS1_11target_archE908ELNS1_3gpuE7ELNS1_3repE0EEENS1_30default_config_static_selectorELNS0_4arch9wavefront6targetE0EEEvT1_, .Lfunc_end407-_ZN7rocprim17ROCPRIM_400000_NS6detail17trampoline_kernelINS0_14default_configENS1_25partition_config_selectorILNS1_17partition_subalgoE9EiibEEZZNS1_14partition_implILS5_9ELb0ES3_jN6thrust23THRUST_200600_302600_NS6detail15normal_iteratorINS9_10device_ptrIiEEEESE_PNS0_10empty_typeENS0_5tupleIJSE_SF_EEENSH_IJSE_SG_EEENS0_18inequality_wrapperINS9_8equal_toIiEEEEPmJSF_EEE10hipError_tPvRmT3_T4_T5_T6_T7_T9_mT8_P12ihipStream_tbDpT10_ENKUlT_T0_E_clISt17integral_constantIbLb0EES18_EEDaS13_S14_EUlS13_E_NS1_11comp_targetILNS1_3genE3ELNS1_11target_archE908ELNS1_3gpuE7ELNS1_3repE0EEENS1_30default_config_static_selectorELNS0_4arch9wavefront6targetE0EEEvT1_
                                        ; -- End function
	.section	.AMDGPU.csdata,"",@progbits
; Kernel info:
; codeLenInByte = 0
; NumSgprs: 0
; NumVgprs: 0
; ScratchSize: 0
; MemoryBound: 0
; FloatMode: 240
; IeeeMode: 1
; LDSByteSize: 0 bytes/workgroup (compile time only)
; SGPRBlocks: 0
; VGPRBlocks: 0
; NumSGPRsForWavesPerEU: 1
; NumVGPRsForWavesPerEU: 1
; Occupancy: 16
; WaveLimiterHint : 0
; COMPUTE_PGM_RSRC2:SCRATCH_EN: 0
; COMPUTE_PGM_RSRC2:USER_SGPR: 15
; COMPUTE_PGM_RSRC2:TRAP_HANDLER: 0
; COMPUTE_PGM_RSRC2:TGID_X_EN: 1
; COMPUTE_PGM_RSRC2:TGID_Y_EN: 0
; COMPUTE_PGM_RSRC2:TGID_Z_EN: 0
; COMPUTE_PGM_RSRC2:TIDIG_COMP_CNT: 0
	.section	.text._ZN7rocprim17ROCPRIM_400000_NS6detail17trampoline_kernelINS0_14default_configENS1_25partition_config_selectorILNS1_17partition_subalgoE9EiibEEZZNS1_14partition_implILS5_9ELb0ES3_jN6thrust23THRUST_200600_302600_NS6detail15normal_iteratorINS9_10device_ptrIiEEEESE_PNS0_10empty_typeENS0_5tupleIJSE_SF_EEENSH_IJSE_SG_EEENS0_18inequality_wrapperINS9_8equal_toIiEEEEPmJSF_EEE10hipError_tPvRmT3_T4_T5_T6_T7_T9_mT8_P12ihipStream_tbDpT10_ENKUlT_T0_E_clISt17integral_constantIbLb0EES18_EEDaS13_S14_EUlS13_E_NS1_11comp_targetILNS1_3genE2ELNS1_11target_archE906ELNS1_3gpuE6ELNS1_3repE0EEENS1_30default_config_static_selectorELNS0_4arch9wavefront6targetE0EEEvT1_,"axG",@progbits,_ZN7rocprim17ROCPRIM_400000_NS6detail17trampoline_kernelINS0_14default_configENS1_25partition_config_selectorILNS1_17partition_subalgoE9EiibEEZZNS1_14partition_implILS5_9ELb0ES3_jN6thrust23THRUST_200600_302600_NS6detail15normal_iteratorINS9_10device_ptrIiEEEESE_PNS0_10empty_typeENS0_5tupleIJSE_SF_EEENSH_IJSE_SG_EEENS0_18inequality_wrapperINS9_8equal_toIiEEEEPmJSF_EEE10hipError_tPvRmT3_T4_T5_T6_T7_T9_mT8_P12ihipStream_tbDpT10_ENKUlT_T0_E_clISt17integral_constantIbLb0EES18_EEDaS13_S14_EUlS13_E_NS1_11comp_targetILNS1_3genE2ELNS1_11target_archE906ELNS1_3gpuE6ELNS1_3repE0EEENS1_30default_config_static_selectorELNS0_4arch9wavefront6targetE0EEEvT1_,comdat
	.protected	_ZN7rocprim17ROCPRIM_400000_NS6detail17trampoline_kernelINS0_14default_configENS1_25partition_config_selectorILNS1_17partition_subalgoE9EiibEEZZNS1_14partition_implILS5_9ELb0ES3_jN6thrust23THRUST_200600_302600_NS6detail15normal_iteratorINS9_10device_ptrIiEEEESE_PNS0_10empty_typeENS0_5tupleIJSE_SF_EEENSH_IJSE_SG_EEENS0_18inequality_wrapperINS9_8equal_toIiEEEEPmJSF_EEE10hipError_tPvRmT3_T4_T5_T6_T7_T9_mT8_P12ihipStream_tbDpT10_ENKUlT_T0_E_clISt17integral_constantIbLb0EES18_EEDaS13_S14_EUlS13_E_NS1_11comp_targetILNS1_3genE2ELNS1_11target_archE906ELNS1_3gpuE6ELNS1_3repE0EEENS1_30default_config_static_selectorELNS0_4arch9wavefront6targetE0EEEvT1_ ; -- Begin function _ZN7rocprim17ROCPRIM_400000_NS6detail17trampoline_kernelINS0_14default_configENS1_25partition_config_selectorILNS1_17partition_subalgoE9EiibEEZZNS1_14partition_implILS5_9ELb0ES3_jN6thrust23THRUST_200600_302600_NS6detail15normal_iteratorINS9_10device_ptrIiEEEESE_PNS0_10empty_typeENS0_5tupleIJSE_SF_EEENSH_IJSE_SG_EEENS0_18inequality_wrapperINS9_8equal_toIiEEEEPmJSF_EEE10hipError_tPvRmT3_T4_T5_T6_T7_T9_mT8_P12ihipStream_tbDpT10_ENKUlT_T0_E_clISt17integral_constantIbLb0EES18_EEDaS13_S14_EUlS13_E_NS1_11comp_targetILNS1_3genE2ELNS1_11target_archE906ELNS1_3gpuE6ELNS1_3repE0EEENS1_30default_config_static_selectorELNS0_4arch9wavefront6targetE0EEEvT1_
	.globl	_ZN7rocprim17ROCPRIM_400000_NS6detail17trampoline_kernelINS0_14default_configENS1_25partition_config_selectorILNS1_17partition_subalgoE9EiibEEZZNS1_14partition_implILS5_9ELb0ES3_jN6thrust23THRUST_200600_302600_NS6detail15normal_iteratorINS9_10device_ptrIiEEEESE_PNS0_10empty_typeENS0_5tupleIJSE_SF_EEENSH_IJSE_SG_EEENS0_18inequality_wrapperINS9_8equal_toIiEEEEPmJSF_EEE10hipError_tPvRmT3_T4_T5_T6_T7_T9_mT8_P12ihipStream_tbDpT10_ENKUlT_T0_E_clISt17integral_constantIbLb0EES18_EEDaS13_S14_EUlS13_E_NS1_11comp_targetILNS1_3genE2ELNS1_11target_archE906ELNS1_3gpuE6ELNS1_3repE0EEENS1_30default_config_static_selectorELNS0_4arch9wavefront6targetE0EEEvT1_
	.p2align	8
	.type	_ZN7rocprim17ROCPRIM_400000_NS6detail17trampoline_kernelINS0_14default_configENS1_25partition_config_selectorILNS1_17partition_subalgoE9EiibEEZZNS1_14partition_implILS5_9ELb0ES3_jN6thrust23THRUST_200600_302600_NS6detail15normal_iteratorINS9_10device_ptrIiEEEESE_PNS0_10empty_typeENS0_5tupleIJSE_SF_EEENSH_IJSE_SG_EEENS0_18inequality_wrapperINS9_8equal_toIiEEEEPmJSF_EEE10hipError_tPvRmT3_T4_T5_T6_T7_T9_mT8_P12ihipStream_tbDpT10_ENKUlT_T0_E_clISt17integral_constantIbLb0EES18_EEDaS13_S14_EUlS13_E_NS1_11comp_targetILNS1_3genE2ELNS1_11target_archE906ELNS1_3gpuE6ELNS1_3repE0EEENS1_30default_config_static_selectorELNS0_4arch9wavefront6targetE0EEEvT1_,@function
_ZN7rocprim17ROCPRIM_400000_NS6detail17trampoline_kernelINS0_14default_configENS1_25partition_config_selectorILNS1_17partition_subalgoE9EiibEEZZNS1_14partition_implILS5_9ELb0ES3_jN6thrust23THRUST_200600_302600_NS6detail15normal_iteratorINS9_10device_ptrIiEEEESE_PNS0_10empty_typeENS0_5tupleIJSE_SF_EEENSH_IJSE_SG_EEENS0_18inequality_wrapperINS9_8equal_toIiEEEEPmJSF_EEE10hipError_tPvRmT3_T4_T5_T6_T7_T9_mT8_P12ihipStream_tbDpT10_ENKUlT_T0_E_clISt17integral_constantIbLb0EES18_EEDaS13_S14_EUlS13_E_NS1_11comp_targetILNS1_3genE2ELNS1_11target_archE906ELNS1_3gpuE6ELNS1_3repE0EEENS1_30default_config_static_selectorELNS0_4arch9wavefront6targetE0EEEvT1_: ; @_ZN7rocprim17ROCPRIM_400000_NS6detail17trampoline_kernelINS0_14default_configENS1_25partition_config_selectorILNS1_17partition_subalgoE9EiibEEZZNS1_14partition_implILS5_9ELb0ES3_jN6thrust23THRUST_200600_302600_NS6detail15normal_iteratorINS9_10device_ptrIiEEEESE_PNS0_10empty_typeENS0_5tupleIJSE_SF_EEENSH_IJSE_SG_EEENS0_18inequality_wrapperINS9_8equal_toIiEEEEPmJSF_EEE10hipError_tPvRmT3_T4_T5_T6_T7_T9_mT8_P12ihipStream_tbDpT10_ENKUlT_T0_E_clISt17integral_constantIbLb0EES18_EEDaS13_S14_EUlS13_E_NS1_11comp_targetILNS1_3genE2ELNS1_11target_archE906ELNS1_3gpuE6ELNS1_3repE0EEENS1_30default_config_static_selectorELNS0_4arch9wavefront6targetE0EEEvT1_
; %bb.0:
	.section	.rodata,"a",@progbits
	.p2align	6, 0x0
	.amdhsa_kernel _ZN7rocprim17ROCPRIM_400000_NS6detail17trampoline_kernelINS0_14default_configENS1_25partition_config_selectorILNS1_17partition_subalgoE9EiibEEZZNS1_14partition_implILS5_9ELb0ES3_jN6thrust23THRUST_200600_302600_NS6detail15normal_iteratorINS9_10device_ptrIiEEEESE_PNS0_10empty_typeENS0_5tupleIJSE_SF_EEENSH_IJSE_SG_EEENS0_18inequality_wrapperINS9_8equal_toIiEEEEPmJSF_EEE10hipError_tPvRmT3_T4_T5_T6_T7_T9_mT8_P12ihipStream_tbDpT10_ENKUlT_T0_E_clISt17integral_constantIbLb0EES18_EEDaS13_S14_EUlS13_E_NS1_11comp_targetILNS1_3genE2ELNS1_11target_archE906ELNS1_3gpuE6ELNS1_3repE0EEENS1_30default_config_static_selectorELNS0_4arch9wavefront6targetE0EEEvT1_
		.amdhsa_group_segment_fixed_size 0
		.amdhsa_private_segment_fixed_size 0
		.amdhsa_kernarg_size 112
		.amdhsa_user_sgpr_count 15
		.amdhsa_user_sgpr_dispatch_ptr 0
		.amdhsa_user_sgpr_queue_ptr 0
		.amdhsa_user_sgpr_kernarg_segment_ptr 1
		.amdhsa_user_sgpr_dispatch_id 0
		.amdhsa_user_sgpr_private_segment_size 0
		.amdhsa_wavefront_size32 1
		.amdhsa_uses_dynamic_stack 0
		.amdhsa_enable_private_segment 0
		.amdhsa_system_sgpr_workgroup_id_x 1
		.amdhsa_system_sgpr_workgroup_id_y 0
		.amdhsa_system_sgpr_workgroup_id_z 0
		.amdhsa_system_sgpr_workgroup_info 0
		.amdhsa_system_vgpr_workitem_id 0
		.amdhsa_next_free_vgpr 1
		.amdhsa_next_free_sgpr 1
		.amdhsa_reserve_vcc 0
		.amdhsa_float_round_mode_32 0
		.amdhsa_float_round_mode_16_64 0
		.amdhsa_float_denorm_mode_32 3
		.amdhsa_float_denorm_mode_16_64 3
		.amdhsa_dx10_clamp 1
		.amdhsa_ieee_mode 1
		.amdhsa_fp16_overflow 0
		.amdhsa_workgroup_processor_mode 1
		.amdhsa_memory_ordered 1
		.amdhsa_forward_progress 0
		.amdhsa_shared_vgpr_count 0
		.amdhsa_exception_fp_ieee_invalid_op 0
		.amdhsa_exception_fp_denorm_src 0
		.amdhsa_exception_fp_ieee_div_zero 0
		.amdhsa_exception_fp_ieee_overflow 0
		.amdhsa_exception_fp_ieee_underflow 0
		.amdhsa_exception_fp_ieee_inexact 0
		.amdhsa_exception_int_div_zero 0
	.end_amdhsa_kernel
	.section	.text._ZN7rocprim17ROCPRIM_400000_NS6detail17trampoline_kernelINS0_14default_configENS1_25partition_config_selectorILNS1_17partition_subalgoE9EiibEEZZNS1_14partition_implILS5_9ELb0ES3_jN6thrust23THRUST_200600_302600_NS6detail15normal_iteratorINS9_10device_ptrIiEEEESE_PNS0_10empty_typeENS0_5tupleIJSE_SF_EEENSH_IJSE_SG_EEENS0_18inequality_wrapperINS9_8equal_toIiEEEEPmJSF_EEE10hipError_tPvRmT3_T4_T5_T6_T7_T9_mT8_P12ihipStream_tbDpT10_ENKUlT_T0_E_clISt17integral_constantIbLb0EES18_EEDaS13_S14_EUlS13_E_NS1_11comp_targetILNS1_3genE2ELNS1_11target_archE906ELNS1_3gpuE6ELNS1_3repE0EEENS1_30default_config_static_selectorELNS0_4arch9wavefront6targetE0EEEvT1_,"axG",@progbits,_ZN7rocprim17ROCPRIM_400000_NS6detail17trampoline_kernelINS0_14default_configENS1_25partition_config_selectorILNS1_17partition_subalgoE9EiibEEZZNS1_14partition_implILS5_9ELb0ES3_jN6thrust23THRUST_200600_302600_NS6detail15normal_iteratorINS9_10device_ptrIiEEEESE_PNS0_10empty_typeENS0_5tupleIJSE_SF_EEENSH_IJSE_SG_EEENS0_18inequality_wrapperINS9_8equal_toIiEEEEPmJSF_EEE10hipError_tPvRmT3_T4_T5_T6_T7_T9_mT8_P12ihipStream_tbDpT10_ENKUlT_T0_E_clISt17integral_constantIbLb0EES18_EEDaS13_S14_EUlS13_E_NS1_11comp_targetILNS1_3genE2ELNS1_11target_archE906ELNS1_3gpuE6ELNS1_3repE0EEENS1_30default_config_static_selectorELNS0_4arch9wavefront6targetE0EEEvT1_,comdat
.Lfunc_end408:
	.size	_ZN7rocprim17ROCPRIM_400000_NS6detail17trampoline_kernelINS0_14default_configENS1_25partition_config_selectorILNS1_17partition_subalgoE9EiibEEZZNS1_14partition_implILS5_9ELb0ES3_jN6thrust23THRUST_200600_302600_NS6detail15normal_iteratorINS9_10device_ptrIiEEEESE_PNS0_10empty_typeENS0_5tupleIJSE_SF_EEENSH_IJSE_SG_EEENS0_18inequality_wrapperINS9_8equal_toIiEEEEPmJSF_EEE10hipError_tPvRmT3_T4_T5_T6_T7_T9_mT8_P12ihipStream_tbDpT10_ENKUlT_T0_E_clISt17integral_constantIbLb0EES18_EEDaS13_S14_EUlS13_E_NS1_11comp_targetILNS1_3genE2ELNS1_11target_archE906ELNS1_3gpuE6ELNS1_3repE0EEENS1_30default_config_static_selectorELNS0_4arch9wavefront6targetE0EEEvT1_, .Lfunc_end408-_ZN7rocprim17ROCPRIM_400000_NS6detail17trampoline_kernelINS0_14default_configENS1_25partition_config_selectorILNS1_17partition_subalgoE9EiibEEZZNS1_14partition_implILS5_9ELb0ES3_jN6thrust23THRUST_200600_302600_NS6detail15normal_iteratorINS9_10device_ptrIiEEEESE_PNS0_10empty_typeENS0_5tupleIJSE_SF_EEENSH_IJSE_SG_EEENS0_18inequality_wrapperINS9_8equal_toIiEEEEPmJSF_EEE10hipError_tPvRmT3_T4_T5_T6_T7_T9_mT8_P12ihipStream_tbDpT10_ENKUlT_T0_E_clISt17integral_constantIbLb0EES18_EEDaS13_S14_EUlS13_E_NS1_11comp_targetILNS1_3genE2ELNS1_11target_archE906ELNS1_3gpuE6ELNS1_3repE0EEENS1_30default_config_static_selectorELNS0_4arch9wavefront6targetE0EEEvT1_
                                        ; -- End function
	.section	.AMDGPU.csdata,"",@progbits
; Kernel info:
; codeLenInByte = 0
; NumSgprs: 0
; NumVgprs: 0
; ScratchSize: 0
; MemoryBound: 0
; FloatMode: 240
; IeeeMode: 1
; LDSByteSize: 0 bytes/workgroup (compile time only)
; SGPRBlocks: 0
; VGPRBlocks: 0
; NumSGPRsForWavesPerEU: 1
; NumVGPRsForWavesPerEU: 1
; Occupancy: 16
; WaveLimiterHint : 0
; COMPUTE_PGM_RSRC2:SCRATCH_EN: 0
; COMPUTE_PGM_RSRC2:USER_SGPR: 15
; COMPUTE_PGM_RSRC2:TRAP_HANDLER: 0
; COMPUTE_PGM_RSRC2:TGID_X_EN: 1
; COMPUTE_PGM_RSRC2:TGID_Y_EN: 0
; COMPUTE_PGM_RSRC2:TGID_Z_EN: 0
; COMPUTE_PGM_RSRC2:TIDIG_COMP_CNT: 0
	.section	.text._ZN7rocprim17ROCPRIM_400000_NS6detail17trampoline_kernelINS0_14default_configENS1_25partition_config_selectorILNS1_17partition_subalgoE9EiibEEZZNS1_14partition_implILS5_9ELb0ES3_jN6thrust23THRUST_200600_302600_NS6detail15normal_iteratorINS9_10device_ptrIiEEEESE_PNS0_10empty_typeENS0_5tupleIJSE_SF_EEENSH_IJSE_SG_EEENS0_18inequality_wrapperINS9_8equal_toIiEEEEPmJSF_EEE10hipError_tPvRmT3_T4_T5_T6_T7_T9_mT8_P12ihipStream_tbDpT10_ENKUlT_T0_E_clISt17integral_constantIbLb0EES18_EEDaS13_S14_EUlS13_E_NS1_11comp_targetILNS1_3genE10ELNS1_11target_archE1200ELNS1_3gpuE4ELNS1_3repE0EEENS1_30default_config_static_selectorELNS0_4arch9wavefront6targetE0EEEvT1_,"axG",@progbits,_ZN7rocprim17ROCPRIM_400000_NS6detail17trampoline_kernelINS0_14default_configENS1_25partition_config_selectorILNS1_17partition_subalgoE9EiibEEZZNS1_14partition_implILS5_9ELb0ES3_jN6thrust23THRUST_200600_302600_NS6detail15normal_iteratorINS9_10device_ptrIiEEEESE_PNS0_10empty_typeENS0_5tupleIJSE_SF_EEENSH_IJSE_SG_EEENS0_18inequality_wrapperINS9_8equal_toIiEEEEPmJSF_EEE10hipError_tPvRmT3_T4_T5_T6_T7_T9_mT8_P12ihipStream_tbDpT10_ENKUlT_T0_E_clISt17integral_constantIbLb0EES18_EEDaS13_S14_EUlS13_E_NS1_11comp_targetILNS1_3genE10ELNS1_11target_archE1200ELNS1_3gpuE4ELNS1_3repE0EEENS1_30default_config_static_selectorELNS0_4arch9wavefront6targetE0EEEvT1_,comdat
	.protected	_ZN7rocprim17ROCPRIM_400000_NS6detail17trampoline_kernelINS0_14default_configENS1_25partition_config_selectorILNS1_17partition_subalgoE9EiibEEZZNS1_14partition_implILS5_9ELb0ES3_jN6thrust23THRUST_200600_302600_NS6detail15normal_iteratorINS9_10device_ptrIiEEEESE_PNS0_10empty_typeENS0_5tupleIJSE_SF_EEENSH_IJSE_SG_EEENS0_18inequality_wrapperINS9_8equal_toIiEEEEPmJSF_EEE10hipError_tPvRmT3_T4_T5_T6_T7_T9_mT8_P12ihipStream_tbDpT10_ENKUlT_T0_E_clISt17integral_constantIbLb0EES18_EEDaS13_S14_EUlS13_E_NS1_11comp_targetILNS1_3genE10ELNS1_11target_archE1200ELNS1_3gpuE4ELNS1_3repE0EEENS1_30default_config_static_selectorELNS0_4arch9wavefront6targetE0EEEvT1_ ; -- Begin function _ZN7rocprim17ROCPRIM_400000_NS6detail17trampoline_kernelINS0_14default_configENS1_25partition_config_selectorILNS1_17partition_subalgoE9EiibEEZZNS1_14partition_implILS5_9ELb0ES3_jN6thrust23THRUST_200600_302600_NS6detail15normal_iteratorINS9_10device_ptrIiEEEESE_PNS0_10empty_typeENS0_5tupleIJSE_SF_EEENSH_IJSE_SG_EEENS0_18inequality_wrapperINS9_8equal_toIiEEEEPmJSF_EEE10hipError_tPvRmT3_T4_T5_T6_T7_T9_mT8_P12ihipStream_tbDpT10_ENKUlT_T0_E_clISt17integral_constantIbLb0EES18_EEDaS13_S14_EUlS13_E_NS1_11comp_targetILNS1_3genE10ELNS1_11target_archE1200ELNS1_3gpuE4ELNS1_3repE0EEENS1_30default_config_static_selectorELNS0_4arch9wavefront6targetE0EEEvT1_
	.globl	_ZN7rocprim17ROCPRIM_400000_NS6detail17trampoline_kernelINS0_14default_configENS1_25partition_config_selectorILNS1_17partition_subalgoE9EiibEEZZNS1_14partition_implILS5_9ELb0ES3_jN6thrust23THRUST_200600_302600_NS6detail15normal_iteratorINS9_10device_ptrIiEEEESE_PNS0_10empty_typeENS0_5tupleIJSE_SF_EEENSH_IJSE_SG_EEENS0_18inequality_wrapperINS9_8equal_toIiEEEEPmJSF_EEE10hipError_tPvRmT3_T4_T5_T6_T7_T9_mT8_P12ihipStream_tbDpT10_ENKUlT_T0_E_clISt17integral_constantIbLb0EES18_EEDaS13_S14_EUlS13_E_NS1_11comp_targetILNS1_3genE10ELNS1_11target_archE1200ELNS1_3gpuE4ELNS1_3repE0EEENS1_30default_config_static_selectorELNS0_4arch9wavefront6targetE0EEEvT1_
	.p2align	8
	.type	_ZN7rocprim17ROCPRIM_400000_NS6detail17trampoline_kernelINS0_14default_configENS1_25partition_config_selectorILNS1_17partition_subalgoE9EiibEEZZNS1_14partition_implILS5_9ELb0ES3_jN6thrust23THRUST_200600_302600_NS6detail15normal_iteratorINS9_10device_ptrIiEEEESE_PNS0_10empty_typeENS0_5tupleIJSE_SF_EEENSH_IJSE_SG_EEENS0_18inequality_wrapperINS9_8equal_toIiEEEEPmJSF_EEE10hipError_tPvRmT3_T4_T5_T6_T7_T9_mT8_P12ihipStream_tbDpT10_ENKUlT_T0_E_clISt17integral_constantIbLb0EES18_EEDaS13_S14_EUlS13_E_NS1_11comp_targetILNS1_3genE10ELNS1_11target_archE1200ELNS1_3gpuE4ELNS1_3repE0EEENS1_30default_config_static_selectorELNS0_4arch9wavefront6targetE0EEEvT1_,@function
_ZN7rocprim17ROCPRIM_400000_NS6detail17trampoline_kernelINS0_14default_configENS1_25partition_config_selectorILNS1_17partition_subalgoE9EiibEEZZNS1_14partition_implILS5_9ELb0ES3_jN6thrust23THRUST_200600_302600_NS6detail15normal_iteratorINS9_10device_ptrIiEEEESE_PNS0_10empty_typeENS0_5tupleIJSE_SF_EEENSH_IJSE_SG_EEENS0_18inequality_wrapperINS9_8equal_toIiEEEEPmJSF_EEE10hipError_tPvRmT3_T4_T5_T6_T7_T9_mT8_P12ihipStream_tbDpT10_ENKUlT_T0_E_clISt17integral_constantIbLb0EES18_EEDaS13_S14_EUlS13_E_NS1_11comp_targetILNS1_3genE10ELNS1_11target_archE1200ELNS1_3gpuE4ELNS1_3repE0EEENS1_30default_config_static_selectorELNS0_4arch9wavefront6targetE0EEEvT1_: ; @_ZN7rocprim17ROCPRIM_400000_NS6detail17trampoline_kernelINS0_14default_configENS1_25partition_config_selectorILNS1_17partition_subalgoE9EiibEEZZNS1_14partition_implILS5_9ELb0ES3_jN6thrust23THRUST_200600_302600_NS6detail15normal_iteratorINS9_10device_ptrIiEEEESE_PNS0_10empty_typeENS0_5tupleIJSE_SF_EEENSH_IJSE_SG_EEENS0_18inequality_wrapperINS9_8equal_toIiEEEEPmJSF_EEE10hipError_tPvRmT3_T4_T5_T6_T7_T9_mT8_P12ihipStream_tbDpT10_ENKUlT_T0_E_clISt17integral_constantIbLb0EES18_EEDaS13_S14_EUlS13_E_NS1_11comp_targetILNS1_3genE10ELNS1_11target_archE1200ELNS1_3gpuE4ELNS1_3repE0EEENS1_30default_config_static_selectorELNS0_4arch9wavefront6targetE0EEEvT1_
; %bb.0:
	.section	.rodata,"a",@progbits
	.p2align	6, 0x0
	.amdhsa_kernel _ZN7rocprim17ROCPRIM_400000_NS6detail17trampoline_kernelINS0_14default_configENS1_25partition_config_selectorILNS1_17partition_subalgoE9EiibEEZZNS1_14partition_implILS5_9ELb0ES3_jN6thrust23THRUST_200600_302600_NS6detail15normal_iteratorINS9_10device_ptrIiEEEESE_PNS0_10empty_typeENS0_5tupleIJSE_SF_EEENSH_IJSE_SG_EEENS0_18inequality_wrapperINS9_8equal_toIiEEEEPmJSF_EEE10hipError_tPvRmT3_T4_T5_T6_T7_T9_mT8_P12ihipStream_tbDpT10_ENKUlT_T0_E_clISt17integral_constantIbLb0EES18_EEDaS13_S14_EUlS13_E_NS1_11comp_targetILNS1_3genE10ELNS1_11target_archE1200ELNS1_3gpuE4ELNS1_3repE0EEENS1_30default_config_static_selectorELNS0_4arch9wavefront6targetE0EEEvT1_
		.amdhsa_group_segment_fixed_size 0
		.amdhsa_private_segment_fixed_size 0
		.amdhsa_kernarg_size 112
		.amdhsa_user_sgpr_count 15
		.amdhsa_user_sgpr_dispatch_ptr 0
		.amdhsa_user_sgpr_queue_ptr 0
		.amdhsa_user_sgpr_kernarg_segment_ptr 1
		.amdhsa_user_sgpr_dispatch_id 0
		.amdhsa_user_sgpr_private_segment_size 0
		.amdhsa_wavefront_size32 1
		.amdhsa_uses_dynamic_stack 0
		.amdhsa_enable_private_segment 0
		.amdhsa_system_sgpr_workgroup_id_x 1
		.amdhsa_system_sgpr_workgroup_id_y 0
		.amdhsa_system_sgpr_workgroup_id_z 0
		.amdhsa_system_sgpr_workgroup_info 0
		.amdhsa_system_vgpr_workitem_id 0
		.amdhsa_next_free_vgpr 1
		.amdhsa_next_free_sgpr 1
		.amdhsa_reserve_vcc 0
		.amdhsa_float_round_mode_32 0
		.amdhsa_float_round_mode_16_64 0
		.amdhsa_float_denorm_mode_32 3
		.amdhsa_float_denorm_mode_16_64 3
		.amdhsa_dx10_clamp 1
		.amdhsa_ieee_mode 1
		.amdhsa_fp16_overflow 0
		.amdhsa_workgroup_processor_mode 1
		.amdhsa_memory_ordered 1
		.amdhsa_forward_progress 0
		.amdhsa_shared_vgpr_count 0
		.amdhsa_exception_fp_ieee_invalid_op 0
		.amdhsa_exception_fp_denorm_src 0
		.amdhsa_exception_fp_ieee_div_zero 0
		.amdhsa_exception_fp_ieee_overflow 0
		.amdhsa_exception_fp_ieee_underflow 0
		.amdhsa_exception_fp_ieee_inexact 0
		.amdhsa_exception_int_div_zero 0
	.end_amdhsa_kernel
	.section	.text._ZN7rocprim17ROCPRIM_400000_NS6detail17trampoline_kernelINS0_14default_configENS1_25partition_config_selectorILNS1_17partition_subalgoE9EiibEEZZNS1_14partition_implILS5_9ELb0ES3_jN6thrust23THRUST_200600_302600_NS6detail15normal_iteratorINS9_10device_ptrIiEEEESE_PNS0_10empty_typeENS0_5tupleIJSE_SF_EEENSH_IJSE_SG_EEENS0_18inequality_wrapperINS9_8equal_toIiEEEEPmJSF_EEE10hipError_tPvRmT3_T4_T5_T6_T7_T9_mT8_P12ihipStream_tbDpT10_ENKUlT_T0_E_clISt17integral_constantIbLb0EES18_EEDaS13_S14_EUlS13_E_NS1_11comp_targetILNS1_3genE10ELNS1_11target_archE1200ELNS1_3gpuE4ELNS1_3repE0EEENS1_30default_config_static_selectorELNS0_4arch9wavefront6targetE0EEEvT1_,"axG",@progbits,_ZN7rocprim17ROCPRIM_400000_NS6detail17trampoline_kernelINS0_14default_configENS1_25partition_config_selectorILNS1_17partition_subalgoE9EiibEEZZNS1_14partition_implILS5_9ELb0ES3_jN6thrust23THRUST_200600_302600_NS6detail15normal_iteratorINS9_10device_ptrIiEEEESE_PNS0_10empty_typeENS0_5tupleIJSE_SF_EEENSH_IJSE_SG_EEENS0_18inequality_wrapperINS9_8equal_toIiEEEEPmJSF_EEE10hipError_tPvRmT3_T4_T5_T6_T7_T9_mT8_P12ihipStream_tbDpT10_ENKUlT_T0_E_clISt17integral_constantIbLb0EES18_EEDaS13_S14_EUlS13_E_NS1_11comp_targetILNS1_3genE10ELNS1_11target_archE1200ELNS1_3gpuE4ELNS1_3repE0EEENS1_30default_config_static_selectorELNS0_4arch9wavefront6targetE0EEEvT1_,comdat
.Lfunc_end409:
	.size	_ZN7rocprim17ROCPRIM_400000_NS6detail17trampoline_kernelINS0_14default_configENS1_25partition_config_selectorILNS1_17partition_subalgoE9EiibEEZZNS1_14partition_implILS5_9ELb0ES3_jN6thrust23THRUST_200600_302600_NS6detail15normal_iteratorINS9_10device_ptrIiEEEESE_PNS0_10empty_typeENS0_5tupleIJSE_SF_EEENSH_IJSE_SG_EEENS0_18inequality_wrapperINS9_8equal_toIiEEEEPmJSF_EEE10hipError_tPvRmT3_T4_T5_T6_T7_T9_mT8_P12ihipStream_tbDpT10_ENKUlT_T0_E_clISt17integral_constantIbLb0EES18_EEDaS13_S14_EUlS13_E_NS1_11comp_targetILNS1_3genE10ELNS1_11target_archE1200ELNS1_3gpuE4ELNS1_3repE0EEENS1_30default_config_static_selectorELNS0_4arch9wavefront6targetE0EEEvT1_, .Lfunc_end409-_ZN7rocprim17ROCPRIM_400000_NS6detail17trampoline_kernelINS0_14default_configENS1_25partition_config_selectorILNS1_17partition_subalgoE9EiibEEZZNS1_14partition_implILS5_9ELb0ES3_jN6thrust23THRUST_200600_302600_NS6detail15normal_iteratorINS9_10device_ptrIiEEEESE_PNS0_10empty_typeENS0_5tupleIJSE_SF_EEENSH_IJSE_SG_EEENS0_18inequality_wrapperINS9_8equal_toIiEEEEPmJSF_EEE10hipError_tPvRmT3_T4_T5_T6_T7_T9_mT8_P12ihipStream_tbDpT10_ENKUlT_T0_E_clISt17integral_constantIbLb0EES18_EEDaS13_S14_EUlS13_E_NS1_11comp_targetILNS1_3genE10ELNS1_11target_archE1200ELNS1_3gpuE4ELNS1_3repE0EEENS1_30default_config_static_selectorELNS0_4arch9wavefront6targetE0EEEvT1_
                                        ; -- End function
	.section	.AMDGPU.csdata,"",@progbits
; Kernel info:
; codeLenInByte = 0
; NumSgprs: 0
; NumVgprs: 0
; ScratchSize: 0
; MemoryBound: 0
; FloatMode: 240
; IeeeMode: 1
; LDSByteSize: 0 bytes/workgroup (compile time only)
; SGPRBlocks: 0
; VGPRBlocks: 0
; NumSGPRsForWavesPerEU: 1
; NumVGPRsForWavesPerEU: 1
; Occupancy: 15
; WaveLimiterHint : 0
; COMPUTE_PGM_RSRC2:SCRATCH_EN: 0
; COMPUTE_PGM_RSRC2:USER_SGPR: 15
; COMPUTE_PGM_RSRC2:TRAP_HANDLER: 0
; COMPUTE_PGM_RSRC2:TGID_X_EN: 1
; COMPUTE_PGM_RSRC2:TGID_Y_EN: 0
; COMPUTE_PGM_RSRC2:TGID_Z_EN: 0
; COMPUTE_PGM_RSRC2:TIDIG_COMP_CNT: 0
	.section	.text._ZN7rocprim17ROCPRIM_400000_NS6detail17trampoline_kernelINS0_14default_configENS1_25partition_config_selectorILNS1_17partition_subalgoE9EiibEEZZNS1_14partition_implILS5_9ELb0ES3_jN6thrust23THRUST_200600_302600_NS6detail15normal_iteratorINS9_10device_ptrIiEEEESE_PNS0_10empty_typeENS0_5tupleIJSE_SF_EEENSH_IJSE_SG_EEENS0_18inequality_wrapperINS9_8equal_toIiEEEEPmJSF_EEE10hipError_tPvRmT3_T4_T5_T6_T7_T9_mT8_P12ihipStream_tbDpT10_ENKUlT_T0_E_clISt17integral_constantIbLb0EES18_EEDaS13_S14_EUlS13_E_NS1_11comp_targetILNS1_3genE9ELNS1_11target_archE1100ELNS1_3gpuE3ELNS1_3repE0EEENS1_30default_config_static_selectorELNS0_4arch9wavefront6targetE0EEEvT1_,"axG",@progbits,_ZN7rocprim17ROCPRIM_400000_NS6detail17trampoline_kernelINS0_14default_configENS1_25partition_config_selectorILNS1_17partition_subalgoE9EiibEEZZNS1_14partition_implILS5_9ELb0ES3_jN6thrust23THRUST_200600_302600_NS6detail15normal_iteratorINS9_10device_ptrIiEEEESE_PNS0_10empty_typeENS0_5tupleIJSE_SF_EEENSH_IJSE_SG_EEENS0_18inequality_wrapperINS9_8equal_toIiEEEEPmJSF_EEE10hipError_tPvRmT3_T4_T5_T6_T7_T9_mT8_P12ihipStream_tbDpT10_ENKUlT_T0_E_clISt17integral_constantIbLb0EES18_EEDaS13_S14_EUlS13_E_NS1_11comp_targetILNS1_3genE9ELNS1_11target_archE1100ELNS1_3gpuE3ELNS1_3repE0EEENS1_30default_config_static_selectorELNS0_4arch9wavefront6targetE0EEEvT1_,comdat
	.protected	_ZN7rocprim17ROCPRIM_400000_NS6detail17trampoline_kernelINS0_14default_configENS1_25partition_config_selectorILNS1_17partition_subalgoE9EiibEEZZNS1_14partition_implILS5_9ELb0ES3_jN6thrust23THRUST_200600_302600_NS6detail15normal_iteratorINS9_10device_ptrIiEEEESE_PNS0_10empty_typeENS0_5tupleIJSE_SF_EEENSH_IJSE_SG_EEENS0_18inequality_wrapperINS9_8equal_toIiEEEEPmJSF_EEE10hipError_tPvRmT3_T4_T5_T6_T7_T9_mT8_P12ihipStream_tbDpT10_ENKUlT_T0_E_clISt17integral_constantIbLb0EES18_EEDaS13_S14_EUlS13_E_NS1_11comp_targetILNS1_3genE9ELNS1_11target_archE1100ELNS1_3gpuE3ELNS1_3repE0EEENS1_30default_config_static_selectorELNS0_4arch9wavefront6targetE0EEEvT1_ ; -- Begin function _ZN7rocprim17ROCPRIM_400000_NS6detail17trampoline_kernelINS0_14default_configENS1_25partition_config_selectorILNS1_17partition_subalgoE9EiibEEZZNS1_14partition_implILS5_9ELb0ES3_jN6thrust23THRUST_200600_302600_NS6detail15normal_iteratorINS9_10device_ptrIiEEEESE_PNS0_10empty_typeENS0_5tupleIJSE_SF_EEENSH_IJSE_SG_EEENS0_18inequality_wrapperINS9_8equal_toIiEEEEPmJSF_EEE10hipError_tPvRmT3_T4_T5_T6_T7_T9_mT8_P12ihipStream_tbDpT10_ENKUlT_T0_E_clISt17integral_constantIbLb0EES18_EEDaS13_S14_EUlS13_E_NS1_11comp_targetILNS1_3genE9ELNS1_11target_archE1100ELNS1_3gpuE3ELNS1_3repE0EEENS1_30default_config_static_selectorELNS0_4arch9wavefront6targetE0EEEvT1_
	.globl	_ZN7rocprim17ROCPRIM_400000_NS6detail17trampoline_kernelINS0_14default_configENS1_25partition_config_selectorILNS1_17partition_subalgoE9EiibEEZZNS1_14partition_implILS5_9ELb0ES3_jN6thrust23THRUST_200600_302600_NS6detail15normal_iteratorINS9_10device_ptrIiEEEESE_PNS0_10empty_typeENS0_5tupleIJSE_SF_EEENSH_IJSE_SG_EEENS0_18inequality_wrapperINS9_8equal_toIiEEEEPmJSF_EEE10hipError_tPvRmT3_T4_T5_T6_T7_T9_mT8_P12ihipStream_tbDpT10_ENKUlT_T0_E_clISt17integral_constantIbLb0EES18_EEDaS13_S14_EUlS13_E_NS1_11comp_targetILNS1_3genE9ELNS1_11target_archE1100ELNS1_3gpuE3ELNS1_3repE0EEENS1_30default_config_static_selectorELNS0_4arch9wavefront6targetE0EEEvT1_
	.p2align	8
	.type	_ZN7rocprim17ROCPRIM_400000_NS6detail17trampoline_kernelINS0_14default_configENS1_25partition_config_selectorILNS1_17partition_subalgoE9EiibEEZZNS1_14partition_implILS5_9ELb0ES3_jN6thrust23THRUST_200600_302600_NS6detail15normal_iteratorINS9_10device_ptrIiEEEESE_PNS0_10empty_typeENS0_5tupleIJSE_SF_EEENSH_IJSE_SG_EEENS0_18inequality_wrapperINS9_8equal_toIiEEEEPmJSF_EEE10hipError_tPvRmT3_T4_T5_T6_T7_T9_mT8_P12ihipStream_tbDpT10_ENKUlT_T0_E_clISt17integral_constantIbLb0EES18_EEDaS13_S14_EUlS13_E_NS1_11comp_targetILNS1_3genE9ELNS1_11target_archE1100ELNS1_3gpuE3ELNS1_3repE0EEENS1_30default_config_static_selectorELNS0_4arch9wavefront6targetE0EEEvT1_,@function
_ZN7rocprim17ROCPRIM_400000_NS6detail17trampoline_kernelINS0_14default_configENS1_25partition_config_selectorILNS1_17partition_subalgoE9EiibEEZZNS1_14partition_implILS5_9ELb0ES3_jN6thrust23THRUST_200600_302600_NS6detail15normal_iteratorINS9_10device_ptrIiEEEESE_PNS0_10empty_typeENS0_5tupleIJSE_SF_EEENSH_IJSE_SG_EEENS0_18inequality_wrapperINS9_8equal_toIiEEEEPmJSF_EEE10hipError_tPvRmT3_T4_T5_T6_T7_T9_mT8_P12ihipStream_tbDpT10_ENKUlT_T0_E_clISt17integral_constantIbLb0EES18_EEDaS13_S14_EUlS13_E_NS1_11comp_targetILNS1_3genE9ELNS1_11target_archE1100ELNS1_3gpuE3ELNS1_3repE0EEENS1_30default_config_static_selectorELNS0_4arch9wavefront6targetE0EEEvT1_: ; @_ZN7rocprim17ROCPRIM_400000_NS6detail17trampoline_kernelINS0_14default_configENS1_25partition_config_selectorILNS1_17partition_subalgoE9EiibEEZZNS1_14partition_implILS5_9ELb0ES3_jN6thrust23THRUST_200600_302600_NS6detail15normal_iteratorINS9_10device_ptrIiEEEESE_PNS0_10empty_typeENS0_5tupleIJSE_SF_EEENSH_IJSE_SG_EEENS0_18inequality_wrapperINS9_8equal_toIiEEEEPmJSF_EEE10hipError_tPvRmT3_T4_T5_T6_T7_T9_mT8_P12ihipStream_tbDpT10_ENKUlT_T0_E_clISt17integral_constantIbLb0EES18_EEDaS13_S14_EUlS13_E_NS1_11comp_targetILNS1_3genE9ELNS1_11target_archE1100ELNS1_3gpuE3ELNS1_3repE0EEENS1_30default_config_static_selectorELNS0_4arch9wavefront6targetE0EEEvT1_
; %bb.0:
	s_clause 0x4
	s_load_b128 s[4:7], s[0:1], 0x8
	s_load_b32 s14, s[0:1], 0x68
	s_load_b128 s[16:19], s[0:1], 0x40
	s_load_b64 s[2:3], s[0:1], 0x50
	s_load_b64 s[8:9], s[0:1], 0x18
	s_mov_b32 s23, 0
	s_mul_i32 s22, s15, 0xc00
	v_lshrrev_b32_e32 v18, 3, v0
	v_add_nc_u32_e32 v23, 0x180, v0
	v_add_nc_u32_e32 v22, 0x300, v0
	v_add_nc_u32_e32 v25, 0x480, v0
	v_or_b32_e32 v24, 0x600, v0
	v_add_nc_u32_e32 v20, 0x780, v0
	v_add_nc_u32_e32 v17, 0x900, v0
	;; [unrolled: 1-line block ×3, first 2 shown]
	s_waitcnt lgkmcnt(0)
	s_lshl_b64 s[12:13], s[6:7], 2
	s_mul_i32 s20, s14, 0xc00
	s_add_u32 s21, s4, s12
	s_addc_u32 s24, s5, s13
	s_add_i32 s4, s20, s6
	s_load_b64 s[10:11], s[18:19], 0x0
	s_sub_i32 s19, s2, s4
	s_add_i32 s14, s14, -1
	s_addk_i32 s19, 0xc00
	s_add_u32 s4, s6, s20
	s_addc_u32 s5, s7, 0
	s_cmp_eq_u32 s15, s14
	v_cmp_ge_u64_e64 s2, s[4:5], s[2:3]
	s_cselect_b32 s14, -1, 0
	s_lshl_b64 s[4:5], s[22:23], 2
	s_mov_b32 s22, -1
	s_delay_alu instid0(VALU_DEP_1) | instskip(NEXT) | instid1(SALU_CYCLE_1)
	s_and_b32 s20, s14, s2
	s_xor_b32 s18, s20, -1
	s_add_u32 s21, s21, s4
	s_addc_u32 s3, s24, s5
	s_and_b32 vcc_lo, exec_lo, s18
	s_cbranch_vccz .LBB410_2
; %bb.1:
	v_lshlrev_b32_e32 v7, 2, v0
	v_lshrrev_b32_e32 v11, 3, v23
	v_lshrrev_b32_e32 v12, 3, v22
	;; [unrolled: 1-line block ×4, first 2 shown]
	v_add_co_u32 v1, s2, s21, v7
	s_delay_alu instid0(VALU_DEP_1) | instskip(SKIP_1) | instid1(VALU_DEP_3)
	v_add_co_ci_u32_e64 v2, null, s3, 0, s2
	v_lshrrev_b32_e32 v15, 3, v20
	v_add_co_u32 v3, vcc_lo, 0x1000, v1
	s_delay_alu instid0(VALU_DEP_3)
	v_add_co_ci_u32_e32 v4, vcc_lo, 0, v2, vcc_lo
	v_add_co_u32 v5, vcc_lo, 0x2000, v1
	v_add_co_ci_u32_e32 v6, vcc_lo, 0, v2, vcc_lo
	s_clause 0x7
	flat_load_b32 v8, v[1:2]
	flat_load_b32 v9, v[1:2] offset:1536
	flat_load_b32 v1, v[1:2] offset:3072
	;; [unrolled: 1-line block ×7, first 2 shown]
	v_and_b32_e32 v6, 60, v18
	v_lshrrev_b32_e32 v16, 3, v17
	v_lshrrev_b32_e32 v19, 3, v21
	v_and_b32_e32 v11, 0x7c, v11
	v_and_b32_e32 v12, 0xfc, v12
	;; [unrolled: 1-line block ×4, first 2 shown]
	v_add_nc_u32_e32 v6, v6, v7
	v_and_b32_e32 v15, 0x1fc, v15
	v_and_b32_e32 v16, 0x17c, v16
	;; [unrolled: 1-line block ×3, first 2 shown]
	v_add_nc_u32_e32 v11, v11, v7
	v_add_nc_u32_e32 v12, v12, v7
	;; [unrolled: 1-line block ×4, first 2 shown]
	s_mov_b32 s22, 0
	v_add_nc_u32_e32 v15, v15, v7
	v_add_nc_u32_e32 v16, v16, v7
	;; [unrolled: 1-line block ×3, first 2 shown]
	s_waitcnt vmcnt(7) lgkmcnt(0)
	ds_store_b32 v6, v8
	s_waitcnt vmcnt(6)
	ds_store_b32 v11, v9 offset:1536
	s_waitcnt vmcnt(5)
	ds_store_b32 v12, v1 offset:3072
	;; [unrolled: 2-line block ×7, first 2 shown]
	s_waitcnt lgkmcnt(0)
	s_barrier
.LBB410_2:
	v_cmp_gt_u32_e64 s2, s19, v0
	s_and_not1_b32 vcc_lo, exec_lo, s22
	s_cbranch_vccnz .LBB410_20
; %bb.3:
                                        ; implicit-def: $vgpr1_vgpr2_vgpr3_vgpr4_vgpr5_vgpr6_vgpr7_vgpr8
	s_delay_alu instid0(VALU_DEP_1)
	s_and_saveexec_b32 s22, s2
	s_cbranch_execz .LBB410_11
; %bb.4:
	v_lshlrev_b32_e32 v1, 2, v0
	s_delay_alu instid0(VALU_DEP_1) | instskip(NEXT) | instid1(VALU_DEP_1)
	v_add_co_u32 v1, s2, s21, v1
	v_add_co_ci_u32_e64 v2, null, s3, 0, s2
	flat_load_b32 v1, v[1:2]
	s_or_b32 exec_lo, exec_lo, s22
	s_delay_alu instid0(SALU_CYCLE_1)
	s_mov_b32 s2, exec_lo
	v_cmpx_gt_u32_e64 s19, v23
	s_cbranch_execnz .LBB410_12
.LBB410_5:
	s_or_b32 exec_lo, exec_lo, s2
	s_delay_alu instid0(SALU_CYCLE_1)
	s_mov_b32 s2, exec_lo
	v_cmpx_gt_u32_e64 s19, v22
	s_cbranch_execz .LBB410_13
.LBB410_6:
	v_lshlrev_b32_e32 v3, 2, v0
	s_delay_alu instid0(VALU_DEP_1) | instskip(NEXT) | instid1(VALU_DEP_1)
	v_add_co_u32 v9, s22, s21, v3
	v_add_co_ci_u32_e64 v10, null, s3, 0, s22
	flat_load_b32 v3, v[9:10] offset:3072
	s_or_b32 exec_lo, exec_lo, s2
	s_delay_alu instid0(SALU_CYCLE_1)
	s_mov_b32 s2, exec_lo
	v_cmpx_gt_u32_e64 s19, v25
	s_cbranch_execnz .LBB410_14
.LBB410_7:
	s_or_b32 exec_lo, exec_lo, s2
	s_delay_alu instid0(SALU_CYCLE_1)
	s_mov_b32 s2, exec_lo
	v_cmpx_gt_u32_e64 s19, v24
	s_cbranch_execz .LBB410_15
.LBB410_8:
	v_lshlrev_b32_e32 v5, 2, v24
	s_delay_alu instid0(VALU_DEP_1) | instskip(NEXT) | instid1(VALU_DEP_1)
	v_add_co_u32 v9, s22, s21, v5
	v_add_co_ci_u32_e64 v10, null, s3, 0, s22
	flat_load_b32 v5, v[9:10]
	s_or_b32 exec_lo, exec_lo, s2
	s_delay_alu instid0(SALU_CYCLE_1)
	s_mov_b32 s2, exec_lo
	v_cmpx_gt_u32_e64 s19, v20
	s_cbranch_execnz .LBB410_16
.LBB410_9:
	s_or_b32 exec_lo, exec_lo, s2
	s_delay_alu instid0(SALU_CYCLE_1)
	s_mov_b32 s2, exec_lo
	v_cmpx_gt_u32_e64 s19, v17
	s_cbranch_execz .LBB410_17
.LBB410_10:
	v_lshlrev_b32_e32 v7, 2, v17
	s_delay_alu instid0(VALU_DEP_1) | instskip(NEXT) | instid1(VALU_DEP_1)
	v_add_co_u32 v9, s22, s21, v7
	v_add_co_ci_u32_e64 v10, null, s3, 0, s22
	flat_load_b32 v7, v[9:10]
	s_or_b32 exec_lo, exec_lo, s2
	s_delay_alu instid0(SALU_CYCLE_1)
	s_mov_b32 s2, exec_lo
	v_cmpx_gt_u32_e64 s19, v21
	s_cbranch_execnz .LBB410_18
	s_branch .LBB410_19
.LBB410_11:
	s_or_b32 exec_lo, exec_lo, s22
	s_delay_alu instid0(SALU_CYCLE_1)
	s_mov_b32 s2, exec_lo
	v_cmpx_gt_u32_e64 s19, v23
	s_cbranch_execz .LBB410_5
.LBB410_12:
	v_lshlrev_b32_e32 v2, 2, v0
	s_delay_alu instid0(VALU_DEP_1) | instskip(NEXT) | instid1(VALU_DEP_1)
	v_add_co_u32 v9, s22, s21, v2
	v_add_co_ci_u32_e64 v10, null, s3, 0, s22
	flat_load_b32 v2, v[9:10] offset:1536
	s_or_b32 exec_lo, exec_lo, s2
	s_delay_alu instid0(SALU_CYCLE_1)
	s_mov_b32 s2, exec_lo
	v_cmpx_gt_u32_e64 s19, v22
	s_cbranch_execnz .LBB410_6
.LBB410_13:
	s_or_b32 exec_lo, exec_lo, s2
	s_delay_alu instid0(SALU_CYCLE_1)
	s_mov_b32 s2, exec_lo
	v_cmpx_gt_u32_e64 s19, v25
	s_cbranch_execz .LBB410_7
.LBB410_14:
	v_lshlrev_b32_e32 v4, 2, v25
	s_delay_alu instid0(VALU_DEP_1) | instskip(NEXT) | instid1(VALU_DEP_1)
	v_add_co_u32 v9, s22, s21, v4
	v_add_co_ci_u32_e64 v10, null, s3, 0, s22
	flat_load_b32 v4, v[9:10]
	s_or_b32 exec_lo, exec_lo, s2
	s_delay_alu instid0(SALU_CYCLE_1)
	s_mov_b32 s2, exec_lo
	v_cmpx_gt_u32_e64 s19, v24
	s_cbranch_execnz .LBB410_8
.LBB410_15:
	s_or_b32 exec_lo, exec_lo, s2
	s_delay_alu instid0(SALU_CYCLE_1)
	s_mov_b32 s2, exec_lo
	v_cmpx_gt_u32_e64 s19, v20
	s_cbranch_execz .LBB410_9
.LBB410_16:
	v_lshlrev_b32_e32 v6, 2, v20
	s_delay_alu instid0(VALU_DEP_1) | instskip(NEXT) | instid1(VALU_DEP_1)
	v_add_co_u32 v9, s22, s21, v6
	v_add_co_ci_u32_e64 v10, null, s3, 0, s22
	flat_load_b32 v6, v[9:10]
	s_or_b32 exec_lo, exec_lo, s2
	s_delay_alu instid0(SALU_CYCLE_1)
	s_mov_b32 s2, exec_lo
	v_cmpx_gt_u32_e64 s19, v17
	s_cbranch_execnz .LBB410_10
.LBB410_17:
	s_or_b32 exec_lo, exec_lo, s2
	s_delay_alu instid0(SALU_CYCLE_1)
	s_mov_b32 s2, exec_lo
	v_cmpx_gt_u32_e64 s19, v21
	s_cbranch_execz .LBB410_19
.LBB410_18:
	v_lshlrev_b32_e32 v8, 2, v21
	s_delay_alu instid0(VALU_DEP_1) | instskip(NEXT) | instid1(VALU_DEP_1)
	v_add_co_u32 v8, s22, s21, v8
	v_add_co_ci_u32_e64 v9, null, s3, 0, s22
	flat_load_b32 v8, v[8:9]
.LBB410_19:
	s_or_b32 exec_lo, exec_lo, s2
	v_lshrrev_b32_e32 v9, 3, v23
	v_lshrrev_b32_e32 v10, 3, v22
	;; [unrolled: 1-line block ×4, first 2 shown]
	v_and_b32_e32 v11, 60, v18
	v_lshlrev_b32_e32 v12, 2, v0
	v_lshrrev_b32_e32 v15, 3, v20
	v_lshrrev_b32_e32 v16, 3, v17
	;; [unrolled: 1-line block ×3, first 2 shown]
	v_and_b32_e32 v9, 0x7c, v9
	v_and_b32_e32 v10, 0xfc, v10
	;; [unrolled: 1-line block ×4, first 2 shown]
	v_add_nc_u32_e32 v11, v11, v12
	v_and_b32_e32 v15, 0x1fc, v15
	v_and_b32_e32 v16, 0x1fc, v16
	;; [unrolled: 1-line block ×3, first 2 shown]
	v_add_nc_u32_e32 v9, v9, v12
	v_add_nc_u32_e32 v10, v10, v12
	;; [unrolled: 1-line block ×7, first 2 shown]
	s_waitcnt vmcnt(0) lgkmcnt(0)
	ds_store_b32 v11, v1
	ds_store_b32 v9, v2 offset:1536
	ds_store_b32 v10, v3 offset:3072
	;; [unrolled: 1-line block ×7, first 2 shown]
	s_waitcnt lgkmcnt(0)
	s_barrier
.LBB410_20:
	v_lshlrev_b32_e32 v19, 3, v0
	v_lshrrev_b32_e32 v1, 2, v0
	s_waitcnt lgkmcnt(0)
	buffer_gl0_inv
	s_add_u32 s2, s8, s12
	s_addc_u32 s8, s9, s13
	s_add_u32 s2, s2, s4
	v_add_lshl_u32 v1, v1, v19, 2
	s_addc_u32 s4, s8, s5
	s_and_b32 vcc_lo, exec_lo, s18
	s_mov_b32 s5, -1
	ds_load_2addr_b32 v[15:16], v1 offset1:1
	ds_load_2addr_b32 v[13:14], v1 offset0:2 offset1:3
	ds_load_2addr_b32 v[11:12], v1 offset0:4 offset1:5
	;; [unrolled: 1-line block ×3, first 2 shown]
	s_waitcnt lgkmcnt(0)
	s_barrier
	buffer_gl0_inv
	s_cbranch_vccz .LBB410_22
; %bb.21:
	v_lshlrev_b32_e32 v8, 2, v0
	v_lshrrev_b32_e32 v29, 3, v23
	v_lshrrev_b32_e32 v30, 3, v22
	;; [unrolled: 1-line block ×4, first 2 shown]
	v_add_co_u32 v2, s5, s2, v8
	s_delay_alu instid0(VALU_DEP_1) | instskip(SKIP_1) | instid1(VALU_DEP_3)
	v_add_co_ci_u32_e64 v3, null, s4, 0, s5
	v_lshrrev_b32_e32 v33, 3, v20
	v_add_co_u32 v4, vcc_lo, 0x1000, v2
	s_delay_alu instid0(VALU_DEP_3)
	v_add_co_ci_u32_e32 v5, vcc_lo, 0, v3, vcc_lo
	v_add_co_u32 v6, vcc_lo, 0x2000, v2
	v_add_co_ci_u32_e32 v7, vcc_lo, 0, v3, vcc_lo
	s_clause 0x7
	flat_load_b32 v26, v[2:3]
	flat_load_b32 v27, v[2:3] offset:1536
	flat_load_b32 v2, v[2:3] offset:3072
	;; [unrolled: 1-line block ×7, first 2 shown]
	v_and_b32_e32 v7, 60, v18
	v_lshrrev_b32_e32 v34, 3, v17
	v_lshrrev_b32_e32 v35, 3, v21
	v_and_b32_e32 v29, 0x7c, v29
	v_and_b32_e32 v30, 0xfc, v30
	;; [unrolled: 1-line block ×4, first 2 shown]
	v_add_nc_u32_e32 v7, v7, v8
	v_and_b32_e32 v33, 0x1fc, v33
	v_and_b32_e32 v34, 0x17c, v34
	;; [unrolled: 1-line block ×3, first 2 shown]
	v_add_nc_u32_e32 v29, v29, v8
	v_add_nc_u32_e32 v30, v30, v8
	;; [unrolled: 1-line block ×4, first 2 shown]
	s_mov_b32 s5, 0
	v_add_nc_u32_e32 v33, v33, v8
	v_add_nc_u32_e32 v34, v34, v8
	v_add_nc_u32_e32 v8, v35, v8
	s_waitcnt vmcnt(7) lgkmcnt(7)
	ds_store_b32 v7, v26
	s_waitcnt vmcnt(6) lgkmcnt(7)
	ds_store_b32 v29, v27 offset:1536
	s_waitcnt vmcnt(5) lgkmcnt(7)
	ds_store_b32 v30, v2 offset:3072
	;; [unrolled: 2-line block ×7, first 2 shown]
	s_waitcnt lgkmcnt(0)
	s_barrier
.LBB410_22:
	s_and_not1_b32 vcc_lo, exec_lo, s5
	s_cbranch_vccnz .LBB410_40
; %bb.23:
	s_mov_b32 s5, exec_lo
                                        ; implicit-def: $vgpr2
	v_cmpx_gt_u32_e64 s19, v0
	s_cbranch_execz .LBB410_25
; %bb.24:
	v_lshlrev_b32_e32 v2, 2, v0
	s_delay_alu instid0(VALU_DEP_1) | instskip(NEXT) | instid1(VALU_DEP_1)
	v_add_co_u32 v2, s8, s2, v2
	v_add_co_ci_u32_e64 v3, null, s4, 0, s8
	flat_load_b32 v2, v[2:3]
.LBB410_25:
	s_or_b32 exec_lo, exec_lo, s5
	s_delay_alu instid0(SALU_CYCLE_1)
	s_mov_b32 s5, exec_lo
                                        ; implicit-def: $vgpr3
	v_cmpx_gt_u32_e64 s19, v23
	s_cbranch_execz .LBB410_27
; %bb.26:
	v_lshlrev_b32_e32 v3, 2, v0
	s_delay_alu instid0(VALU_DEP_1) | instskip(NEXT) | instid1(VALU_DEP_1)
	v_add_co_u32 v3, s8, s2, v3
	v_add_co_ci_u32_e64 v4, null, s4, 0, s8
	flat_load_b32 v3, v[3:4] offset:1536
.LBB410_27:
	s_or_b32 exec_lo, exec_lo, s5
	s_delay_alu instid0(SALU_CYCLE_1)
	s_mov_b32 s5, exec_lo
                                        ; implicit-def: $vgpr4
	v_cmpx_gt_u32_e64 s19, v22
	s_cbranch_execz .LBB410_29
; %bb.28:
	v_lshlrev_b32_e32 v4, 2, v0
	s_delay_alu instid0(VALU_DEP_1) | instskip(NEXT) | instid1(VALU_DEP_1)
	v_add_co_u32 v4, s8, s2, v4
	v_add_co_ci_u32_e64 v5, null, s4, 0, s8
	flat_load_b32 v4, v[4:5] offset:3072
.LBB410_29:
	s_or_b32 exec_lo, exec_lo, s5
	s_delay_alu instid0(SALU_CYCLE_1)
	s_mov_b32 s5, exec_lo
                                        ; implicit-def: $vgpr5
	v_cmpx_gt_u32_e64 s19, v25
	s_cbranch_execz .LBB410_31
; %bb.30:
	v_lshlrev_b32_e32 v5, 2, v25
	s_delay_alu instid0(VALU_DEP_1) | instskip(NEXT) | instid1(VALU_DEP_1)
	v_add_co_u32 v5, s8, s2, v5
	v_add_co_ci_u32_e64 v6, null, s4, 0, s8
	flat_load_b32 v5, v[5:6]
.LBB410_31:
	s_or_b32 exec_lo, exec_lo, s5
	s_delay_alu instid0(SALU_CYCLE_1)
	s_mov_b32 s5, exec_lo
                                        ; implicit-def: $vgpr6
	v_cmpx_gt_u32_e64 s19, v24
	s_cbranch_execz .LBB410_33
; %bb.32:
	v_lshlrev_b32_e32 v6, 2, v24
	s_delay_alu instid0(VALU_DEP_1) | instskip(NEXT) | instid1(VALU_DEP_1)
	v_add_co_u32 v6, s8, s2, v6
	v_add_co_ci_u32_e64 v7, null, s4, 0, s8
	flat_load_b32 v6, v[6:7]
.LBB410_33:
	s_or_b32 exec_lo, exec_lo, s5
	s_delay_alu instid0(SALU_CYCLE_1)
	s_mov_b32 s5, exec_lo
                                        ; implicit-def: $vgpr7
	v_cmpx_gt_u32_e64 s19, v20
	s_cbranch_execz .LBB410_35
; %bb.34:
	v_lshlrev_b32_e32 v7, 2, v20
	s_delay_alu instid0(VALU_DEP_1) | instskip(NEXT) | instid1(VALU_DEP_1)
	v_add_co_u32 v7, s8, s2, v7
	v_add_co_ci_u32_e64 v8, null, s4, 0, s8
	flat_load_b32 v7, v[7:8]
.LBB410_35:
	s_or_b32 exec_lo, exec_lo, s5
	s_delay_alu instid0(SALU_CYCLE_1)
	s_mov_b32 s5, exec_lo
                                        ; implicit-def: $vgpr8
	v_cmpx_gt_u32_e64 s19, v17
	s_cbranch_execz .LBB410_37
; %bb.36:
	v_lshlrev_b32_e32 v8, 2, v17
	s_delay_alu instid0(VALU_DEP_1) | instskip(NEXT) | instid1(VALU_DEP_1)
	v_add_co_u32 v26, s8, s2, v8
	v_add_co_ci_u32_e64 v27, null, s4, 0, s8
	flat_load_b32 v8, v[26:27]
.LBB410_37:
	s_or_b32 exec_lo, exec_lo, s5
	s_delay_alu instid0(SALU_CYCLE_1)
	s_mov_b32 s5, exec_lo
                                        ; implicit-def: $vgpr26
	v_cmpx_gt_u32_e64 s19, v21
	s_cbranch_execz .LBB410_39
; %bb.38:
	v_lshlrev_b32_e32 v26, 2, v21
	s_delay_alu instid0(VALU_DEP_1) | instskip(NEXT) | instid1(VALU_DEP_1)
	v_add_co_u32 v26, s2, s2, v26
	v_add_co_ci_u32_e64 v27, null, s4, 0, s2
	flat_load_b32 v26, v[26:27]
.LBB410_39:
	s_or_b32 exec_lo, exec_lo, s5
	v_lshrrev_b32_e32 v23, 3, v23
	v_lshrrev_b32_e32 v22, 3, v22
	;; [unrolled: 1-line block ×4, first 2 shown]
	v_and_b32_e32 v18, 60, v18
	v_lshlrev_b32_e32 v27, 2, v0
	v_lshrrev_b32_e32 v20, 3, v20
	v_lshrrev_b32_e32 v17, 3, v17
	;; [unrolled: 1-line block ×3, first 2 shown]
	v_and_b32_e32 v23, 0x7c, v23
	v_and_b32_e32 v22, 0xfc, v22
	;; [unrolled: 1-line block ×4, first 2 shown]
	v_add_nc_u32_e32 v18, v18, v27
	v_and_b32_e32 v20, 0x1fc, v20
	v_and_b32_e32 v17, 0x1fc, v17
	;; [unrolled: 1-line block ×3, first 2 shown]
	v_add_nc_u32_e32 v23, v23, v27
	v_add_nc_u32_e32 v22, v22, v27
	v_add_nc_u32_e32 v25, v25, v27
	v_add_nc_u32_e32 v24, v24, v27
	v_add_nc_u32_e32 v20, v20, v27
	v_add_nc_u32_e32 v17, v17, v27
	v_add_nc_u32_e32 v21, v21, v27
	s_waitcnt vmcnt(0) lgkmcnt(0)
	ds_store_b32 v18, v2
	ds_store_b32 v23, v3 offset:1536
	ds_store_b32 v22, v4 offset:3072
	;; [unrolled: 1-line block ×7, first 2 shown]
	s_waitcnt lgkmcnt(0)
	s_barrier
.LBB410_40:
	buffer_gl0_inv
	ds_load_2addr_b32 v[7:8], v1 offset1:1
	ds_load_2addr_b32 v[5:6], v1 offset0:2 offset1:3
	ds_load_2addr_b32 v[3:4], v1 offset0:4 offset1:5
	ds_load_2addr_b32 v[1:2], v1 offset0:6 offset1:7
	s_cmp_lg_u32 s15, 0
	s_mov_b32 s12, 0
	s_cselect_b32 s9, -1, 0
	s_cmp_lg_u64 s[6:7], 0
	s_waitcnt lgkmcnt(0)
	s_cselect_b32 s2, -1, 0
	s_barrier
	s_or_b32 s2, s9, s2
	buffer_gl0_inv
	s_and_b32 vcc_lo, exec_lo, s2
	s_cbranch_vccz .LBB410_45
; %bb.41:
	v_add_co_u32 v17, s2, -4, s21
	s_delay_alu instid0(VALU_DEP_1)
	v_add_co_ci_u32_e64 v18, null, -1, s3, s2
	v_lshlrev_b32_e32 v21, 2, v0
	s_mov_b32 s3, -1
	s_and_b32 vcc_lo, exec_lo, s18
	flat_load_b32 v20, v[17:18]
	ds_store_b32 v21, v10
	s_cbranch_vccz .LBB410_46
; %bb.42:
	s_waitcnt vmcnt(0) lgkmcnt(1)
	v_mov_b32_e32 v17, v20
	s_mov_b32 s3, 0
	s_mov_b32 s2, exec_lo
	s_waitcnt lgkmcnt(0)
	s_barrier
	buffer_gl0_inv
	v_cmpx_ne_u32_e32 0, v0
	s_cbranch_execz .LBB410_44
; %bb.43:
	v_add_nc_u32_e32 v17, -4, v21
	ds_load_b32 v17, v17
.LBB410_44:
	s_or_b32 exec_lo, exec_lo, s2
	v_cmp_ne_u32_e32 vcc_lo, v9, v10
	s_waitcnt lgkmcnt(0)
	v_cmp_ne_u32_e64 s2, v17, v15
	v_cndmask_b32_e64 v18, 0, 1, vcc_lo
	v_cmp_ne_u32_e32 vcc_lo, v12, v9
	s_delay_alu instid0(VALU_DEP_2) | instskip(SKIP_2) | instid1(VALU_DEP_2)
	v_lshlrev_b16 v18, 8, v18
	v_cndmask_b32_e64 v22, 0, 1, vcc_lo
	v_cmp_ne_u32_e32 vcc_lo, v11, v12
	v_or_b32_e32 v18, v22, v18
	v_cndmask_b32_e64 v23, 0, 1, vcc_lo
	v_cmp_ne_u32_e32 vcc_lo, v13, v14
	s_delay_alu instid0(VALU_DEP_3) | instskip(NEXT) | instid1(VALU_DEP_3)
	v_lshlrev_b32_e32 v18, 16, v18
	v_lshlrev_b16 v23, 8, v23
	v_cndmask_b32_e64 v24, 0, 1, vcc_lo
	v_cmp_ne_u32_e32 vcc_lo, v14, v11
	s_delay_alu instid0(VALU_DEP_2) | instskip(SKIP_2) | instid1(VALU_DEP_2)
	v_lshlrev_b16 v24, 8, v24
	v_cndmask_b32_e64 v25, 0, 1, vcc_lo
	v_cmp_ne_u32_e32 vcc_lo, v16, v13
	v_or_b32_e32 v23, v25, v23
	v_cndmask_b32_e64 v26, 0, 1, vcc_lo
	v_cmp_ne_u32_e32 vcc_lo, v15, v16
	s_delay_alu instid0(VALU_DEP_3) | instskip(NEXT) | instid1(VALU_DEP_3)
	v_and_b32_e32 v23, 0xffff, v23
	v_or_b32_e32 v24, v26, v24
	v_cndmask_b32_e64 v27, 0, 1, vcc_lo
	s_delay_alu instid0(VALU_DEP_3) | instskip(NEXT) | instid1(VALU_DEP_3)
	v_or_b32_e32 v18, v23, v18
	v_lshlrev_b32_e32 v22, 16, v24
	s_delay_alu instid0(VALU_DEP_3) | instskip(NEXT) | instid1(VALU_DEP_1)
	v_lshlrev_b16 v26, 8, v27
	v_and_b32_e32 v24, 0xffff, v26
	s_delay_alu instid0(VALU_DEP_1)
	v_or_b32_e32 v17, v24, v22
	s_and_b32 vcc_lo, exec_lo, s3
	s_cbranch_vccnz .LBB410_47
	s_branch .LBB410_50
.LBB410_45:
                                        ; implicit-def: $sgpr2
                                        ; implicit-def: $vgpr18
	s_branch .LBB410_51
.LBB410_46:
                                        ; implicit-def: $sgpr2
                                        ; implicit-def: $vgpr18
	s_and_b32 vcc_lo, exec_lo, s3
	s_cbranch_vccz .LBB410_50
.LBB410_47:
	s_mov_b32 s2, exec_lo
	s_waitcnt vmcnt(0) lgkmcnt(0)
	s_barrier
	buffer_gl0_inv
	v_cmpx_ne_u32_e32 0, v0
	s_cbranch_execz .LBB410_49
; %bb.48:
	v_add_nc_u32_e32 v17, -4, v21
	ds_load_b32 v20, v17
.LBB410_49:
	s_or_b32 exec_lo, exec_lo, s2
	v_or_b32_e32 v17, 7, v19
	v_or_b32_e32 v18, 6, v19
	;; [unrolled: 1-line block ×3, first 2 shown]
	v_cmp_ne_u32_e32 vcc_lo, v9, v10
	v_cmp_ne_u32_e64 s3, v12, v9
	v_cmp_gt_u32_e64 s2, s19, v17
	v_cmp_gt_u32_e64 s5, s19, v18
	v_cmp_ne_u32_e64 s4, v11, v12
	v_cmp_gt_u32_e64 s6, s19, v21
	v_or_b32_e32 v18, 3, v19
	s_and_b32 s2, s2, vcc_lo
	v_or_b32_e32 v22, 4, v19
	v_cndmask_b32_e64 v17, 0, 1, s2
	s_and_b32 s2, s5, s3
	v_cmp_gt_u32_e32 vcc_lo, s19, v18
	v_cndmask_b32_e64 v21, 0, 1, s2
	s_and_b32 s2, s6, s4
	v_or_b32_e32 v18, 2, v19
	v_cndmask_b32_e64 v23, 0, 1, s2
	v_cmp_ne_u32_e64 s2, v13, v14
	v_cmp_gt_u32_e64 s3, s19, v22
	v_or_b32_e32 v22, 1, v19
	v_cmp_ne_u32_e64 s4, v14, v11
	v_cmp_ne_u32_e64 s6, v15, v16
	s_and_b32 s2, vcc_lo, s2
	v_cmp_gt_u32_e32 vcc_lo, s19, v18
	v_cndmask_b32_e64 v24, 0, 1, s2
	v_cmp_ne_u32_e64 s2, v16, v13
	v_cmp_gt_u32_e64 s5, s19, v22
	s_and_b32 s3, s3, s4
	v_lshlrev_b16 v23, 8, v23
	v_cndmask_b32_e64 v18, 0, 1, s3
	s_and_b32 s2, vcc_lo, s2
	v_lshlrev_b16 v24, 8, v24
	v_cndmask_b32_e64 v22, 0, 1, s2
	s_and_b32 s2, s5, s6
	v_lshlrev_b16 v17, 8, v17
	v_cndmask_b32_e64 v25, 0, 1, s2
	v_or_b32_e32 v18, v18, v23
	v_or_b32_e32 v22, v22, v24
	v_cmp_gt_u32_e32 vcc_lo, s19, v19
	v_or_b32_e32 v17, v21, v17
	v_lshlrev_b16 v24, 8, v25
	v_and_b32_e32 v18, 0xffff, v18
	v_lshlrev_b32_e32 v21, 16, v22
	s_waitcnt lgkmcnt(0)
	v_cmp_ne_u32_e64 s2, v20, v15
	v_lshlrev_b32_e32 v23, 16, v17
	v_and_b32_e32 v22, 0xffff, v24
	s_delay_alu instid0(VALU_DEP_3) | instskip(NEXT) | instid1(VALU_DEP_2)
	s_and_b32 s2, vcc_lo, s2
	v_or_b32_e32 v18, v18, v23
	s_delay_alu instid0(VALU_DEP_2)
	v_or_b32_e32 v17, v22, v21
.LBB410_50:
	s_mov_b32 s12, -1
	s_cbranch_execnz .LBB410_59
.LBB410_51:
	s_waitcnt vmcnt(0) lgkmcnt(1)
	v_lshlrev_b32_e32 v20, 2, v0
	v_cmp_ne_u32_e64 s3, v9, v10
	v_cmp_ne_u32_e64 s4, v12, v9
	;; [unrolled: 1-line block ×7, first 2 shown]
	s_and_b32 vcc_lo, exec_lo, s18
	ds_store_b32 v20, v10
	s_cbranch_vccz .LBB410_55
; %bb.52:
	v_cndmask_b32_e64 v17, 0, 1, s3
	v_cndmask_b32_e64 v21, 0, 1, s5
	;; [unrolled: 1-line block ×7, first 2 shown]
	v_lshlrev_b16 v21, 8, v21
	v_lshlrev_b16 v17, 8, v17
	;; [unrolled: 1-line block ×4, first 2 shown]
	s_mov_b32 s3, 0
	v_or_b32_e32 v21, v22, v21
	v_or_b32_e32 v17, v18, v17
	;; [unrolled: 1-line block ×4, first 2 shown]
	s_mov_b32 s4, exec_lo
	v_and_b32_e32 v21, 0xffff, v21
	v_lshlrev_b32_e32 v17, 16, v17
	v_lshlrev_b32_e32 v23, 16, v18
	v_and_b32_e32 v22, 0xffff, v22
	s_waitcnt lgkmcnt(0)
	s_barrier
	v_or_b32_e32 v18, v21, v17
	buffer_gl0_inv
	v_or_b32_e32 v17, v22, v23
                                        ; implicit-def: $sgpr2
	v_cmpx_ne_u32_e32 0, v0
	s_xor_b32 s4, exec_lo, s4
	s_cbranch_execz .LBB410_54
; %bb.53:
	v_add_nc_u32_e32 v21, -4, v20
	s_or_b32 s12, s12, exec_lo
	ds_load_b32 v21, v21
	s_waitcnt lgkmcnt(0)
	v_cmp_ne_u32_e32 vcc_lo, v21, v15
	s_and_b32 s2, vcc_lo, exec_lo
.LBB410_54:
	s_or_b32 exec_lo, exec_lo, s4
	s_delay_alu instid0(SALU_CYCLE_1)
	s_and_b32 vcc_lo, exec_lo, s3
	s_cbranch_vccnz .LBB410_56
	s_branch .LBB410_59
.LBB410_55:
                                        ; implicit-def: $sgpr2
                                        ; implicit-def: $vgpr18
	s_cbranch_execz .LBB410_59
.LBB410_56:
	v_or_b32_e32 v17, 7, v19
	v_or_b32_e32 v18, 6, v19
	v_cmp_ne_u32_e32 vcc_lo, v9, v10
	v_cmp_ne_u32_e64 s3, v12, v9
	v_or_b32_e32 v21, 5, v19
	v_cmp_gt_u32_e64 s2, s19, v17
	v_cmp_gt_u32_e64 s4, s19, v18
	v_or_b32_e32 v17, 4, v19
	v_or_b32_e32 v22, 3, v19
	v_cmp_gt_u32_e64 s5, s19, v21
	s_and_b32 s2, s2, vcc_lo
	v_cmp_ne_u32_e32 vcc_lo, v11, v12
	v_cndmask_b32_e64 v18, 0, 1, s2
	s_and_b32 s2, s4, s3
	v_cmp_ne_u32_e64 s3, v14, v11
	v_cndmask_b32_e64 v21, 0, 1, s2
	v_cmp_gt_u32_e64 s2, s19, v17
	v_or_b32_e32 v23, 1, v19
	s_and_b32 s4, s5, vcc_lo
	v_cmp_gt_u32_e32 vcc_lo, s19, v22
	v_cndmask_b32_e64 v17, 0, 1, s4
	s_and_b32 s2, s2, s3
	v_or_b32_e32 v25, 2, v19
	v_cndmask_b32_e64 v24, 0, 1, s2
	v_cmp_ne_u32_e64 s2, v13, v14
	v_cmp_gt_u32_e64 s3, s19, v23
	v_cmp_ne_u32_e64 s4, v15, v16
	v_cmp_gt_u32_e64 s5, s19, v25
	v_cmp_ne_u32_e64 s6, v16, v13
	s_and_b32 s2, vcc_lo, s2
	v_lshlrev_b16 v17, 8, v17
	v_cndmask_b32_e64 v22, 0, 1, s2
	s_and_b32 s2, s3, s4
	v_lshlrev_b16 v18, 8, v18
	v_cndmask_b32_e64 v23, 0, 1, s2
	s_and_b32 s2, s5, s6
	v_lshlrev_b16 v22, 8, v22
	v_cndmask_b32_e64 v25, 0, 1, s2
	v_or_b32_e32 v17, v24, v17
	v_lshlrev_b16 v23, 8, v23
	v_or_b32_e32 v18, v21, v18
	s_mov_b32 s3, exec_lo
	v_or_b32_e32 v21, v25, v22
	v_and_b32_e32 v17, 0xffff, v17
	v_or_b32_e32 v22, 1, v23
	v_lshlrev_b32_e32 v18, 16, v18
	s_waitcnt lgkmcnt(0)
	v_lshlrev_b32_e32 v21, 16, v21
	s_barrier
	v_and_b32_e32 v22, 0xffff, v22
	v_or_b32_e32 v18, v17, v18
	buffer_gl0_inv
                                        ; implicit-def: $sgpr2
	v_or_b32_e32 v17, v22, v21
	v_cmpx_ne_u32_e32 0, v0
	s_cbranch_execz .LBB410_58
; %bb.57:
	v_add_nc_u32_e32 v20, -4, v20
	v_cmp_gt_u32_e32 vcc_lo, s19, v19
	s_or_b32 s12, s12, exec_lo
	ds_load_b32 v20, v20
	s_waitcnt lgkmcnt(0)
	v_cmp_ne_u32_e64 s2, v20, v15
	s_delay_alu instid0(VALU_DEP_1) | instskip(NEXT) | instid1(SALU_CYCLE_1)
	s_and_b32 s2, vcc_lo, s2
	s_and_b32 s2, s2, exec_lo
.LBB410_58:
	s_or_b32 exec_lo, exec_lo, s3
.LBB410_59:
	s_and_saveexec_b32 s3, s12
	s_cbranch_execz .LBB410_61
; %bb.60:
	s_waitcnt vmcnt(0) lgkmcnt(1)
	v_and_b32_e32 v20, 0xffffff00, v17
	v_cndmask_b32_e64 v21, 0, 1, s2
	s_delay_alu instid0(VALU_DEP_1) | instskip(NEXT) | instid1(VALU_DEP_1)
	v_or_b32_e32 v20, v21, v20
	v_and_b32_e32 v20, 0xffff, v20
	s_delay_alu instid0(VALU_DEP_1)
	v_and_or_b32 v17, 0xffff0000, v17, v20
.LBB410_61:
	s_or_b32 exec_lo, exec_lo, s3
	s_load_b64 s[12:13], s[0:1], 0x60
	s_and_not1_b32 vcc_lo, exec_lo, s20
	s_cbranch_vccnz .LBB410_63
; %bb.62:
	v_cmp_gt_u32_e32 vcc_lo, s19, v19
	v_or_b32_e32 v21, 1, v19
	v_and_b32_e32 v22, 0xffffff00, v18
	v_or_b32_e32 v23, 2, v19
	s_waitcnt vmcnt(0) lgkmcnt(0)
	v_cndmask_b32_e32 v20, 0, v17, vcc_lo
	v_cmp_gt_u32_e32 vcc_lo, s19, v21
	v_or_b32_e32 v21, 4, v19
	v_cmp_gt_u32_e64 s2, s19, v23
	v_or_b32_e32 v23, 3, v19
	v_and_b32_e32 v20, 0xff, v20
	s_delay_alu instid0(VALU_DEP_2) | instskip(NEXT) | instid1(VALU_DEP_2)
	v_cmp_gt_u32_e64 s3, s19, v23
	v_cndmask_b32_e32 v20, v20, v17, vcc_lo
	v_cmp_gt_u32_e32 vcc_lo, s19, v21
	s_delay_alu instid0(VALU_DEP_2) | instskip(SKIP_1) | instid1(VALU_DEP_2)
	v_dual_cndmask_b32 v21, v22, v18 :: v_dual_and_b32 v20, 0xffff, v20
	v_or_b32_e32 v22, 5, v19
	v_cndmask_b32_e64 v20, v20, v17, s2
	s_delay_alu instid0(VALU_DEP_3) | instskip(NEXT) | instid1(VALU_DEP_3)
	v_and_b32_e32 v21, 0xffff00ff, v21
	v_cmp_gt_u32_e64 s2, s19, v22
	v_or_b32_e32 v22, 6, v19
	v_or_b32_e32 v19, 7, v19
	v_and_b32_e32 v20, 0xffffff, v20
	s_delay_alu instid0(VALU_DEP_4) | instskip(NEXT) | instid1(VALU_DEP_2)
	v_cndmask_b32_e64 v21, v21, v18, s2
	v_cndmask_b32_e64 v20, v20, v17, s3
	s_delay_alu instid0(VALU_DEP_2) | instskip(NEXT) | instid1(VALU_DEP_2)
	v_and_b32_e32 v21, 0xff00ffff, v21
	v_cndmask_b32_e32 v20, v20, v17, vcc_lo
	v_cmp_gt_u32_e32 vcc_lo, s19, v22
	s_delay_alu instid0(VALU_DEP_2) | instskip(NEXT) | instid1(VALU_DEP_1)
	v_cndmask_b32_e64 v20, v20, v17, s2
	v_dual_cndmask_b32 v21, v21, v18 :: v_dual_cndmask_b32 v20, v20, v17
	s_delay_alu instid0(VALU_DEP_1) | instskip(SKIP_1) | instid1(VALU_DEP_2)
	v_and_b32_e32 v21, 0xffffff, v21
	v_cmp_gt_u32_e32 vcc_lo, s19, v19
	v_dual_cndmask_b32 v18, v21, v18 :: v_dual_cndmask_b32 v17, v20, v17
.LBB410_63:
	s_delay_alu instid0(VALU_DEP_1) | instskip(NEXT) | instid1(VALU_DEP_2)
	v_and_b32_e32 v28, 0xff, v17
	v_alignbit_b32 v19, v18, v17, 24
	v_bfe_u32 v30, v17, 8, 8
	v_bfe_u32 v32, v17, 16, 8
	v_and_b32_e32 v36, 0xff, v18
	v_bfe_u32 v38, v18, 8, 8
	v_and_b32_e32 v34, 0xff, v19
	v_add_nc_u32_e32 v19, v30, v28
	s_waitcnt vmcnt(0) lgkmcnt(0)
	v_and_b32_e32 v20, 0x1e0, v0
	v_mbcnt_lo_u32_b32 v41, -1, 0
	v_bfe_u32 v40, v18, 16, 8
	v_lshrrev_b32_e32 v39, 24, v18
	v_add3_u32 v19, v19, v32, v34
	v_min_u32_e32 v20, 0x160, v20
	v_and_b32_e32 v21, 15, v41
	v_lshrrev_b32_e32 v42, 5, v0
	s_and_b32 vcc_lo, exec_lo, s9
	v_add3_u32 v19, v19, v36, v38
	v_or_b32_e32 v20, 31, v20
	v_cmp_eq_u32_e64 s4, 0, v21
	v_cmp_lt_u32_e64 s5, 1, v21
	v_cmp_lt_u32_e64 s3, 3, v21
	v_add3_u32 v43, v19, v40, v39
	v_and_b32_e32 v19, 16, v41
	v_cmp_lt_u32_e64 s2, 7, v21
	v_cmp_eq_u32_e64 s6, v20, v0
	s_mov_b32 s8, -1
	s_delay_alu instid0(VALU_DEP_3)
	v_cmp_eq_u32_e64 s7, 0, v19
	s_barrier
	buffer_gl0_inv
	s_cbranch_vccz .LBB410_89
; %bb.64:
	v_mov_b32_dpp v19, v43 row_shr:1 row_mask:0xf bank_mask:0xf
	s_delay_alu instid0(VALU_DEP_1) | instskip(NEXT) | instid1(VALU_DEP_1)
	v_cndmask_b32_e64 v19, v19, 0, s4
	v_add_nc_u32_e32 v19, v19, v43
	s_delay_alu instid0(VALU_DEP_1) | instskip(NEXT) | instid1(VALU_DEP_1)
	v_mov_b32_dpp v20, v19 row_shr:2 row_mask:0xf bank_mask:0xf
	v_cndmask_b32_e64 v20, 0, v20, s5
	s_delay_alu instid0(VALU_DEP_1) | instskip(NEXT) | instid1(VALU_DEP_1)
	v_add_nc_u32_e32 v19, v19, v20
	v_mov_b32_dpp v20, v19 row_shr:4 row_mask:0xf bank_mask:0xf
	s_delay_alu instid0(VALU_DEP_1) | instskip(NEXT) | instid1(VALU_DEP_1)
	v_cndmask_b32_e64 v20, 0, v20, s3
	v_add_nc_u32_e32 v19, v19, v20
	s_delay_alu instid0(VALU_DEP_1) | instskip(NEXT) | instid1(VALU_DEP_1)
	v_mov_b32_dpp v20, v19 row_shr:8 row_mask:0xf bank_mask:0xf
	v_cndmask_b32_e64 v20, 0, v20, s2
	s_delay_alu instid0(VALU_DEP_1) | instskip(SKIP_3) | instid1(VALU_DEP_1)
	v_add_nc_u32_e32 v19, v19, v20
	ds_swizzle_b32 v20, v19 offset:swizzle(BROADCAST,32,15)
	s_waitcnt lgkmcnt(0)
	v_cndmask_b32_e64 v20, v20, 0, s7
	v_add_nc_u32_e32 v19, v19, v20
	s_and_saveexec_b32 s8, s6
	s_cbranch_execz .LBB410_66
; %bb.65:
	v_lshlrev_b32_e32 v20, 2, v42
	ds_store_b32 v20, v19
.LBB410_66:
	s_or_b32 exec_lo, exec_lo, s8
	s_delay_alu instid0(SALU_CYCLE_1)
	s_mov_b32 s8, exec_lo
	s_waitcnt lgkmcnt(0)
	s_barrier
	buffer_gl0_inv
	v_cmpx_gt_u32_e32 12, v0
	s_cbranch_execz .LBB410_68
; %bb.67:
	v_lshlrev_b32_e32 v20, 2, v0
	ds_load_b32 v21, v20
	s_waitcnt lgkmcnt(0)
	v_mov_b32_dpp v22, v21 row_shr:1 row_mask:0xf bank_mask:0xf
	s_delay_alu instid0(VALU_DEP_1) | instskip(NEXT) | instid1(VALU_DEP_1)
	v_cndmask_b32_e64 v22, v22, 0, s4
	v_add_nc_u32_e32 v21, v22, v21
	s_delay_alu instid0(VALU_DEP_1) | instskip(NEXT) | instid1(VALU_DEP_1)
	v_mov_b32_dpp v22, v21 row_shr:2 row_mask:0xf bank_mask:0xf
	v_cndmask_b32_e64 v22, 0, v22, s5
	s_delay_alu instid0(VALU_DEP_1) | instskip(NEXT) | instid1(VALU_DEP_1)
	v_add_nc_u32_e32 v21, v21, v22
	v_mov_b32_dpp v22, v21 row_shr:4 row_mask:0xf bank_mask:0xf
	s_delay_alu instid0(VALU_DEP_1) | instskip(NEXT) | instid1(VALU_DEP_1)
	v_cndmask_b32_e64 v22, 0, v22, s3
	v_add_nc_u32_e32 v21, v21, v22
	s_delay_alu instid0(VALU_DEP_1) | instskip(NEXT) | instid1(VALU_DEP_1)
	v_mov_b32_dpp v22, v21 row_shr:8 row_mask:0xf bank_mask:0xf
	v_cndmask_b32_e64 v22, 0, v22, s2
	s_delay_alu instid0(VALU_DEP_1)
	v_add_nc_u32_e32 v21, v21, v22
	ds_store_b32 v20, v21
.LBB410_68:
	s_or_b32 exec_lo, exec_lo, s8
	v_cmp_gt_u32_e32 vcc_lo, 32, v0
	s_mov_b32 s9, exec_lo
	s_waitcnt lgkmcnt(0)
	s_barrier
	buffer_gl0_inv
                                        ; implicit-def: $vgpr27
	v_cmpx_lt_u32_e32 31, v0
	s_cbranch_execz .LBB410_70
; %bb.69:
	v_lshl_add_u32 v20, v42, 2, -4
	ds_load_b32 v27, v20
	s_waitcnt lgkmcnt(0)
	v_add_nc_u32_e32 v19, v27, v19
.LBB410_70:
	s_or_b32 exec_lo, exec_lo, s9
	v_add_nc_u32_e32 v20, -1, v41
	s_delay_alu instid0(VALU_DEP_1) | instskip(NEXT) | instid1(VALU_DEP_1)
	v_cmp_gt_i32_e64 s8, 0, v20
	v_cndmask_b32_e64 v20, v20, v41, s8
	v_cmp_eq_u32_e64 s8, 0, v41
	s_delay_alu instid0(VALU_DEP_2)
	v_lshlrev_b32_e32 v20, 2, v20
	ds_bpermute_b32 v29, v20, v19
	s_and_saveexec_b32 s9, vcc_lo
	s_cbranch_execz .LBB410_88
; %bb.71:
	v_mov_b32_e32 v23, 0
	ds_load_b32 v19, v23 offset:44
	s_and_saveexec_b32 s19, s8
	s_cbranch_execz .LBB410_73
; %bb.72:
	s_add_i32 s20, s15, 32
	s_mov_b32 s21, 0
	v_mov_b32_e32 v20, 1
	s_lshl_b64 s[20:21], s[20:21], 3
	s_delay_alu instid0(SALU_CYCLE_1)
	s_add_u32 s20, s12, s20
	s_addc_u32 s21, s13, s21
	s_waitcnt lgkmcnt(0)
	global_store_b64 v23, v[19:20], s[20:21]
.LBB410_73:
	s_or_b32 exec_lo, exec_lo, s19
	v_xad_u32 v21, v41, -1, s15
	s_mov_b32 s20, 0
	s_mov_b32 s19, exec_lo
	s_delay_alu instid0(VALU_DEP_1) | instskip(NEXT) | instid1(VALU_DEP_1)
	v_add_nc_u32_e32 v22, 32, v21
	v_lshlrev_b64 v[22:23], 3, v[22:23]
	s_delay_alu instid0(VALU_DEP_1) | instskip(NEXT) | instid1(VALU_DEP_2)
	v_add_co_u32 v25, vcc_lo, s12, v22
	v_add_co_ci_u32_e32 v26, vcc_lo, s13, v23, vcc_lo
	global_load_b64 v[23:24], v[25:26], off glc
	s_waitcnt vmcnt(0)
	v_and_b32_e32 v20, 0xff, v24
	s_delay_alu instid0(VALU_DEP_1)
	v_cmpx_eq_u16_e32 0, v20
	s_cbranch_execz .LBB410_76
.LBB410_74:                             ; =>This Inner Loop Header: Depth=1
	global_load_b64 v[23:24], v[25:26], off glc
	s_waitcnt vmcnt(0)
	v_and_b32_e32 v20, 0xff, v24
	s_delay_alu instid0(VALU_DEP_1) | instskip(SKIP_1) | instid1(SALU_CYCLE_1)
	v_cmp_ne_u16_e32 vcc_lo, 0, v20
	s_or_b32 s20, vcc_lo, s20
	s_and_not1_b32 exec_lo, exec_lo, s20
	s_cbranch_execnz .LBB410_74
; %bb.75:
	s_or_b32 exec_lo, exec_lo, s20
.LBB410_76:
	s_delay_alu instid0(SALU_CYCLE_1)
	s_or_b32 exec_lo, exec_lo, s19
	v_cmp_ne_u32_e32 vcc_lo, 31, v41
	v_lshlrev_b32_e64 v33, v41, -1
	v_add_nc_u32_e32 v37, 2, v41
	v_add_nc_u32_e32 v45, 4, v41
	;; [unrolled: 1-line block ×3, first 2 shown]
	v_add_co_ci_u32_e32 v20, vcc_lo, 0, v41, vcc_lo
	v_add_nc_u32_e32 v49, 16, v41
	s_delay_alu instid0(VALU_DEP_2)
	v_lshlrev_b32_e32 v31, 2, v20
	v_and_b32_e32 v20, 0xff, v24
	ds_bpermute_b32 v22, v31, v23
	v_cmp_eq_u16_e32 vcc_lo, 2, v20
	v_and_or_b32 v20, vcc_lo, v33, 0x80000000
	v_cmp_gt_u32_e32 vcc_lo, 30, v41
	s_delay_alu instid0(VALU_DEP_2) | instskip(SKIP_1) | instid1(VALU_DEP_2)
	v_ctz_i32_b32_e32 v20, v20
	v_cndmask_b32_e64 v25, 0, 1, vcc_lo
	v_cmp_lt_u32_e32 vcc_lo, v41, v20
	s_waitcnt lgkmcnt(0)
	s_delay_alu instid0(VALU_DEP_2) | instskip(NEXT) | instid1(VALU_DEP_1)
	v_dual_cndmask_b32 v22, 0, v22 :: v_dual_lshlrev_b32 v25, 1, v25
	v_add_lshl_u32 v35, v25, v41, 2
	v_cmp_gt_u32_e32 vcc_lo, 28, v41
	s_delay_alu instid0(VALU_DEP_3) | instskip(SKIP_4) | instid1(VALU_DEP_1)
	v_add_nc_u32_e32 v22, v22, v23
	v_cndmask_b32_e64 v25, 0, 1, vcc_lo
	v_cmp_le_u32_e32 vcc_lo, v37, v20
	ds_bpermute_b32 v23, v35, v22
	v_lshlrev_b32_e32 v25, 2, v25
	v_add_lshl_u32 v44, v25, v41, 2
	s_waitcnt lgkmcnt(0)
	v_cndmask_b32_e32 v23, 0, v23, vcc_lo
	v_cmp_gt_u32_e32 vcc_lo, 24, v41
	s_delay_alu instid0(VALU_DEP_2) | instskip(SKIP_4) | instid1(VALU_DEP_1)
	v_add_nc_u32_e32 v22, v22, v23
	v_cndmask_b32_e64 v25, 0, 1, vcc_lo
	v_cmp_le_u32_e32 vcc_lo, v45, v20
	ds_bpermute_b32 v23, v44, v22
	v_lshlrev_b32_e32 v25, 3, v25
	v_add_lshl_u32 v46, v25, v41, 2
	s_waitcnt lgkmcnt(0)
	v_cndmask_b32_e32 v23, 0, v23, vcc_lo
	v_cmp_gt_u32_e32 vcc_lo, 16, v41
	s_delay_alu instid0(VALU_DEP_2) | instskip(SKIP_4) | instid1(VALU_DEP_1)
	v_add_nc_u32_e32 v22, v22, v23
	v_cndmask_b32_e64 v25, 0, 1, vcc_lo
	v_cmp_le_u32_e32 vcc_lo, v47, v20
	ds_bpermute_b32 v23, v46, v22
	v_lshlrev_b32_e32 v25, 4, v25
	v_add_lshl_u32 v48, v25, v41, 2
	s_waitcnt lgkmcnt(0)
	v_cndmask_b32_e32 v23, 0, v23, vcc_lo
	v_cmp_le_u32_e32 vcc_lo, v49, v20
	s_delay_alu instid0(VALU_DEP_2) | instskip(SKIP_3) | instid1(VALU_DEP_1)
	v_add_nc_u32_e32 v22, v22, v23
	ds_bpermute_b32 v23, v48, v22
	s_waitcnt lgkmcnt(0)
	v_cndmask_b32_e32 v20, 0, v23, vcc_lo
	v_dual_mov_b32 v22, 0 :: v_dual_add_nc_u32 v23, v22, v20
	s_branch .LBB410_78
.LBB410_77:                             ;   in Loop: Header=BB410_78 Depth=1
	s_or_b32 exec_lo, exec_lo, s19
	ds_bpermute_b32 v26, v31, v23
	v_and_b32_e32 v25, 0xff, v24
	v_subrev_nc_u32_e32 v21, 32, v21
	s_delay_alu instid0(VALU_DEP_2) | instskip(SKIP_1) | instid1(VALU_DEP_1)
	v_cmp_eq_u16_e32 vcc_lo, 2, v25
	v_and_or_b32 v25, vcc_lo, v33, 0x80000000
	v_ctz_i32_b32_e32 v25, v25
	s_delay_alu instid0(VALU_DEP_1) | instskip(SKIP_3) | instid1(VALU_DEP_2)
	v_cmp_lt_u32_e32 vcc_lo, v41, v25
	s_waitcnt lgkmcnt(0)
	v_cndmask_b32_e32 v26, 0, v26, vcc_lo
	v_cmp_le_u32_e32 vcc_lo, v37, v25
	v_add_nc_u32_e32 v23, v26, v23
	ds_bpermute_b32 v26, v35, v23
	s_waitcnt lgkmcnt(0)
	v_cndmask_b32_e32 v26, 0, v26, vcc_lo
	v_cmp_le_u32_e32 vcc_lo, v45, v25
	s_delay_alu instid0(VALU_DEP_2) | instskip(SKIP_4) | instid1(VALU_DEP_2)
	v_add_nc_u32_e32 v23, v23, v26
	ds_bpermute_b32 v26, v44, v23
	s_waitcnt lgkmcnt(0)
	v_cndmask_b32_e32 v26, 0, v26, vcc_lo
	v_cmp_le_u32_e32 vcc_lo, v47, v25
	v_add_nc_u32_e32 v23, v23, v26
	ds_bpermute_b32 v26, v46, v23
	s_waitcnt lgkmcnt(0)
	v_cndmask_b32_e32 v26, 0, v26, vcc_lo
	v_cmp_le_u32_e32 vcc_lo, v49, v25
	s_delay_alu instid0(VALU_DEP_2) | instskip(SKIP_3) | instid1(VALU_DEP_1)
	v_add_nc_u32_e32 v23, v23, v26
	ds_bpermute_b32 v26, v48, v23
	s_waitcnt lgkmcnt(0)
	v_cndmask_b32_e32 v25, 0, v26, vcc_lo
	v_add3_u32 v23, v25, v20, v23
.LBB410_78:                             ; =>This Loop Header: Depth=1
                                        ;     Child Loop BB410_81 Depth 2
	v_and_b32_e32 v20, 0xff, v24
	s_delay_alu instid0(VALU_DEP_1) | instskip(SKIP_2) | instid1(VALU_DEP_1)
	v_cmp_ne_u16_e32 vcc_lo, 2, v20
	v_cndmask_b32_e64 v20, 0, 1, vcc_lo
	;;#ASMSTART
	;;#ASMEND
	v_cmp_ne_u32_e32 vcc_lo, 0, v20
	v_mov_b32_e32 v20, v23
	s_cmp_lg_u32 vcc_lo, exec_lo
	s_cbranch_scc1 .LBB410_83
; %bb.79:                               ;   in Loop: Header=BB410_78 Depth=1
	v_lshlrev_b64 v[23:24], 3, v[21:22]
	s_mov_b32 s19, exec_lo
	s_delay_alu instid0(VALU_DEP_1) | instskip(NEXT) | instid1(VALU_DEP_2)
	v_add_co_u32 v25, vcc_lo, s12, v23
	v_add_co_ci_u32_e32 v26, vcc_lo, s13, v24, vcc_lo
	global_load_b64 v[23:24], v[25:26], off glc
	s_waitcnt vmcnt(0)
	v_and_b32_e32 v50, 0xff, v24
	s_delay_alu instid0(VALU_DEP_1)
	v_cmpx_eq_u16_e32 0, v50
	s_cbranch_execz .LBB410_77
; %bb.80:                               ;   in Loop: Header=BB410_78 Depth=1
	s_mov_b32 s20, 0
.LBB410_81:                             ;   Parent Loop BB410_78 Depth=1
                                        ; =>  This Inner Loop Header: Depth=2
	global_load_b64 v[23:24], v[25:26], off glc
	s_waitcnt vmcnt(0)
	v_and_b32_e32 v50, 0xff, v24
	s_delay_alu instid0(VALU_DEP_1) | instskip(SKIP_1) | instid1(SALU_CYCLE_1)
	v_cmp_ne_u16_e32 vcc_lo, 0, v50
	s_or_b32 s20, vcc_lo, s20
	s_and_not1_b32 exec_lo, exec_lo, s20
	s_cbranch_execnz .LBB410_81
; %bb.82:                               ;   in Loop: Header=BB410_78 Depth=1
	s_or_b32 exec_lo, exec_lo, s20
	s_branch .LBB410_77
.LBB410_83:                             ;   in Loop: Header=BB410_78 Depth=1
                                        ; implicit-def: $vgpr23
                                        ; implicit-def: $vgpr24
	s_cbranch_execz .LBB410_78
; %bb.84:
	s_and_saveexec_b32 s19, s8
	s_cbranch_execz .LBB410_86
; %bb.85:
	s_add_i32 s20, s15, 32
	s_mov_b32 s21, 0
	v_dual_mov_b32 v22, 2 :: v_dual_add_nc_u32 v21, v20, v19
	s_lshl_b64 s[20:21], s[20:21], 3
	v_mov_b32_e32 v23, 0
	s_add_u32 s20, s12, s20
	s_addc_u32 s21, s13, s21
	global_store_b64 v23, v[21:22], s[20:21]
	ds_store_b64 v23, v[19:20] offset:12672
.LBB410_86:
	s_or_b32 exec_lo, exec_lo, s19
	v_cmp_eq_u32_e32 vcc_lo, 0, v0
	s_and_b32 exec_lo, exec_lo, vcc_lo
	s_cbranch_execz .LBB410_88
; %bb.87:
	v_mov_b32_e32 v19, 0
	ds_store_b32 v19, v20 offset:44
.LBB410_88:
	s_or_b32 exec_lo, exec_lo, s9
	v_mov_b32_e32 v19, 0
	s_waitcnt lgkmcnt(0)
	s_waitcnt_vscnt null, 0x0
	s_barrier
	buffer_gl0_inv
	v_cndmask_b32_e64 v21, v29, v27, s8
	ds_load_b32 v20, v19 offset:44
	v_cmp_ne_u32_e32 vcc_lo, 0, v0
	s_waitcnt lgkmcnt(0)
	s_barrier
	buffer_gl0_inv
	v_cndmask_b32_e32 v21, 0, v21, vcc_lo
	s_delay_alu instid0(VALU_DEP_1) | instskip(SKIP_2) | instid1(VALU_DEP_1)
	v_add_nc_u32_e32 v37, v20, v21
	ds_load_b64 v[19:20], v19 offset:12672
	v_add_nc_u32_e32 v35, v37, v28
	v_add_nc_u32_e32 v33, v35, v30
	s_delay_alu instid0(VALU_DEP_1) | instskip(NEXT) | instid1(VALU_DEP_1)
	v_add_nc_u32_e32 v31, v33, v32
	v_add_nc_u32_e32 v29, v31, v34
	s_delay_alu instid0(VALU_DEP_1) | instskip(NEXT) | instid1(VALU_DEP_1)
	v_add_nc_u32_e32 v27, v29, v36
	v_add_nc_u32_e32 v25, v27, v38
	s_delay_alu instid0(VALU_DEP_1)
	v_add_nc_u32_e32 v23, v25, v40
	v_lshrrev_b64 v[21:22], 24, v[17:18]
	s_branch .LBB410_99
.LBB410_89:
                                        ; implicit-def: $vgpr23
                                        ; implicit-def: $vgpr25
                                        ; implicit-def: $vgpr27
                                        ; implicit-def: $vgpr29
                                        ; implicit-def: $vgpr31
                                        ; implicit-def: $vgpr33
                                        ; implicit-def: $vgpr35
                                        ; implicit-def: $vgpr37
                                        ; implicit-def: $vgpr20
	v_lshrrev_b64 v[21:22], 24, v[17:18]
	s_and_b32 vcc_lo, exec_lo, s8
	s_cbranch_vccz .LBB410_99
; %bb.90:
	s_waitcnt lgkmcnt(0)
	v_mov_b32_dpp v19, v43 row_shr:1 row_mask:0xf bank_mask:0xf
	s_delay_alu instid0(VALU_DEP_1) | instskip(NEXT) | instid1(VALU_DEP_1)
	v_cndmask_b32_e64 v19, v19, 0, s4
	v_add_nc_u32_e32 v19, v19, v43
	s_delay_alu instid0(VALU_DEP_1) | instskip(NEXT) | instid1(VALU_DEP_1)
	v_mov_b32_dpp v20, v19 row_shr:2 row_mask:0xf bank_mask:0xf
	v_cndmask_b32_e64 v20, 0, v20, s5
	s_delay_alu instid0(VALU_DEP_1) | instskip(NEXT) | instid1(VALU_DEP_1)
	v_add_nc_u32_e32 v19, v19, v20
	v_mov_b32_dpp v20, v19 row_shr:4 row_mask:0xf bank_mask:0xf
	s_delay_alu instid0(VALU_DEP_1) | instskip(NEXT) | instid1(VALU_DEP_1)
	v_cndmask_b32_e64 v20, 0, v20, s3
	v_add_nc_u32_e32 v19, v19, v20
	s_delay_alu instid0(VALU_DEP_1) | instskip(NEXT) | instid1(VALU_DEP_1)
	v_mov_b32_dpp v20, v19 row_shr:8 row_mask:0xf bank_mask:0xf
	v_cndmask_b32_e64 v20, 0, v20, s2
	s_delay_alu instid0(VALU_DEP_1) | instskip(SKIP_3) | instid1(VALU_DEP_1)
	v_add_nc_u32_e32 v19, v19, v20
	ds_swizzle_b32 v20, v19 offset:swizzle(BROADCAST,32,15)
	s_waitcnt lgkmcnt(0)
	v_cndmask_b32_e64 v20, v20, 0, s7
	v_add_nc_u32_e32 v19, v19, v20
	s_and_saveexec_b32 s7, s6
	s_cbranch_execz .LBB410_92
; %bb.91:
	v_lshlrev_b32_e32 v20, 2, v42
	ds_store_b32 v20, v19
.LBB410_92:
	s_or_b32 exec_lo, exec_lo, s7
	s_delay_alu instid0(SALU_CYCLE_1)
	s_mov_b32 s6, exec_lo
	s_waitcnt lgkmcnt(0)
	s_barrier
	buffer_gl0_inv
	v_cmpx_gt_u32_e32 12, v0
	s_cbranch_execz .LBB410_94
; %bb.93:
	v_lshlrev_b32_e32 v20, 2, v0
	ds_load_b32 v22, v20
	s_waitcnt lgkmcnt(0)
	v_mov_b32_dpp v23, v22 row_shr:1 row_mask:0xf bank_mask:0xf
	s_delay_alu instid0(VALU_DEP_1) | instskip(NEXT) | instid1(VALU_DEP_1)
	v_cndmask_b32_e64 v23, v23, 0, s4
	v_add_nc_u32_e32 v22, v23, v22
	s_delay_alu instid0(VALU_DEP_1) | instskip(NEXT) | instid1(VALU_DEP_1)
	v_mov_b32_dpp v23, v22 row_shr:2 row_mask:0xf bank_mask:0xf
	v_cndmask_b32_e64 v23, 0, v23, s5
	s_delay_alu instid0(VALU_DEP_1) | instskip(NEXT) | instid1(VALU_DEP_1)
	v_add_nc_u32_e32 v22, v22, v23
	v_mov_b32_dpp v23, v22 row_shr:4 row_mask:0xf bank_mask:0xf
	s_delay_alu instid0(VALU_DEP_1) | instskip(NEXT) | instid1(VALU_DEP_1)
	v_cndmask_b32_e64 v23, 0, v23, s3
	v_add_nc_u32_e32 v22, v22, v23
	s_delay_alu instid0(VALU_DEP_1) | instskip(NEXT) | instid1(VALU_DEP_1)
	v_mov_b32_dpp v23, v22 row_shr:8 row_mask:0xf bank_mask:0xf
	v_cndmask_b32_e64 v23, 0, v23, s2
	s_delay_alu instid0(VALU_DEP_1)
	v_add_nc_u32_e32 v22, v22, v23
	ds_store_b32 v20, v22
.LBB410_94:
	s_or_b32 exec_lo, exec_lo, s6
	v_mov_b32_e32 v20, 0
	v_mov_b32_e32 v22, 0
	s_mov_b32 s2, exec_lo
	s_waitcnt lgkmcnt(0)
	s_barrier
	buffer_gl0_inv
	v_cmpx_lt_u32_e32 31, v0
	s_cbranch_execz .LBB410_96
; %bb.95:
	v_lshl_add_u32 v22, v42, 2, -4
	ds_load_b32 v22, v22
.LBB410_96:
	s_or_b32 exec_lo, exec_lo, s2
	v_add_nc_u32_e32 v23, -1, v41
	s_waitcnt lgkmcnt(0)
	v_add_nc_u32_e32 v19, v22, v19
	s_delay_alu instid0(VALU_DEP_2) | instskip(SKIP_2) | instid1(VALU_DEP_2)
	v_cmp_gt_i32_e32 vcc_lo, 0, v23
	v_cndmask_b32_e32 v23, v23, v41, vcc_lo
	v_cmp_eq_u32_e32 vcc_lo, 0, v0
	v_lshlrev_b32_e32 v23, 2, v23
	ds_bpermute_b32 v23, v23, v19
	ds_load_b32 v19, v20 offset:44
	s_and_saveexec_b32 s2, vcc_lo
	s_cbranch_execz .LBB410_98
; %bb.97:
	v_mov_b32_e32 v24, 0
	v_mov_b32_e32 v20, 2
	s_waitcnt lgkmcnt(0)
	global_store_b64 v24, v[19:20], s[12:13] offset:256
.LBB410_98:
	s_or_b32 exec_lo, exec_lo, s2
	v_cmp_eq_u32_e64 s2, 0, v41
	s_waitcnt lgkmcnt(0)
	s_waitcnt_vscnt null, 0x0
	s_barrier
	buffer_gl0_inv
	v_cndmask_b32_e64 v20, v23, v22, s2
	s_delay_alu instid0(VALU_DEP_1) | instskip(NEXT) | instid1(VALU_DEP_1)
	v_cndmask_b32_e64 v37, v20, 0, vcc_lo
	v_dual_mov_b32 v20, 0 :: v_dual_add_nc_u32 v35, v37, v28
	s_delay_alu instid0(VALU_DEP_1) | instskip(NEXT) | instid1(VALU_DEP_1)
	v_add_nc_u32_e32 v33, v35, v30
	v_add_nc_u32_e32 v31, v33, v32
	s_delay_alu instid0(VALU_DEP_1) | instskip(NEXT) | instid1(VALU_DEP_1)
	v_add_nc_u32_e32 v29, v31, v34
	v_add_nc_u32_e32 v27, v29, v36
	;; [unrolled: 3-line block ×3, first 2 shown]
.LBB410_99:
	s_load_b128 s[4:7], s[0:1], 0x28
	s_waitcnt lgkmcnt(0)
	v_add_nc_u32_e32 v43, v20, v19
	v_cmp_gt_u32_e64 s0, 0x181, v19
	v_lshrrev_b32_e32 v42, 8, v17
	v_lshrrev_b32_e32 v41, 16, v17
	;; [unrolled: 1-line block ×4, first 2 shown]
	v_cmp_lt_u32_e64 s1, v37, v43
	s_and_b32 vcc_lo, exec_lo, s0
	s_mov_b32 s2, -1
	s_cbranch_vccz .LBB410_125
; %bb.100:
	s_lshl_b64 s[2:3], s[10:11], 2
	s_delay_alu instid0(SALU_CYCLE_1) | instskip(SKIP_2) | instid1(SALU_CYCLE_1)
	s_add_u32 s2, s4, s2
	s_addc_u32 s3, s5, s3
	s_or_b32 s8, s18, s1
	s_and_saveexec_b32 s1, s8
	s_cbranch_execz .LBB410_103
; %bb.101:
	v_and_b32_e32 v24, 1, v17
	s_delay_alu instid0(VALU_DEP_1)
	v_cmp_eq_u32_e32 vcc_lo, 1, v24
	s_and_b32 exec_lo, exec_lo, vcc_lo
	s_cbranch_execz .LBB410_103
; %bb.102:
	v_mov_b32_e32 v38, 0
	s_delay_alu instid0(VALU_DEP_1) | instskip(NEXT) | instid1(VALU_DEP_1)
	v_lshlrev_b64 v[44:45], 2, v[37:38]
	v_add_co_u32 v44, vcc_lo, s2, v44
	s_delay_alu instid0(VALU_DEP_2)
	v_add_co_ci_u32_e32 v45, vcc_lo, s3, v45, vcc_lo
	global_store_b32 v[44:45], v15, off
.LBB410_103:
	s_or_b32 exec_lo, exec_lo, s1
	v_cmp_lt_u32_e32 vcc_lo, v35, v43
	s_or_b32 s8, s18, vcc_lo
	s_delay_alu instid0(SALU_CYCLE_1)
	s_and_saveexec_b32 s1, s8
	s_cbranch_execz .LBB410_106
; %bb.104:
	v_and_b32_e32 v24, 1, v42
	s_delay_alu instid0(VALU_DEP_1)
	v_cmp_eq_u32_e32 vcc_lo, 1, v24
	s_and_b32 exec_lo, exec_lo, vcc_lo
	s_cbranch_execz .LBB410_106
; %bb.105:
	v_mov_b32_e32 v36, 0
	s_delay_alu instid0(VALU_DEP_1) | instskip(NEXT) | instid1(VALU_DEP_1)
	v_lshlrev_b64 v[44:45], 2, v[35:36]
	v_add_co_u32 v44, vcc_lo, s2, v44
	s_delay_alu instid0(VALU_DEP_2)
	v_add_co_ci_u32_e32 v45, vcc_lo, s3, v45, vcc_lo
	global_store_b32 v[44:45], v16, off
.LBB410_106:
	s_or_b32 exec_lo, exec_lo, s1
	v_cmp_lt_u32_e32 vcc_lo, v33, v43
	s_or_b32 s8, s18, vcc_lo
	s_delay_alu instid0(SALU_CYCLE_1)
	;; [unrolled: 21-line block ×7, first 2 shown]
	s_and_saveexec_b32 s1, s8
	s_cbranch_execz .LBB410_124
; %bb.122:
	v_and_b32_e32 v24, 1, v39
	s_delay_alu instid0(VALU_DEP_1)
	v_cmp_eq_u32_e32 vcc_lo, 1, v24
	s_and_b32 exec_lo, exec_lo, vcc_lo
	s_cbranch_execz .LBB410_124
; %bb.123:
	v_mov_b32_e32 v24, 0
	s_delay_alu instid0(VALU_DEP_1) | instskip(NEXT) | instid1(VALU_DEP_1)
	v_lshlrev_b64 v[44:45], 2, v[23:24]
	v_add_co_u32 v44, vcc_lo, s2, v44
	s_delay_alu instid0(VALU_DEP_2)
	v_add_co_ci_u32_e32 v45, vcc_lo, s3, v45, vcc_lo
	global_store_b32 v[44:45], v10, off
.LBB410_124:
	s_or_b32 exec_lo, exec_lo, s1
	s_mov_b32 s2, 0
.LBB410_125:
	v_and_b32_e32 v17, 1, v17
	s_and_b32 vcc_lo, exec_lo, s2
	s_delay_alu instid0(VALU_DEP_1)
	v_cmp_eq_u32_e64 s1, 1, v17
	s_cbranch_vccz .LBB410_146
; %bb.126:
	s_delay_alu instid0(VALU_DEP_1)
	s_and_saveexec_b32 s2, s1
	s_cbranch_execz .LBB410_128
; %bb.127:
	v_sub_nc_u32_e32 v24, v37, v20
	s_delay_alu instid0(VALU_DEP_1)
	v_lshlrev_b32_e32 v24, 2, v24
	ds_store_b32 v24, v15
.LBB410_128:
	s_or_b32 exec_lo, exec_lo, s2
	v_and_b32_e32 v15, 1, v42
	s_mov_b32 s1, exec_lo
	s_delay_alu instid0(VALU_DEP_1)
	v_cmpx_eq_u32_e32 1, v15
	s_cbranch_execz .LBB410_130
; %bb.129:
	v_sub_nc_u32_e32 v15, v35, v20
	s_delay_alu instid0(VALU_DEP_1)
	v_lshlrev_b32_e32 v15, 2, v15
	ds_store_b32 v15, v16
.LBB410_130:
	s_or_b32 exec_lo, exec_lo, s1
	v_and_b32_e32 v15, 1, v41
	s_mov_b32 s1, exec_lo
	s_delay_alu instid0(VALU_DEP_1)
	v_cmpx_eq_u32_e32 1, v15
	;; [unrolled: 12-line block ×7, first 2 shown]
	s_cbranch_execz .LBB410_142
; %bb.141:
	v_sub_nc_u32_e32 v9, v23, v20
	s_delay_alu instid0(VALU_DEP_1)
	v_lshlrev_b32_e32 v9, 2, v9
	ds_store_b32 v9, v10
.LBB410_142:
	s_or_b32 exec_lo, exec_lo, s1
	s_delay_alu instid0(SALU_CYCLE_1)
	s_mov_b32 s2, exec_lo
	s_waitcnt lgkmcnt(0)
	s_waitcnt_vscnt null, 0x0
	s_barrier
	buffer_gl0_inv
	v_cmpx_lt_u32_e64 v0, v19
	s_cbranch_execz .LBB410_145
; %bb.143:
	v_dual_mov_b32 v10, 0 :: v_dual_mov_b32 v9, v20
	s_lshl_b64 s[8:9], s[10:11], 2
	v_lshlrev_b32_e32 v11, 2, v0
	s_add_u32 s1, s4, s8
	s_addc_u32 s3, s5, s9
	v_lshlrev_b64 v[12:13], 2, v[9:10]
	v_mov_b32_e32 v9, v0
	s_delay_alu instid0(VALU_DEP_2) | instskip(NEXT) | instid1(VALU_DEP_3)
	v_add_co_u32 v12, vcc_lo, s1, v12
	v_add_co_ci_u32_e32 v13, vcc_lo, s3, v13, vcc_lo
	s_mov_b32 s3, 0
	.p2align	6
.LBB410_144:                            ; =>This Inner Loop Header: Depth=1
	ds_load_b32 v16, v11
	v_lshlrev_b64 v[14:15], 2, v[9:10]
	v_add_nc_u32_e32 v9, 0x180, v9
	v_add_nc_u32_e32 v11, 0x600, v11
	s_delay_alu instid0(VALU_DEP_2) | instskip(NEXT) | instid1(VALU_DEP_4)
	v_cmp_ge_u32_e32 vcc_lo, v9, v19
	v_add_co_u32 v14, s1, v12, v14
	s_delay_alu instid0(VALU_DEP_1)
	v_add_co_ci_u32_e64 v15, s1, v13, v15, s1
	s_or_b32 s3, vcc_lo, s3
	s_waitcnt lgkmcnt(0)
	global_store_b32 v[14:15], v16, off
	s_and_not1_b32 exec_lo, exec_lo, s3
	s_cbranch_execnz .LBB410_144
.LBB410_145:
	s_or_b32 exec_lo, exec_lo, s2
.LBB410_146:
	s_delay_alu instid0(SALU_CYCLE_1)
	s_and_b32 vcc_lo, exec_lo, s0
	s_mov_b32 s0, -1
	s_waitcnt_vscnt null, 0x0
	s_barrier
	buffer_gl0_inv
	s_cbranch_vccz .LBB410_174
; %bb.147:
	v_cmp_lt_u32_e32 vcc_lo, v37, v43
	s_lshl_b64 s[0:1], s[10:11], 2
	s_delay_alu instid0(SALU_CYCLE_1) | instskip(SKIP_2) | instid1(SALU_CYCLE_1)
	s_add_u32 s0, s6, s0
	s_addc_u32 s1, s7, s1
	s_or_b32 s3, s18, vcc_lo
	s_and_saveexec_b32 s2, s3
	s_cbranch_execz .LBB410_150
; %bb.148:
	v_cmp_eq_u32_e32 vcc_lo, 1, v17
	s_and_b32 exec_lo, exec_lo, vcc_lo
	s_cbranch_execz .LBB410_150
; %bb.149:
	v_mov_b32_e32 v38, 0
	s_delay_alu instid0(VALU_DEP_1) | instskip(NEXT) | instid1(VALU_DEP_1)
	v_lshlrev_b64 v[9:10], 2, v[37:38]
	v_add_co_u32 v9, vcc_lo, s0, v9
	s_delay_alu instid0(VALU_DEP_2)
	v_add_co_ci_u32_e32 v10, vcc_lo, s1, v10, vcc_lo
	global_store_b32 v[9:10], v7, off
.LBB410_150:
	s_or_b32 exec_lo, exec_lo, s2
	v_cmp_lt_u32_e32 vcc_lo, v35, v43
	s_or_b32 s3, s18, vcc_lo
	s_delay_alu instid0(SALU_CYCLE_1)
	s_and_saveexec_b32 s2, s3
	s_cbranch_execz .LBB410_153
; %bb.151:
	v_and_b32_e32 v9, 1, v42
	s_delay_alu instid0(VALU_DEP_1)
	v_cmp_eq_u32_e32 vcc_lo, 1, v9
	s_and_b32 exec_lo, exec_lo, vcc_lo
	s_cbranch_execz .LBB410_153
; %bb.152:
	v_mov_b32_e32 v36, 0
	s_delay_alu instid0(VALU_DEP_1) | instskip(NEXT) | instid1(VALU_DEP_1)
	v_lshlrev_b64 v[9:10], 2, v[35:36]
	v_add_co_u32 v9, vcc_lo, s0, v9
	s_delay_alu instid0(VALU_DEP_2)
	v_add_co_ci_u32_e32 v10, vcc_lo, s1, v10, vcc_lo
	global_store_b32 v[9:10], v8, off
.LBB410_153:
	s_or_b32 exec_lo, exec_lo, s2
	v_cmp_lt_u32_e32 vcc_lo, v33, v43
	s_or_b32 s3, s18, vcc_lo
	s_delay_alu instid0(SALU_CYCLE_1)
	s_and_saveexec_b32 s2, s3
	s_cbranch_execz .LBB410_156
; %bb.154:
	v_and_b32_e32 v9, 1, v41
	s_delay_alu instid0(VALU_DEP_1)
	v_cmp_eq_u32_e32 vcc_lo, 1, v9
	s_and_b32 exec_lo, exec_lo, vcc_lo
	s_cbranch_execz .LBB410_156
; %bb.155:
	v_mov_b32_e32 v34, 0
	s_delay_alu instid0(VALU_DEP_1) | instskip(NEXT) | instid1(VALU_DEP_1)
	v_lshlrev_b64 v[9:10], 2, v[33:34]
	v_add_co_u32 v9, vcc_lo, s0, v9
	s_delay_alu instid0(VALU_DEP_2)
	v_add_co_ci_u32_e32 v10, vcc_lo, s1, v10, vcc_lo
	global_store_b32 v[9:10], v5, off
.LBB410_156:
	s_or_b32 exec_lo, exec_lo, s2
	v_cmp_lt_u32_e32 vcc_lo, v31, v43
	s_or_b32 s3, s18, vcc_lo
	s_delay_alu instid0(SALU_CYCLE_1)
	s_and_saveexec_b32 s2, s3
	s_cbranch_execz .LBB410_159
; %bb.157:
	v_and_b32_e32 v9, 1, v21
	s_delay_alu instid0(VALU_DEP_1)
	v_cmp_eq_u32_e32 vcc_lo, 1, v9
	s_and_b32 exec_lo, exec_lo, vcc_lo
	s_cbranch_execz .LBB410_159
; %bb.158:
	v_mov_b32_e32 v32, 0
	s_delay_alu instid0(VALU_DEP_1) | instskip(NEXT) | instid1(VALU_DEP_1)
	v_lshlrev_b64 v[9:10], 2, v[31:32]
	v_add_co_u32 v9, vcc_lo, s0, v9
	s_delay_alu instid0(VALU_DEP_2)
	v_add_co_ci_u32_e32 v10, vcc_lo, s1, v10, vcc_lo
	global_store_b32 v[9:10], v6, off
.LBB410_159:
	s_or_b32 exec_lo, exec_lo, s2
	v_cmp_lt_u32_e32 vcc_lo, v29, v43
	s_or_b32 s3, s18, vcc_lo
	s_delay_alu instid0(SALU_CYCLE_1)
	s_and_saveexec_b32 s2, s3
	s_cbranch_execz .LBB410_162
; %bb.160:
	v_and_b32_e32 v9, 1, v18
	s_delay_alu instid0(VALU_DEP_1)
	v_cmp_eq_u32_e32 vcc_lo, 1, v9
	s_and_b32 exec_lo, exec_lo, vcc_lo
	s_cbranch_execz .LBB410_162
; %bb.161:
	v_mov_b32_e32 v30, 0
	s_delay_alu instid0(VALU_DEP_1) | instskip(NEXT) | instid1(VALU_DEP_1)
	v_lshlrev_b64 v[9:10], 2, v[29:30]
	v_add_co_u32 v9, vcc_lo, s0, v9
	s_delay_alu instid0(VALU_DEP_2)
	v_add_co_ci_u32_e32 v10, vcc_lo, s1, v10, vcc_lo
	global_store_b32 v[9:10], v3, off
.LBB410_162:
	s_or_b32 exec_lo, exec_lo, s2
	v_cmp_lt_u32_e32 vcc_lo, v27, v43
	s_or_b32 s3, s18, vcc_lo
	s_delay_alu instid0(SALU_CYCLE_1)
	s_and_saveexec_b32 s2, s3
	s_cbranch_execz .LBB410_165
; %bb.163:
	v_and_b32_e32 v9, 1, v40
	s_delay_alu instid0(VALU_DEP_1)
	v_cmp_eq_u32_e32 vcc_lo, 1, v9
	s_and_b32 exec_lo, exec_lo, vcc_lo
	s_cbranch_execz .LBB410_165
; %bb.164:
	v_mov_b32_e32 v28, 0
	s_delay_alu instid0(VALU_DEP_1) | instskip(NEXT) | instid1(VALU_DEP_1)
	v_lshlrev_b64 v[9:10], 2, v[27:28]
	v_add_co_u32 v9, vcc_lo, s0, v9
	s_delay_alu instid0(VALU_DEP_2)
	v_add_co_ci_u32_e32 v10, vcc_lo, s1, v10, vcc_lo
	global_store_b32 v[9:10], v4, off
.LBB410_165:
	s_or_b32 exec_lo, exec_lo, s2
	v_cmp_lt_u32_e32 vcc_lo, v25, v43
	s_or_b32 s3, s18, vcc_lo
	s_delay_alu instid0(SALU_CYCLE_1)
	s_and_saveexec_b32 s2, s3
	s_cbranch_execz .LBB410_168
; %bb.166:
	v_and_b32_e32 v9, 1, v22
	s_delay_alu instid0(VALU_DEP_1)
	v_cmp_eq_u32_e32 vcc_lo, 1, v9
	s_and_b32 exec_lo, exec_lo, vcc_lo
	s_cbranch_execz .LBB410_168
; %bb.167:
	v_mov_b32_e32 v26, 0
	s_delay_alu instid0(VALU_DEP_1) | instskip(NEXT) | instid1(VALU_DEP_1)
	v_lshlrev_b64 v[9:10], 2, v[25:26]
	v_add_co_u32 v9, vcc_lo, s0, v9
	s_delay_alu instid0(VALU_DEP_2)
	v_add_co_ci_u32_e32 v10, vcc_lo, s1, v10, vcc_lo
	global_store_b32 v[9:10], v1, off
.LBB410_168:
	s_or_b32 exec_lo, exec_lo, s2
	v_cmp_lt_u32_e32 vcc_lo, v23, v43
	s_or_b32 s3, s18, vcc_lo
	s_delay_alu instid0(SALU_CYCLE_1)
	s_and_saveexec_b32 s2, s3
	s_cbranch_execz .LBB410_171
; %bb.169:
	v_and_b32_e32 v9, 1, v39
	s_delay_alu instid0(VALU_DEP_1)
	v_cmp_eq_u32_e32 vcc_lo, 1, v9
	s_and_b32 exec_lo, exec_lo, vcc_lo
	s_cbranch_execz .LBB410_171
; %bb.170:
	v_mov_b32_e32 v24, 0
	s_delay_alu instid0(VALU_DEP_1) | instskip(NEXT) | instid1(VALU_DEP_1)
	v_lshlrev_b64 v[9:10], 2, v[23:24]
	v_add_co_u32 v9, vcc_lo, s0, v9
	s_delay_alu instid0(VALU_DEP_2)
	v_add_co_ci_u32_e32 v10, vcc_lo, s1, v10, vcc_lo
	global_store_b32 v[9:10], v2, off
.LBB410_171:
	s_or_b32 exec_lo, exec_lo, s2
.LBB410_172:
	v_cmp_eq_u32_e32 vcc_lo, 0, v0
	s_and_b32 s0, vcc_lo, s14
	s_delay_alu instid0(SALU_CYCLE_1)
	s_and_saveexec_b32 s1, s0
	s_cbranch_execz .LBB410_195
.LBB410_173:
	v_add_co_u32 v0, s0, s10, v19
	s_delay_alu instid0(VALU_DEP_1) | instskip(SKIP_1) | instid1(VALU_DEP_3)
	v_add_co_ci_u32_e64 v1, null, s11, 0, s0
	v_mov_b32_e32 v2, 0
	v_add_co_u32 v0, vcc_lo, v0, v20
	s_delay_alu instid0(VALU_DEP_3)
	v_add_co_ci_u32_e32 v1, vcc_lo, 0, v1, vcc_lo
	global_store_b64 v2, v[0:1], s[16:17]
	s_nop 0
	s_sendmsg sendmsg(MSG_DEALLOC_VGPRS)
	s_endpgm
.LBB410_174:
	s_and_b32 vcc_lo, exec_lo, s0
	s_cbranch_vccz .LBB410_172
; %bb.175:
	s_mov_b32 s0, exec_lo
	v_cmpx_eq_u32_e32 1, v17
	s_cbranch_execz .LBB410_177
; %bb.176:
	v_sub_nc_u32_e32 v9, v37, v20
	s_delay_alu instid0(VALU_DEP_1)
	v_lshlrev_b32_e32 v9, 2, v9
	ds_store_b32 v9, v7
.LBB410_177:
	s_or_b32 exec_lo, exec_lo, s0
	v_and_b32_e32 v7, 1, v42
	s_mov_b32 s0, exec_lo
	s_delay_alu instid0(VALU_DEP_1)
	v_cmpx_eq_u32_e32 1, v7
	s_cbranch_execz .LBB410_179
; %bb.178:
	v_sub_nc_u32_e32 v7, v35, v20
	s_delay_alu instid0(VALU_DEP_1)
	v_lshlrev_b32_e32 v7, 2, v7
	ds_store_b32 v7, v8
.LBB410_179:
	s_or_b32 exec_lo, exec_lo, s0
	v_and_b32_e32 v7, 1, v41
	s_mov_b32 s0, exec_lo
	s_delay_alu instid0(VALU_DEP_1)
	;; [unrolled: 12-line block ×7, first 2 shown]
	v_cmpx_eq_u32_e32 1, v1
	s_cbranch_execz .LBB410_191
; %bb.190:
	v_sub_nc_u32_e32 v1, v23, v20
	s_delay_alu instid0(VALU_DEP_1)
	v_lshlrev_b32_e32 v1, 2, v1
	ds_store_b32 v1, v2
.LBB410_191:
	s_or_b32 exec_lo, exec_lo, s0
	s_delay_alu instid0(SALU_CYCLE_1)
	s_mov_b32 s1, exec_lo
	s_waitcnt lgkmcnt(0)
	s_waitcnt_vscnt null, 0x0
	s_barrier
	buffer_gl0_inv
	v_cmpx_lt_u32_e64 v0, v19
	s_cbranch_execz .LBB410_194
; %bb.192:
	v_dual_mov_b32 v2, 0 :: v_dual_mov_b32 v1, v20
	s_lshl_b64 s[2:3], s[10:11], 2
	v_lshlrev_b32_e32 v3, 2, v0
	s_add_u32 s0, s6, s2
	s_addc_u32 s2, s7, s3
	v_lshlrev_b64 v[4:5], 2, v[1:2]
	v_mov_b32_e32 v1, v0
	s_delay_alu instid0(VALU_DEP_2) | instskip(NEXT) | instid1(VALU_DEP_3)
	v_add_co_u32 v4, vcc_lo, s0, v4
	v_add_co_ci_u32_e32 v5, vcc_lo, s2, v5, vcc_lo
	s_mov_b32 s2, 0
	.p2align	6
.LBB410_193:                            ; =>This Inner Loop Header: Depth=1
	ds_load_b32 v8, v3
	v_lshlrev_b64 v[6:7], 2, v[1:2]
	v_add_nc_u32_e32 v1, 0x180, v1
	v_add_nc_u32_e32 v3, 0x600, v3
	s_delay_alu instid0(VALU_DEP_2) | instskip(NEXT) | instid1(VALU_DEP_4)
	v_cmp_ge_u32_e32 vcc_lo, v1, v19
	v_add_co_u32 v6, s0, v4, v6
	s_delay_alu instid0(VALU_DEP_1)
	v_add_co_ci_u32_e64 v7, s0, v5, v7, s0
	s_or_b32 s2, vcc_lo, s2
	s_waitcnt lgkmcnt(0)
	global_store_b32 v[6:7], v8, off
	s_and_not1_b32 exec_lo, exec_lo, s2
	s_cbranch_execnz .LBB410_193
.LBB410_194:
	s_or_b32 exec_lo, exec_lo, s1
	v_cmp_eq_u32_e32 vcc_lo, 0, v0
	s_and_b32 s0, vcc_lo, s14
	s_delay_alu instid0(SALU_CYCLE_1)
	s_and_saveexec_b32 s1, s0
	s_cbranch_execnz .LBB410_173
.LBB410_195:
	s_nop 0
	s_sendmsg sendmsg(MSG_DEALLOC_VGPRS)
	s_endpgm
	.section	.rodata,"a",@progbits
	.p2align	6, 0x0
	.amdhsa_kernel _ZN7rocprim17ROCPRIM_400000_NS6detail17trampoline_kernelINS0_14default_configENS1_25partition_config_selectorILNS1_17partition_subalgoE9EiibEEZZNS1_14partition_implILS5_9ELb0ES3_jN6thrust23THRUST_200600_302600_NS6detail15normal_iteratorINS9_10device_ptrIiEEEESE_PNS0_10empty_typeENS0_5tupleIJSE_SF_EEENSH_IJSE_SG_EEENS0_18inequality_wrapperINS9_8equal_toIiEEEEPmJSF_EEE10hipError_tPvRmT3_T4_T5_T6_T7_T9_mT8_P12ihipStream_tbDpT10_ENKUlT_T0_E_clISt17integral_constantIbLb0EES18_EEDaS13_S14_EUlS13_E_NS1_11comp_targetILNS1_3genE9ELNS1_11target_archE1100ELNS1_3gpuE3ELNS1_3repE0EEENS1_30default_config_static_selectorELNS0_4arch9wavefront6targetE0EEEvT1_
		.amdhsa_group_segment_fixed_size 12680
		.amdhsa_private_segment_fixed_size 0
		.amdhsa_kernarg_size 112
		.amdhsa_user_sgpr_count 15
		.amdhsa_user_sgpr_dispatch_ptr 0
		.amdhsa_user_sgpr_queue_ptr 0
		.amdhsa_user_sgpr_kernarg_segment_ptr 1
		.amdhsa_user_sgpr_dispatch_id 0
		.amdhsa_user_sgpr_private_segment_size 0
		.amdhsa_wavefront_size32 1
		.amdhsa_uses_dynamic_stack 0
		.amdhsa_enable_private_segment 0
		.amdhsa_system_sgpr_workgroup_id_x 1
		.amdhsa_system_sgpr_workgroup_id_y 0
		.amdhsa_system_sgpr_workgroup_id_z 0
		.amdhsa_system_sgpr_workgroup_info 0
		.amdhsa_system_vgpr_workitem_id 0
		.amdhsa_next_free_vgpr 51
		.amdhsa_next_free_sgpr 25
		.amdhsa_reserve_vcc 1
		.amdhsa_float_round_mode_32 0
		.amdhsa_float_round_mode_16_64 0
		.amdhsa_float_denorm_mode_32 3
		.amdhsa_float_denorm_mode_16_64 3
		.amdhsa_dx10_clamp 1
		.amdhsa_ieee_mode 1
		.amdhsa_fp16_overflow 0
		.amdhsa_workgroup_processor_mode 1
		.amdhsa_memory_ordered 1
		.amdhsa_forward_progress 0
		.amdhsa_shared_vgpr_count 0
		.amdhsa_exception_fp_ieee_invalid_op 0
		.amdhsa_exception_fp_denorm_src 0
		.amdhsa_exception_fp_ieee_div_zero 0
		.amdhsa_exception_fp_ieee_overflow 0
		.amdhsa_exception_fp_ieee_underflow 0
		.amdhsa_exception_fp_ieee_inexact 0
		.amdhsa_exception_int_div_zero 0
	.end_amdhsa_kernel
	.section	.text._ZN7rocprim17ROCPRIM_400000_NS6detail17trampoline_kernelINS0_14default_configENS1_25partition_config_selectorILNS1_17partition_subalgoE9EiibEEZZNS1_14partition_implILS5_9ELb0ES3_jN6thrust23THRUST_200600_302600_NS6detail15normal_iteratorINS9_10device_ptrIiEEEESE_PNS0_10empty_typeENS0_5tupleIJSE_SF_EEENSH_IJSE_SG_EEENS0_18inequality_wrapperINS9_8equal_toIiEEEEPmJSF_EEE10hipError_tPvRmT3_T4_T5_T6_T7_T9_mT8_P12ihipStream_tbDpT10_ENKUlT_T0_E_clISt17integral_constantIbLb0EES18_EEDaS13_S14_EUlS13_E_NS1_11comp_targetILNS1_3genE9ELNS1_11target_archE1100ELNS1_3gpuE3ELNS1_3repE0EEENS1_30default_config_static_selectorELNS0_4arch9wavefront6targetE0EEEvT1_,"axG",@progbits,_ZN7rocprim17ROCPRIM_400000_NS6detail17trampoline_kernelINS0_14default_configENS1_25partition_config_selectorILNS1_17partition_subalgoE9EiibEEZZNS1_14partition_implILS5_9ELb0ES3_jN6thrust23THRUST_200600_302600_NS6detail15normal_iteratorINS9_10device_ptrIiEEEESE_PNS0_10empty_typeENS0_5tupleIJSE_SF_EEENSH_IJSE_SG_EEENS0_18inequality_wrapperINS9_8equal_toIiEEEEPmJSF_EEE10hipError_tPvRmT3_T4_T5_T6_T7_T9_mT8_P12ihipStream_tbDpT10_ENKUlT_T0_E_clISt17integral_constantIbLb0EES18_EEDaS13_S14_EUlS13_E_NS1_11comp_targetILNS1_3genE9ELNS1_11target_archE1100ELNS1_3gpuE3ELNS1_3repE0EEENS1_30default_config_static_selectorELNS0_4arch9wavefront6targetE0EEEvT1_,comdat
.Lfunc_end410:
	.size	_ZN7rocprim17ROCPRIM_400000_NS6detail17trampoline_kernelINS0_14default_configENS1_25partition_config_selectorILNS1_17partition_subalgoE9EiibEEZZNS1_14partition_implILS5_9ELb0ES3_jN6thrust23THRUST_200600_302600_NS6detail15normal_iteratorINS9_10device_ptrIiEEEESE_PNS0_10empty_typeENS0_5tupleIJSE_SF_EEENSH_IJSE_SG_EEENS0_18inequality_wrapperINS9_8equal_toIiEEEEPmJSF_EEE10hipError_tPvRmT3_T4_T5_T6_T7_T9_mT8_P12ihipStream_tbDpT10_ENKUlT_T0_E_clISt17integral_constantIbLb0EES18_EEDaS13_S14_EUlS13_E_NS1_11comp_targetILNS1_3genE9ELNS1_11target_archE1100ELNS1_3gpuE3ELNS1_3repE0EEENS1_30default_config_static_selectorELNS0_4arch9wavefront6targetE0EEEvT1_, .Lfunc_end410-_ZN7rocprim17ROCPRIM_400000_NS6detail17trampoline_kernelINS0_14default_configENS1_25partition_config_selectorILNS1_17partition_subalgoE9EiibEEZZNS1_14partition_implILS5_9ELb0ES3_jN6thrust23THRUST_200600_302600_NS6detail15normal_iteratorINS9_10device_ptrIiEEEESE_PNS0_10empty_typeENS0_5tupleIJSE_SF_EEENSH_IJSE_SG_EEENS0_18inequality_wrapperINS9_8equal_toIiEEEEPmJSF_EEE10hipError_tPvRmT3_T4_T5_T6_T7_T9_mT8_P12ihipStream_tbDpT10_ENKUlT_T0_E_clISt17integral_constantIbLb0EES18_EEDaS13_S14_EUlS13_E_NS1_11comp_targetILNS1_3genE9ELNS1_11target_archE1100ELNS1_3gpuE3ELNS1_3repE0EEENS1_30default_config_static_selectorELNS0_4arch9wavefront6targetE0EEEvT1_
                                        ; -- End function
	.section	.AMDGPU.csdata,"",@progbits
; Kernel info:
; codeLenInByte = 9220
; NumSgprs: 27
; NumVgprs: 51
; ScratchSize: 0
; MemoryBound: 0
; FloatMode: 240
; IeeeMode: 1
; LDSByteSize: 12680 bytes/workgroup (compile time only)
; SGPRBlocks: 3
; VGPRBlocks: 6
; NumSGPRsForWavesPerEU: 27
; NumVGPRsForWavesPerEU: 51
; Occupancy: 15
; WaveLimiterHint : 1
; COMPUTE_PGM_RSRC2:SCRATCH_EN: 0
; COMPUTE_PGM_RSRC2:USER_SGPR: 15
; COMPUTE_PGM_RSRC2:TRAP_HANDLER: 0
; COMPUTE_PGM_RSRC2:TGID_X_EN: 1
; COMPUTE_PGM_RSRC2:TGID_Y_EN: 0
; COMPUTE_PGM_RSRC2:TGID_Z_EN: 0
; COMPUTE_PGM_RSRC2:TIDIG_COMP_CNT: 0
	.section	.text._ZN7rocprim17ROCPRIM_400000_NS6detail17trampoline_kernelINS0_14default_configENS1_25partition_config_selectorILNS1_17partition_subalgoE9EiibEEZZNS1_14partition_implILS5_9ELb0ES3_jN6thrust23THRUST_200600_302600_NS6detail15normal_iteratorINS9_10device_ptrIiEEEESE_PNS0_10empty_typeENS0_5tupleIJSE_SF_EEENSH_IJSE_SG_EEENS0_18inequality_wrapperINS9_8equal_toIiEEEEPmJSF_EEE10hipError_tPvRmT3_T4_T5_T6_T7_T9_mT8_P12ihipStream_tbDpT10_ENKUlT_T0_E_clISt17integral_constantIbLb0EES18_EEDaS13_S14_EUlS13_E_NS1_11comp_targetILNS1_3genE8ELNS1_11target_archE1030ELNS1_3gpuE2ELNS1_3repE0EEENS1_30default_config_static_selectorELNS0_4arch9wavefront6targetE0EEEvT1_,"axG",@progbits,_ZN7rocprim17ROCPRIM_400000_NS6detail17trampoline_kernelINS0_14default_configENS1_25partition_config_selectorILNS1_17partition_subalgoE9EiibEEZZNS1_14partition_implILS5_9ELb0ES3_jN6thrust23THRUST_200600_302600_NS6detail15normal_iteratorINS9_10device_ptrIiEEEESE_PNS0_10empty_typeENS0_5tupleIJSE_SF_EEENSH_IJSE_SG_EEENS0_18inequality_wrapperINS9_8equal_toIiEEEEPmJSF_EEE10hipError_tPvRmT3_T4_T5_T6_T7_T9_mT8_P12ihipStream_tbDpT10_ENKUlT_T0_E_clISt17integral_constantIbLb0EES18_EEDaS13_S14_EUlS13_E_NS1_11comp_targetILNS1_3genE8ELNS1_11target_archE1030ELNS1_3gpuE2ELNS1_3repE0EEENS1_30default_config_static_selectorELNS0_4arch9wavefront6targetE0EEEvT1_,comdat
	.protected	_ZN7rocprim17ROCPRIM_400000_NS6detail17trampoline_kernelINS0_14default_configENS1_25partition_config_selectorILNS1_17partition_subalgoE9EiibEEZZNS1_14partition_implILS5_9ELb0ES3_jN6thrust23THRUST_200600_302600_NS6detail15normal_iteratorINS9_10device_ptrIiEEEESE_PNS0_10empty_typeENS0_5tupleIJSE_SF_EEENSH_IJSE_SG_EEENS0_18inequality_wrapperINS9_8equal_toIiEEEEPmJSF_EEE10hipError_tPvRmT3_T4_T5_T6_T7_T9_mT8_P12ihipStream_tbDpT10_ENKUlT_T0_E_clISt17integral_constantIbLb0EES18_EEDaS13_S14_EUlS13_E_NS1_11comp_targetILNS1_3genE8ELNS1_11target_archE1030ELNS1_3gpuE2ELNS1_3repE0EEENS1_30default_config_static_selectorELNS0_4arch9wavefront6targetE0EEEvT1_ ; -- Begin function _ZN7rocprim17ROCPRIM_400000_NS6detail17trampoline_kernelINS0_14default_configENS1_25partition_config_selectorILNS1_17partition_subalgoE9EiibEEZZNS1_14partition_implILS5_9ELb0ES3_jN6thrust23THRUST_200600_302600_NS6detail15normal_iteratorINS9_10device_ptrIiEEEESE_PNS0_10empty_typeENS0_5tupleIJSE_SF_EEENSH_IJSE_SG_EEENS0_18inequality_wrapperINS9_8equal_toIiEEEEPmJSF_EEE10hipError_tPvRmT3_T4_T5_T6_T7_T9_mT8_P12ihipStream_tbDpT10_ENKUlT_T0_E_clISt17integral_constantIbLb0EES18_EEDaS13_S14_EUlS13_E_NS1_11comp_targetILNS1_3genE8ELNS1_11target_archE1030ELNS1_3gpuE2ELNS1_3repE0EEENS1_30default_config_static_selectorELNS0_4arch9wavefront6targetE0EEEvT1_
	.globl	_ZN7rocprim17ROCPRIM_400000_NS6detail17trampoline_kernelINS0_14default_configENS1_25partition_config_selectorILNS1_17partition_subalgoE9EiibEEZZNS1_14partition_implILS5_9ELb0ES3_jN6thrust23THRUST_200600_302600_NS6detail15normal_iteratorINS9_10device_ptrIiEEEESE_PNS0_10empty_typeENS0_5tupleIJSE_SF_EEENSH_IJSE_SG_EEENS0_18inequality_wrapperINS9_8equal_toIiEEEEPmJSF_EEE10hipError_tPvRmT3_T4_T5_T6_T7_T9_mT8_P12ihipStream_tbDpT10_ENKUlT_T0_E_clISt17integral_constantIbLb0EES18_EEDaS13_S14_EUlS13_E_NS1_11comp_targetILNS1_3genE8ELNS1_11target_archE1030ELNS1_3gpuE2ELNS1_3repE0EEENS1_30default_config_static_selectorELNS0_4arch9wavefront6targetE0EEEvT1_
	.p2align	8
	.type	_ZN7rocprim17ROCPRIM_400000_NS6detail17trampoline_kernelINS0_14default_configENS1_25partition_config_selectorILNS1_17partition_subalgoE9EiibEEZZNS1_14partition_implILS5_9ELb0ES3_jN6thrust23THRUST_200600_302600_NS6detail15normal_iteratorINS9_10device_ptrIiEEEESE_PNS0_10empty_typeENS0_5tupleIJSE_SF_EEENSH_IJSE_SG_EEENS0_18inequality_wrapperINS9_8equal_toIiEEEEPmJSF_EEE10hipError_tPvRmT3_T4_T5_T6_T7_T9_mT8_P12ihipStream_tbDpT10_ENKUlT_T0_E_clISt17integral_constantIbLb0EES18_EEDaS13_S14_EUlS13_E_NS1_11comp_targetILNS1_3genE8ELNS1_11target_archE1030ELNS1_3gpuE2ELNS1_3repE0EEENS1_30default_config_static_selectorELNS0_4arch9wavefront6targetE0EEEvT1_,@function
_ZN7rocprim17ROCPRIM_400000_NS6detail17trampoline_kernelINS0_14default_configENS1_25partition_config_selectorILNS1_17partition_subalgoE9EiibEEZZNS1_14partition_implILS5_9ELb0ES3_jN6thrust23THRUST_200600_302600_NS6detail15normal_iteratorINS9_10device_ptrIiEEEESE_PNS0_10empty_typeENS0_5tupleIJSE_SF_EEENSH_IJSE_SG_EEENS0_18inequality_wrapperINS9_8equal_toIiEEEEPmJSF_EEE10hipError_tPvRmT3_T4_T5_T6_T7_T9_mT8_P12ihipStream_tbDpT10_ENKUlT_T0_E_clISt17integral_constantIbLb0EES18_EEDaS13_S14_EUlS13_E_NS1_11comp_targetILNS1_3genE8ELNS1_11target_archE1030ELNS1_3gpuE2ELNS1_3repE0EEENS1_30default_config_static_selectorELNS0_4arch9wavefront6targetE0EEEvT1_: ; @_ZN7rocprim17ROCPRIM_400000_NS6detail17trampoline_kernelINS0_14default_configENS1_25partition_config_selectorILNS1_17partition_subalgoE9EiibEEZZNS1_14partition_implILS5_9ELb0ES3_jN6thrust23THRUST_200600_302600_NS6detail15normal_iteratorINS9_10device_ptrIiEEEESE_PNS0_10empty_typeENS0_5tupleIJSE_SF_EEENSH_IJSE_SG_EEENS0_18inequality_wrapperINS9_8equal_toIiEEEEPmJSF_EEE10hipError_tPvRmT3_T4_T5_T6_T7_T9_mT8_P12ihipStream_tbDpT10_ENKUlT_T0_E_clISt17integral_constantIbLb0EES18_EEDaS13_S14_EUlS13_E_NS1_11comp_targetILNS1_3genE8ELNS1_11target_archE1030ELNS1_3gpuE2ELNS1_3repE0EEENS1_30default_config_static_selectorELNS0_4arch9wavefront6targetE0EEEvT1_
; %bb.0:
	.section	.rodata,"a",@progbits
	.p2align	6, 0x0
	.amdhsa_kernel _ZN7rocprim17ROCPRIM_400000_NS6detail17trampoline_kernelINS0_14default_configENS1_25partition_config_selectorILNS1_17partition_subalgoE9EiibEEZZNS1_14partition_implILS5_9ELb0ES3_jN6thrust23THRUST_200600_302600_NS6detail15normal_iteratorINS9_10device_ptrIiEEEESE_PNS0_10empty_typeENS0_5tupleIJSE_SF_EEENSH_IJSE_SG_EEENS0_18inequality_wrapperINS9_8equal_toIiEEEEPmJSF_EEE10hipError_tPvRmT3_T4_T5_T6_T7_T9_mT8_P12ihipStream_tbDpT10_ENKUlT_T0_E_clISt17integral_constantIbLb0EES18_EEDaS13_S14_EUlS13_E_NS1_11comp_targetILNS1_3genE8ELNS1_11target_archE1030ELNS1_3gpuE2ELNS1_3repE0EEENS1_30default_config_static_selectorELNS0_4arch9wavefront6targetE0EEEvT1_
		.amdhsa_group_segment_fixed_size 0
		.amdhsa_private_segment_fixed_size 0
		.amdhsa_kernarg_size 112
		.amdhsa_user_sgpr_count 15
		.amdhsa_user_sgpr_dispatch_ptr 0
		.amdhsa_user_sgpr_queue_ptr 0
		.amdhsa_user_sgpr_kernarg_segment_ptr 1
		.amdhsa_user_sgpr_dispatch_id 0
		.amdhsa_user_sgpr_private_segment_size 0
		.amdhsa_wavefront_size32 1
		.amdhsa_uses_dynamic_stack 0
		.amdhsa_enable_private_segment 0
		.amdhsa_system_sgpr_workgroup_id_x 1
		.amdhsa_system_sgpr_workgroup_id_y 0
		.amdhsa_system_sgpr_workgroup_id_z 0
		.amdhsa_system_sgpr_workgroup_info 0
		.amdhsa_system_vgpr_workitem_id 0
		.amdhsa_next_free_vgpr 1
		.amdhsa_next_free_sgpr 1
		.amdhsa_reserve_vcc 0
		.amdhsa_float_round_mode_32 0
		.amdhsa_float_round_mode_16_64 0
		.amdhsa_float_denorm_mode_32 3
		.amdhsa_float_denorm_mode_16_64 3
		.amdhsa_dx10_clamp 1
		.amdhsa_ieee_mode 1
		.amdhsa_fp16_overflow 0
		.amdhsa_workgroup_processor_mode 1
		.amdhsa_memory_ordered 1
		.amdhsa_forward_progress 0
		.amdhsa_shared_vgpr_count 0
		.amdhsa_exception_fp_ieee_invalid_op 0
		.amdhsa_exception_fp_denorm_src 0
		.amdhsa_exception_fp_ieee_div_zero 0
		.amdhsa_exception_fp_ieee_overflow 0
		.amdhsa_exception_fp_ieee_underflow 0
		.amdhsa_exception_fp_ieee_inexact 0
		.amdhsa_exception_int_div_zero 0
	.end_amdhsa_kernel
	.section	.text._ZN7rocprim17ROCPRIM_400000_NS6detail17trampoline_kernelINS0_14default_configENS1_25partition_config_selectorILNS1_17partition_subalgoE9EiibEEZZNS1_14partition_implILS5_9ELb0ES3_jN6thrust23THRUST_200600_302600_NS6detail15normal_iteratorINS9_10device_ptrIiEEEESE_PNS0_10empty_typeENS0_5tupleIJSE_SF_EEENSH_IJSE_SG_EEENS0_18inequality_wrapperINS9_8equal_toIiEEEEPmJSF_EEE10hipError_tPvRmT3_T4_T5_T6_T7_T9_mT8_P12ihipStream_tbDpT10_ENKUlT_T0_E_clISt17integral_constantIbLb0EES18_EEDaS13_S14_EUlS13_E_NS1_11comp_targetILNS1_3genE8ELNS1_11target_archE1030ELNS1_3gpuE2ELNS1_3repE0EEENS1_30default_config_static_selectorELNS0_4arch9wavefront6targetE0EEEvT1_,"axG",@progbits,_ZN7rocprim17ROCPRIM_400000_NS6detail17trampoline_kernelINS0_14default_configENS1_25partition_config_selectorILNS1_17partition_subalgoE9EiibEEZZNS1_14partition_implILS5_9ELb0ES3_jN6thrust23THRUST_200600_302600_NS6detail15normal_iteratorINS9_10device_ptrIiEEEESE_PNS0_10empty_typeENS0_5tupleIJSE_SF_EEENSH_IJSE_SG_EEENS0_18inequality_wrapperINS9_8equal_toIiEEEEPmJSF_EEE10hipError_tPvRmT3_T4_T5_T6_T7_T9_mT8_P12ihipStream_tbDpT10_ENKUlT_T0_E_clISt17integral_constantIbLb0EES18_EEDaS13_S14_EUlS13_E_NS1_11comp_targetILNS1_3genE8ELNS1_11target_archE1030ELNS1_3gpuE2ELNS1_3repE0EEENS1_30default_config_static_selectorELNS0_4arch9wavefront6targetE0EEEvT1_,comdat
.Lfunc_end411:
	.size	_ZN7rocprim17ROCPRIM_400000_NS6detail17trampoline_kernelINS0_14default_configENS1_25partition_config_selectorILNS1_17partition_subalgoE9EiibEEZZNS1_14partition_implILS5_9ELb0ES3_jN6thrust23THRUST_200600_302600_NS6detail15normal_iteratorINS9_10device_ptrIiEEEESE_PNS0_10empty_typeENS0_5tupleIJSE_SF_EEENSH_IJSE_SG_EEENS0_18inequality_wrapperINS9_8equal_toIiEEEEPmJSF_EEE10hipError_tPvRmT3_T4_T5_T6_T7_T9_mT8_P12ihipStream_tbDpT10_ENKUlT_T0_E_clISt17integral_constantIbLb0EES18_EEDaS13_S14_EUlS13_E_NS1_11comp_targetILNS1_3genE8ELNS1_11target_archE1030ELNS1_3gpuE2ELNS1_3repE0EEENS1_30default_config_static_selectorELNS0_4arch9wavefront6targetE0EEEvT1_, .Lfunc_end411-_ZN7rocprim17ROCPRIM_400000_NS6detail17trampoline_kernelINS0_14default_configENS1_25partition_config_selectorILNS1_17partition_subalgoE9EiibEEZZNS1_14partition_implILS5_9ELb0ES3_jN6thrust23THRUST_200600_302600_NS6detail15normal_iteratorINS9_10device_ptrIiEEEESE_PNS0_10empty_typeENS0_5tupleIJSE_SF_EEENSH_IJSE_SG_EEENS0_18inequality_wrapperINS9_8equal_toIiEEEEPmJSF_EEE10hipError_tPvRmT3_T4_T5_T6_T7_T9_mT8_P12ihipStream_tbDpT10_ENKUlT_T0_E_clISt17integral_constantIbLb0EES18_EEDaS13_S14_EUlS13_E_NS1_11comp_targetILNS1_3genE8ELNS1_11target_archE1030ELNS1_3gpuE2ELNS1_3repE0EEENS1_30default_config_static_selectorELNS0_4arch9wavefront6targetE0EEEvT1_
                                        ; -- End function
	.section	.AMDGPU.csdata,"",@progbits
; Kernel info:
; codeLenInByte = 0
; NumSgprs: 0
; NumVgprs: 0
; ScratchSize: 0
; MemoryBound: 0
; FloatMode: 240
; IeeeMode: 1
; LDSByteSize: 0 bytes/workgroup (compile time only)
; SGPRBlocks: 0
; VGPRBlocks: 0
; NumSGPRsForWavesPerEU: 1
; NumVGPRsForWavesPerEU: 1
; Occupancy: 16
; WaveLimiterHint : 0
; COMPUTE_PGM_RSRC2:SCRATCH_EN: 0
; COMPUTE_PGM_RSRC2:USER_SGPR: 15
; COMPUTE_PGM_RSRC2:TRAP_HANDLER: 0
; COMPUTE_PGM_RSRC2:TGID_X_EN: 1
; COMPUTE_PGM_RSRC2:TGID_Y_EN: 0
; COMPUTE_PGM_RSRC2:TGID_Z_EN: 0
; COMPUTE_PGM_RSRC2:TIDIG_COMP_CNT: 0
	.section	.text._ZN7rocprim17ROCPRIM_400000_NS6detail17trampoline_kernelINS0_14default_configENS1_25partition_config_selectorILNS1_17partition_subalgoE9EiibEEZZNS1_14partition_implILS5_9ELb0ES3_jN6thrust23THRUST_200600_302600_NS6detail15normal_iteratorINS9_10device_ptrIiEEEESE_PNS0_10empty_typeENS0_5tupleIJSE_SF_EEENSH_IJSE_SG_EEENS0_18inequality_wrapperINS9_8equal_toIiEEEEPmJSF_EEE10hipError_tPvRmT3_T4_T5_T6_T7_T9_mT8_P12ihipStream_tbDpT10_ENKUlT_T0_E_clISt17integral_constantIbLb1EES18_EEDaS13_S14_EUlS13_E_NS1_11comp_targetILNS1_3genE0ELNS1_11target_archE4294967295ELNS1_3gpuE0ELNS1_3repE0EEENS1_30default_config_static_selectorELNS0_4arch9wavefront6targetE0EEEvT1_,"axG",@progbits,_ZN7rocprim17ROCPRIM_400000_NS6detail17trampoline_kernelINS0_14default_configENS1_25partition_config_selectorILNS1_17partition_subalgoE9EiibEEZZNS1_14partition_implILS5_9ELb0ES3_jN6thrust23THRUST_200600_302600_NS6detail15normal_iteratorINS9_10device_ptrIiEEEESE_PNS0_10empty_typeENS0_5tupleIJSE_SF_EEENSH_IJSE_SG_EEENS0_18inequality_wrapperINS9_8equal_toIiEEEEPmJSF_EEE10hipError_tPvRmT3_T4_T5_T6_T7_T9_mT8_P12ihipStream_tbDpT10_ENKUlT_T0_E_clISt17integral_constantIbLb1EES18_EEDaS13_S14_EUlS13_E_NS1_11comp_targetILNS1_3genE0ELNS1_11target_archE4294967295ELNS1_3gpuE0ELNS1_3repE0EEENS1_30default_config_static_selectorELNS0_4arch9wavefront6targetE0EEEvT1_,comdat
	.protected	_ZN7rocprim17ROCPRIM_400000_NS6detail17trampoline_kernelINS0_14default_configENS1_25partition_config_selectorILNS1_17partition_subalgoE9EiibEEZZNS1_14partition_implILS5_9ELb0ES3_jN6thrust23THRUST_200600_302600_NS6detail15normal_iteratorINS9_10device_ptrIiEEEESE_PNS0_10empty_typeENS0_5tupleIJSE_SF_EEENSH_IJSE_SG_EEENS0_18inequality_wrapperINS9_8equal_toIiEEEEPmJSF_EEE10hipError_tPvRmT3_T4_T5_T6_T7_T9_mT8_P12ihipStream_tbDpT10_ENKUlT_T0_E_clISt17integral_constantIbLb1EES18_EEDaS13_S14_EUlS13_E_NS1_11comp_targetILNS1_3genE0ELNS1_11target_archE4294967295ELNS1_3gpuE0ELNS1_3repE0EEENS1_30default_config_static_selectorELNS0_4arch9wavefront6targetE0EEEvT1_ ; -- Begin function _ZN7rocprim17ROCPRIM_400000_NS6detail17trampoline_kernelINS0_14default_configENS1_25partition_config_selectorILNS1_17partition_subalgoE9EiibEEZZNS1_14partition_implILS5_9ELb0ES3_jN6thrust23THRUST_200600_302600_NS6detail15normal_iteratorINS9_10device_ptrIiEEEESE_PNS0_10empty_typeENS0_5tupleIJSE_SF_EEENSH_IJSE_SG_EEENS0_18inequality_wrapperINS9_8equal_toIiEEEEPmJSF_EEE10hipError_tPvRmT3_T4_T5_T6_T7_T9_mT8_P12ihipStream_tbDpT10_ENKUlT_T0_E_clISt17integral_constantIbLb1EES18_EEDaS13_S14_EUlS13_E_NS1_11comp_targetILNS1_3genE0ELNS1_11target_archE4294967295ELNS1_3gpuE0ELNS1_3repE0EEENS1_30default_config_static_selectorELNS0_4arch9wavefront6targetE0EEEvT1_
	.globl	_ZN7rocprim17ROCPRIM_400000_NS6detail17trampoline_kernelINS0_14default_configENS1_25partition_config_selectorILNS1_17partition_subalgoE9EiibEEZZNS1_14partition_implILS5_9ELb0ES3_jN6thrust23THRUST_200600_302600_NS6detail15normal_iteratorINS9_10device_ptrIiEEEESE_PNS0_10empty_typeENS0_5tupleIJSE_SF_EEENSH_IJSE_SG_EEENS0_18inequality_wrapperINS9_8equal_toIiEEEEPmJSF_EEE10hipError_tPvRmT3_T4_T5_T6_T7_T9_mT8_P12ihipStream_tbDpT10_ENKUlT_T0_E_clISt17integral_constantIbLb1EES18_EEDaS13_S14_EUlS13_E_NS1_11comp_targetILNS1_3genE0ELNS1_11target_archE4294967295ELNS1_3gpuE0ELNS1_3repE0EEENS1_30default_config_static_selectorELNS0_4arch9wavefront6targetE0EEEvT1_
	.p2align	8
	.type	_ZN7rocprim17ROCPRIM_400000_NS6detail17trampoline_kernelINS0_14default_configENS1_25partition_config_selectorILNS1_17partition_subalgoE9EiibEEZZNS1_14partition_implILS5_9ELb0ES3_jN6thrust23THRUST_200600_302600_NS6detail15normal_iteratorINS9_10device_ptrIiEEEESE_PNS0_10empty_typeENS0_5tupleIJSE_SF_EEENSH_IJSE_SG_EEENS0_18inequality_wrapperINS9_8equal_toIiEEEEPmJSF_EEE10hipError_tPvRmT3_T4_T5_T6_T7_T9_mT8_P12ihipStream_tbDpT10_ENKUlT_T0_E_clISt17integral_constantIbLb1EES18_EEDaS13_S14_EUlS13_E_NS1_11comp_targetILNS1_3genE0ELNS1_11target_archE4294967295ELNS1_3gpuE0ELNS1_3repE0EEENS1_30default_config_static_selectorELNS0_4arch9wavefront6targetE0EEEvT1_,@function
_ZN7rocprim17ROCPRIM_400000_NS6detail17trampoline_kernelINS0_14default_configENS1_25partition_config_selectorILNS1_17partition_subalgoE9EiibEEZZNS1_14partition_implILS5_9ELb0ES3_jN6thrust23THRUST_200600_302600_NS6detail15normal_iteratorINS9_10device_ptrIiEEEESE_PNS0_10empty_typeENS0_5tupleIJSE_SF_EEENSH_IJSE_SG_EEENS0_18inequality_wrapperINS9_8equal_toIiEEEEPmJSF_EEE10hipError_tPvRmT3_T4_T5_T6_T7_T9_mT8_P12ihipStream_tbDpT10_ENKUlT_T0_E_clISt17integral_constantIbLb1EES18_EEDaS13_S14_EUlS13_E_NS1_11comp_targetILNS1_3genE0ELNS1_11target_archE4294967295ELNS1_3gpuE0ELNS1_3repE0EEENS1_30default_config_static_selectorELNS0_4arch9wavefront6targetE0EEEvT1_: ; @_ZN7rocprim17ROCPRIM_400000_NS6detail17trampoline_kernelINS0_14default_configENS1_25partition_config_selectorILNS1_17partition_subalgoE9EiibEEZZNS1_14partition_implILS5_9ELb0ES3_jN6thrust23THRUST_200600_302600_NS6detail15normal_iteratorINS9_10device_ptrIiEEEESE_PNS0_10empty_typeENS0_5tupleIJSE_SF_EEENSH_IJSE_SG_EEENS0_18inequality_wrapperINS9_8equal_toIiEEEEPmJSF_EEE10hipError_tPvRmT3_T4_T5_T6_T7_T9_mT8_P12ihipStream_tbDpT10_ENKUlT_T0_E_clISt17integral_constantIbLb1EES18_EEDaS13_S14_EUlS13_E_NS1_11comp_targetILNS1_3genE0ELNS1_11target_archE4294967295ELNS1_3gpuE0ELNS1_3repE0EEENS1_30default_config_static_selectorELNS0_4arch9wavefront6targetE0EEEvT1_
; %bb.0:
	.section	.rodata,"a",@progbits
	.p2align	6, 0x0
	.amdhsa_kernel _ZN7rocprim17ROCPRIM_400000_NS6detail17trampoline_kernelINS0_14default_configENS1_25partition_config_selectorILNS1_17partition_subalgoE9EiibEEZZNS1_14partition_implILS5_9ELb0ES3_jN6thrust23THRUST_200600_302600_NS6detail15normal_iteratorINS9_10device_ptrIiEEEESE_PNS0_10empty_typeENS0_5tupleIJSE_SF_EEENSH_IJSE_SG_EEENS0_18inequality_wrapperINS9_8equal_toIiEEEEPmJSF_EEE10hipError_tPvRmT3_T4_T5_T6_T7_T9_mT8_P12ihipStream_tbDpT10_ENKUlT_T0_E_clISt17integral_constantIbLb1EES18_EEDaS13_S14_EUlS13_E_NS1_11comp_targetILNS1_3genE0ELNS1_11target_archE4294967295ELNS1_3gpuE0ELNS1_3repE0EEENS1_30default_config_static_selectorELNS0_4arch9wavefront6targetE0EEEvT1_
		.amdhsa_group_segment_fixed_size 0
		.amdhsa_private_segment_fixed_size 0
		.amdhsa_kernarg_size 128
		.amdhsa_user_sgpr_count 15
		.amdhsa_user_sgpr_dispatch_ptr 0
		.amdhsa_user_sgpr_queue_ptr 0
		.amdhsa_user_sgpr_kernarg_segment_ptr 1
		.amdhsa_user_sgpr_dispatch_id 0
		.amdhsa_user_sgpr_private_segment_size 0
		.amdhsa_wavefront_size32 1
		.amdhsa_uses_dynamic_stack 0
		.amdhsa_enable_private_segment 0
		.amdhsa_system_sgpr_workgroup_id_x 1
		.amdhsa_system_sgpr_workgroup_id_y 0
		.amdhsa_system_sgpr_workgroup_id_z 0
		.amdhsa_system_sgpr_workgroup_info 0
		.amdhsa_system_vgpr_workitem_id 0
		.amdhsa_next_free_vgpr 1
		.amdhsa_next_free_sgpr 1
		.amdhsa_reserve_vcc 0
		.amdhsa_float_round_mode_32 0
		.amdhsa_float_round_mode_16_64 0
		.amdhsa_float_denorm_mode_32 3
		.amdhsa_float_denorm_mode_16_64 3
		.amdhsa_dx10_clamp 1
		.amdhsa_ieee_mode 1
		.amdhsa_fp16_overflow 0
		.amdhsa_workgroup_processor_mode 1
		.amdhsa_memory_ordered 1
		.amdhsa_forward_progress 0
		.amdhsa_shared_vgpr_count 0
		.amdhsa_exception_fp_ieee_invalid_op 0
		.amdhsa_exception_fp_denorm_src 0
		.amdhsa_exception_fp_ieee_div_zero 0
		.amdhsa_exception_fp_ieee_overflow 0
		.amdhsa_exception_fp_ieee_underflow 0
		.amdhsa_exception_fp_ieee_inexact 0
		.amdhsa_exception_int_div_zero 0
	.end_amdhsa_kernel
	.section	.text._ZN7rocprim17ROCPRIM_400000_NS6detail17trampoline_kernelINS0_14default_configENS1_25partition_config_selectorILNS1_17partition_subalgoE9EiibEEZZNS1_14partition_implILS5_9ELb0ES3_jN6thrust23THRUST_200600_302600_NS6detail15normal_iteratorINS9_10device_ptrIiEEEESE_PNS0_10empty_typeENS0_5tupleIJSE_SF_EEENSH_IJSE_SG_EEENS0_18inequality_wrapperINS9_8equal_toIiEEEEPmJSF_EEE10hipError_tPvRmT3_T4_T5_T6_T7_T9_mT8_P12ihipStream_tbDpT10_ENKUlT_T0_E_clISt17integral_constantIbLb1EES18_EEDaS13_S14_EUlS13_E_NS1_11comp_targetILNS1_3genE0ELNS1_11target_archE4294967295ELNS1_3gpuE0ELNS1_3repE0EEENS1_30default_config_static_selectorELNS0_4arch9wavefront6targetE0EEEvT1_,"axG",@progbits,_ZN7rocprim17ROCPRIM_400000_NS6detail17trampoline_kernelINS0_14default_configENS1_25partition_config_selectorILNS1_17partition_subalgoE9EiibEEZZNS1_14partition_implILS5_9ELb0ES3_jN6thrust23THRUST_200600_302600_NS6detail15normal_iteratorINS9_10device_ptrIiEEEESE_PNS0_10empty_typeENS0_5tupleIJSE_SF_EEENSH_IJSE_SG_EEENS0_18inequality_wrapperINS9_8equal_toIiEEEEPmJSF_EEE10hipError_tPvRmT3_T4_T5_T6_T7_T9_mT8_P12ihipStream_tbDpT10_ENKUlT_T0_E_clISt17integral_constantIbLb1EES18_EEDaS13_S14_EUlS13_E_NS1_11comp_targetILNS1_3genE0ELNS1_11target_archE4294967295ELNS1_3gpuE0ELNS1_3repE0EEENS1_30default_config_static_selectorELNS0_4arch9wavefront6targetE0EEEvT1_,comdat
.Lfunc_end412:
	.size	_ZN7rocprim17ROCPRIM_400000_NS6detail17trampoline_kernelINS0_14default_configENS1_25partition_config_selectorILNS1_17partition_subalgoE9EiibEEZZNS1_14partition_implILS5_9ELb0ES3_jN6thrust23THRUST_200600_302600_NS6detail15normal_iteratorINS9_10device_ptrIiEEEESE_PNS0_10empty_typeENS0_5tupleIJSE_SF_EEENSH_IJSE_SG_EEENS0_18inequality_wrapperINS9_8equal_toIiEEEEPmJSF_EEE10hipError_tPvRmT3_T4_T5_T6_T7_T9_mT8_P12ihipStream_tbDpT10_ENKUlT_T0_E_clISt17integral_constantIbLb1EES18_EEDaS13_S14_EUlS13_E_NS1_11comp_targetILNS1_3genE0ELNS1_11target_archE4294967295ELNS1_3gpuE0ELNS1_3repE0EEENS1_30default_config_static_selectorELNS0_4arch9wavefront6targetE0EEEvT1_, .Lfunc_end412-_ZN7rocprim17ROCPRIM_400000_NS6detail17trampoline_kernelINS0_14default_configENS1_25partition_config_selectorILNS1_17partition_subalgoE9EiibEEZZNS1_14partition_implILS5_9ELb0ES3_jN6thrust23THRUST_200600_302600_NS6detail15normal_iteratorINS9_10device_ptrIiEEEESE_PNS0_10empty_typeENS0_5tupleIJSE_SF_EEENSH_IJSE_SG_EEENS0_18inequality_wrapperINS9_8equal_toIiEEEEPmJSF_EEE10hipError_tPvRmT3_T4_T5_T6_T7_T9_mT8_P12ihipStream_tbDpT10_ENKUlT_T0_E_clISt17integral_constantIbLb1EES18_EEDaS13_S14_EUlS13_E_NS1_11comp_targetILNS1_3genE0ELNS1_11target_archE4294967295ELNS1_3gpuE0ELNS1_3repE0EEENS1_30default_config_static_selectorELNS0_4arch9wavefront6targetE0EEEvT1_
                                        ; -- End function
	.section	.AMDGPU.csdata,"",@progbits
; Kernel info:
; codeLenInByte = 0
; NumSgprs: 0
; NumVgprs: 0
; ScratchSize: 0
; MemoryBound: 0
; FloatMode: 240
; IeeeMode: 1
; LDSByteSize: 0 bytes/workgroup (compile time only)
; SGPRBlocks: 0
; VGPRBlocks: 0
; NumSGPRsForWavesPerEU: 1
; NumVGPRsForWavesPerEU: 1
; Occupancy: 16
; WaveLimiterHint : 0
; COMPUTE_PGM_RSRC2:SCRATCH_EN: 0
; COMPUTE_PGM_RSRC2:USER_SGPR: 15
; COMPUTE_PGM_RSRC2:TRAP_HANDLER: 0
; COMPUTE_PGM_RSRC2:TGID_X_EN: 1
; COMPUTE_PGM_RSRC2:TGID_Y_EN: 0
; COMPUTE_PGM_RSRC2:TGID_Z_EN: 0
; COMPUTE_PGM_RSRC2:TIDIG_COMP_CNT: 0
	.section	.text._ZN7rocprim17ROCPRIM_400000_NS6detail17trampoline_kernelINS0_14default_configENS1_25partition_config_selectorILNS1_17partition_subalgoE9EiibEEZZNS1_14partition_implILS5_9ELb0ES3_jN6thrust23THRUST_200600_302600_NS6detail15normal_iteratorINS9_10device_ptrIiEEEESE_PNS0_10empty_typeENS0_5tupleIJSE_SF_EEENSH_IJSE_SG_EEENS0_18inequality_wrapperINS9_8equal_toIiEEEEPmJSF_EEE10hipError_tPvRmT3_T4_T5_T6_T7_T9_mT8_P12ihipStream_tbDpT10_ENKUlT_T0_E_clISt17integral_constantIbLb1EES18_EEDaS13_S14_EUlS13_E_NS1_11comp_targetILNS1_3genE5ELNS1_11target_archE942ELNS1_3gpuE9ELNS1_3repE0EEENS1_30default_config_static_selectorELNS0_4arch9wavefront6targetE0EEEvT1_,"axG",@progbits,_ZN7rocprim17ROCPRIM_400000_NS6detail17trampoline_kernelINS0_14default_configENS1_25partition_config_selectorILNS1_17partition_subalgoE9EiibEEZZNS1_14partition_implILS5_9ELb0ES3_jN6thrust23THRUST_200600_302600_NS6detail15normal_iteratorINS9_10device_ptrIiEEEESE_PNS0_10empty_typeENS0_5tupleIJSE_SF_EEENSH_IJSE_SG_EEENS0_18inequality_wrapperINS9_8equal_toIiEEEEPmJSF_EEE10hipError_tPvRmT3_T4_T5_T6_T7_T9_mT8_P12ihipStream_tbDpT10_ENKUlT_T0_E_clISt17integral_constantIbLb1EES18_EEDaS13_S14_EUlS13_E_NS1_11comp_targetILNS1_3genE5ELNS1_11target_archE942ELNS1_3gpuE9ELNS1_3repE0EEENS1_30default_config_static_selectorELNS0_4arch9wavefront6targetE0EEEvT1_,comdat
	.protected	_ZN7rocprim17ROCPRIM_400000_NS6detail17trampoline_kernelINS0_14default_configENS1_25partition_config_selectorILNS1_17partition_subalgoE9EiibEEZZNS1_14partition_implILS5_9ELb0ES3_jN6thrust23THRUST_200600_302600_NS6detail15normal_iteratorINS9_10device_ptrIiEEEESE_PNS0_10empty_typeENS0_5tupleIJSE_SF_EEENSH_IJSE_SG_EEENS0_18inequality_wrapperINS9_8equal_toIiEEEEPmJSF_EEE10hipError_tPvRmT3_T4_T5_T6_T7_T9_mT8_P12ihipStream_tbDpT10_ENKUlT_T0_E_clISt17integral_constantIbLb1EES18_EEDaS13_S14_EUlS13_E_NS1_11comp_targetILNS1_3genE5ELNS1_11target_archE942ELNS1_3gpuE9ELNS1_3repE0EEENS1_30default_config_static_selectorELNS0_4arch9wavefront6targetE0EEEvT1_ ; -- Begin function _ZN7rocprim17ROCPRIM_400000_NS6detail17trampoline_kernelINS0_14default_configENS1_25partition_config_selectorILNS1_17partition_subalgoE9EiibEEZZNS1_14partition_implILS5_9ELb0ES3_jN6thrust23THRUST_200600_302600_NS6detail15normal_iteratorINS9_10device_ptrIiEEEESE_PNS0_10empty_typeENS0_5tupleIJSE_SF_EEENSH_IJSE_SG_EEENS0_18inequality_wrapperINS9_8equal_toIiEEEEPmJSF_EEE10hipError_tPvRmT3_T4_T5_T6_T7_T9_mT8_P12ihipStream_tbDpT10_ENKUlT_T0_E_clISt17integral_constantIbLb1EES18_EEDaS13_S14_EUlS13_E_NS1_11comp_targetILNS1_3genE5ELNS1_11target_archE942ELNS1_3gpuE9ELNS1_3repE0EEENS1_30default_config_static_selectorELNS0_4arch9wavefront6targetE0EEEvT1_
	.globl	_ZN7rocprim17ROCPRIM_400000_NS6detail17trampoline_kernelINS0_14default_configENS1_25partition_config_selectorILNS1_17partition_subalgoE9EiibEEZZNS1_14partition_implILS5_9ELb0ES3_jN6thrust23THRUST_200600_302600_NS6detail15normal_iteratorINS9_10device_ptrIiEEEESE_PNS0_10empty_typeENS0_5tupleIJSE_SF_EEENSH_IJSE_SG_EEENS0_18inequality_wrapperINS9_8equal_toIiEEEEPmJSF_EEE10hipError_tPvRmT3_T4_T5_T6_T7_T9_mT8_P12ihipStream_tbDpT10_ENKUlT_T0_E_clISt17integral_constantIbLb1EES18_EEDaS13_S14_EUlS13_E_NS1_11comp_targetILNS1_3genE5ELNS1_11target_archE942ELNS1_3gpuE9ELNS1_3repE0EEENS1_30default_config_static_selectorELNS0_4arch9wavefront6targetE0EEEvT1_
	.p2align	8
	.type	_ZN7rocprim17ROCPRIM_400000_NS6detail17trampoline_kernelINS0_14default_configENS1_25partition_config_selectorILNS1_17partition_subalgoE9EiibEEZZNS1_14partition_implILS5_9ELb0ES3_jN6thrust23THRUST_200600_302600_NS6detail15normal_iteratorINS9_10device_ptrIiEEEESE_PNS0_10empty_typeENS0_5tupleIJSE_SF_EEENSH_IJSE_SG_EEENS0_18inequality_wrapperINS9_8equal_toIiEEEEPmJSF_EEE10hipError_tPvRmT3_T4_T5_T6_T7_T9_mT8_P12ihipStream_tbDpT10_ENKUlT_T0_E_clISt17integral_constantIbLb1EES18_EEDaS13_S14_EUlS13_E_NS1_11comp_targetILNS1_3genE5ELNS1_11target_archE942ELNS1_3gpuE9ELNS1_3repE0EEENS1_30default_config_static_selectorELNS0_4arch9wavefront6targetE0EEEvT1_,@function
_ZN7rocprim17ROCPRIM_400000_NS6detail17trampoline_kernelINS0_14default_configENS1_25partition_config_selectorILNS1_17partition_subalgoE9EiibEEZZNS1_14partition_implILS5_9ELb0ES3_jN6thrust23THRUST_200600_302600_NS6detail15normal_iteratorINS9_10device_ptrIiEEEESE_PNS0_10empty_typeENS0_5tupleIJSE_SF_EEENSH_IJSE_SG_EEENS0_18inequality_wrapperINS9_8equal_toIiEEEEPmJSF_EEE10hipError_tPvRmT3_T4_T5_T6_T7_T9_mT8_P12ihipStream_tbDpT10_ENKUlT_T0_E_clISt17integral_constantIbLb1EES18_EEDaS13_S14_EUlS13_E_NS1_11comp_targetILNS1_3genE5ELNS1_11target_archE942ELNS1_3gpuE9ELNS1_3repE0EEENS1_30default_config_static_selectorELNS0_4arch9wavefront6targetE0EEEvT1_: ; @_ZN7rocprim17ROCPRIM_400000_NS6detail17trampoline_kernelINS0_14default_configENS1_25partition_config_selectorILNS1_17partition_subalgoE9EiibEEZZNS1_14partition_implILS5_9ELb0ES3_jN6thrust23THRUST_200600_302600_NS6detail15normal_iteratorINS9_10device_ptrIiEEEESE_PNS0_10empty_typeENS0_5tupleIJSE_SF_EEENSH_IJSE_SG_EEENS0_18inequality_wrapperINS9_8equal_toIiEEEEPmJSF_EEE10hipError_tPvRmT3_T4_T5_T6_T7_T9_mT8_P12ihipStream_tbDpT10_ENKUlT_T0_E_clISt17integral_constantIbLb1EES18_EEDaS13_S14_EUlS13_E_NS1_11comp_targetILNS1_3genE5ELNS1_11target_archE942ELNS1_3gpuE9ELNS1_3repE0EEENS1_30default_config_static_selectorELNS0_4arch9wavefront6targetE0EEEvT1_
; %bb.0:
	.section	.rodata,"a",@progbits
	.p2align	6, 0x0
	.amdhsa_kernel _ZN7rocprim17ROCPRIM_400000_NS6detail17trampoline_kernelINS0_14default_configENS1_25partition_config_selectorILNS1_17partition_subalgoE9EiibEEZZNS1_14partition_implILS5_9ELb0ES3_jN6thrust23THRUST_200600_302600_NS6detail15normal_iteratorINS9_10device_ptrIiEEEESE_PNS0_10empty_typeENS0_5tupleIJSE_SF_EEENSH_IJSE_SG_EEENS0_18inequality_wrapperINS9_8equal_toIiEEEEPmJSF_EEE10hipError_tPvRmT3_T4_T5_T6_T7_T9_mT8_P12ihipStream_tbDpT10_ENKUlT_T0_E_clISt17integral_constantIbLb1EES18_EEDaS13_S14_EUlS13_E_NS1_11comp_targetILNS1_3genE5ELNS1_11target_archE942ELNS1_3gpuE9ELNS1_3repE0EEENS1_30default_config_static_selectorELNS0_4arch9wavefront6targetE0EEEvT1_
		.amdhsa_group_segment_fixed_size 0
		.amdhsa_private_segment_fixed_size 0
		.amdhsa_kernarg_size 128
		.amdhsa_user_sgpr_count 15
		.amdhsa_user_sgpr_dispatch_ptr 0
		.amdhsa_user_sgpr_queue_ptr 0
		.amdhsa_user_sgpr_kernarg_segment_ptr 1
		.amdhsa_user_sgpr_dispatch_id 0
		.amdhsa_user_sgpr_private_segment_size 0
		.amdhsa_wavefront_size32 1
		.amdhsa_uses_dynamic_stack 0
		.amdhsa_enable_private_segment 0
		.amdhsa_system_sgpr_workgroup_id_x 1
		.amdhsa_system_sgpr_workgroup_id_y 0
		.amdhsa_system_sgpr_workgroup_id_z 0
		.amdhsa_system_sgpr_workgroup_info 0
		.amdhsa_system_vgpr_workitem_id 0
		.amdhsa_next_free_vgpr 1
		.amdhsa_next_free_sgpr 1
		.amdhsa_reserve_vcc 0
		.amdhsa_float_round_mode_32 0
		.amdhsa_float_round_mode_16_64 0
		.amdhsa_float_denorm_mode_32 3
		.amdhsa_float_denorm_mode_16_64 3
		.amdhsa_dx10_clamp 1
		.amdhsa_ieee_mode 1
		.amdhsa_fp16_overflow 0
		.amdhsa_workgroup_processor_mode 1
		.amdhsa_memory_ordered 1
		.amdhsa_forward_progress 0
		.amdhsa_shared_vgpr_count 0
		.amdhsa_exception_fp_ieee_invalid_op 0
		.amdhsa_exception_fp_denorm_src 0
		.amdhsa_exception_fp_ieee_div_zero 0
		.amdhsa_exception_fp_ieee_overflow 0
		.amdhsa_exception_fp_ieee_underflow 0
		.amdhsa_exception_fp_ieee_inexact 0
		.amdhsa_exception_int_div_zero 0
	.end_amdhsa_kernel
	.section	.text._ZN7rocprim17ROCPRIM_400000_NS6detail17trampoline_kernelINS0_14default_configENS1_25partition_config_selectorILNS1_17partition_subalgoE9EiibEEZZNS1_14partition_implILS5_9ELb0ES3_jN6thrust23THRUST_200600_302600_NS6detail15normal_iteratorINS9_10device_ptrIiEEEESE_PNS0_10empty_typeENS0_5tupleIJSE_SF_EEENSH_IJSE_SG_EEENS0_18inequality_wrapperINS9_8equal_toIiEEEEPmJSF_EEE10hipError_tPvRmT3_T4_T5_T6_T7_T9_mT8_P12ihipStream_tbDpT10_ENKUlT_T0_E_clISt17integral_constantIbLb1EES18_EEDaS13_S14_EUlS13_E_NS1_11comp_targetILNS1_3genE5ELNS1_11target_archE942ELNS1_3gpuE9ELNS1_3repE0EEENS1_30default_config_static_selectorELNS0_4arch9wavefront6targetE0EEEvT1_,"axG",@progbits,_ZN7rocprim17ROCPRIM_400000_NS6detail17trampoline_kernelINS0_14default_configENS1_25partition_config_selectorILNS1_17partition_subalgoE9EiibEEZZNS1_14partition_implILS5_9ELb0ES3_jN6thrust23THRUST_200600_302600_NS6detail15normal_iteratorINS9_10device_ptrIiEEEESE_PNS0_10empty_typeENS0_5tupleIJSE_SF_EEENSH_IJSE_SG_EEENS0_18inequality_wrapperINS9_8equal_toIiEEEEPmJSF_EEE10hipError_tPvRmT3_T4_T5_T6_T7_T9_mT8_P12ihipStream_tbDpT10_ENKUlT_T0_E_clISt17integral_constantIbLb1EES18_EEDaS13_S14_EUlS13_E_NS1_11comp_targetILNS1_3genE5ELNS1_11target_archE942ELNS1_3gpuE9ELNS1_3repE0EEENS1_30default_config_static_selectorELNS0_4arch9wavefront6targetE0EEEvT1_,comdat
.Lfunc_end413:
	.size	_ZN7rocprim17ROCPRIM_400000_NS6detail17trampoline_kernelINS0_14default_configENS1_25partition_config_selectorILNS1_17partition_subalgoE9EiibEEZZNS1_14partition_implILS5_9ELb0ES3_jN6thrust23THRUST_200600_302600_NS6detail15normal_iteratorINS9_10device_ptrIiEEEESE_PNS0_10empty_typeENS0_5tupleIJSE_SF_EEENSH_IJSE_SG_EEENS0_18inequality_wrapperINS9_8equal_toIiEEEEPmJSF_EEE10hipError_tPvRmT3_T4_T5_T6_T7_T9_mT8_P12ihipStream_tbDpT10_ENKUlT_T0_E_clISt17integral_constantIbLb1EES18_EEDaS13_S14_EUlS13_E_NS1_11comp_targetILNS1_3genE5ELNS1_11target_archE942ELNS1_3gpuE9ELNS1_3repE0EEENS1_30default_config_static_selectorELNS0_4arch9wavefront6targetE0EEEvT1_, .Lfunc_end413-_ZN7rocprim17ROCPRIM_400000_NS6detail17trampoline_kernelINS0_14default_configENS1_25partition_config_selectorILNS1_17partition_subalgoE9EiibEEZZNS1_14partition_implILS5_9ELb0ES3_jN6thrust23THRUST_200600_302600_NS6detail15normal_iteratorINS9_10device_ptrIiEEEESE_PNS0_10empty_typeENS0_5tupleIJSE_SF_EEENSH_IJSE_SG_EEENS0_18inequality_wrapperINS9_8equal_toIiEEEEPmJSF_EEE10hipError_tPvRmT3_T4_T5_T6_T7_T9_mT8_P12ihipStream_tbDpT10_ENKUlT_T0_E_clISt17integral_constantIbLb1EES18_EEDaS13_S14_EUlS13_E_NS1_11comp_targetILNS1_3genE5ELNS1_11target_archE942ELNS1_3gpuE9ELNS1_3repE0EEENS1_30default_config_static_selectorELNS0_4arch9wavefront6targetE0EEEvT1_
                                        ; -- End function
	.section	.AMDGPU.csdata,"",@progbits
; Kernel info:
; codeLenInByte = 0
; NumSgprs: 0
; NumVgprs: 0
; ScratchSize: 0
; MemoryBound: 0
; FloatMode: 240
; IeeeMode: 1
; LDSByteSize: 0 bytes/workgroup (compile time only)
; SGPRBlocks: 0
; VGPRBlocks: 0
; NumSGPRsForWavesPerEU: 1
; NumVGPRsForWavesPerEU: 1
; Occupancy: 16
; WaveLimiterHint : 0
; COMPUTE_PGM_RSRC2:SCRATCH_EN: 0
; COMPUTE_PGM_RSRC2:USER_SGPR: 15
; COMPUTE_PGM_RSRC2:TRAP_HANDLER: 0
; COMPUTE_PGM_RSRC2:TGID_X_EN: 1
; COMPUTE_PGM_RSRC2:TGID_Y_EN: 0
; COMPUTE_PGM_RSRC2:TGID_Z_EN: 0
; COMPUTE_PGM_RSRC2:TIDIG_COMP_CNT: 0
	.section	.text._ZN7rocprim17ROCPRIM_400000_NS6detail17trampoline_kernelINS0_14default_configENS1_25partition_config_selectorILNS1_17partition_subalgoE9EiibEEZZNS1_14partition_implILS5_9ELb0ES3_jN6thrust23THRUST_200600_302600_NS6detail15normal_iteratorINS9_10device_ptrIiEEEESE_PNS0_10empty_typeENS0_5tupleIJSE_SF_EEENSH_IJSE_SG_EEENS0_18inequality_wrapperINS9_8equal_toIiEEEEPmJSF_EEE10hipError_tPvRmT3_T4_T5_T6_T7_T9_mT8_P12ihipStream_tbDpT10_ENKUlT_T0_E_clISt17integral_constantIbLb1EES18_EEDaS13_S14_EUlS13_E_NS1_11comp_targetILNS1_3genE4ELNS1_11target_archE910ELNS1_3gpuE8ELNS1_3repE0EEENS1_30default_config_static_selectorELNS0_4arch9wavefront6targetE0EEEvT1_,"axG",@progbits,_ZN7rocprim17ROCPRIM_400000_NS6detail17trampoline_kernelINS0_14default_configENS1_25partition_config_selectorILNS1_17partition_subalgoE9EiibEEZZNS1_14partition_implILS5_9ELb0ES3_jN6thrust23THRUST_200600_302600_NS6detail15normal_iteratorINS9_10device_ptrIiEEEESE_PNS0_10empty_typeENS0_5tupleIJSE_SF_EEENSH_IJSE_SG_EEENS0_18inequality_wrapperINS9_8equal_toIiEEEEPmJSF_EEE10hipError_tPvRmT3_T4_T5_T6_T7_T9_mT8_P12ihipStream_tbDpT10_ENKUlT_T0_E_clISt17integral_constantIbLb1EES18_EEDaS13_S14_EUlS13_E_NS1_11comp_targetILNS1_3genE4ELNS1_11target_archE910ELNS1_3gpuE8ELNS1_3repE0EEENS1_30default_config_static_selectorELNS0_4arch9wavefront6targetE0EEEvT1_,comdat
	.protected	_ZN7rocprim17ROCPRIM_400000_NS6detail17trampoline_kernelINS0_14default_configENS1_25partition_config_selectorILNS1_17partition_subalgoE9EiibEEZZNS1_14partition_implILS5_9ELb0ES3_jN6thrust23THRUST_200600_302600_NS6detail15normal_iteratorINS9_10device_ptrIiEEEESE_PNS0_10empty_typeENS0_5tupleIJSE_SF_EEENSH_IJSE_SG_EEENS0_18inequality_wrapperINS9_8equal_toIiEEEEPmJSF_EEE10hipError_tPvRmT3_T4_T5_T6_T7_T9_mT8_P12ihipStream_tbDpT10_ENKUlT_T0_E_clISt17integral_constantIbLb1EES18_EEDaS13_S14_EUlS13_E_NS1_11comp_targetILNS1_3genE4ELNS1_11target_archE910ELNS1_3gpuE8ELNS1_3repE0EEENS1_30default_config_static_selectorELNS0_4arch9wavefront6targetE0EEEvT1_ ; -- Begin function _ZN7rocprim17ROCPRIM_400000_NS6detail17trampoline_kernelINS0_14default_configENS1_25partition_config_selectorILNS1_17partition_subalgoE9EiibEEZZNS1_14partition_implILS5_9ELb0ES3_jN6thrust23THRUST_200600_302600_NS6detail15normal_iteratorINS9_10device_ptrIiEEEESE_PNS0_10empty_typeENS0_5tupleIJSE_SF_EEENSH_IJSE_SG_EEENS0_18inequality_wrapperINS9_8equal_toIiEEEEPmJSF_EEE10hipError_tPvRmT3_T4_T5_T6_T7_T9_mT8_P12ihipStream_tbDpT10_ENKUlT_T0_E_clISt17integral_constantIbLb1EES18_EEDaS13_S14_EUlS13_E_NS1_11comp_targetILNS1_3genE4ELNS1_11target_archE910ELNS1_3gpuE8ELNS1_3repE0EEENS1_30default_config_static_selectorELNS0_4arch9wavefront6targetE0EEEvT1_
	.globl	_ZN7rocprim17ROCPRIM_400000_NS6detail17trampoline_kernelINS0_14default_configENS1_25partition_config_selectorILNS1_17partition_subalgoE9EiibEEZZNS1_14partition_implILS5_9ELb0ES3_jN6thrust23THRUST_200600_302600_NS6detail15normal_iteratorINS9_10device_ptrIiEEEESE_PNS0_10empty_typeENS0_5tupleIJSE_SF_EEENSH_IJSE_SG_EEENS0_18inequality_wrapperINS9_8equal_toIiEEEEPmJSF_EEE10hipError_tPvRmT3_T4_T5_T6_T7_T9_mT8_P12ihipStream_tbDpT10_ENKUlT_T0_E_clISt17integral_constantIbLb1EES18_EEDaS13_S14_EUlS13_E_NS1_11comp_targetILNS1_3genE4ELNS1_11target_archE910ELNS1_3gpuE8ELNS1_3repE0EEENS1_30default_config_static_selectorELNS0_4arch9wavefront6targetE0EEEvT1_
	.p2align	8
	.type	_ZN7rocprim17ROCPRIM_400000_NS6detail17trampoline_kernelINS0_14default_configENS1_25partition_config_selectorILNS1_17partition_subalgoE9EiibEEZZNS1_14partition_implILS5_9ELb0ES3_jN6thrust23THRUST_200600_302600_NS6detail15normal_iteratorINS9_10device_ptrIiEEEESE_PNS0_10empty_typeENS0_5tupleIJSE_SF_EEENSH_IJSE_SG_EEENS0_18inequality_wrapperINS9_8equal_toIiEEEEPmJSF_EEE10hipError_tPvRmT3_T4_T5_T6_T7_T9_mT8_P12ihipStream_tbDpT10_ENKUlT_T0_E_clISt17integral_constantIbLb1EES18_EEDaS13_S14_EUlS13_E_NS1_11comp_targetILNS1_3genE4ELNS1_11target_archE910ELNS1_3gpuE8ELNS1_3repE0EEENS1_30default_config_static_selectorELNS0_4arch9wavefront6targetE0EEEvT1_,@function
_ZN7rocprim17ROCPRIM_400000_NS6detail17trampoline_kernelINS0_14default_configENS1_25partition_config_selectorILNS1_17partition_subalgoE9EiibEEZZNS1_14partition_implILS5_9ELb0ES3_jN6thrust23THRUST_200600_302600_NS6detail15normal_iteratorINS9_10device_ptrIiEEEESE_PNS0_10empty_typeENS0_5tupleIJSE_SF_EEENSH_IJSE_SG_EEENS0_18inequality_wrapperINS9_8equal_toIiEEEEPmJSF_EEE10hipError_tPvRmT3_T4_T5_T6_T7_T9_mT8_P12ihipStream_tbDpT10_ENKUlT_T0_E_clISt17integral_constantIbLb1EES18_EEDaS13_S14_EUlS13_E_NS1_11comp_targetILNS1_3genE4ELNS1_11target_archE910ELNS1_3gpuE8ELNS1_3repE0EEENS1_30default_config_static_selectorELNS0_4arch9wavefront6targetE0EEEvT1_: ; @_ZN7rocprim17ROCPRIM_400000_NS6detail17trampoline_kernelINS0_14default_configENS1_25partition_config_selectorILNS1_17partition_subalgoE9EiibEEZZNS1_14partition_implILS5_9ELb0ES3_jN6thrust23THRUST_200600_302600_NS6detail15normal_iteratorINS9_10device_ptrIiEEEESE_PNS0_10empty_typeENS0_5tupleIJSE_SF_EEENSH_IJSE_SG_EEENS0_18inequality_wrapperINS9_8equal_toIiEEEEPmJSF_EEE10hipError_tPvRmT3_T4_T5_T6_T7_T9_mT8_P12ihipStream_tbDpT10_ENKUlT_T0_E_clISt17integral_constantIbLb1EES18_EEDaS13_S14_EUlS13_E_NS1_11comp_targetILNS1_3genE4ELNS1_11target_archE910ELNS1_3gpuE8ELNS1_3repE0EEENS1_30default_config_static_selectorELNS0_4arch9wavefront6targetE0EEEvT1_
; %bb.0:
	.section	.rodata,"a",@progbits
	.p2align	6, 0x0
	.amdhsa_kernel _ZN7rocprim17ROCPRIM_400000_NS6detail17trampoline_kernelINS0_14default_configENS1_25partition_config_selectorILNS1_17partition_subalgoE9EiibEEZZNS1_14partition_implILS5_9ELb0ES3_jN6thrust23THRUST_200600_302600_NS6detail15normal_iteratorINS9_10device_ptrIiEEEESE_PNS0_10empty_typeENS0_5tupleIJSE_SF_EEENSH_IJSE_SG_EEENS0_18inequality_wrapperINS9_8equal_toIiEEEEPmJSF_EEE10hipError_tPvRmT3_T4_T5_T6_T7_T9_mT8_P12ihipStream_tbDpT10_ENKUlT_T0_E_clISt17integral_constantIbLb1EES18_EEDaS13_S14_EUlS13_E_NS1_11comp_targetILNS1_3genE4ELNS1_11target_archE910ELNS1_3gpuE8ELNS1_3repE0EEENS1_30default_config_static_selectorELNS0_4arch9wavefront6targetE0EEEvT1_
		.amdhsa_group_segment_fixed_size 0
		.amdhsa_private_segment_fixed_size 0
		.amdhsa_kernarg_size 128
		.amdhsa_user_sgpr_count 15
		.amdhsa_user_sgpr_dispatch_ptr 0
		.amdhsa_user_sgpr_queue_ptr 0
		.amdhsa_user_sgpr_kernarg_segment_ptr 1
		.amdhsa_user_sgpr_dispatch_id 0
		.amdhsa_user_sgpr_private_segment_size 0
		.amdhsa_wavefront_size32 1
		.amdhsa_uses_dynamic_stack 0
		.amdhsa_enable_private_segment 0
		.amdhsa_system_sgpr_workgroup_id_x 1
		.amdhsa_system_sgpr_workgroup_id_y 0
		.amdhsa_system_sgpr_workgroup_id_z 0
		.amdhsa_system_sgpr_workgroup_info 0
		.amdhsa_system_vgpr_workitem_id 0
		.amdhsa_next_free_vgpr 1
		.amdhsa_next_free_sgpr 1
		.amdhsa_reserve_vcc 0
		.amdhsa_float_round_mode_32 0
		.amdhsa_float_round_mode_16_64 0
		.amdhsa_float_denorm_mode_32 3
		.amdhsa_float_denorm_mode_16_64 3
		.amdhsa_dx10_clamp 1
		.amdhsa_ieee_mode 1
		.amdhsa_fp16_overflow 0
		.amdhsa_workgroup_processor_mode 1
		.amdhsa_memory_ordered 1
		.amdhsa_forward_progress 0
		.amdhsa_shared_vgpr_count 0
		.amdhsa_exception_fp_ieee_invalid_op 0
		.amdhsa_exception_fp_denorm_src 0
		.amdhsa_exception_fp_ieee_div_zero 0
		.amdhsa_exception_fp_ieee_overflow 0
		.amdhsa_exception_fp_ieee_underflow 0
		.amdhsa_exception_fp_ieee_inexact 0
		.amdhsa_exception_int_div_zero 0
	.end_amdhsa_kernel
	.section	.text._ZN7rocprim17ROCPRIM_400000_NS6detail17trampoline_kernelINS0_14default_configENS1_25partition_config_selectorILNS1_17partition_subalgoE9EiibEEZZNS1_14partition_implILS5_9ELb0ES3_jN6thrust23THRUST_200600_302600_NS6detail15normal_iteratorINS9_10device_ptrIiEEEESE_PNS0_10empty_typeENS0_5tupleIJSE_SF_EEENSH_IJSE_SG_EEENS0_18inequality_wrapperINS9_8equal_toIiEEEEPmJSF_EEE10hipError_tPvRmT3_T4_T5_T6_T7_T9_mT8_P12ihipStream_tbDpT10_ENKUlT_T0_E_clISt17integral_constantIbLb1EES18_EEDaS13_S14_EUlS13_E_NS1_11comp_targetILNS1_3genE4ELNS1_11target_archE910ELNS1_3gpuE8ELNS1_3repE0EEENS1_30default_config_static_selectorELNS0_4arch9wavefront6targetE0EEEvT1_,"axG",@progbits,_ZN7rocprim17ROCPRIM_400000_NS6detail17trampoline_kernelINS0_14default_configENS1_25partition_config_selectorILNS1_17partition_subalgoE9EiibEEZZNS1_14partition_implILS5_9ELb0ES3_jN6thrust23THRUST_200600_302600_NS6detail15normal_iteratorINS9_10device_ptrIiEEEESE_PNS0_10empty_typeENS0_5tupleIJSE_SF_EEENSH_IJSE_SG_EEENS0_18inequality_wrapperINS9_8equal_toIiEEEEPmJSF_EEE10hipError_tPvRmT3_T4_T5_T6_T7_T9_mT8_P12ihipStream_tbDpT10_ENKUlT_T0_E_clISt17integral_constantIbLb1EES18_EEDaS13_S14_EUlS13_E_NS1_11comp_targetILNS1_3genE4ELNS1_11target_archE910ELNS1_3gpuE8ELNS1_3repE0EEENS1_30default_config_static_selectorELNS0_4arch9wavefront6targetE0EEEvT1_,comdat
.Lfunc_end414:
	.size	_ZN7rocprim17ROCPRIM_400000_NS6detail17trampoline_kernelINS0_14default_configENS1_25partition_config_selectorILNS1_17partition_subalgoE9EiibEEZZNS1_14partition_implILS5_9ELb0ES3_jN6thrust23THRUST_200600_302600_NS6detail15normal_iteratorINS9_10device_ptrIiEEEESE_PNS0_10empty_typeENS0_5tupleIJSE_SF_EEENSH_IJSE_SG_EEENS0_18inequality_wrapperINS9_8equal_toIiEEEEPmJSF_EEE10hipError_tPvRmT3_T4_T5_T6_T7_T9_mT8_P12ihipStream_tbDpT10_ENKUlT_T0_E_clISt17integral_constantIbLb1EES18_EEDaS13_S14_EUlS13_E_NS1_11comp_targetILNS1_3genE4ELNS1_11target_archE910ELNS1_3gpuE8ELNS1_3repE0EEENS1_30default_config_static_selectorELNS0_4arch9wavefront6targetE0EEEvT1_, .Lfunc_end414-_ZN7rocprim17ROCPRIM_400000_NS6detail17trampoline_kernelINS0_14default_configENS1_25partition_config_selectorILNS1_17partition_subalgoE9EiibEEZZNS1_14partition_implILS5_9ELb0ES3_jN6thrust23THRUST_200600_302600_NS6detail15normal_iteratorINS9_10device_ptrIiEEEESE_PNS0_10empty_typeENS0_5tupleIJSE_SF_EEENSH_IJSE_SG_EEENS0_18inequality_wrapperINS9_8equal_toIiEEEEPmJSF_EEE10hipError_tPvRmT3_T4_T5_T6_T7_T9_mT8_P12ihipStream_tbDpT10_ENKUlT_T0_E_clISt17integral_constantIbLb1EES18_EEDaS13_S14_EUlS13_E_NS1_11comp_targetILNS1_3genE4ELNS1_11target_archE910ELNS1_3gpuE8ELNS1_3repE0EEENS1_30default_config_static_selectorELNS0_4arch9wavefront6targetE0EEEvT1_
                                        ; -- End function
	.section	.AMDGPU.csdata,"",@progbits
; Kernel info:
; codeLenInByte = 0
; NumSgprs: 0
; NumVgprs: 0
; ScratchSize: 0
; MemoryBound: 0
; FloatMode: 240
; IeeeMode: 1
; LDSByteSize: 0 bytes/workgroup (compile time only)
; SGPRBlocks: 0
; VGPRBlocks: 0
; NumSGPRsForWavesPerEU: 1
; NumVGPRsForWavesPerEU: 1
; Occupancy: 15
; WaveLimiterHint : 0
; COMPUTE_PGM_RSRC2:SCRATCH_EN: 0
; COMPUTE_PGM_RSRC2:USER_SGPR: 15
; COMPUTE_PGM_RSRC2:TRAP_HANDLER: 0
; COMPUTE_PGM_RSRC2:TGID_X_EN: 1
; COMPUTE_PGM_RSRC2:TGID_Y_EN: 0
; COMPUTE_PGM_RSRC2:TGID_Z_EN: 0
; COMPUTE_PGM_RSRC2:TIDIG_COMP_CNT: 0
	.section	.text._ZN7rocprim17ROCPRIM_400000_NS6detail17trampoline_kernelINS0_14default_configENS1_25partition_config_selectorILNS1_17partition_subalgoE9EiibEEZZNS1_14partition_implILS5_9ELb0ES3_jN6thrust23THRUST_200600_302600_NS6detail15normal_iteratorINS9_10device_ptrIiEEEESE_PNS0_10empty_typeENS0_5tupleIJSE_SF_EEENSH_IJSE_SG_EEENS0_18inequality_wrapperINS9_8equal_toIiEEEEPmJSF_EEE10hipError_tPvRmT3_T4_T5_T6_T7_T9_mT8_P12ihipStream_tbDpT10_ENKUlT_T0_E_clISt17integral_constantIbLb1EES18_EEDaS13_S14_EUlS13_E_NS1_11comp_targetILNS1_3genE3ELNS1_11target_archE908ELNS1_3gpuE7ELNS1_3repE0EEENS1_30default_config_static_selectorELNS0_4arch9wavefront6targetE0EEEvT1_,"axG",@progbits,_ZN7rocprim17ROCPRIM_400000_NS6detail17trampoline_kernelINS0_14default_configENS1_25partition_config_selectorILNS1_17partition_subalgoE9EiibEEZZNS1_14partition_implILS5_9ELb0ES3_jN6thrust23THRUST_200600_302600_NS6detail15normal_iteratorINS9_10device_ptrIiEEEESE_PNS0_10empty_typeENS0_5tupleIJSE_SF_EEENSH_IJSE_SG_EEENS0_18inequality_wrapperINS9_8equal_toIiEEEEPmJSF_EEE10hipError_tPvRmT3_T4_T5_T6_T7_T9_mT8_P12ihipStream_tbDpT10_ENKUlT_T0_E_clISt17integral_constantIbLb1EES18_EEDaS13_S14_EUlS13_E_NS1_11comp_targetILNS1_3genE3ELNS1_11target_archE908ELNS1_3gpuE7ELNS1_3repE0EEENS1_30default_config_static_selectorELNS0_4arch9wavefront6targetE0EEEvT1_,comdat
	.protected	_ZN7rocprim17ROCPRIM_400000_NS6detail17trampoline_kernelINS0_14default_configENS1_25partition_config_selectorILNS1_17partition_subalgoE9EiibEEZZNS1_14partition_implILS5_9ELb0ES3_jN6thrust23THRUST_200600_302600_NS6detail15normal_iteratorINS9_10device_ptrIiEEEESE_PNS0_10empty_typeENS0_5tupleIJSE_SF_EEENSH_IJSE_SG_EEENS0_18inequality_wrapperINS9_8equal_toIiEEEEPmJSF_EEE10hipError_tPvRmT3_T4_T5_T6_T7_T9_mT8_P12ihipStream_tbDpT10_ENKUlT_T0_E_clISt17integral_constantIbLb1EES18_EEDaS13_S14_EUlS13_E_NS1_11comp_targetILNS1_3genE3ELNS1_11target_archE908ELNS1_3gpuE7ELNS1_3repE0EEENS1_30default_config_static_selectorELNS0_4arch9wavefront6targetE0EEEvT1_ ; -- Begin function _ZN7rocprim17ROCPRIM_400000_NS6detail17trampoline_kernelINS0_14default_configENS1_25partition_config_selectorILNS1_17partition_subalgoE9EiibEEZZNS1_14partition_implILS5_9ELb0ES3_jN6thrust23THRUST_200600_302600_NS6detail15normal_iteratorINS9_10device_ptrIiEEEESE_PNS0_10empty_typeENS0_5tupleIJSE_SF_EEENSH_IJSE_SG_EEENS0_18inequality_wrapperINS9_8equal_toIiEEEEPmJSF_EEE10hipError_tPvRmT3_T4_T5_T6_T7_T9_mT8_P12ihipStream_tbDpT10_ENKUlT_T0_E_clISt17integral_constantIbLb1EES18_EEDaS13_S14_EUlS13_E_NS1_11comp_targetILNS1_3genE3ELNS1_11target_archE908ELNS1_3gpuE7ELNS1_3repE0EEENS1_30default_config_static_selectorELNS0_4arch9wavefront6targetE0EEEvT1_
	.globl	_ZN7rocprim17ROCPRIM_400000_NS6detail17trampoline_kernelINS0_14default_configENS1_25partition_config_selectorILNS1_17partition_subalgoE9EiibEEZZNS1_14partition_implILS5_9ELb0ES3_jN6thrust23THRUST_200600_302600_NS6detail15normal_iteratorINS9_10device_ptrIiEEEESE_PNS0_10empty_typeENS0_5tupleIJSE_SF_EEENSH_IJSE_SG_EEENS0_18inequality_wrapperINS9_8equal_toIiEEEEPmJSF_EEE10hipError_tPvRmT3_T4_T5_T6_T7_T9_mT8_P12ihipStream_tbDpT10_ENKUlT_T0_E_clISt17integral_constantIbLb1EES18_EEDaS13_S14_EUlS13_E_NS1_11comp_targetILNS1_3genE3ELNS1_11target_archE908ELNS1_3gpuE7ELNS1_3repE0EEENS1_30default_config_static_selectorELNS0_4arch9wavefront6targetE0EEEvT1_
	.p2align	8
	.type	_ZN7rocprim17ROCPRIM_400000_NS6detail17trampoline_kernelINS0_14default_configENS1_25partition_config_selectorILNS1_17partition_subalgoE9EiibEEZZNS1_14partition_implILS5_9ELb0ES3_jN6thrust23THRUST_200600_302600_NS6detail15normal_iteratorINS9_10device_ptrIiEEEESE_PNS0_10empty_typeENS0_5tupleIJSE_SF_EEENSH_IJSE_SG_EEENS0_18inequality_wrapperINS9_8equal_toIiEEEEPmJSF_EEE10hipError_tPvRmT3_T4_T5_T6_T7_T9_mT8_P12ihipStream_tbDpT10_ENKUlT_T0_E_clISt17integral_constantIbLb1EES18_EEDaS13_S14_EUlS13_E_NS1_11comp_targetILNS1_3genE3ELNS1_11target_archE908ELNS1_3gpuE7ELNS1_3repE0EEENS1_30default_config_static_selectorELNS0_4arch9wavefront6targetE0EEEvT1_,@function
_ZN7rocprim17ROCPRIM_400000_NS6detail17trampoline_kernelINS0_14default_configENS1_25partition_config_selectorILNS1_17partition_subalgoE9EiibEEZZNS1_14partition_implILS5_9ELb0ES3_jN6thrust23THRUST_200600_302600_NS6detail15normal_iteratorINS9_10device_ptrIiEEEESE_PNS0_10empty_typeENS0_5tupleIJSE_SF_EEENSH_IJSE_SG_EEENS0_18inequality_wrapperINS9_8equal_toIiEEEEPmJSF_EEE10hipError_tPvRmT3_T4_T5_T6_T7_T9_mT8_P12ihipStream_tbDpT10_ENKUlT_T0_E_clISt17integral_constantIbLb1EES18_EEDaS13_S14_EUlS13_E_NS1_11comp_targetILNS1_3genE3ELNS1_11target_archE908ELNS1_3gpuE7ELNS1_3repE0EEENS1_30default_config_static_selectorELNS0_4arch9wavefront6targetE0EEEvT1_: ; @_ZN7rocprim17ROCPRIM_400000_NS6detail17trampoline_kernelINS0_14default_configENS1_25partition_config_selectorILNS1_17partition_subalgoE9EiibEEZZNS1_14partition_implILS5_9ELb0ES3_jN6thrust23THRUST_200600_302600_NS6detail15normal_iteratorINS9_10device_ptrIiEEEESE_PNS0_10empty_typeENS0_5tupleIJSE_SF_EEENSH_IJSE_SG_EEENS0_18inequality_wrapperINS9_8equal_toIiEEEEPmJSF_EEE10hipError_tPvRmT3_T4_T5_T6_T7_T9_mT8_P12ihipStream_tbDpT10_ENKUlT_T0_E_clISt17integral_constantIbLb1EES18_EEDaS13_S14_EUlS13_E_NS1_11comp_targetILNS1_3genE3ELNS1_11target_archE908ELNS1_3gpuE7ELNS1_3repE0EEENS1_30default_config_static_selectorELNS0_4arch9wavefront6targetE0EEEvT1_
; %bb.0:
	.section	.rodata,"a",@progbits
	.p2align	6, 0x0
	.amdhsa_kernel _ZN7rocprim17ROCPRIM_400000_NS6detail17trampoline_kernelINS0_14default_configENS1_25partition_config_selectorILNS1_17partition_subalgoE9EiibEEZZNS1_14partition_implILS5_9ELb0ES3_jN6thrust23THRUST_200600_302600_NS6detail15normal_iteratorINS9_10device_ptrIiEEEESE_PNS0_10empty_typeENS0_5tupleIJSE_SF_EEENSH_IJSE_SG_EEENS0_18inequality_wrapperINS9_8equal_toIiEEEEPmJSF_EEE10hipError_tPvRmT3_T4_T5_T6_T7_T9_mT8_P12ihipStream_tbDpT10_ENKUlT_T0_E_clISt17integral_constantIbLb1EES18_EEDaS13_S14_EUlS13_E_NS1_11comp_targetILNS1_3genE3ELNS1_11target_archE908ELNS1_3gpuE7ELNS1_3repE0EEENS1_30default_config_static_selectorELNS0_4arch9wavefront6targetE0EEEvT1_
		.amdhsa_group_segment_fixed_size 0
		.amdhsa_private_segment_fixed_size 0
		.amdhsa_kernarg_size 128
		.amdhsa_user_sgpr_count 15
		.amdhsa_user_sgpr_dispatch_ptr 0
		.amdhsa_user_sgpr_queue_ptr 0
		.amdhsa_user_sgpr_kernarg_segment_ptr 1
		.amdhsa_user_sgpr_dispatch_id 0
		.amdhsa_user_sgpr_private_segment_size 0
		.amdhsa_wavefront_size32 1
		.amdhsa_uses_dynamic_stack 0
		.amdhsa_enable_private_segment 0
		.amdhsa_system_sgpr_workgroup_id_x 1
		.amdhsa_system_sgpr_workgroup_id_y 0
		.amdhsa_system_sgpr_workgroup_id_z 0
		.amdhsa_system_sgpr_workgroup_info 0
		.amdhsa_system_vgpr_workitem_id 0
		.amdhsa_next_free_vgpr 1
		.amdhsa_next_free_sgpr 1
		.amdhsa_reserve_vcc 0
		.amdhsa_float_round_mode_32 0
		.amdhsa_float_round_mode_16_64 0
		.amdhsa_float_denorm_mode_32 3
		.amdhsa_float_denorm_mode_16_64 3
		.amdhsa_dx10_clamp 1
		.amdhsa_ieee_mode 1
		.amdhsa_fp16_overflow 0
		.amdhsa_workgroup_processor_mode 1
		.amdhsa_memory_ordered 1
		.amdhsa_forward_progress 0
		.amdhsa_shared_vgpr_count 0
		.amdhsa_exception_fp_ieee_invalid_op 0
		.amdhsa_exception_fp_denorm_src 0
		.amdhsa_exception_fp_ieee_div_zero 0
		.amdhsa_exception_fp_ieee_overflow 0
		.amdhsa_exception_fp_ieee_underflow 0
		.amdhsa_exception_fp_ieee_inexact 0
		.amdhsa_exception_int_div_zero 0
	.end_amdhsa_kernel
	.section	.text._ZN7rocprim17ROCPRIM_400000_NS6detail17trampoline_kernelINS0_14default_configENS1_25partition_config_selectorILNS1_17partition_subalgoE9EiibEEZZNS1_14partition_implILS5_9ELb0ES3_jN6thrust23THRUST_200600_302600_NS6detail15normal_iteratorINS9_10device_ptrIiEEEESE_PNS0_10empty_typeENS0_5tupleIJSE_SF_EEENSH_IJSE_SG_EEENS0_18inequality_wrapperINS9_8equal_toIiEEEEPmJSF_EEE10hipError_tPvRmT3_T4_T5_T6_T7_T9_mT8_P12ihipStream_tbDpT10_ENKUlT_T0_E_clISt17integral_constantIbLb1EES18_EEDaS13_S14_EUlS13_E_NS1_11comp_targetILNS1_3genE3ELNS1_11target_archE908ELNS1_3gpuE7ELNS1_3repE0EEENS1_30default_config_static_selectorELNS0_4arch9wavefront6targetE0EEEvT1_,"axG",@progbits,_ZN7rocprim17ROCPRIM_400000_NS6detail17trampoline_kernelINS0_14default_configENS1_25partition_config_selectorILNS1_17partition_subalgoE9EiibEEZZNS1_14partition_implILS5_9ELb0ES3_jN6thrust23THRUST_200600_302600_NS6detail15normal_iteratorINS9_10device_ptrIiEEEESE_PNS0_10empty_typeENS0_5tupleIJSE_SF_EEENSH_IJSE_SG_EEENS0_18inequality_wrapperINS9_8equal_toIiEEEEPmJSF_EEE10hipError_tPvRmT3_T4_T5_T6_T7_T9_mT8_P12ihipStream_tbDpT10_ENKUlT_T0_E_clISt17integral_constantIbLb1EES18_EEDaS13_S14_EUlS13_E_NS1_11comp_targetILNS1_3genE3ELNS1_11target_archE908ELNS1_3gpuE7ELNS1_3repE0EEENS1_30default_config_static_selectorELNS0_4arch9wavefront6targetE0EEEvT1_,comdat
.Lfunc_end415:
	.size	_ZN7rocprim17ROCPRIM_400000_NS6detail17trampoline_kernelINS0_14default_configENS1_25partition_config_selectorILNS1_17partition_subalgoE9EiibEEZZNS1_14partition_implILS5_9ELb0ES3_jN6thrust23THRUST_200600_302600_NS6detail15normal_iteratorINS9_10device_ptrIiEEEESE_PNS0_10empty_typeENS0_5tupleIJSE_SF_EEENSH_IJSE_SG_EEENS0_18inequality_wrapperINS9_8equal_toIiEEEEPmJSF_EEE10hipError_tPvRmT3_T4_T5_T6_T7_T9_mT8_P12ihipStream_tbDpT10_ENKUlT_T0_E_clISt17integral_constantIbLb1EES18_EEDaS13_S14_EUlS13_E_NS1_11comp_targetILNS1_3genE3ELNS1_11target_archE908ELNS1_3gpuE7ELNS1_3repE0EEENS1_30default_config_static_selectorELNS0_4arch9wavefront6targetE0EEEvT1_, .Lfunc_end415-_ZN7rocprim17ROCPRIM_400000_NS6detail17trampoline_kernelINS0_14default_configENS1_25partition_config_selectorILNS1_17partition_subalgoE9EiibEEZZNS1_14partition_implILS5_9ELb0ES3_jN6thrust23THRUST_200600_302600_NS6detail15normal_iteratorINS9_10device_ptrIiEEEESE_PNS0_10empty_typeENS0_5tupleIJSE_SF_EEENSH_IJSE_SG_EEENS0_18inequality_wrapperINS9_8equal_toIiEEEEPmJSF_EEE10hipError_tPvRmT3_T4_T5_T6_T7_T9_mT8_P12ihipStream_tbDpT10_ENKUlT_T0_E_clISt17integral_constantIbLb1EES18_EEDaS13_S14_EUlS13_E_NS1_11comp_targetILNS1_3genE3ELNS1_11target_archE908ELNS1_3gpuE7ELNS1_3repE0EEENS1_30default_config_static_selectorELNS0_4arch9wavefront6targetE0EEEvT1_
                                        ; -- End function
	.section	.AMDGPU.csdata,"",@progbits
; Kernel info:
; codeLenInByte = 0
; NumSgprs: 0
; NumVgprs: 0
; ScratchSize: 0
; MemoryBound: 0
; FloatMode: 240
; IeeeMode: 1
; LDSByteSize: 0 bytes/workgroup (compile time only)
; SGPRBlocks: 0
; VGPRBlocks: 0
; NumSGPRsForWavesPerEU: 1
; NumVGPRsForWavesPerEU: 1
; Occupancy: 16
; WaveLimiterHint : 0
; COMPUTE_PGM_RSRC2:SCRATCH_EN: 0
; COMPUTE_PGM_RSRC2:USER_SGPR: 15
; COMPUTE_PGM_RSRC2:TRAP_HANDLER: 0
; COMPUTE_PGM_RSRC2:TGID_X_EN: 1
; COMPUTE_PGM_RSRC2:TGID_Y_EN: 0
; COMPUTE_PGM_RSRC2:TGID_Z_EN: 0
; COMPUTE_PGM_RSRC2:TIDIG_COMP_CNT: 0
	.section	.text._ZN7rocprim17ROCPRIM_400000_NS6detail17trampoline_kernelINS0_14default_configENS1_25partition_config_selectorILNS1_17partition_subalgoE9EiibEEZZNS1_14partition_implILS5_9ELb0ES3_jN6thrust23THRUST_200600_302600_NS6detail15normal_iteratorINS9_10device_ptrIiEEEESE_PNS0_10empty_typeENS0_5tupleIJSE_SF_EEENSH_IJSE_SG_EEENS0_18inequality_wrapperINS9_8equal_toIiEEEEPmJSF_EEE10hipError_tPvRmT3_T4_T5_T6_T7_T9_mT8_P12ihipStream_tbDpT10_ENKUlT_T0_E_clISt17integral_constantIbLb1EES18_EEDaS13_S14_EUlS13_E_NS1_11comp_targetILNS1_3genE2ELNS1_11target_archE906ELNS1_3gpuE6ELNS1_3repE0EEENS1_30default_config_static_selectorELNS0_4arch9wavefront6targetE0EEEvT1_,"axG",@progbits,_ZN7rocprim17ROCPRIM_400000_NS6detail17trampoline_kernelINS0_14default_configENS1_25partition_config_selectorILNS1_17partition_subalgoE9EiibEEZZNS1_14partition_implILS5_9ELb0ES3_jN6thrust23THRUST_200600_302600_NS6detail15normal_iteratorINS9_10device_ptrIiEEEESE_PNS0_10empty_typeENS0_5tupleIJSE_SF_EEENSH_IJSE_SG_EEENS0_18inequality_wrapperINS9_8equal_toIiEEEEPmJSF_EEE10hipError_tPvRmT3_T4_T5_T6_T7_T9_mT8_P12ihipStream_tbDpT10_ENKUlT_T0_E_clISt17integral_constantIbLb1EES18_EEDaS13_S14_EUlS13_E_NS1_11comp_targetILNS1_3genE2ELNS1_11target_archE906ELNS1_3gpuE6ELNS1_3repE0EEENS1_30default_config_static_selectorELNS0_4arch9wavefront6targetE0EEEvT1_,comdat
	.protected	_ZN7rocprim17ROCPRIM_400000_NS6detail17trampoline_kernelINS0_14default_configENS1_25partition_config_selectorILNS1_17partition_subalgoE9EiibEEZZNS1_14partition_implILS5_9ELb0ES3_jN6thrust23THRUST_200600_302600_NS6detail15normal_iteratorINS9_10device_ptrIiEEEESE_PNS0_10empty_typeENS0_5tupleIJSE_SF_EEENSH_IJSE_SG_EEENS0_18inequality_wrapperINS9_8equal_toIiEEEEPmJSF_EEE10hipError_tPvRmT3_T4_T5_T6_T7_T9_mT8_P12ihipStream_tbDpT10_ENKUlT_T0_E_clISt17integral_constantIbLb1EES18_EEDaS13_S14_EUlS13_E_NS1_11comp_targetILNS1_3genE2ELNS1_11target_archE906ELNS1_3gpuE6ELNS1_3repE0EEENS1_30default_config_static_selectorELNS0_4arch9wavefront6targetE0EEEvT1_ ; -- Begin function _ZN7rocprim17ROCPRIM_400000_NS6detail17trampoline_kernelINS0_14default_configENS1_25partition_config_selectorILNS1_17partition_subalgoE9EiibEEZZNS1_14partition_implILS5_9ELb0ES3_jN6thrust23THRUST_200600_302600_NS6detail15normal_iteratorINS9_10device_ptrIiEEEESE_PNS0_10empty_typeENS0_5tupleIJSE_SF_EEENSH_IJSE_SG_EEENS0_18inequality_wrapperINS9_8equal_toIiEEEEPmJSF_EEE10hipError_tPvRmT3_T4_T5_T6_T7_T9_mT8_P12ihipStream_tbDpT10_ENKUlT_T0_E_clISt17integral_constantIbLb1EES18_EEDaS13_S14_EUlS13_E_NS1_11comp_targetILNS1_3genE2ELNS1_11target_archE906ELNS1_3gpuE6ELNS1_3repE0EEENS1_30default_config_static_selectorELNS0_4arch9wavefront6targetE0EEEvT1_
	.globl	_ZN7rocprim17ROCPRIM_400000_NS6detail17trampoline_kernelINS0_14default_configENS1_25partition_config_selectorILNS1_17partition_subalgoE9EiibEEZZNS1_14partition_implILS5_9ELb0ES3_jN6thrust23THRUST_200600_302600_NS6detail15normal_iteratorINS9_10device_ptrIiEEEESE_PNS0_10empty_typeENS0_5tupleIJSE_SF_EEENSH_IJSE_SG_EEENS0_18inequality_wrapperINS9_8equal_toIiEEEEPmJSF_EEE10hipError_tPvRmT3_T4_T5_T6_T7_T9_mT8_P12ihipStream_tbDpT10_ENKUlT_T0_E_clISt17integral_constantIbLb1EES18_EEDaS13_S14_EUlS13_E_NS1_11comp_targetILNS1_3genE2ELNS1_11target_archE906ELNS1_3gpuE6ELNS1_3repE0EEENS1_30default_config_static_selectorELNS0_4arch9wavefront6targetE0EEEvT1_
	.p2align	8
	.type	_ZN7rocprim17ROCPRIM_400000_NS6detail17trampoline_kernelINS0_14default_configENS1_25partition_config_selectorILNS1_17partition_subalgoE9EiibEEZZNS1_14partition_implILS5_9ELb0ES3_jN6thrust23THRUST_200600_302600_NS6detail15normal_iteratorINS9_10device_ptrIiEEEESE_PNS0_10empty_typeENS0_5tupleIJSE_SF_EEENSH_IJSE_SG_EEENS0_18inequality_wrapperINS9_8equal_toIiEEEEPmJSF_EEE10hipError_tPvRmT3_T4_T5_T6_T7_T9_mT8_P12ihipStream_tbDpT10_ENKUlT_T0_E_clISt17integral_constantIbLb1EES18_EEDaS13_S14_EUlS13_E_NS1_11comp_targetILNS1_3genE2ELNS1_11target_archE906ELNS1_3gpuE6ELNS1_3repE0EEENS1_30default_config_static_selectorELNS0_4arch9wavefront6targetE0EEEvT1_,@function
_ZN7rocprim17ROCPRIM_400000_NS6detail17trampoline_kernelINS0_14default_configENS1_25partition_config_selectorILNS1_17partition_subalgoE9EiibEEZZNS1_14partition_implILS5_9ELb0ES3_jN6thrust23THRUST_200600_302600_NS6detail15normal_iteratorINS9_10device_ptrIiEEEESE_PNS0_10empty_typeENS0_5tupleIJSE_SF_EEENSH_IJSE_SG_EEENS0_18inequality_wrapperINS9_8equal_toIiEEEEPmJSF_EEE10hipError_tPvRmT3_T4_T5_T6_T7_T9_mT8_P12ihipStream_tbDpT10_ENKUlT_T0_E_clISt17integral_constantIbLb1EES18_EEDaS13_S14_EUlS13_E_NS1_11comp_targetILNS1_3genE2ELNS1_11target_archE906ELNS1_3gpuE6ELNS1_3repE0EEENS1_30default_config_static_selectorELNS0_4arch9wavefront6targetE0EEEvT1_: ; @_ZN7rocprim17ROCPRIM_400000_NS6detail17trampoline_kernelINS0_14default_configENS1_25partition_config_selectorILNS1_17partition_subalgoE9EiibEEZZNS1_14partition_implILS5_9ELb0ES3_jN6thrust23THRUST_200600_302600_NS6detail15normal_iteratorINS9_10device_ptrIiEEEESE_PNS0_10empty_typeENS0_5tupleIJSE_SF_EEENSH_IJSE_SG_EEENS0_18inequality_wrapperINS9_8equal_toIiEEEEPmJSF_EEE10hipError_tPvRmT3_T4_T5_T6_T7_T9_mT8_P12ihipStream_tbDpT10_ENKUlT_T0_E_clISt17integral_constantIbLb1EES18_EEDaS13_S14_EUlS13_E_NS1_11comp_targetILNS1_3genE2ELNS1_11target_archE906ELNS1_3gpuE6ELNS1_3repE0EEENS1_30default_config_static_selectorELNS0_4arch9wavefront6targetE0EEEvT1_
; %bb.0:
	.section	.rodata,"a",@progbits
	.p2align	6, 0x0
	.amdhsa_kernel _ZN7rocprim17ROCPRIM_400000_NS6detail17trampoline_kernelINS0_14default_configENS1_25partition_config_selectorILNS1_17partition_subalgoE9EiibEEZZNS1_14partition_implILS5_9ELb0ES3_jN6thrust23THRUST_200600_302600_NS6detail15normal_iteratorINS9_10device_ptrIiEEEESE_PNS0_10empty_typeENS0_5tupleIJSE_SF_EEENSH_IJSE_SG_EEENS0_18inequality_wrapperINS9_8equal_toIiEEEEPmJSF_EEE10hipError_tPvRmT3_T4_T5_T6_T7_T9_mT8_P12ihipStream_tbDpT10_ENKUlT_T0_E_clISt17integral_constantIbLb1EES18_EEDaS13_S14_EUlS13_E_NS1_11comp_targetILNS1_3genE2ELNS1_11target_archE906ELNS1_3gpuE6ELNS1_3repE0EEENS1_30default_config_static_selectorELNS0_4arch9wavefront6targetE0EEEvT1_
		.amdhsa_group_segment_fixed_size 0
		.amdhsa_private_segment_fixed_size 0
		.amdhsa_kernarg_size 128
		.amdhsa_user_sgpr_count 15
		.amdhsa_user_sgpr_dispatch_ptr 0
		.amdhsa_user_sgpr_queue_ptr 0
		.amdhsa_user_sgpr_kernarg_segment_ptr 1
		.amdhsa_user_sgpr_dispatch_id 0
		.amdhsa_user_sgpr_private_segment_size 0
		.amdhsa_wavefront_size32 1
		.amdhsa_uses_dynamic_stack 0
		.amdhsa_enable_private_segment 0
		.amdhsa_system_sgpr_workgroup_id_x 1
		.amdhsa_system_sgpr_workgroup_id_y 0
		.amdhsa_system_sgpr_workgroup_id_z 0
		.amdhsa_system_sgpr_workgroup_info 0
		.amdhsa_system_vgpr_workitem_id 0
		.amdhsa_next_free_vgpr 1
		.amdhsa_next_free_sgpr 1
		.amdhsa_reserve_vcc 0
		.amdhsa_float_round_mode_32 0
		.amdhsa_float_round_mode_16_64 0
		.amdhsa_float_denorm_mode_32 3
		.amdhsa_float_denorm_mode_16_64 3
		.amdhsa_dx10_clamp 1
		.amdhsa_ieee_mode 1
		.amdhsa_fp16_overflow 0
		.amdhsa_workgroup_processor_mode 1
		.amdhsa_memory_ordered 1
		.amdhsa_forward_progress 0
		.amdhsa_shared_vgpr_count 0
		.amdhsa_exception_fp_ieee_invalid_op 0
		.amdhsa_exception_fp_denorm_src 0
		.amdhsa_exception_fp_ieee_div_zero 0
		.amdhsa_exception_fp_ieee_overflow 0
		.amdhsa_exception_fp_ieee_underflow 0
		.amdhsa_exception_fp_ieee_inexact 0
		.amdhsa_exception_int_div_zero 0
	.end_amdhsa_kernel
	.section	.text._ZN7rocprim17ROCPRIM_400000_NS6detail17trampoline_kernelINS0_14default_configENS1_25partition_config_selectorILNS1_17partition_subalgoE9EiibEEZZNS1_14partition_implILS5_9ELb0ES3_jN6thrust23THRUST_200600_302600_NS6detail15normal_iteratorINS9_10device_ptrIiEEEESE_PNS0_10empty_typeENS0_5tupleIJSE_SF_EEENSH_IJSE_SG_EEENS0_18inequality_wrapperINS9_8equal_toIiEEEEPmJSF_EEE10hipError_tPvRmT3_T4_T5_T6_T7_T9_mT8_P12ihipStream_tbDpT10_ENKUlT_T0_E_clISt17integral_constantIbLb1EES18_EEDaS13_S14_EUlS13_E_NS1_11comp_targetILNS1_3genE2ELNS1_11target_archE906ELNS1_3gpuE6ELNS1_3repE0EEENS1_30default_config_static_selectorELNS0_4arch9wavefront6targetE0EEEvT1_,"axG",@progbits,_ZN7rocprim17ROCPRIM_400000_NS6detail17trampoline_kernelINS0_14default_configENS1_25partition_config_selectorILNS1_17partition_subalgoE9EiibEEZZNS1_14partition_implILS5_9ELb0ES3_jN6thrust23THRUST_200600_302600_NS6detail15normal_iteratorINS9_10device_ptrIiEEEESE_PNS0_10empty_typeENS0_5tupleIJSE_SF_EEENSH_IJSE_SG_EEENS0_18inequality_wrapperINS9_8equal_toIiEEEEPmJSF_EEE10hipError_tPvRmT3_T4_T5_T6_T7_T9_mT8_P12ihipStream_tbDpT10_ENKUlT_T0_E_clISt17integral_constantIbLb1EES18_EEDaS13_S14_EUlS13_E_NS1_11comp_targetILNS1_3genE2ELNS1_11target_archE906ELNS1_3gpuE6ELNS1_3repE0EEENS1_30default_config_static_selectorELNS0_4arch9wavefront6targetE0EEEvT1_,comdat
.Lfunc_end416:
	.size	_ZN7rocprim17ROCPRIM_400000_NS6detail17trampoline_kernelINS0_14default_configENS1_25partition_config_selectorILNS1_17partition_subalgoE9EiibEEZZNS1_14partition_implILS5_9ELb0ES3_jN6thrust23THRUST_200600_302600_NS6detail15normal_iteratorINS9_10device_ptrIiEEEESE_PNS0_10empty_typeENS0_5tupleIJSE_SF_EEENSH_IJSE_SG_EEENS0_18inequality_wrapperINS9_8equal_toIiEEEEPmJSF_EEE10hipError_tPvRmT3_T4_T5_T6_T7_T9_mT8_P12ihipStream_tbDpT10_ENKUlT_T0_E_clISt17integral_constantIbLb1EES18_EEDaS13_S14_EUlS13_E_NS1_11comp_targetILNS1_3genE2ELNS1_11target_archE906ELNS1_3gpuE6ELNS1_3repE0EEENS1_30default_config_static_selectorELNS0_4arch9wavefront6targetE0EEEvT1_, .Lfunc_end416-_ZN7rocprim17ROCPRIM_400000_NS6detail17trampoline_kernelINS0_14default_configENS1_25partition_config_selectorILNS1_17partition_subalgoE9EiibEEZZNS1_14partition_implILS5_9ELb0ES3_jN6thrust23THRUST_200600_302600_NS6detail15normal_iteratorINS9_10device_ptrIiEEEESE_PNS0_10empty_typeENS0_5tupleIJSE_SF_EEENSH_IJSE_SG_EEENS0_18inequality_wrapperINS9_8equal_toIiEEEEPmJSF_EEE10hipError_tPvRmT3_T4_T5_T6_T7_T9_mT8_P12ihipStream_tbDpT10_ENKUlT_T0_E_clISt17integral_constantIbLb1EES18_EEDaS13_S14_EUlS13_E_NS1_11comp_targetILNS1_3genE2ELNS1_11target_archE906ELNS1_3gpuE6ELNS1_3repE0EEENS1_30default_config_static_selectorELNS0_4arch9wavefront6targetE0EEEvT1_
                                        ; -- End function
	.section	.AMDGPU.csdata,"",@progbits
; Kernel info:
; codeLenInByte = 0
; NumSgprs: 0
; NumVgprs: 0
; ScratchSize: 0
; MemoryBound: 0
; FloatMode: 240
; IeeeMode: 1
; LDSByteSize: 0 bytes/workgroup (compile time only)
; SGPRBlocks: 0
; VGPRBlocks: 0
; NumSGPRsForWavesPerEU: 1
; NumVGPRsForWavesPerEU: 1
; Occupancy: 16
; WaveLimiterHint : 0
; COMPUTE_PGM_RSRC2:SCRATCH_EN: 0
; COMPUTE_PGM_RSRC2:USER_SGPR: 15
; COMPUTE_PGM_RSRC2:TRAP_HANDLER: 0
; COMPUTE_PGM_RSRC2:TGID_X_EN: 1
; COMPUTE_PGM_RSRC2:TGID_Y_EN: 0
; COMPUTE_PGM_RSRC2:TGID_Z_EN: 0
; COMPUTE_PGM_RSRC2:TIDIG_COMP_CNT: 0
	.section	.text._ZN7rocprim17ROCPRIM_400000_NS6detail17trampoline_kernelINS0_14default_configENS1_25partition_config_selectorILNS1_17partition_subalgoE9EiibEEZZNS1_14partition_implILS5_9ELb0ES3_jN6thrust23THRUST_200600_302600_NS6detail15normal_iteratorINS9_10device_ptrIiEEEESE_PNS0_10empty_typeENS0_5tupleIJSE_SF_EEENSH_IJSE_SG_EEENS0_18inequality_wrapperINS9_8equal_toIiEEEEPmJSF_EEE10hipError_tPvRmT3_T4_T5_T6_T7_T9_mT8_P12ihipStream_tbDpT10_ENKUlT_T0_E_clISt17integral_constantIbLb1EES18_EEDaS13_S14_EUlS13_E_NS1_11comp_targetILNS1_3genE10ELNS1_11target_archE1200ELNS1_3gpuE4ELNS1_3repE0EEENS1_30default_config_static_selectorELNS0_4arch9wavefront6targetE0EEEvT1_,"axG",@progbits,_ZN7rocprim17ROCPRIM_400000_NS6detail17trampoline_kernelINS0_14default_configENS1_25partition_config_selectorILNS1_17partition_subalgoE9EiibEEZZNS1_14partition_implILS5_9ELb0ES3_jN6thrust23THRUST_200600_302600_NS6detail15normal_iteratorINS9_10device_ptrIiEEEESE_PNS0_10empty_typeENS0_5tupleIJSE_SF_EEENSH_IJSE_SG_EEENS0_18inequality_wrapperINS9_8equal_toIiEEEEPmJSF_EEE10hipError_tPvRmT3_T4_T5_T6_T7_T9_mT8_P12ihipStream_tbDpT10_ENKUlT_T0_E_clISt17integral_constantIbLb1EES18_EEDaS13_S14_EUlS13_E_NS1_11comp_targetILNS1_3genE10ELNS1_11target_archE1200ELNS1_3gpuE4ELNS1_3repE0EEENS1_30default_config_static_selectorELNS0_4arch9wavefront6targetE0EEEvT1_,comdat
	.protected	_ZN7rocprim17ROCPRIM_400000_NS6detail17trampoline_kernelINS0_14default_configENS1_25partition_config_selectorILNS1_17partition_subalgoE9EiibEEZZNS1_14partition_implILS5_9ELb0ES3_jN6thrust23THRUST_200600_302600_NS6detail15normal_iteratorINS9_10device_ptrIiEEEESE_PNS0_10empty_typeENS0_5tupleIJSE_SF_EEENSH_IJSE_SG_EEENS0_18inequality_wrapperINS9_8equal_toIiEEEEPmJSF_EEE10hipError_tPvRmT3_T4_T5_T6_T7_T9_mT8_P12ihipStream_tbDpT10_ENKUlT_T0_E_clISt17integral_constantIbLb1EES18_EEDaS13_S14_EUlS13_E_NS1_11comp_targetILNS1_3genE10ELNS1_11target_archE1200ELNS1_3gpuE4ELNS1_3repE0EEENS1_30default_config_static_selectorELNS0_4arch9wavefront6targetE0EEEvT1_ ; -- Begin function _ZN7rocprim17ROCPRIM_400000_NS6detail17trampoline_kernelINS0_14default_configENS1_25partition_config_selectorILNS1_17partition_subalgoE9EiibEEZZNS1_14partition_implILS5_9ELb0ES3_jN6thrust23THRUST_200600_302600_NS6detail15normal_iteratorINS9_10device_ptrIiEEEESE_PNS0_10empty_typeENS0_5tupleIJSE_SF_EEENSH_IJSE_SG_EEENS0_18inequality_wrapperINS9_8equal_toIiEEEEPmJSF_EEE10hipError_tPvRmT3_T4_T5_T6_T7_T9_mT8_P12ihipStream_tbDpT10_ENKUlT_T0_E_clISt17integral_constantIbLb1EES18_EEDaS13_S14_EUlS13_E_NS1_11comp_targetILNS1_3genE10ELNS1_11target_archE1200ELNS1_3gpuE4ELNS1_3repE0EEENS1_30default_config_static_selectorELNS0_4arch9wavefront6targetE0EEEvT1_
	.globl	_ZN7rocprim17ROCPRIM_400000_NS6detail17trampoline_kernelINS0_14default_configENS1_25partition_config_selectorILNS1_17partition_subalgoE9EiibEEZZNS1_14partition_implILS5_9ELb0ES3_jN6thrust23THRUST_200600_302600_NS6detail15normal_iteratorINS9_10device_ptrIiEEEESE_PNS0_10empty_typeENS0_5tupleIJSE_SF_EEENSH_IJSE_SG_EEENS0_18inequality_wrapperINS9_8equal_toIiEEEEPmJSF_EEE10hipError_tPvRmT3_T4_T5_T6_T7_T9_mT8_P12ihipStream_tbDpT10_ENKUlT_T0_E_clISt17integral_constantIbLb1EES18_EEDaS13_S14_EUlS13_E_NS1_11comp_targetILNS1_3genE10ELNS1_11target_archE1200ELNS1_3gpuE4ELNS1_3repE0EEENS1_30default_config_static_selectorELNS0_4arch9wavefront6targetE0EEEvT1_
	.p2align	8
	.type	_ZN7rocprim17ROCPRIM_400000_NS6detail17trampoline_kernelINS0_14default_configENS1_25partition_config_selectorILNS1_17partition_subalgoE9EiibEEZZNS1_14partition_implILS5_9ELb0ES3_jN6thrust23THRUST_200600_302600_NS6detail15normal_iteratorINS9_10device_ptrIiEEEESE_PNS0_10empty_typeENS0_5tupleIJSE_SF_EEENSH_IJSE_SG_EEENS0_18inequality_wrapperINS9_8equal_toIiEEEEPmJSF_EEE10hipError_tPvRmT3_T4_T5_T6_T7_T9_mT8_P12ihipStream_tbDpT10_ENKUlT_T0_E_clISt17integral_constantIbLb1EES18_EEDaS13_S14_EUlS13_E_NS1_11comp_targetILNS1_3genE10ELNS1_11target_archE1200ELNS1_3gpuE4ELNS1_3repE0EEENS1_30default_config_static_selectorELNS0_4arch9wavefront6targetE0EEEvT1_,@function
_ZN7rocprim17ROCPRIM_400000_NS6detail17trampoline_kernelINS0_14default_configENS1_25partition_config_selectorILNS1_17partition_subalgoE9EiibEEZZNS1_14partition_implILS5_9ELb0ES3_jN6thrust23THRUST_200600_302600_NS6detail15normal_iteratorINS9_10device_ptrIiEEEESE_PNS0_10empty_typeENS0_5tupleIJSE_SF_EEENSH_IJSE_SG_EEENS0_18inequality_wrapperINS9_8equal_toIiEEEEPmJSF_EEE10hipError_tPvRmT3_T4_T5_T6_T7_T9_mT8_P12ihipStream_tbDpT10_ENKUlT_T0_E_clISt17integral_constantIbLb1EES18_EEDaS13_S14_EUlS13_E_NS1_11comp_targetILNS1_3genE10ELNS1_11target_archE1200ELNS1_3gpuE4ELNS1_3repE0EEENS1_30default_config_static_selectorELNS0_4arch9wavefront6targetE0EEEvT1_: ; @_ZN7rocprim17ROCPRIM_400000_NS6detail17trampoline_kernelINS0_14default_configENS1_25partition_config_selectorILNS1_17partition_subalgoE9EiibEEZZNS1_14partition_implILS5_9ELb0ES3_jN6thrust23THRUST_200600_302600_NS6detail15normal_iteratorINS9_10device_ptrIiEEEESE_PNS0_10empty_typeENS0_5tupleIJSE_SF_EEENSH_IJSE_SG_EEENS0_18inequality_wrapperINS9_8equal_toIiEEEEPmJSF_EEE10hipError_tPvRmT3_T4_T5_T6_T7_T9_mT8_P12ihipStream_tbDpT10_ENKUlT_T0_E_clISt17integral_constantIbLb1EES18_EEDaS13_S14_EUlS13_E_NS1_11comp_targetILNS1_3genE10ELNS1_11target_archE1200ELNS1_3gpuE4ELNS1_3repE0EEENS1_30default_config_static_selectorELNS0_4arch9wavefront6targetE0EEEvT1_
; %bb.0:
	.section	.rodata,"a",@progbits
	.p2align	6, 0x0
	.amdhsa_kernel _ZN7rocprim17ROCPRIM_400000_NS6detail17trampoline_kernelINS0_14default_configENS1_25partition_config_selectorILNS1_17partition_subalgoE9EiibEEZZNS1_14partition_implILS5_9ELb0ES3_jN6thrust23THRUST_200600_302600_NS6detail15normal_iteratorINS9_10device_ptrIiEEEESE_PNS0_10empty_typeENS0_5tupleIJSE_SF_EEENSH_IJSE_SG_EEENS0_18inequality_wrapperINS9_8equal_toIiEEEEPmJSF_EEE10hipError_tPvRmT3_T4_T5_T6_T7_T9_mT8_P12ihipStream_tbDpT10_ENKUlT_T0_E_clISt17integral_constantIbLb1EES18_EEDaS13_S14_EUlS13_E_NS1_11comp_targetILNS1_3genE10ELNS1_11target_archE1200ELNS1_3gpuE4ELNS1_3repE0EEENS1_30default_config_static_selectorELNS0_4arch9wavefront6targetE0EEEvT1_
		.amdhsa_group_segment_fixed_size 0
		.amdhsa_private_segment_fixed_size 0
		.amdhsa_kernarg_size 128
		.amdhsa_user_sgpr_count 15
		.amdhsa_user_sgpr_dispatch_ptr 0
		.amdhsa_user_sgpr_queue_ptr 0
		.amdhsa_user_sgpr_kernarg_segment_ptr 1
		.amdhsa_user_sgpr_dispatch_id 0
		.amdhsa_user_sgpr_private_segment_size 0
		.amdhsa_wavefront_size32 1
		.amdhsa_uses_dynamic_stack 0
		.amdhsa_enable_private_segment 0
		.amdhsa_system_sgpr_workgroup_id_x 1
		.amdhsa_system_sgpr_workgroup_id_y 0
		.amdhsa_system_sgpr_workgroup_id_z 0
		.amdhsa_system_sgpr_workgroup_info 0
		.amdhsa_system_vgpr_workitem_id 0
		.amdhsa_next_free_vgpr 1
		.amdhsa_next_free_sgpr 1
		.amdhsa_reserve_vcc 0
		.amdhsa_float_round_mode_32 0
		.amdhsa_float_round_mode_16_64 0
		.amdhsa_float_denorm_mode_32 3
		.amdhsa_float_denorm_mode_16_64 3
		.amdhsa_dx10_clamp 1
		.amdhsa_ieee_mode 1
		.amdhsa_fp16_overflow 0
		.amdhsa_workgroup_processor_mode 1
		.amdhsa_memory_ordered 1
		.amdhsa_forward_progress 0
		.amdhsa_shared_vgpr_count 0
		.amdhsa_exception_fp_ieee_invalid_op 0
		.amdhsa_exception_fp_denorm_src 0
		.amdhsa_exception_fp_ieee_div_zero 0
		.amdhsa_exception_fp_ieee_overflow 0
		.amdhsa_exception_fp_ieee_underflow 0
		.amdhsa_exception_fp_ieee_inexact 0
		.amdhsa_exception_int_div_zero 0
	.end_amdhsa_kernel
	.section	.text._ZN7rocprim17ROCPRIM_400000_NS6detail17trampoline_kernelINS0_14default_configENS1_25partition_config_selectorILNS1_17partition_subalgoE9EiibEEZZNS1_14partition_implILS5_9ELb0ES3_jN6thrust23THRUST_200600_302600_NS6detail15normal_iteratorINS9_10device_ptrIiEEEESE_PNS0_10empty_typeENS0_5tupleIJSE_SF_EEENSH_IJSE_SG_EEENS0_18inequality_wrapperINS9_8equal_toIiEEEEPmJSF_EEE10hipError_tPvRmT3_T4_T5_T6_T7_T9_mT8_P12ihipStream_tbDpT10_ENKUlT_T0_E_clISt17integral_constantIbLb1EES18_EEDaS13_S14_EUlS13_E_NS1_11comp_targetILNS1_3genE10ELNS1_11target_archE1200ELNS1_3gpuE4ELNS1_3repE0EEENS1_30default_config_static_selectorELNS0_4arch9wavefront6targetE0EEEvT1_,"axG",@progbits,_ZN7rocprim17ROCPRIM_400000_NS6detail17trampoline_kernelINS0_14default_configENS1_25partition_config_selectorILNS1_17partition_subalgoE9EiibEEZZNS1_14partition_implILS5_9ELb0ES3_jN6thrust23THRUST_200600_302600_NS6detail15normal_iteratorINS9_10device_ptrIiEEEESE_PNS0_10empty_typeENS0_5tupleIJSE_SF_EEENSH_IJSE_SG_EEENS0_18inequality_wrapperINS9_8equal_toIiEEEEPmJSF_EEE10hipError_tPvRmT3_T4_T5_T6_T7_T9_mT8_P12ihipStream_tbDpT10_ENKUlT_T0_E_clISt17integral_constantIbLb1EES18_EEDaS13_S14_EUlS13_E_NS1_11comp_targetILNS1_3genE10ELNS1_11target_archE1200ELNS1_3gpuE4ELNS1_3repE0EEENS1_30default_config_static_selectorELNS0_4arch9wavefront6targetE0EEEvT1_,comdat
.Lfunc_end417:
	.size	_ZN7rocprim17ROCPRIM_400000_NS6detail17trampoline_kernelINS0_14default_configENS1_25partition_config_selectorILNS1_17partition_subalgoE9EiibEEZZNS1_14partition_implILS5_9ELb0ES3_jN6thrust23THRUST_200600_302600_NS6detail15normal_iteratorINS9_10device_ptrIiEEEESE_PNS0_10empty_typeENS0_5tupleIJSE_SF_EEENSH_IJSE_SG_EEENS0_18inequality_wrapperINS9_8equal_toIiEEEEPmJSF_EEE10hipError_tPvRmT3_T4_T5_T6_T7_T9_mT8_P12ihipStream_tbDpT10_ENKUlT_T0_E_clISt17integral_constantIbLb1EES18_EEDaS13_S14_EUlS13_E_NS1_11comp_targetILNS1_3genE10ELNS1_11target_archE1200ELNS1_3gpuE4ELNS1_3repE0EEENS1_30default_config_static_selectorELNS0_4arch9wavefront6targetE0EEEvT1_, .Lfunc_end417-_ZN7rocprim17ROCPRIM_400000_NS6detail17trampoline_kernelINS0_14default_configENS1_25partition_config_selectorILNS1_17partition_subalgoE9EiibEEZZNS1_14partition_implILS5_9ELb0ES3_jN6thrust23THRUST_200600_302600_NS6detail15normal_iteratorINS9_10device_ptrIiEEEESE_PNS0_10empty_typeENS0_5tupleIJSE_SF_EEENSH_IJSE_SG_EEENS0_18inequality_wrapperINS9_8equal_toIiEEEEPmJSF_EEE10hipError_tPvRmT3_T4_T5_T6_T7_T9_mT8_P12ihipStream_tbDpT10_ENKUlT_T0_E_clISt17integral_constantIbLb1EES18_EEDaS13_S14_EUlS13_E_NS1_11comp_targetILNS1_3genE10ELNS1_11target_archE1200ELNS1_3gpuE4ELNS1_3repE0EEENS1_30default_config_static_selectorELNS0_4arch9wavefront6targetE0EEEvT1_
                                        ; -- End function
	.section	.AMDGPU.csdata,"",@progbits
; Kernel info:
; codeLenInByte = 0
; NumSgprs: 0
; NumVgprs: 0
; ScratchSize: 0
; MemoryBound: 0
; FloatMode: 240
; IeeeMode: 1
; LDSByteSize: 0 bytes/workgroup (compile time only)
; SGPRBlocks: 0
; VGPRBlocks: 0
; NumSGPRsForWavesPerEU: 1
; NumVGPRsForWavesPerEU: 1
; Occupancy: 15
; WaveLimiterHint : 0
; COMPUTE_PGM_RSRC2:SCRATCH_EN: 0
; COMPUTE_PGM_RSRC2:USER_SGPR: 15
; COMPUTE_PGM_RSRC2:TRAP_HANDLER: 0
; COMPUTE_PGM_RSRC2:TGID_X_EN: 1
; COMPUTE_PGM_RSRC2:TGID_Y_EN: 0
; COMPUTE_PGM_RSRC2:TGID_Z_EN: 0
; COMPUTE_PGM_RSRC2:TIDIG_COMP_CNT: 0
	.section	.text._ZN7rocprim17ROCPRIM_400000_NS6detail17trampoline_kernelINS0_14default_configENS1_25partition_config_selectorILNS1_17partition_subalgoE9EiibEEZZNS1_14partition_implILS5_9ELb0ES3_jN6thrust23THRUST_200600_302600_NS6detail15normal_iteratorINS9_10device_ptrIiEEEESE_PNS0_10empty_typeENS0_5tupleIJSE_SF_EEENSH_IJSE_SG_EEENS0_18inequality_wrapperINS9_8equal_toIiEEEEPmJSF_EEE10hipError_tPvRmT3_T4_T5_T6_T7_T9_mT8_P12ihipStream_tbDpT10_ENKUlT_T0_E_clISt17integral_constantIbLb1EES18_EEDaS13_S14_EUlS13_E_NS1_11comp_targetILNS1_3genE9ELNS1_11target_archE1100ELNS1_3gpuE3ELNS1_3repE0EEENS1_30default_config_static_selectorELNS0_4arch9wavefront6targetE0EEEvT1_,"axG",@progbits,_ZN7rocprim17ROCPRIM_400000_NS6detail17trampoline_kernelINS0_14default_configENS1_25partition_config_selectorILNS1_17partition_subalgoE9EiibEEZZNS1_14partition_implILS5_9ELb0ES3_jN6thrust23THRUST_200600_302600_NS6detail15normal_iteratorINS9_10device_ptrIiEEEESE_PNS0_10empty_typeENS0_5tupleIJSE_SF_EEENSH_IJSE_SG_EEENS0_18inequality_wrapperINS9_8equal_toIiEEEEPmJSF_EEE10hipError_tPvRmT3_T4_T5_T6_T7_T9_mT8_P12ihipStream_tbDpT10_ENKUlT_T0_E_clISt17integral_constantIbLb1EES18_EEDaS13_S14_EUlS13_E_NS1_11comp_targetILNS1_3genE9ELNS1_11target_archE1100ELNS1_3gpuE3ELNS1_3repE0EEENS1_30default_config_static_selectorELNS0_4arch9wavefront6targetE0EEEvT1_,comdat
	.protected	_ZN7rocprim17ROCPRIM_400000_NS6detail17trampoline_kernelINS0_14default_configENS1_25partition_config_selectorILNS1_17partition_subalgoE9EiibEEZZNS1_14partition_implILS5_9ELb0ES3_jN6thrust23THRUST_200600_302600_NS6detail15normal_iteratorINS9_10device_ptrIiEEEESE_PNS0_10empty_typeENS0_5tupleIJSE_SF_EEENSH_IJSE_SG_EEENS0_18inequality_wrapperINS9_8equal_toIiEEEEPmJSF_EEE10hipError_tPvRmT3_T4_T5_T6_T7_T9_mT8_P12ihipStream_tbDpT10_ENKUlT_T0_E_clISt17integral_constantIbLb1EES18_EEDaS13_S14_EUlS13_E_NS1_11comp_targetILNS1_3genE9ELNS1_11target_archE1100ELNS1_3gpuE3ELNS1_3repE0EEENS1_30default_config_static_selectorELNS0_4arch9wavefront6targetE0EEEvT1_ ; -- Begin function _ZN7rocprim17ROCPRIM_400000_NS6detail17trampoline_kernelINS0_14default_configENS1_25partition_config_selectorILNS1_17partition_subalgoE9EiibEEZZNS1_14partition_implILS5_9ELb0ES3_jN6thrust23THRUST_200600_302600_NS6detail15normal_iteratorINS9_10device_ptrIiEEEESE_PNS0_10empty_typeENS0_5tupleIJSE_SF_EEENSH_IJSE_SG_EEENS0_18inequality_wrapperINS9_8equal_toIiEEEEPmJSF_EEE10hipError_tPvRmT3_T4_T5_T6_T7_T9_mT8_P12ihipStream_tbDpT10_ENKUlT_T0_E_clISt17integral_constantIbLb1EES18_EEDaS13_S14_EUlS13_E_NS1_11comp_targetILNS1_3genE9ELNS1_11target_archE1100ELNS1_3gpuE3ELNS1_3repE0EEENS1_30default_config_static_selectorELNS0_4arch9wavefront6targetE0EEEvT1_
	.globl	_ZN7rocprim17ROCPRIM_400000_NS6detail17trampoline_kernelINS0_14default_configENS1_25partition_config_selectorILNS1_17partition_subalgoE9EiibEEZZNS1_14partition_implILS5_9ELb0ES3_jN6thrust23THRUST_200600_302600_NS6detail15normal_iteratorINS9_10device_ptrIiEEEESE_PNS0_10empty_typeENS0_5tupleIJSE_SF_EEENSH_IJSE_SG_EEENS0_18inequality_wrapperINS9_8equal_toIiEEEEPmJSF_EEE10hipError_tPvRmT3_T4_T5_T6_T7_T9_mT8_P12ihipStream_tbDpT10_ENKUlT_T0_E_clISt17integral_constantIbLb1EES18_EEDaS13_S14_EUlS13_E_NS1_11comp_targetILNS1_3genE9ELNS1_11target_archE1100ELNS1_3gpuE3ELNS1_3repE0EEENS1_30default_config_static_selectorELNS0_4arch9wavefront6targetE0EEEvT1_
	.p2align	8
	.type	_ZN7rocprim17ROCPRIM_400000_NS6detail17trampoline_kernelINS0_14default_configENS1_25partition_config_selectorILNS1_17partition_subalgoE9EiibEEZZNS1_14partition_implILS5_9ELb0ES3_jN6thrust23THRUST_200600_302600_NS6detail15normal_iteratorINS9_10device_ptrIiEEEESE_PNS0_10empty_typeENS0_5tupleIJSE_SF_EEENSH_IJSE_SG_EEENS0_18inequality_wrapperINS9_8equal_toIiEEEEPmJSF_EEE10hipError_tPvRmT3_T4_T5_T6_T7_T9_mT8_P12ihipStream_tbDpT10_ENKUlT_T0_E_clISt17integral_constantIbLb1EES18_EEDaS13_S14_EUlS13_E_NS1_11comp_targetILNS1_3genE9ELNS1_11target_archE1100ELNS1_3gpuE3ELNS1_3repE0EEENS1_30default_config_static_selectorELNS0_4arch9wavefront6targetE0EEEvT1_,@function
_ZN7rocprim17ROCPRIM_400000_NS6detail17trampoline_kernelINS0_14default_configENS1_25partition_config_selectorILNS1_17partition_subalgoE9EiibEEZZNS1_14partition_implILS5_9ELb0ES3_jN6thrust23THRUST_200600_302600_NS6detail15normal_iteratorINS9_10device_ptrIiEEEESE_PNS0_10empty_typeENS0_5tupleIJSE_SF_EEENSH_IJSE_SG_EEENS0_18inequality_wrapperINS9_8equal_toIiEEEEPmJSF_EEE10hipError_tPvRmT3_T4_T5_T6_T7_T9_mT8_P12ihipStream_tbDpT10_ENKUlT_T0_E_clISt17integral_constantIbLb1EES18_EEDaS13_S14_EUlS13_E_NS1_11comp_targetILNS1_3genE9ELNS1_11target_archE1100ELNS1_3gpuE3ELNS1_3repE0EEENS1_30default_config_static_selectorELNS0_4arch9wavefront6targetE0EEEvT1_: ; @_ZN7rocprim17ROCPRIM_400000_NS6detail17trampoline_kernelINS0_14default_configENS1_25partition_config_selectorILNS1_17partition_subalgoE9EiibEEZZNS1_14partition_implILS5_9ELb0ES3_jN6thrust23THRUST_200600_302600_NS6detail15normal_iteratorINS9_10device_ptrIiEEEESE_PNS0_10empty_typeENS0_5tupleIJSE_SF_EEENSH_IJSE_SG_EEENS0_18inequality_wrapperINS9_8equal_toIiEEEEPmJSF_EEE10hipError_tPvRmT3_T4_T5_T6_T7_T9_mT8_P12ihipStream_tbDpT10_ENKUlT_T0_E_clISt17integral_constantIbLb1EES18_EEDaS13_S14_EUlS13_E_NS1_11comp_targetILNS1_3genE9ELNS1_11target_archE1100ELNS1_3gpuE3ELNS1_3repE0EEENS1_30default_config_static_selectorELNS0_4arch9wavefront6targetE0EEEvT1_
; %bb.0:
	s_clause 0x4
	s_load_b128 s[4:7], s[0:1], 0x8
	s_load_b64 s[8:9], s[0:1], 0x18
	s_load_b128 s[12:15], s[0:1], 0x40
	s_load_b64 s[10:11], s[0:1], 0x50
	s_load_b64 s[20:21], s[0:1], 0x60
	v_cmp_ne_u32_e64 s3, 0, v0
	v_cmp_eq_u32_e64 s2, 0, v0
	s_delay_alu instid0(VALU_DEP_1)
	s_and_saveexec_b32 s16, s2
	s_cbranch_execz .LBB418_4
; %bb.1:
	s_mov_b32 s18, exec_lo
	s_mov_b32 s17, exec_lo
	v_mbcnt_lo_u32_b32 v1, s18, 0
                                        ; implicit-def: $vgpr2
	s_delay_alu instid0(VALU_DEP_1)
	v_cmpx_eq_u32_e32 0, v1
	s_cbranch_execz .LBB418_3
; %bb.2:
	s_load_b64 s[22:23], s[0:1], 0x70
	s_bcnt1_i32_b32 s18, s18
	s_delay_alu instid0(SALU_CYCLE_1)
	v_dual_mov_b32 v2, 0 :: v_dual_mov_b32 v3, s18
	s_waitcnt lgkmcnt(0)
	global_atomic_add_u32 v2, v2, v3, s[22:23] glc
.LBB418_3:
	s_or_b32 exec_lo, exec_lo, s17
	s_waitcnt vmcnt(0)
	v_readfirstlane_b32 s17, v2
	s_delay_alu instid0(VALU_DEP_1)
	v_dual_mov_b32 v2, 0 :: v_dual_add_nc_u32 v1, s17, v1
	ds_store_b32 v2, v1
.LBB418_4:
	s_or_b32 exec_lo, exec_lo, s16
	v_dual_mov_b32 v1, 0 :: v_dual_add_nc_u32 v22, 0x300, v0
	s_clause 0x1
	s_load_b128 s[16:19], s[0:1], 0x28
	s_load_b32 s0, s[0:1], 0x68
	s_waitcnt lgkmcnt(0)
	s_barrier
	buffer_gl0_inv
	ds_load_b32 v3, v1
	s_waitcnt lgkmcnt(0)
	s_barrier
	buffer_gl0_inv
	global_load_b64 v[1:2], v1, s[14:15]
	s_lshl_b64 s[14:15], s[6:7], 2
	s_mov_b32 s1, 0
	s_add_u32 s27, s4, s14
	s_addc_u32 s28, s5, s15
	v_lshrrev_b32_e32 v20, 3, v0
	v_add_nc_u32_e32 v25, 0x180, v0
	v_add_nc_u32_e32 v21, 0x480, v0
	v_or_b32_e32 v23, 0x600, v0
	v_add_nc_u32_e32 v18, 0x780, v0
	v_add_nc_u32_e32 v17, 0x900, v0
	;; [unrolled: 1-line block ×3, first 2 shown]
	s_mul_i32 s22, s0, 0xc00
	s_add_i32 s0, s0, -1
	s_add_i32 s4, s22, s6
	s_delay_alu instid0(SALU_CYCLE_1) | instskip(SKIP_4) | instid1(SALU_CYCLE_1)
	s_sub_i32 s25, s10, s4
	v_readfirstlane_b32 s24, v3
	s_addk_i32 s25, 0xc00
	s_add_u32 s4, s6, s22
	s_addc_u32 s5, s7, 0
	v_cmp_ge_u64_e64 s4, s[4:5], s[10:11]
	s_cmp_eq_u32 s24, s0
	s_mul_i32 s0, s24, 0xc00
	s_cselect_b32 s22, -1, 0
	s_delay_alu instid0(VALU_DEP_1) | instid1(SALU_CYCLE_1)
	s_and_b32 s26, s4, s22
	s_lshl_b64 s[4:5], s[0:1], 2
	s_xor_b32 s23, s26, -1
	s_add_u32 s27, s27, s4
	s_addc_u32 s1, s28, s5
	s_and_b32 vcc_lo, exec_lo, s23
	s_mov_b32 s28, -1
	s_waitcnt vmcnt(0)
	v_readfirstlane_b32 s10, v1
	v_readfirstlane_b32 s11, v2
	s_cbranch_vccz .LBB418_6
; %bb.5:
	v_lshlrev_b32_e32 v7, 2, v0
	v_lshrrev_b32_e32 v11, 3, v25
	v_lshrrev_b32_e32 v12, 3, v22
	;; [unrolled: 1-line block ×4, first 2 shown]
	v_add_co_u32 v1, s0, s27, v7
	s_delay_alu instid0(VALU_DEP_1) | instskip(SKIP_1) | instid1(VALU_DEP_3)
	v_add_co_ci_u32_e64 v2, null, s1, 0, s0
	v_lshrrev_b32_e32 v15, 3, v18
	v_add_co_u32 v3, vcc_lo, 0x1000, v1
	s_delay_alu instid0(VALU_DEP_3)
	v_add_co_ci_u32_e32 v4, vcc_lo, 0, v2, vcc_lo
	v_add_co_u32 v5, vcc_lo, 0x2000, v1
	v_add_co_ci_u32_e32 v6, vcc_lo, 0, v2, vcc_lo
	s_clause 0x7
	flat_load_b32 v8, v[1:2]
	flat_load_b32 v9, v[1:2] offset:1536
	flat_load_b32 v1, v[1:2] offset:3072
	;; [unrolled: 1-line block ×7, first 2 shown]
	v_and_b32_e32 v6, 60, v20
	v_lshrrev_b32_e32 v16, 3, v17
	v_lshrrev_b32_e32 v19, 3, v24
	v_and_b32_e32 v11, 0x7c, v11
	v_and_b32_e32 v12, 0xfc, v12
	;; [unrolled: 1-line block ×4, first 2 shown]
	v_add_nc_u32_e32 v6, v6, v7
	v_and_b32_e32 v15, 0x1fc, v15
	v_and_b32_e32 v16, 0x17c, v16
	v_and_b32_e32 v19, 0x1fc, v19
	v_add_nc_u32_e32 v11, v11, v7
	v_add_nc_u32_e32 v12, v12, v7
	;; [unrolled: 1-line block ×4, first 2 shown]
	s_mov_b32 s28, 0
	v_add_nc_u32_e32 v15, v15, v7
	v_add_nc_u32_e32 v16, v16, v7
	;; [unrolled: 1-line block ×3, first 2 shown]
	s_waitcnt vmcnt(7) lgkmcnt(7)
	ds_store_b32 v6, v8
	s_waitcnt vmcnt(6) lgkmcnt(7)
	ds_store_b32 v11, v9 offset:1536
	s_waitcnt vmcnt(5) lgkmcnt(7)
	ds_store_b32 v12, v1 offset:3072
	;; [unrolled: 2-line block ×7, first 2 shown]
	s_waitcnt lgkmcnt(0)
	s_barrier
.LBB418_6:
	v_cmp_gt_u32_e64 s0, s25, v0
	s_and_not1_b32 vcc_lo, exec_lo, s28
	s_cbranch_vccnz .LBB418_24
; %bb.7:
                                        ; implicit-def: $vgpr1_vgpr2_vgpr3_vgpr4_vgpr5_vgpr6_vgpr7_vgpr8
	s_delay_alu instid0(VALU_DEP_1)
	s_and_saveexec_b32 s28, s0
	s_cbranch_execz .LBB418_15
; %bb.8:
	v_lshlrev_b32_e32 v1, 2, v0
	s_delay_alu instid0(VALU_DEP_1) | instskip(NEXT) | instid1(VALU_DEP_1)
	v_add_co_u32 v1, s0, s27, v1
	v_add_co_ci_u32_e64 v2, null, s1, 0, s0
	flat_load_b32 v1, v[1:2]
	s_or_b32 exec_lo, exec_lo, s28
	s_delay_alu instid0(SALU_CYCLE_1)
	s_mov_b32 s0, exec_lo
	v_cmpx_gt_u32_e64 s25, v25
	s_cbranch_execnz .LBB418_16
.LBB418_9:
	s_or_b32 exec_lo, exec_lo, s0
	s_delay_alu instid0(SALU_CYCLE_1)
	s_mov_b32 s0, exec_lo
	v_cmpx_gt_u32_e64 s25, v22
	s_cbranch_execz .LBB418_17
.LBB418_10:
	v_lshlrev_b32_e32 v3, 2, v0
	s_delay_alu instid0(VALU_DEP_1) | instskip(NEXT) | instid1(VALU_DEP_1)
	v_add_co_u32 v9, s28, s27, v3
	v_add_co_ci_u32_e64 v10, null, s1, 0, s28
	flat_load_b32 v3, v[9:10] offset:3072
	s_or_b32 exec_lo, exec_lo, s0
	s_delay_alu instid0(SALU_CYCLE_1)
	s_mov_b32 s0, exec_lo
	v_cmpx_gt_u32_e64 s25, v21
	s_cbranch_execnz .LBB418_18
.LBB418_11:
	s_or_b32 exec_lo, exec_lo, s0
	s_delay_alu instid0(SALU_CYCLE_1)
	s_mov_b32 s0, exec_lo
	v_cmpx_gt_u32_e64 s25, v23
	s_cbranch_execz .LBB418_19
.LBB418_12:
	v_lshlrev_b32_e32 v5, 2, v23
	s_delay_alu instid0(VALU_DEP_1) | instskip(NEXT) | instid1(VALU_DEP_1)
	v_add_co_u32 v9, s28, s27, v5
	v_add_co_ci_u32_e64 v10, null, s1, 0, s28
	flat_load_b32 v5, v[9:10]
	s_or_b32 exec_lo, exec_lo, s0
	s_delay_alu instid0(SALU_CYCLE_1)
	s_mov_b32 s0, exec_lo
	v_cmpx_gt_u32_e64 s25, v18
	s_cbranch_execnz .LBB418_20
.LBB418_13:
	s_or_b32 exec_lo, exec_lo, s0
	s_delay_alu instid0(SALU_CYCLE_1)
	s_mov_b32 s0, exec_lo
	v_cmpx_gt_u32_e64 s25, v17
	s_cbranch_execz .LBB418_21
.LBB418_14:
	v_lshlrev_b32_e32 v7, 2, v17
	s_delay_alu instid0(VALU_DEP_1) | instskip(NEXT) | instid1(VALU_DEP_1)
	v_add_co_u32 v9, s28, s27, v7
	v_add_co_ci_u32_e64 v10, null, s1, 0, s28
	flat_load_b32 v7, v[9:10]
	s_or_b32 exec_lo, exec_lo, s0
	s_delay_alu instid0(SALU_CYCLE_1)
	s_mov_b32 s0, exec_lo
	v_cmpx_gt_u32_e64 s25, v24
	s_cbranch_execnz .LBB418_22
	s_branch .LBB418_23
.LBB418_15:
	s_or_b32 exec_lo, exec_lo, s28
	s_delay_alu instid0(SALU_CYCLE_1)
	s_mov_b32 s0, exec_lo
	v_cmpx_gt_u32_e64 s25, v25
	s_cbranch_execz .LBB418_9
.LBB418_16:
	v_lshlrev_b32_e32 v2, 2, v0
	s_delay_alu instid0(VALU_DEP_1) | instskip(NEXT) | instid1(VALU_DEP_1)
	v_add_co_u32 v9, s28, s27, v2
	v_add_co_ci_u32_e64 v10, null, s1, 0, s28
	flat_load_b32 v2, v[9:10] offset:1536
	s_or_b32 exec_lo, exec_lo, s0
	s_delay_alu instid0(SALU_CYCLE_1)
	s_mov_b32 s0, exec_lo
	v_cmpx_gt_u32_e64 s25, v22
	s_cbranch_execnz .LBB418_10
.LBB418_17:
	s_or_b32 exec_lo, exec_lo, s0
	s_delay_alu instid0(SALU_CYCLE_1)
	s_mov_b32 s0, exec_lo
	v_cmpx_gt_u32_e64 s25, v21
	s_cbranch_execz .LBB418_11
.LBB418_18:
	v_lshlrev_b32_e32 v4, 2, v21
	s_delay_alu instid0(VALU_DEP_1) | instskip(NEXT) | instid1(VALU_DEP_1)
	v_add_co_u32 v9, s28, s27, v4
	v_add_co_ci_u32_e64 v10, null, s1, 0, s28
	flat_load_b32 v4, v[9:10]
	s_or_b32 exec_lo, exec_lo, s0
	s_delay_alu instid0(SALU_CYCLE_1)
	s_mov_b32 s0, exec_lo
	v_cmpx_gt_u32_e64 s25, v23
	s_cbranch_execnz .LBB418_12
.LBB418_19:
	s_or_b32 exec_lo, exec_lo, s0
	s_delay_alu instid0(SALU_CYCLE_1)
	s_mov_b32 s0, exec_lo
	v_cmpx_gt_u32_e64 s25, v18
	s_cbranch_execz .LBB418_13
.LBB418_20:
	v_lshlrev_b32_e32 v6, 2, v18
	s_delay_alu instid0(VALU_DEP_1) | instskip(NEXT) | instid1(VALU_DEP_1)
	v_add_co_u32 v9, s28, s27, v6
	v_add_co_ci_u32_e64 v10, null, s1, 0, s28
	flat_load_b32 v6, v[9:10]
	s_or_b32 exec_lo, exec_lo, s0
	s_delay_alu instid0(SALU_CYCLE_1)
	s_mov_b32 s0, exec_lo
	v_cmpx_gt_u32_e64 s25, v17
	s_cbranch_execnz .LBB418_14
.LBB418_21:
	s_or_b32 exec_lo, exec_lo, s0
	s_delay_alu instid0(SALU_CYCLE_1)
	s_mov_b32 s0, exec_lo
	v_cmpx_gt_u32_e64 s25, v24
	s_cbranch_execz .LBB418_23
.LBB418_22:
	v_lshlrev_b32_e32 v8, 2, v24
	s_delay_alu instid0(VALU_DEP_1) | instskip(NEXT) | instid1(VALU_DEP_1)
	v_add_co_u32 v8, s28, s27, v8
	v_add_co_ci_u32_e64 v9, null, s1, 0, s28
	flat_load_b32 v8, v[8:9]
.LBB418_23:
	s_or_b32 exec_lo, exec_lo, s0
	v_lshrrev_b32_e32 v9, 3, v25
	v_lshrrev_b32_e32 v10, 3, v22
	v_lshrrev_b32_e32 v13, 3, v21
	v_lshrrev_b32_e32 v14, 3, v23
	v_and_b32_e32 v11, 60, v20
	v_lshlrev_b32_e32 v12, 2, v0
	v_lshrrev_b32_e32 v15, 3, v18
	v_lshrrev_b32_e32 v16, 3, v17
	;; [unrolled: 1-line block ×3, first 2 shown]
	v_and_b32_e32 v9, 0x7c, v9
	v_and_b32_e32 v10, 0xfc, v10
	;; [unrolled: 1-line block ×4, first 2 shown]
	v_add_nc_u32_e32 v11, v11, v12
	v_and_b32_e32 v15, 0x1fc, v15
	v_and_b32_e32 v16, 0x1fc, v16
	;; [unrolled: 1-line block ×3, first 2 shown]
	v_add_nc_u32_e32 v9, v9, v12
	v_add_nc_u32_e32 v10, v10, v12
	v_add_nc_u32_e32 v13, v13, v12
	v_add_nc_u32_e32 v14, v14, v12
	v_add_nc_u32_e32 v15, v15, v12
	v_add_nc_u32_e32 v16, v16, v12
	v_add_nc_u32_e32 v12, v19, v12
	s_waitcnt vmcnt(0) lgkmcnt(0)
	ds_store_b32 v11, v1
	ds_store_b32 v9, v2 offset:1536
	ds_store_b32 v10, v3 offset:3072
	;; [unrolled: 1-line block ×7, first 2 shown]
	s_waitcnt lgkmcnt(0)
	s_barrier
.LBB418_24:
	v_lshlrev_b32_e32 v19, 3, v0
	v_lshrrev_b32_e32 v1, 2, v0
	buffer_gl0_inv
	s_add_u32 s0, s8, s14
	s_addc_u32 s8, s9, s15
	s_add_u32 s0, s0, s4
	v_add_lshl_u32 v1, v1, v19, 2
	s_addc_u32 s4, s8, s5
	s_and_b32 vcc_lo, exec_lo, s23
	s_mov_b32 s5, -1
	ds_load_2addr_b32 v[15:16], v1 offset1:1
	ds_load_2addr_b32 v[13:14], v1 offset0:2 offset1:3
	ds_load_2addr_b32 v[11:12], v1 offset0:4 offset1:5
	;; [unrolled: 1-line block ×3, first 2 shown]
	s_waitcnt lgkmcnt(0)
	s_barrier
	buffer_gl0_inv
	s_cbranch_vccz .LBB418_26
; %bb.25:
	v_lshlrev_b32_e32 v8, 2, v0
	v_lshrrev_b32_e32 v29, 3, v25
	v_lshrrev_b32_e32 v30, 3, v22
	;; [unrolled: 1-line block ×4, first 2 shown]
	v_add_co_u32 v2, s5, s0, v8
	s_delay_alu instid0(VALU_DEP_1) | instskip(SKIP_1) | instid1(VALU_DEP_3)
	v_add_co_ci_u32_e64 v3, null, s4, 0, s5
	v_lshrrev_b32_e32 v33, 3, v18
	v_add_co_u32 v4, vcc_lo, 0x1000, v2
	s_delay_alu instid0(VALU_DEP_3)
	v_add_co_ci_u32_e32 v5, vcc_lo, 0, v3, vcc_lo
	v_add_co_u32 v6, vcc_lo, 0x2000, v2
	v_add_co_ci_u32_e32 v7, vcc_lo, 0, v3, vcc_lo
	s_clause 0x7
	flat_load_b32 v26, v[2:3]
	flat_load_b32 v27, v[2:3] offset:1536
	flat_load_b32 v2, v[2:3] offset:3072
	flat_load_b32 v3, v[4:5] offset:512
	flat_load_b32 v28, v[4:5] offset:2048
	flat_load_b32 v4, v[4:5] offset:3584
	flat_load_b32 v5, v[6:7] offset:1024
	flat_load_b32 v6, v[6:7] offset:2560
	v_and_b32_e32 v7, 60, v20
	v_lshrrev_b32_e32 v34, 3, v17
	v_lshrrev_b32_e32 v35, 3, v24
	v_and_b32_e32 v29, 0x7c, v29
	v_and_b32_e32 v30, 0xfc, v30
	;; [unrolled: 1-line block ×4, first 2 shown]
	v_add_nc_u32_e32 v7, v7, v8
	v_and_b32_e32 v33, 0x1fc, v33
	v_and_b32_e32 v34, 0x17c, v34
	;; [unrolled: 1-line block ×3, first 2 shown]
	v_add_nc_u32_e32 v29, v29, v8
	v_add_nc_u32_e32 v30, v30, v8
	;; [unrolled: 1-line block ×4, first 2 shown]
	s_mov_b32 s5, 0
	v_add_nc_u32_e32 v33, v33, v8
	v_add_nc_u32_e32 v34, v34, v8
	;; [unrolled: 1-line block ×3, first 2 shown]
	s_waitcnt vmcnt(7) lgkmcnt(7)
	ds_store_b32 v7, v26
	s_waitcnt vmcnt(6) lgkmcnt(7)
	ds_store_b32 v29, v27 offset:1536
	s_waitcnt vmcnt(5) lgkmcnt(7)
	ds_store_b32 v30, v2 offset:3072
	s_waitcnt vmcnt(4) lgkmcnt(7)
	ds_store_b32 v31, v3 offset:4608
	s_waitcnt vmcnt(3) lgkmcnt(7)
	ds_store_b32 v32, v28 offset:6144
	s_waitcnt vmcnt(2) lgkmcnt(7)
	ds_store_b32 v33, v4 offset:7680
	s_waitcnt vmcnt(1) lgkmcnt(7)
	ds_store_b32 v34, v5 offset:9216
	s_waitcnt vmcnt(0) lgkmcnt(7)
	ds_store_b32 v8, v6 offset:10752
	s_waitcnt lgkmcnt(0)
	s_barrier
.LBB418_26:
	s_and_not1_b32 vcc_lo, exec_lo, s5
	s_cbranch_vccnz .LBB418_44
; %bb.27:
	s_mov_b32 s5, exec_lo
                                        ; implicit-def: $vgpr2
	v_cmpx_gt_u32_e64 s25, v0
	s_cbranch_execz .LBB418_29
; %bb.28:
	v_lshlrev_b32_e32 v2, 2, v0
	s_delay_alu instid0(VALU_DEP_1) | instskip(NEXT) | instid1(VALU_DEP_1)
	v_add_co_u32 v2, s8, s0, v2
	v_add_co_ci_u32_e64 v3, null, s4, 0, s8
	flat_load_b32 v2, v[2:3]
.LBB418_29:
	s_or_b32 exec_lo, exec_lo, s5
	s_delay_alu instid0(SALU_CYCLE_1)
	s_mov_b32 s5, exec_lo
                                        ; implicit-def: $vgpr3
	v_cmpx_gt_u32_e64 s25, v25
	s_cbranch_execz .LBB418_31
; %bb.30:
	v_lshlrev_b32_e32 v3, 2, v0
	s_delay_alu instid0(VALU_DEP_1) | instskip(NEXT) | instid1(VALU_DEP_1)
	v_add_co_u32 v3, s8, s0, v3
	v_add_co_ci_u32_e64 v4, null, s4, 0, s8
	flat_load_b32 v3, v[3:4] offset:1536
.LBB418_31:
	s_or_b32 exec_lo, exec_lo, s5
	s_delay_alu instid0(SALU_CYCLE_1)
	s_mov_b32 s5, exec_lo
                                        ; implicit-def: $vgpr4
	v_cmpx_gt_u32_e64 s25, v22
	s_cbranch_execz .LBB418_33
; %bb.32:
	v_lshlrev_b32_e32 v4, 2, v0
	s_delay_alu instid0(VALU_DEP_1) | instskip(NEXT) | instid1(VALU_DEP_1)
	v_add_co_u32 v4, s8, s0, v4
	v_add_co_ci_u32_e64 v5, null, s4, 0, s8
	flat_load_b32 v4, v[4:5] offset:3072
.LBB418_33:
	s_or_b32 exec_lo, exec_lo, s5
	s_delay_alu instid0(SALU_CYCLE_1)
	s_mov_b32 s5, exec_lo
                                        ; implicit-def: $vgpr5
	v_cmpx_gt_u32_e64 s25, v21
	s_cbranch_execz .LBB418_35
; %bb.34:
	v_lshlrev_b32_e32 v5, 2, v21
	s_delay_alu instid0(VALU_DEP_1) | instskip(NEXT) | instid1(VALU_DEP_1)
	v_add_co_u32 v5, s8, s0, v5
	v_add_co_ci_u32_e64 v6, null, s4, 0, s8
	flat_load_b32 v5, v[5:6]
.LBB418_35:
	s_or_b32 exec_lo, exec_lo, s5
	s_delay_alu instid0(SALU_CYCLE_1)
	s_mov_b32 s5, exec_lo
                                        ; implicit-def: $vgpr6
	v_cmpx_gt_u32_e64 s25, v23
	s_cbranch_execz .LBB418_37
; %bb.36:
	v_lshlrev_b32_e32 v6, 2, v23
	s_delay_alu instid0(VALU_DEP_1) | instskip(NEXT) | instid1(VALU_DEP_1)
	v_add_co_u32 v6, s8, s0, v6
	v_add_co_ci_u32_e64 v7, null, s4, 0, s8
	flat_load_b32 v6, v[6:7]
.LBB418_37:
	s_or_b32 exec_lo, exec_lo, s5
	s_delay_alu instid0(SALU_CYCLE_1)
	s_mov_b32 s5, exec_lo
                                        ; implicit-def: $vgpr7
	v_cmpx_gt_u32_e64 s25, v18
	s_cbranch_execz .LBB418_39
; %bb.38:
	v_lshlrev_b32_e32 v7, 2, v18
	s_delay_alu instid0(VALU_DEP_1) | instskip(NEXT) | instid1(VALU_DEP_1)
	v_add_co_u32 v7, s8, s0, v7
	v_add_co_ci_u32_e64 v8, null, s4, 0, s8
	flat_load_b32 v7, v[7:8]
.LBB418_39:
	s_or_b32 exec_lo, exec_lo, s5
	s_delay_alu instid0(SALU_CYCLE_1)
	s_mov_b32 s5, exec_lo
                                        ; implicit-def: $vgpr8
	v_cmpx_gt_u32_e64 s25, v17
	s_cbranch_execz .LBB418_41
; %bb.40:
	v_lshlrev_b32_e32 v8, 2, v17
	s_delay_alu instid0(VALU_DEP_1) | instskip(NEXT) | instid1(VALU_DEP_1)
	v_add_co_u32 v26, s8, s0, v8
	v_add_co_ci_u32_e64 v27, null, s4, 0, s8
	flat_load_b32 v8, v[26:27]
.LBB418_41:
	s_or_b32 exec_lo, exec_lo, s5
	s_delay_alu instid0(SALU_CYCLE_1)
	s_mov_b32 s5, exec_lo
                                        ; implicit-def: $vgpr26
	v_cmpx_gt_u32_e64 s25, v24
	s_cbranch_execz .LBB418_43
; %bb.42:
	v_lshlrev_b32_e32 v26, 2, v24
	s_delay_alu instid0(VALU_DEP_1) | instskip(NEXT) | instid1(VALU_DEP_1)
	v_add_co_u32 v26, s0, s0, v26
	v_add_co_ci_u32_e64 v27, null, s4, 0, s0
	flat_load_b32 v26, v[26:27]
.LBB418_43:
	s_or_b32 exec_lo, exec_lo, s5
	v_lshrrev_b32_e32 v25, 3, v25
	v_lshrrev_b32_e32 v22, 3, v22
	;; [unrolled: 1-line block ×4, first 2 shown]
	v_and_b32_e32 v20, 60, v20
	v_lshlrev_b32_e32 v27, 2, v0
	v_lshrrev_b32_e32 v18, 3, v18
	v_lshrrev_b32_e32 v17, 3, v17
	;; [unrolled: 1-line block ×3, first 2 shown]
	v_and_b32_e32 v25, 0x7c, v25
	v_and_b32_e32 v22, 0xfc, v22
	;; [unrolled: 1-line block ×4, first 2 shown]
	v_add_nc_u32_e32 v20, v20, v27
	v_and_b32_e32 v18, 0x1fc, v18
	v_and_b32_e32 v17, 0x1fc, v17
	;; [unrolled: 1-line block ×3, first 2 shown]
	v_add_nc_u32_e32 v25, v25, v27
	v_add_nc_u32_e32 v22, v22, v27
	;; [unrolled: 1-line block ×7, first 2 shown]
	s_waitcnt vmcnt(0) lgkmcnt(0)
	ds_store_b32 v20, v2
	ds_store_b32 v25, v3 offset:1536
	ds_store_b32 v22, v4 offset:3072
	;; [unrolled: 1-line block ×7, first 2 shown]
	s_waitcnt lgkmcnt(0)
	s_barrier
.LBB418_44:
	buffer_gl0_inv
	ds_load_2addr_b32 v[7:8], v1 offset1:1
	ds_load_2addr_b32 v[5:6], v1 offset0:2 offset1:3
	ds_load_2addr_b32 v[3:4], v1 offset0:4 offset1:5
	;; [unrolled: 1-line block ×3, first 2 shown]
	s_cmp_lg_u32 s24, 0
	s_mov_b32 s14, 0
	s_cselect_b32 s9, -1, 0
	s_cmp_lg_u64 s[6:7], 0
	s_waitcnt lgkmcnt(0)
	s_cselect_b32 s0, -1, 0
	s_barrier
	s_or_b32 s0, s0, s9
	buffer_gl0_inv
	s_and_b32 vcc_lo, exec_lo, s0
	s_cbranch_vccz .LBB418_49
; %bb.45:
	v_add_co_u32 v17, s0, -4, s27
	s_delay_alu instid0(VALU_DEP_1)
	v_add_co_ci_u32_e64 v18, null, -1, s1, s0
	v_lshlrev_b32_e32 v21, 2, v0
	s_mov_b32 s1, -1
	s_and_b32 vcc_lo, exec_lo, s23
	flat_load_b32 v20, v[17:18]
	ds_store_b32 v21, v10
	s_cbranch_vccz .LBB418_50
; %bb.46:
	s_waitcnt vmcnt(0) lgkmcnt(1)
	v_mov_b32_e32 v17, v20
	s_waitcnt lgkmcnt(0)
	s_barrier
	buffer_gl0_inv
	s_and_saveexec_b32 s0, s3
	s_cbranch_execz .LBB418_48
; %bb.47:
	v_add_nc_u32_e32 v17, -4, v21
	ds_load_b32 v17, v17
.LBB418_48:
	s_or_b32 exec_lo, exec_lo, s0
	v_cmp_ne_u32_e32 vcc_lo, v9, v10
	s_waitcnt lgkmcnt(0)
	v_cmp_ne_u32_e64 s0, v17, v15
	v_cndmask_b32_e64 v18, 0, 1, vcc_lo
	v_cmp_ne_u32_e32 vcc_lo, v12, v9
	s_delay_alu instid0(VALU_DEP_2) | instskip(SKIP_2) | instid1(VALU_DEP_2)
	v_lshlrev_b16 v18, 8, v18
	v_cndmask_b32_e64 v22, 0, 1, vcc_lo
	v_cmp_ne_u32_e32 vcc_lo, v11, v12
	v_or_b32_e32 v18, v22, v18
	v_cndmask_b32_e64 v23, 0, 1, vcc_lo
	v_cmp_ne_u32_e32 vcc_lo, v13, v14
	s_delay_alu instid0(VALU_DEP_3) | instskip(NEXT) | instid1(VALU_DEP_3)
	v_lshlrev_b32_e32 v18, 16, v18
	v_lshlrev_b16 v23, 8, v23
	v_cndmask_b32_e64 v24, 0, 1, vcc_lo
	v_cmp_ne_u32_e32 vcc_lo, v14, v11
	s_delay_alu instid0(VALU_DEP_2) | instskip(SKIP_2) | instid1(VALU_DEP_2)
	v_lshlrev_b16 v24, 8, v24
	v_cndmask_b32_e64 v25, 0, 1, vcc_lo
	v_cmp_ne_u32_e32 vcc_lo, v16, v13
	v_or_b32_e32 v23, v25, v23
	v_cndmask_b32_e64 v26, 0, 1, vcc_lo
	v_cmp_ne_u32_e32 vcc_lo, v15, v16
	s_delay_alu instid0(VALU_DEP_3) | instskip(NEXT) | instid1(VALU_DEP_3)
	v_and_b32_e32 v23, 0xffff, v23
	v_or_b32_e32 v24, v26, v24
	v_cndmask_b32_e64 v27, 0, 1, vcc_lo
	s_delay_alu instid0(VALU_DEP_3) | instskip(NEXT) | instid1(VALU_DEP_3)
	v_or_b32_e32 v18, v23, v18
	v_lshlrev_b32_e32 v22, 16, v24
	s_delay_alu instid0(VALU_DEP_3) | instskip(NEXT) | instid1(VALU_DEP_1)
	v_lshlrev_b16 v26, 8, v27
	v_and_b32_e32 v24, 0xffff, v26
	s_delay_alu instid0(VALU_DEP_1)
	v_or_b32_e32 v17, v24, v22
	s_branch .LBB418_54
.LBB418_49:
                                        ; implicit-def: $sgpr0
                                        ; implicit-def: $vgpr18
	s_branch .LBB418_55
.LBB418_50:
                                        ; implicit-def: $sgpr0
                                        ; implicit-def: $vgpr18
	s_and_b32 vcc_lo, exec_lo, s1
	s_cbranch_vccz .LBB418_54
; %bb.51:
	s_waitcnt vmcnt(0) lgkmcnt(0)
	s_barrier
	buffer_gl0_inv
	s_and_saveexec_b32 s0, s3
	s_cbranch_execz .LBB418_53
; %bb.52:
	v_add_nc_u32_e32 v17, -4, v21
	ds_load_b32 v20, v17
.LBB418_53:
	s_or_b32 exec_lo, exec_lo, s0
	v_or_b32_e32 v17, 7, v19
	v_or_b32_e32 v18, 6, v19
	;; [unrolled: 1-line block ×3, first 2 shown]
	v_cmp_ne_u32_e32 vcc_lo, v9, v10
	v_cmp_ne_u32_e64 s1, v12, v9
	v_cmp_gt_u32_e64 s0, s25, v17
	v_cmp_gt_u32_e64 s5, s25, v18
	v_cmp_ne_u32_e64 s4, v11, v12
	v_cmp_gt_u32_e64 s6, s25, v21
	v_or_b32_e32 v18, 3, v19
	s_and_b32 s0, s0, vcc_lo
	v_or_b32_e32 v22, 4, v19
	v_cndmask_b32_e64 v17, 0, 1, s0
	s_and_b32 s0, s5, s1
	v_cmp_gt_u32_e32 vcc_lo, s25, v18
	v_cndmask_b32_e64 v21, 0, 1, s0
	s_and_b32 s0, s6, s4
	v_or_b32_e32 v18, 2, v19
	v_cndmask_b32_e64 v23, 0, 1, s0
	v_cmp_ne_u32_e64 s0, v13, v14
	v_cmp_gt_u32_e64 s1, s25, v22
	v_or_b32_e32 v22, 1, v19
	v_cmp_ne_u32_e64 s4, v14, v11
	v_cmp_ne_u32_e64 s6, v15, v16
	s_and_b32 s0, vcc_lo, s0
	v_cmp_gt_u32_e32 vcc_lo, s25, v18
	v_cndmask_b32_e64 v24, 0, 1, s0
	v_cmp_ne_u32_e64 s0, v16, v13
	v_cmp_gt_u32_e64 s5, s25, v22
	s_and_b32 s1, s1, s4
	v_lshlrev_b16 v23, 8, v23
	v_cndmask_b32_e64 v18, 0, 1, s1
	s_and_b32 s0, vcc_lo, s0
	v_lshlrev_b16 v24, 8, v24
	v_cndmask_b32_e64 v22, 0, 1, s0
	s_and_b32 s0, s5, s6
	v_lshlrev_b16 v17, 8, v17
	v_cndmask_b32_e64 v25, 0, 1, s0
	v_or_b32_e32 v18, v18, v23
	v_or_b32_e32 v22, v22, v24
	v_cmp_gt_u32_e32 vcc_lo, s25, v19
	v_or_b32_e32 v17, v21, v17
	v_lshlrev_b16 v24, 8, v25
	v_and_b32_e32 v18, 0xffff, v18
	v_lshlrev_b32_e32 v21, 16, v22
	s_waitcnt lgkmcnt(0)
	v_cmp_ne_u32_e64 s0, v20, v15
	v_lshlrev_b32_e32 v23, 16, v17
	v_and_b32_e32 v22, 0xffff, v24
	s_delay_alu instid0(VALU_DEP_3) | instskip(NEXT) | instid1(VALU_DEP_2)
	s_and_b32 s0, vcc_lo, s0
	v_or_b32_e32 v18, v18, v23
	s_delay_alu instid0(VALU_DEP_2)
	v_or_b32_e32 v17, v22, v21
.LBB418_54:
	s_mov_b32 s14, -1
	s_cbranch_execnz .LBB418_63
.LBB418_55:
	s_waitcnt vmcnt(0) lgkmcnt(1)
	v_lshlrev_b32_e32 v20, 2, v0
	v_cmp_ne_u32_e64 s1, v9, v10
	v_cmp_ne_u32_e64 s4, v12, v9
	;; [unrolled: 1-line block ×7, first 2 shown]
	s_and_b32 vcc_lo, exec_lo, s23
	ds_store_b32 v20, v10
	s_cbranch_vccz .LBB418_59
; %bb.56:
	v_cndmask_b32_e64 v17, 0, 1, s1
	v_cndmask_b32_e64 v21, 0, 1, s5
	;; [unrolled: 1-line block ×7, first 2 shown]
	v_lshlrev_b16 v21, 8, v21
	v_lshlrev_b16 v17, 8, v17
	;; [unrolled: 1-line block ×4, first 2 shown]
	s_waitcnt lgkmcnt(0)
	v_or_b32_e32 v21, v22, v21
	v_or_b32_e32 v17, v18, v17
	;; [unrolled: 1-line block ×4, first 2 shown]
	s_barrier
	v_and_b32_e32 v21, 0xffff, v21
	v_lshlrev_b32_e32 v17, 16, v17
	v_lshlrev_b32_e32 v23, 16, v18
	v_and_b32_e32 v22, 0xffff, v22
	buffer_gl0_inv
                                        ; implicit-def: $sgpr0
	v_or_b32_e32 v18, v21, v17
	v_or_b32_e32 v17, v22, v23
	s_and_saveexec_b32 s1, s3
	s_delay_alu instid0(SALU_CYCLE_1)
	s_xor_b32 s1, exec_lo, s1
	s_cbranch_execz .LBB418_58
; %bb.57:
	v_add_nc_u32_e32 v21, -4, v20
	s_or_b32 s14, s14, exec_lo
	ds_load_b32 v21, v21
	s_waitcnt lgkmcnt(0)
	v_cmp_ne_u32_e32 vcc_lo, v21, v15
	s_and_b32 s0, vcc_lo, exec_lo
.LBB418_58:
	s_or_b32 exec_lo, exec_lo, s1
	s_branch .LBB418_63
.LBB418_59:
                                        ; implicit-def: $sgpr0
                                        ; implicit-def: $vgpr18
	s_cbranch_execz .LBB418_63
; %bb.60:
	v_or_b32_e32 v17, 7, v19
	v_or_b32_e32 v18, 6, v19
	v_cmp_ne_u32_e32 vcc_lo, v9, v10
	v_cmp_ne_u32_e64 s1, v12, v9
	v_or_b32_e32 v21, 5, v19
	v_cmp_gt_u32_e64 s0, s25, v17
	v_cmp_gt_u32_e64 s4, s25, v18
	v_or_b32_e32 v17, 4, v19
	v_or_b32_e32 v22, 3, v19
	v_cmp_gt_u32_e64 s5, s25, v21
	s_and_b32 s0, s0, vcc_lo
	v_cmp_ne_u32_e32 vcc_lo, v11, v12
	v_cndmask_b32_e64 v18, 0, 1, s0
	s_and_b32 s0, s4, s1
	v_cmp_ne_u32_e64 s1, v14, v11
	v_cndmask_b32_e64 v21, 0, 1, s0
	v_cmp_gt_u32_e64 s0, s25, v17
	v_or_b32_e32 v23, 1, v19
	s_and_b32 s4, s5, vcc_lo
	v_cmp_gt_u32_e32 vcc_lo, s25, v22
	v_cndmask_b32_e64 v17, 0, 1, s4
	s_and_b32 s0, s0, s1
	v_or_b32_e32 v25, 2, v19
	v_cndmask_b32_e64 v24, 0, 1, s0
	v_cmp_ne_u32_e64 s0, v13, v14
	v_cmp_gt_u32_e64 s1, s25, v23
	v_cmp_ne_u32_e64 s4, v15, v16
	v_cmp_gt_u32_e64 s5, s25, v25
	v_cmp_ne_u32_e64 s6, v16, v13
	s_and_b32 s0, vcc_lo, s0
	v_lshlrev_b16 v17, 8, v17
	v_cndmask_b32_e64 v22, 0, 1, s0
	s_and_b32 s0, s1, s4
	v_lshlrev_b16 v18, 8, v18
	v_cndmask_b32_e64 v23, 0, 1, s0
	s_and_b32 s0, s5, s6
	v_lshlrev_b16 v22, 8, v22
	v_cndmask_b32_e64 v25, 0, 1, s0
	v_or_b32_e32 v17, v24, v17
	v_lshlrev_b16 v23, 8, v23
	v_or_b32_e32 v18, v21, v18
	s_waitcnt lgkmcnt(0)
	v_or_b32_e32 v21, v25, v22
	v_and_b32_e32 v17, 0xffff, v17
	v_or_b32_e32 v22, 1, v23
	v_lshlrev_b32_e32 v18, 16, v18
	s_barrier
	v_lshlrev_b32_e32 v21, 16, v21
	buffer_gl0_inv
	v_and_b32_e32 v22, 0xffff, v22
	v_or_b32_e32 v18, v17, v18
                                        ; implicit-def: $sgpr0
	s_delay_alu instid0(VALU_DEP_2)
	v_or_b32_e32 v17, v22, v21
	s_and_saveexec_b32 s1, s3
	s_cbranch_execz .LBB418_62
; %bb.61:
	v_add_nc_u32_e32 v20, -4, v20
	v_cmp_gt_u32_e32 vcc_lo, s25, v19
	s_or_b32 s14, s14, exec_lo
	ds_load_b32 v20, v20
	s_waitcnt lgkmcnt(0)
	v_cmp_ne_u32_e64 s0, v20, v15
	s_delay_alu instid0(VALU_DEP_1) | instskip(NEXT) | instid1(SALU_CYCLE_1)
	s_and_b32 s0, vcc_lo, s0
	s_and_b32 s0, s0, exec_lo
.LBB418_62:
	s_or_b32 exec_lo, exec_lo, s1
.LBB418_63:
	s_and_saveexec_b32 s1, s14
	s_cbranch_execz .LBB418_65
; %bb.64:
	s_waitcnt vmcnt(0) lgkmcnt(1)
	v_and_b32_e32 v20, 0xffffff00, v17
	v_cndmask_b32_e64 v21, 0, 1, s0
	s_delay_alu instid0(VALU_DEP_1) | instskip(NEXT) | instid1(VALU_DEP_1)
	v_or_b32_e32 v20, v21, v20
	v_and_b32_e32 v20, 0xffff, v20
	s_delay_alu instid0(VALU_DEP_1)
	v_and_or_b32 v17, 0xffff0000, v17, v20
.LBB418_65:
	s_or_b32 exec_lo, exec_lo, s1
	s_delay_alu instid0(SALU_CYCLE_1)
	s_and_not1_b32 vcc_lo, exec_lo, s26
	s_cbranch_vccnz .LBB418_67
; %bb.66:
	v_cmp_gt_u32_e32 vcc_lo, s25, v19
	v_or_b32_e32 v21, 1, v19
	v_and_b32_e32 v22, 0xffffff00, v18
	v_or_b32_e32 v23, 2, v19
	s_waitcnt vmcnt(0) lgkmcnt(1)
	v_cndmask_b32_e32 v20, 0, v17, vcc_lo
	v_cmp_gt_u32_e32 vcc_lo, s25, v21
	v_or_b32_e32 v21, 4, v19
	v_cmp_gt_u32_e64 s0, s25, v23
	v_or_b32_e32 v23, 3, v19
	v_and_b32_e32 v20, 0xff, v20
	s_delay_alu instid0(VALU_DEP_2) | instskip(NEXT) | instid1(VALU_DEP_2)
	v_cmp_gt_u32_e64 s1, s25, v23
	v_cndmask_b32_e32 v20, v20, v17, vcc_lo
	v_cmp_gt_u32_e32 vcc_lo, s25, v21
	s_delay_alu instid0(VALU_DEP_2) | instskip(SKIP_1) | instid1(VALU_DEP_2)
	v_dual_cndmask_b32 v21, v22, v18 :: v_dual_and_b32 v20, 0xffff, v20
	v_or_b32_e32 v22, 5, v19
	v_cndmask_b32_e64 v20, v20, v17, s0
	s_delay_alu instid0(VALU_DEP_3) | instskip(NEXT) | instid1(VALU_DEP_3)
	v_and_b32_e32 v21, 0xffff00ff, v21
	v_cmp_gt_u32_e64 s0, s25, v22
	v_or_b32_e32 v22, 6, v19
	v_or_b32_e32 v19, 7, v19
	v_and_b32_e32 v20, 0xffffff, v20
	s_delay_alu instid0(VALU_DEP_4) | instskip(NEXT) | instid1(VALU_DEP_2)
	v_cndmask_b32_e64 v21, v21, v18, s0
	v_cndmask_b32_e64 v20, v20, v17, s1
	s_delay_alu instid0(VALU_DEP_2) | instskip(NEXT) | instid1(VALU_DEP_2)
	v_and_b32_e32 v21, 0xff00ffff, v21
	v_cndmask_b32_e32 v20, v20, v17, vcc_lo
	v_cmp_gt_u32_e32 vcc_lo, s25, v22
	s_delay_alu instid0(VALU_DEP_2) | instskip(NEXT) | instid1(VALU_DEP_1)
	v_cndmask_b32_e64 v20, v20, v17, s0
	v_dual_cndmask_b32 v21, v21, v18 :: v_dual_cndmask_b32 v20, v20, v17
	s_delay_alu instid0(VALU_DEP_1) | instskip(SKIP_1) | instid1(VALU_DEP_2)
	v_and_b32_e32 v21, 0xffffff, v21
	v_cmp_gt_u32_e32 vcc_lo, s25, v19
	v_dual_cndmask_b32 v18, v21, v18 :: v_dual_cndmask_b32 v17, v20, v17
.LBB418_67:
	s_delay_alu instid0(VALU_DEP_1) | instskip(NEXT) | instid1(VALU_DEP_2)
	v_and_b32_e32 v28, 0xff, v17
	v_alignbit_b32 v19, v18, v17, 24
	v_bfe_u32 v30, v17, 8, 8
	v_bfe_u32 v32, v17, 16, 8
	v_and_b32_e32 v36, 0xff, v18
	v_bfe_u32 v38, v18, 8, 8
	v_and_b32_e32 v34, 0xff, v19
	v_add_nc_u32_e32 v19, v30, v28
	s_waitcnt vmcnt(0) lgkmcnt(1)
	v_and_b32_e32 v20, 0x1e0, v0
	v_mbcnt_lo_u32_b32 v41, -1, 0
	v_bfe_u32 v40, v18, 16, 8
	v_lshrrev_b32_e32 v39, 24, v18
	v_add3_u32 v19, v19, v32, v34
	v_min_u32_e32 v20, 0x160, v20
	v_and_b32_e32 v21, 15, v41
	v_lshrrev_b32_e32 v42, 5, v0
	s_and_b32 vcc_lo, exec_lo, s9
	v_add3_u32 v19, v19, v36, v38
	v_or_b32_e32 v20, 31, v20
	v_cmp_eq_u32_e64 s3, 0, v21
	v_cmp_lt_u32_e64 s4, 1, v21
	v_cmp_lt_u32_e64 s1, 3, v21
	v_add3_u32 v43, v19, v40, v39
	v_and_b32_e32 v19, 16, v41
	v_cmp_lt_u32_e64 s0, 7, v21
	v_cmp_eq_u32_e64 s5, v20, v0
	s_mov_b32 s7, -1
	s_waitcnt lgkmcnt(0)
	v_cmp_eq_u32_e64 s6, 0, v19
	s_barrier
	buffer_gl0_inv
	s_cbranch_vccz .LBB418_98
; %bb.68:
	v_mov_b32_dpp v19, v43 row_shr:1 row_mask:0xf bank_mask:0xf
	s_delay_alu instid0(VALU_DEP_1) | instskip(NEXT) | instid1(VALU_DEP_1)
	v_cndmask_b32_e64 v19, v19, 0, s3
	v_add_nc_u32_e32 v19, v19, v43
	s_delay_alu instid0(VALU_DEP_1) | instskip(NEXT) | instid1(VALU_DEP_1)
	v_mov_b32_dpp v20, v19 row_shr:2 row_mask:0xf bank_mask:0xf
	v_cndmask_b32_e64 v20, 0, v20, s4
	s_delay_alu instid0(VALU_DEP_1) | instskip(NEXT) | instid1(VALU_DEP_1)
	v_add_nc_u32_e32 v19, v19, v20
	v_mov_b32_dpp v20, v19 row_shr:4 row_mask:0xf bank_mask:0xf
	s_delay_alu instid0(VALU_DEP_1) | instskip(NEXT) | instid1(VALU_DEP_1)
	v_cndmask_b32_e64 v20, 0, v20, s1
	v_add_nc_u32_e32 v19, v19, v20
	s_delay_alu instid0(VALU_DEP_1) | instskip(NEXT) | instid1(VALU_DEP_1)
	v_mov_b32_dpp v20, v19 row_shr:8 row_mask:0xf bank_mask:0xf
	v_cndmask_b32_e64 v20, 0, v20, s0
	s_delay_alu instid0(VALU_DEP_1) | instskip(SKIP_3) | instid1(VALU_DEP_1)
	v_add_nc_u32_e32 v19, v19, v20
	ds_swizzle_b32 v20, v19 offset:swizzle(BROADCAST,32,15)
	s_waitcnt lgkmcnt(0)
	v_cndmask_b32_e64 v20, v20, 0, s6
	v_add_nc_u32_e32 v19, v19, v20
	s_and_saveexec_b32 s7, s5
	s_cbranch_execz .LBB418_70
; %bb.69:
	v_lshlrev_b32_e32 v20, 2, v42
	ds_store_b32 v20, v19
.LBB418_70:
	s_or_b32 exec_lo, exec_lo, s7
	s_delay_alu instid0(SALU_CYCLE_1)
	s_mov_b32 s7, exec_lo
	s_waitcnt lgkmcnt(0)
	s_barrier
	buffer_gl0_inv
	v_cmpx_gt_u32_e32 12, v0
	s_cbranch_execz .LBB418_72
; %bb.71:
	v_lshlrev_b32_e32 v20, 2, v0
	ds_load_b32 v21, v20
	s_waitcnt lgkmcnt(0)
	v_mov_b32_dpp v22, v21 row_shr:1 row_mask:0xf bank_mask:0xf
	s_delay_alu instid0(VALU_DEP_1) | instskip(NEXT) | instid1(VALU_DEP_1)
	v_cndmask_b32_e64 v22, v22, 0, s3
	v_add_nc_u32_e32 v21, v22, v21
	s_delay_alu instid0(VALU_DEP_1) | instskip(NEXT) | instid1(VALU_DEP_1)
	v_mov_b32_dpp v22, v21 row_shr:2 row_mask:0xf bank_mask:0xf
	v_cndmask_b32_e64 v22, 0, v22, s4
	s_delay_alu instid0(VALU_DEP_1) | instskip(NEXT) | instid1(VALU_DEP_1)
	v_add_nc_u32_e32 v21, v21, v22
	v_mov_b32_dpp v22, v21 row_shr:4 row_mask:0xf bank_mask:0xf
	s_delay_alu instid0(VALU_DEP_1) | instskip(NEXT) | instid1(VALU_DEP_1)
	v_cndmask_b32_e64 v22, 0, v22, s1
	v_add_nc_u32_e32 v21, v21, v22
	s_delay_alu instid0(VALU_DEP_1) | instskip(NEXT) | instid1(VALU_DEP_1)
	v_mov_b32_dpp v22, v21 row_shr:8 row_mask:0xf bank_mask:0xf
	v_cndmask_b32_e64 v22, 0, v22, s0
	s_delay_alu instid0(VALU_DEP_1)
	v_add_nc_u32_e32 v21, v21, v22
	ds_store_b32 v20, v21
.LBB418_72:
	s_or_b32 exec_lo, exec_lo, s7
	v_cmp_gt_u32_e32 vcc_lo, 32, v0
	s_mov_b32 s8, exec_lo
	s_waitcnt lgkmcnt(0)
	s_barrier
	buffer_gl0_inv
                                        ; implicit-def: $vgpr27
	v_cmpx_lt_u32_e32 31, v0
	s_cbranch_execz .LBB418_74
; %bb.73:
	v_lshl_add_u32 v20, v42, 2, -4
	ds_load_b32 v27, v20
	s_waitcnt lgkmcnt(0)
	v_add_nc_u32_e32 v19, v27, v19
.LBB418_74:
	s_or_b32 exec_lo, exec_lo, s8
	v_add_nc_u32_e32 v20, -1, v41
	s_delay_alu instid0(VALU_DEP_1) | instskip(NEXT) | instid1(VALU_DEP_1)
	v_cmp_gt_i32_e64 s7, 0, v20
	v_cndmask_b32_e64 v20, v20, v41, s7
	v_cmp_eq_u32_e64 s7, 0, v41
	s_delay_alu instid0(VALU_DEP_2)
	v_lshlrev_b32_e32 v20, 2, v20
	ds_bpermute_b32 v29, v20, v19
	s_and_saveexec_b32 s8, vcc_lo
	s_cbranch_execz .LBB418_97
; %bb.75:
	v_mov_b32_e32 v23, 0
	ds_load_b32 v19, v23 offset:44
	s_and_saveexec_b32 s9, s7
	s_cbranch_execz .LBB418_77
; %bb.76:
	s_add_i32 s14, s24, 32
	s_mov_b32 s15, 0
	v_mov_b32_e32 v20, 1
	s_lshl_b64 s[14:15], s[14:15], 3
	s_delay_alu instid0(SALU_CYCLE_1)
	s_add_u32 s14, s20, s14
	s_addc_u32 s15, s21, s15
	s_waitcnt lgkmcnt(0)
	global_store_b64 v23, v[19:20], s[14:15]
.LBB418_77:
	s_or_b32 exec_lo, exec_lo, s9
	v_xad_u32 v21, v41, -1, s24
	s_mov_b32 s14, 0
	s_mov_b32 s9, exec_lo
	s_delay_alu instid0(VALU_DEP_1) | instskip(NEXT) | instid1(VALU_DEP_1)
	v_add_nc_u32_e32 v22, 32, v21
	v_lshlrev_b64 v[22:23], 3, v[22:23]
	s_delay_alu instid0(VALU_DEP_1) | instskip(NEXT) | instid1(VALU_DEP_2)
	v_add_co_u32 v25, vcc_lo, s20, v22
	v_add_co_ci_u32_e32 v26, vcc_lo, s21, v23, vcc_lo
	global_load_b64 v[23:24], v[25:26], off glc
	s_waitcnt vmcnt(0)
	v_and_b32_e32 v20, 0xff, v24
	s_delay_alu instid0(VALU_DEP_1)
	v_cmpx_eq_u16_e32 0, v20
	s_cbranch_execz .LBB418_83
; %bb.78:
	s_mov_b32 s15, 1
	.p2align	6
.LBB418_79:                             ; =>This Loop Header: Depth=1
                                        ;     Child Loop BB418_80 Depth 2
	s_delay_alu instid0(SALU_CYCLE_1)
	s_max_u32 s25, s15, 1
.LBB418_80:                             ;   Parent Loop BB418_79 Depth=1
                                        ; =>  This Inner Loop Header: Depth=2
	s_delay_alu instid0(SALU_CYCLE_1)
	s_add_i32 s25, s25, -1
	s_sleep 1
	s_cmp_eq_u32 s25, 0
	s_cbranch_scc0 .LBB418_80
; %bb.81:                               ;   in Loop: Header=BB418_79 Depth=1
	global_load_b64 v[23:24], v[25:26], off glc
	s_cmp_lt_u32 s15, 32
	s_cselect_b32 s25, -1, 0
	s_delay_alu instid0(SALU_CYCLE_1) | instskip(SKIP_3) | instid1(VALU_DEP_1)
	s_cmp_lg_u32 s25, 0
	s_addc_u32 s15, s15, 0
	s_waitcnt vmcnt(0)
	v_and_b32_e32 v20, 0xff, v24
	v_cmp_ne_u16_e32 vcc_lo, 0, v20
	s_or_b32 s14, vcc_lo, s14
	s_delay_alu instid0(SALU_CYCLE_1)
	s_and_not1_b32 exec_lo, exec_lo, s14
	s_cbranch_execnz .LBB418_79
; %bb.82:
	s_or_b32 exec_lo, exec_lo, s14
.LBB418_83:
	s_delay_alu instid0(SALU_CYCLE_1)
	s_or_b32 exec_lo, exec_lo, s9
	v_cmp_ne_u32_e32 vcc_lo, 31, v41
	v_lshlrev_b32_e64 v33, v41, -1
	v_add_nc_u32_e32 v37, 2, v41
	v_add_nc_u32_e32 v45, 4, v41
	v_add_nc_u32_e32 v47, 8, v41
	v_add_co_ci_u32_e32 v20, vcc_lo, 0, v41, vcc_lo
	v_add_nc_u32_e32 v49, 16, v41
	s_delay_alu instid0(VALU_DEP_2)
	v_lshlrev_b32_e32 v31, 2, v20
	v_and_b32_e32 v20, 0xff, v24
	ds_bpermute_b32 v22, v31, v23
	v_cmp_eq_u16_e32 vcc_lo, 2, v20
	v_and_or_b32 v20, vcc_lo, v33, 0x80000000
	v_cmp_gt_u32_e32 vcc_lo, 30, v41
	s_delay_alu instid0(VALU_DEP_2) | instskip(SKIP_1) | instid1(VALU_DEP_2)
	v_ctz_i32_b32_e32 v20, v20
	v_cndmask_b32_e64 v25, 0, 1, vcc_lo
	v_cmp_lt_u32_e32 vcc_lo, v41, v20
	s_waitcnt lgkmcnt(0)
	s_delay_alu instid0(VALU_DEP_2) | instskip(NEXT) | instid1(VALU_DEP_1)
	v_dual_cndmask_b32 v22, 0, v22 :: v_dual_lshlrev_b32 v25, 1, v25
	v_add_lshl_u32 v35, v25, v41, 2
	v_cmp_gt_u32_e32 vcc_lo, 28, v41
	s_delay_alu instid0(VALU_DEP_3) | instskip(SKIP_4) | instid1(VALU_DEP_1)
	v_add_nc_u32_e32 v22, v22, v23
	v_cndmask_b32_e64 v25, 0, 1, vcc_lo
	v_cmp_le_u32_e32 vcc_lo, v37, v20
	ds_bpermute_b32 v23, v35, v22
	v_lshlrev_b32_e32 v25, 2, v25
	v_add_lshl_u32 v44, v25, v41, 2
	s_waitcnt lgkmcnt(0)
	v_cndmask_b32_e32 v23, 0, v23, vcc_lo
	v_cmp_gt_u32_e32 vcc_lo, 24, v41
	s_delay_alu instid0(VALU_DEP_2) | instskip(SKIP_4) | instid1(VALU_DEP_1)
	v_add_nc_u32_e32 v22, v22, v23
	v_cndmask_b32_e64 v25, 0, 1, vcc_lo
	v_cmp_le_u32_e32 vcc_lo, v45, v20
	ds_bpermute_b32 v23, v44, v22
	v_lshlrev_b32_e32 v25, 3, v25
	v_add_lshl_u32 v46, v25, v41, 2
	s_waitcnt lgkmcnt(0)
	v_cndmask_b32_e32 v23, 0, v23, vcc_lo
	v_cmp_gt_u32_e32 vcc_lo, 16, v41
	s_delay_alu instid0(VALU_DEP_2) | instskip(SKIP_4) | instid1(VALU_DEP_1)
	v_add_nc_u32_e32 v22, v22, v23
	v_cndmask_b32_e64 v25, 0, 1, vcc_lo
	v_cmp_le_u32_e32 vcc_lo, v47, v20
	ds_bpermute_b32 v23, v46, v22
	v_lshlrev_b32_e32 v25, 4, v25
	v_add_lshl_u32 v48, v25, v41, 2
	s_waitcnt lgkmcnt(0)
	v_cndmask_b32_e32 v23, 0, v23, vcc_lo
	v_cmp_le_u32_e32 vcc_lo, v49, v20
	s_delay_alu instid0(VALU_DEP_2) | instskip(SKIP_3) | instid1(VALU_DEP_1)
	v_add_nc_u32_e32 v22, v22, v23
	ds_bpermute_b32 v23, v48, v22
	s_waitcnt lgkmcnt(0)
	v_cndmask_b32_e32 v20, 0, v23, vcc_lo
	v_dual_mov_b32 v22, 0 :: v_dual_add_nc_u32 v23, v22, v20
	s_branch .LBB418_85
.LBB418_84:                             ;   in Loop: Header=BB418_85 Depth=1
	s_or_b32 exec_lo, exec_lo, s9
	ds_bpermute_b32 v26, v31, v23
	v_and_b32_e32 v25, 0xff, v24
	v_subrev_nc_u32_e32 v21, 32, v21
	s_delay_alu instid0(VALU_DEP_2) | instskip(SKIP_1) | instid1(VALU_DEP_1)
	v_cmp_eq_u16_e32 vcc_lo, 2, v25
	v_and_or_b32 v25, vcc_lo, v33, 0x80000000
	v_ctz_i32_b32_e32 v25, v25
	s_delay_alu instid0(VALU_DEP_1) | instskip(SKIP_3) | instid1(VALU_DEP_2)
	v_cmp_lt_u32_e32 vcc_lo, v41, v25
	s_waitcnt lgkmcnt(0)
	v_cndmask_b32_e32 v26, 0, v26, vcc_lo
	v_cmp_le_u32_e32 vcc_lo, v37, v25
	v_add_nc_u32_e32 v23, v26, v23
	ds_bpermute_b32 v26, v35, v23
	s_waitcnt lgkmcnt(0)
	v_cndmask_b32_e32 v26, 0, v26, vcc_lo
	v_cmp_le_u32_e32 vcc_lo, v45, v25
	s_delay_alu instid0(VALU_DEP_2) | instskip(SKIP_4) | instid1(VALU_DEP_2)
	v_add_nc_u32_e32 v23, v23, v26
	ds_bpermute_b32 v26, v44, v23
	s_waitcnt lgkmcnt(0)
	v_cndmask_b32_e32 v26, 0, v26, vcc_lo
	v_cmp_le_u32_e32 vcc_lo, v47, v25
	v_add_nc_u32_e32 v23, v23, v26
	ds_bpermute_b32 v26, v46, v23
	s_waitcnt lgkmcnt(0)
	v_cndmask_b32_e32 v26, 0, v26, vcc_lo
	v_cmp_le_u32_e32 vcc_lo, v49, v25
	s_delay_alu instid0(VALU_DEP_2) | instskip(SKIP_3) | instid1(VALU_DEP_1)
	v_add_nc_u32_e32 v23, v23, v26
	ds_bpermute_b32 v26, v48, v23
	s_waitcnt lgkmcnt(0)
	v_cndmask_b32_e32 v25, 0, v26, vcc_lo
	v_add3_u32 v23, v25, v20, v23
.LBB418_85:                             ; =>This Loop Header: Depth=1
                                        ;     Child Loop BB418_88 Depth 2
                                        ;       Child Loop BB418_89 Depth 3
	v_and_b32_e32 v20, 0xff, v24
	s_delay_alu instid0(VALU_DEP_1) | instskip(SKIP_2) | instid1(VALU_DEP_1)
	v_cmp_ne_u16_e32 vcc_lo, 2, v20
	v_cndmask_b32_e64 v20, 0, 1, vcc_lo
	;;#ASMSTART
	;;#ASMEND
	v_cmp_ne_u32_e32 vcc_lo, 0, v20
	v_mov_b32_e32 v20, v23
	s_cmp_lg_u32 vcc_lo, exec_lo
	s_cbranch_scc1 .LBB418_92
; %bb.86:                               ;   in Loop: Header=BB418_85 Depth=1
	v_lshlrev_b64 v[23:24], 3, v[21:22]
	s_mov_b32 s9, exec_lo
	s_delay_alu instid0(VALU_DEP_1) | instskip(NEXT) | instid1(VALU_DEP_2)
	v_add_co_u32 v25, vcc_lo, s20, v23
	v_add_co_ci_u32_e32 v26, vcc_lo, s21, v24, vcc_lo
	global_load_b64 v[23:24], v[25:26], off glc
	s_waitcnt vmcnt(0)
	v_and_b32_e32 v50, 0xff, v24
	s_delay_alu instid0(VALU_DEP_1)
	v_cmpx_eq_u16_e32 0, v50
	s_cbranch_execz .LBB418_84
; %bb.87:                               ;   in Loop: Header=BB418_85 Depth=1
	s_mov_b32 s15, 1
	s_mov_b32 s14, 0
	.p2align	6
.LBB418_88:                             ;   Parent Loop BB418_85 Depth=1
                                        ; =>  This Loop Header: Depth=2
                                        ;       Child Loop BB418_89 Depth 3
	s_max_u32 s25, s15, 1
.LBB418_89:                             ;   Parent Loop BB418_85 Depth=1
                                        ;     Parent Loop BB418_88 Depth=2
                                        ; =>    This Inner Loop Header: Depth=3
	s_delay_alu instid0(SALU_CYCLE_1)
	s_add_i32 s25, s25, -1
	s_sleep 1
	s_cmp_eq_u32 s25, 0
	s_cbranch_scc0 .LBB418_89
; %bb.90:                               ;   in Loop: Header=BB418_88 Depth=2
	global_load_b64 v[23:24], v[25:26], off glc
	s_cmp_lt_u32 s15, 32
	s_cselect_b32 s25, -1, 0
	s_delay_alu instid0(SALU_CYCLE_1) | instskip(SKIP_3) | instid1(VALU_DEP_1)
	s_cmp_lg_u32 s25, 0
	s_addc_u32 s15, s15, 0
	s_waitcnt vmcnt(0)
	v_and_b32_e32 v50, 0xff, v24
	v_cmp_ne_u16_e32 vcc_lo, 0, v50
	s_or_b32 s14, vcc_lo, s14
	s_delay_alu instid0(SALU_CYCLE_1)
	s_and_not1_b32 exec_lo, exec_lo, s14
	s_cbranch_execnz .LBB418_88
; %bb.91:                               ;   in Loop: Header=BB418_85 Depth=1
	s_or_b32 exec_lo, exec_lo, s14
	s_branch .LBB418_84
.LBB418_92:                             ;   in Loop: Header=BB418_85 Depth=1
                                        ; implicit-def: $vgpr23
                                        ; implicit-def: $vgpr24
	s_cbranch_execz .LBB418_85
; %bb.93:
	s_and_saveexec_b32 s9, s7
	s_cbranch_execz .LBB418_95
; %bb.94:
	s_add_i32 s14, s24, 32
	s_mov_b32 s15, 0
	v_dual_mov_b32 v22, 2 :: v_dual_add_nc_u32 v21, v20, v19
	s_lshl_b64 s[14:15], s[14:15], 3
	v_mov_b32_e32 v23, 0
	s_add_u32 s14, s20, s14
	s_addc_u32 s15, s21, s15
	global_store_b64 v23, v[21:22], s[14:15]
	ds_store_b64 v23, v[19:20] offset:12672
.LBB418_95:
	s_or_b32 exec_lo, exec_lo, s9
	s_delay_alu instid0(SALU_CYCLE_1)
	s_and_b32 exec_lo, exec_lo, s2
	s_cbranch_execz .LBB418_97
; %bb.96:
	v_mov_b32_e32 v19, 0
	ds_store_b32 v19, v20 offset:44
.LBB418_97:
	s_or_b32 exec_lo, exec_lo, s8
	v_mov_b32_e32 v19, 0
	s_waitcnt lgkmcnt(0)
	s_waitcnt_vscnt null, 0x0
	s_barrier
	buffer_gl0_inv
	v_cndmask_b32_e64 v21, v29, v27, s7
	ds_load_b32 v20, v19 offset:44
	s_waitcnt lgkmcnt(0)
	s_barrier
	buffer_gl0_inv
	v_cndmask_b32_e64 v21, v21, 0, s2
	s_delay_alu instid0(VALU_DEP_1) | instskip(SKIP_2) | instid1(VALU_DEP_1)
	v_add_nc_u32_e32 v37, v20, v21
	ds_load_b64 v[19:20], v19 offset:12672
	v_add_nc_u32_e32 v35, v37, v28
	v_add_nc_u32_e32 v33, v35, v30
	s_delay_alu instid0(VALU_DEP_1) | instskip(NEXT) | instid1(VALU_DEP_1)
	v_add_nc_u32_e32 v31, v33, v32
	v_add_nc_u32_e32 v29, v31, v34
	s_delay_alu instid0(VALU_DEP_1) | instskip(NEXT) | instid1(VALU_DEP_1)
	v_add_nc_u32_e32 v27, v29, v36
	v_add_nc_u32_e32 v25, v27, v38
	s_delay_alu instid0(VALU_DEP_1)
	v_add_nc_u32_e32 v23, v25, v40
	v_lshrrev_b64 v[21:22], 24, v[17:18]
	s_branch .LBB418_108
.LBB418_98:
                                        ; implicit-def: $vgpr23
                                        ; implicit-def: $vgpr25
                                        ; implicit-def: $vgpr27
                                        ; implicit-def: $vgpr29
                                        ; implicit-def: $vgpr31
                                        ; implicit-def: $vgpr33
                                        ; implicit-def: $vgpr35
                                        ; implicit-def: $vgpr37
                                        ; implicit-def: $vgpr20
	v_lshrrev_b64 v[21:22], 24, v[17:18]
	s_and_b32 vcc_lo, exec_lo, s7
	s_cbranch_vccz .LBB418_108
; %bb.99:
	s_waitcnt lgkmcnt(0)
	v_mov_b32_dpp v19, v43 row_shr:1 row_mask:0xf bank_mask:0xf
	s_delay_alu instid0(VALU_DEP_1) | instskip(NEXT) | instid1(VALU_DEP_1)
	v_cndmask_b32_e64 v19, v19, 0, s3
	v_add_nc_u32_e32 v19, v19, v43
	s_delay_alu instid0(VALU_DEP_1) | instskip(NEXT) | instid1(VALU_DEP_1)
	v_mov_b32_dpp v20, v19 row_shr:2 row_mask:0xf bank_mask:0xf
	v_cndmask_b32_e64 v20, 0, v20, s4
	s_delay_alu instid0(VALU_DEP_1) | instskip(NEXT) | instid1(VALU_DEP_1)
	v_add_nc_u32_e32 v19, v19, v20
	v_mov_b32_dpp v20, v19 row_shr:4 row_mask:0xf bank_mask:0xf
	s_delay_alu instid0(VALU_DEP_1) | instskip(NEXT) | instid1(VALU_DEP_1)
	v_cndmask_b32_e64 v20, 0, v20, s1
	v_add_nc_u32_e32 v19, v19, v20
	s_delay_alu instid0(VALU_DEP_1) | instskip(NEXT) | instid1(VALU_DEP_1)
	v_mov_b32_dpp v20, v19 row_shr:8 row_mask:0xf bank_mask:0xf
	v_cndmask_b32_e64 v20, 0, v20, s0
	s_delay_alu instid0(VALU_DEP_1) | instskip(SKIP_3) | instid1(VALU_DEP_1)
	v_add_nc_u32_e32 v19, v19, v20
	ds_swizzle_b32 v20, v19 offset:swizzle(BROADCAST,32,15)
	s_waitcnt lgkmcnt(0)
	v_cndmask_b32_e64 v20, v20, 0, s6
	v_add_nc_u32_e32 v19, v19, v20
	s_and_saveexec_b32 s6, s5
	s_cbranch_execz .LBB418_101
; %bb.100:
	v_lshlrev_b32_e32 v20, 2, v42
	ds_store_b32 v20, v19
.LBB418_101:
	s_or_b32 exec_lo, exec_lo, s6
	s_delay_alu instid0(SALU_CYCLE_1)
	s_mov_b32 s5, exec_lo
	s_waitcnt lgkmcnt(0)
	s_barrier
	buffer_gl0_inv
	v_cmpx_gt_u32_e32 12, v0
	s_cbranch_execz .LBB418_103
; %bb.102:
	v_lshlrev_b32_e32 v20, 2, v0
	ds_load_b32 v22, v20
	s_waitcnt lgkmcnt(0)
	v_mov_b32_dpp v23, v22 row_shr:1 row_mask:0xf bank_mask:0xf
	s_delay_alu instid0(VALU_DEP_1) | instskip(NEXT) | instid1(VALU_DEP_1)
	v_cndmask_b32_e64 v23, v23, 0, s3
	v_add_nc_u32_e32 v22, v23, v22
	s_delay_alu instid0(VALU_DEP_1) | instskip(NEXT) | instid1(VALU_DEP_1)
	v_mov_b32_dpp v23, v22 row_shr:2 row_mask:0xf bank_mask:0xf
	v_cndmask_b32_e64 v23, 0, v23, s4
	s_delay_alu instid0(VALU_DEP_1) | instskip(NEXT) | instid1(VALU_DEP_1)
	v_add_nc_u32_e32 v22, v22, v23
	v_mov_b32_dpp v23, v22 row_shr:4 row_mask:0xf bank_mask:0xf
	s_delay_alu instid0(VALU_DEP_1) | instskip(NEXT) | instid1(VALU_DEP_1)
	v_cndmask_b32_e64 v23, 0, v23, s1
	v_add_nc_u32_e32 v22, v22, v23
	s_delay_alu instid0(VALU_DEP_1) | instskip(NEXT) | instid1(VALU_DEP_1)
	v_mov_b32_dpp v23, v22 row_shr:8 row_mask:0xf bank_mask:0xf
	v_cndmask_b32_e64 v23, 0, v23, s0
	s_delay_alu instid0(VALU_DEP_1)
	v_add_nc_u32_e32 v22, v22, v23
	ds_store_b32 v20, v22
.LBB418_103:
	s_or_b32 exec_lo, exec_lo, s5
	v_mov_b32_e32 v20, 0
	v_mov_b32_e32 v22, 0
	s_mov_b32 s0, exec_lo
	s_waitcnt lgkmcnt(0)
	s_barrier
	buffer_gl0_inv
	v_cmpx_lt_u32_e32 31, v0
	s_cbranch_execz .LBB418_105
; %bb.104:
	v_lshl_add_u32 v22, v42, 2, -4
	ds_load_b32 v22, v22
.LBB418_105:
	s_or_b32 exec_lo, exec_lo, s0
	v_add_nc_u32_e32 v23, -1, v41
	s_waitcnt lgkmcnt(0)
	v_add_nc_u32_e32 v19, v22, v19
	s_delay_alu instid0(VALU_DEP_2) | instskip(SKIP_1) | instid1(VALU_DEP_1)
	v_cmp_gt_i32_e32 vcc_lo, 0, v23
	v_cndmask_b32_e32 v23, v23, v41, vcc_lo
	v_lshlrev_b32_e32 v23, 2, v23
	ds_bpermute_b32 v23, v23, v19
	ds_load_b32 v19, v20 offset:44
	s_and_saveexec_b32 s0, s2
	s_cbranch_execz .LBB418_107
; %bb.106:
	v_mov_b32_e32 v24, 0
	v_mov_b32_e32 v20, 2
	s_waitcnt lgkmcnt(0)
	global_store_b64 v24, v[19:20], s[20:21] offset:256
.LBB418_107:
	s_or_b32 exec_lo, exec_lo, s0
	v_cmp_eq_u32_e32 vcc_lo, 0, v41
	s_waitcnt lgkmcnt(0)
	s_waitcnt_vscnt null, 0x0
	s_barrier
	buffer_gl0_inv
	v_cndmask_b32_e32 v20, v23, v22, vcc_lo
	s_delay_alu instid0(VALU_DEP_1) | instskip(NEXT) | instid1(VALU_DEP_1)
	v_cndmask_b32_e64 v37, v20, 0, s2
	v_dual_mov_b32 v20, 0 :: v_dual_add_nc_u32 v35, v37, v28
	s_delay_alu instid0(VALU_DEP_1) | instskip(NEXT) | instid1(VALU_DEP_1)
	v_add_nc_u32_e32 v33, v35, v30
	v_add_nc_u32_e32 v31, v33, v32
	s_delay_alu instid0(VALU_DEP_1) | instskip(NEXT) | instid1(VALU_DEP_1)
	v_add_nc_u32_e32 v29, v31, v34
	v_add_nc_u32_e32 v27, v29, v36
	;; [unrolled: 3-line block ×3, first 2 shown]
.LBB418_108:
	s_waitcnt lgkmcnt(0)
	v_add_nc_u32_e32 v43, v20, v19
	v_cmp_gt_u32_e64 s0, 0x181, v19
	v_lshrrev_b32_e32 v42, 8, v17
	v_lshrrev_b32_e32 v41, 16, v17
	;; [unrolled: 1-line block ×4, first 2 shown]
	v_cmp_lt_u32_e64 s1, v37, v43
	s_and_b32 vcc_lo, exec_lo, s0
	s_mov_b32 s3, -1
	s_cbranch_vccz .LBB418_134
; %bb.109:
	s_lshl_b64 s[4:5], s[10:11], 2
	s_delay_alu instid0(SALU_CYCLE_1) | instskip(SKIP_2) | instid1(SALU_CYCLE_1)
	s_add_u32 s3, s16, s4
	s_addc_u32 s4, s17, s5
	s_or_b32 s5, s23, s1
	s_and_saveexec_b32 s1, s5
	s_cbranch_execz .LBB418_112
; %bb.110:
	v_and_b32_e32 v24, 1, v17
	s_delay_alu instid0(VALU_DEP_1)
	v_cmp_eq_u32_e32 vcc_lo, 1, v24
	s_and_b32 exec_lo, exec_lo, vcc_lo
	s_cbranch_execz .LBB418_112
; %bb.111:
	v_mov_b32_e32 v38, 0
	s_delay_alu instid0(VALU_DEP_1) | instskip(NEXT) | instid1(VALU_DEP_1)
	v_lshlrev_b64 v[44:45], 2, v[37:38]
	v_add_co_u32 v44, vcc_lo, s3, v44
	s_delay_alu instid0(VALU_DEP_2)
	v_add_co_ci_u32_e32 v45, vcc_lo, s4, v45, vcc_lo
	global_store_b32 v[44:45], v15, off
.LBB418_112:
	s_or_b32 exec_lo, exec_lo, s1
	v_cmp_lt_u32_e32 vcc_lo, v35, v43
	s_or_b32 s5, s23, vcc_lo
	s_delay_alu instid0(SALU_CYCLE_1)
	s_and_saveexec_b32 s1, s5
	s_cbranch_execz .LBB418_115
; %bb.113:
	v_and_b32_e32 v24, 1, v42
	s_delay_alu instid0(VALU_DEP_1)
	v_cmp_eq_u32_e32 vcc_lo, 1, v24
	s_and_b32 exec_lo, exec_lo, vcc_lo
	s_cbranch_execz .LBB418_115
; %bb.114:
	v_mov_b32_e32 v36, 0
	s_delay_alu instid0(VALU_DEP_1) | instskip(NEXT) | instid1(VALU_DEP_1)
	v_lshlrev_b64 v[44:45], 2, v[35:36]
	v_add_co_u32 v44, vcc_lo, s3, v44
	s_delay_alu instid0(VALU_DEP_2)
	v_add_co_ci_u32_e32 v45, vcc_lo, s4, v45, vcc_lo
	global_store_b32 v[44:45], v16, off
.LBB418_115:
	s_or_b32 exec_lo, exec_lo, s1
	v_cmp_lt_u32_e32 vcc_lo, v33, v43
	s_or_b32 s5, s23, vcc_lo
	s_delay_alu instid0(SALU_CYCLE_1)
	;; [unrolled: 21-line block ×7, first 2 shown]
	s_and_saveexec_b32 s1, s5
	s_cbranch_execz .LBB418_133
; %bb.131:
	v_and_b32_e32 v24, 1, v39
	s_delay_alu instid0(VALU_DEP_1)
	v_cmp_eq_u32_e32 vcc_lo, 1, v24
	s_and_b32 exec_lo, exec_lo, vcc_lo
	s_cbranch_execz .LBB418_133
; %bb.132:
	v_mov_b32_e32 v24, 0
	s_delay_alu instid0(VALU_DEP_1) | instskip(NEXT) | instid1(VALU_DEP_1)
	v_lshlrev_b64 v[44:45], 2, v[23:24]
	v_add_co_u32 v44, vcc_lo, s3, v44
	s_delay_alu instid0(VALU_DEP_2)
	v_add_co_ci_u32_e32 v45, vcc_lo, s4, v45, vcc_lo
	global_store_b32 v[44:45], v10, off
.LBB418_133:
	s_or_b32 exec_lo, exec_lo, s1
	s_mov_b32 s3, 0
.LBB418_134:
	v_and_b32_e32 v17, 1, v17
	s_and_b32 vcc_lo, exec_lo, s3
	s_delay_alu instid0(VALU_DEP_1)
	v_cmp_eq_u32_e64 s1, 1, v17
	s_cbranch_vccz .LBB418_155
; %bb.135:
	s_delay_alu instid0(VALU_DEP_1)
	s_and_saveexec_b32 s3, s1
	s_cbranch_execz .LBB418_137
; %bb.136:
	v_sub_nc_u32_e32 v24, v37, v20
	s_delay_alu instid0(VALU_DEP_1)
	v_lshlrev_b32_e32 v24, 2, v24
	ds_store_b32 v24, v15
.LBB418_137:
	s_or_b32 exec_lo, exec_lo, s3
	v_and_b32_e32 v15, 1, v42
	s_mov_b32 s1, exec_lo
	s_delay_alu instid0(VALU_DEP_1)
	v_cmpx_eq_u32_e32 1, v15
	s_cbranch_execz .LBB418_139
; %bb.138:
	v_sub_nc_u32_e32 v15, v35, v20
	s_delay_alu instid0(VALU_DEP_1)
	v_lshlrev_b32_e32 v15, 2, v15
	ds_store_b32 v15, v16
.LBB418_139:
	s_or_b32 exec_lo, exec_lo, s1
	v_and_b32_e32 v15, 1, v41
	s_mov_b32 s1, exec_lo
	s_delay_alu instid0(VALU_DEP_1)
	v_cmpx_eq_u32_e32 1, v15
	;; [unrolled: 12-line block ×7, first 2 shown]
	s_cbranch_execz .LBB418_151
; %bb.150:
	v_sub_nc_u32_e32 v9, v23, v20
	s_delay_alu instid0(VALU_DEP_1)
	v_lshlrev_b32_e32 v9, 2, v9
	ds_store_b32 v9, v10
.LBB418_151:
	s_or_b32 exec_lo, exec_lo, s1
	s_delay_alu instid0(SALU_CYCLE_1)
	s_mov_b32 s3, exec_lo
	s_waitcnt lgkmcnt(0)
	s_waitcnt_vscnt null, 0x0
	s_barrier
	buffer_gl0_inv
	v_cmpx_lt_u32_e64 v0, v19
	s_cbranch_execz .LBB418_154
; %bb.152:
	v_dual_mov_b32 v10, 0 :: v_dual_mov_b32 v9, v20
	s_lshl_b64 s[4:5], s[10:11], 2
	v_lshlrev_b32_e32 v11, 2, v0
	s_add_u32 s1, s16, s4
	s_addc_u32 s4, s17, s5
	v_lshlrev_b64 v[12:13], 2, v[9:10]
	v_mov_b32_e32 v9, v0
	s_delay_alu instid0(VALU_DEP_2) | instskip(NEXT) | instid1(VALU_DEP_3)
	v_add_co_u32 v12, vcc_lo, s1, v12
	v_add_co_ci_u32_e32 v13, vcc_lo, s4, v13, vcc_lo
	s_mov_b32 s4, 0
	.p2align	6
.LBB418_153:                            ; =>This Inner Loop Header: Depth=1
	ds_load_b32 v16, v11
	v_lshlrev_b64 v[14:15], 2, v[9:10]
	v_add_nc_u32_e32 v9, 0x180, v9
	v_add_nc_u32_e32 v11, 0x600, v11
	s_delay_alu instid0(VALU_DEP_2) | instskip(NEXT) | instid1(VALU_DEP_4)
	v_cmp_ge_u32_e32 vcc_lo, v9, v19
	v_add_co_u32 v14, s1, v12, v14
	s_delay_alu instid0(VALU_DEP_1)
	v_add_co_ci_u32_e64 v15, s1, v13, v15, s1
	s_or_b32 s4, vcc_lo, s4
	s_waitcnt lgkmcnt(0)
	global_store_b32 v[14:15], v16, off
	s_and_not1_b32 exec_lo, exec_lo, s4
	s_cbranch_execnz .LBB418_153
.LBB418_154:
	s_or_b32 exec_lo, exec_lo, s3
.LBB418_155:
	s_delay_alu instid0(SALU_CYCLE_1)
	s_and_b32 vcc_lo, exec_lo, s0
	s_mov_b32 s0, -1
	s_waitcnt_vscnt null, 0x0
	s_barrier
	buffer_gl0_inv
	s_cbranch_vccz .LBB418_183
; %bb.156:
	v_cmp_lt_u32_e32 vcc_lo, v37, v43
	s_lshl_b64 s[0:1], s[10:11], 2
	s_delay_alu instid0(SALU_CYCLE_1) | instskip(SKIP_2) | instid1(SALU_CYCLE_1)
	s_add_u32 s0, s18, s0
	s_addc_u32 s1, s19, s1
	s_or_b32 s4, s23, vcc_lo
	s_and_saveexec_b32 s3, s4
	s_cbranch_execz .LBB418_159
; %bb.157:
	v_cmp_eq_u32_e32 vcc_lo, 1, v17
	s_and_b32 exec_lo, exec_lo, vcc_lo
	s_cbranch_execz .LBB418_159
; %bb.158:
	v_mov_b32_e32 v38, 0
	s_delay_alu instid0(VALU_DEP_1) | instskip(NEXT) | instid1(VALU_DEP_1)
	v_lshlrev_b64 v[9:10], 2, v[37:38]
	v_add_co_u32 v9, vcc_lo, s0, v9
	s_delay_alu instid0(VALU_DEP_2)
	v_add_co_ci_u32_e32 v10, vcc_lo, s1, v10, vcc_lo
	global_store_b32 v[9:10], v7, off
.LBB418_159:
	s_or_b32 exec_lo, exec_lo, s3
	v_cmp_lt_u32_e32 vcc_lo, v35, v43
	s_or_b32 s4, s23, vcc_lo
	s_delay_alu instid0(SALU_CYCLE_1)
	s_and_saveexec_b32 s3, s4
	s_cbranch_execz .LBB418_162
; %bb.160:
	v_and_b32_e32 v9, 1, v42
	s_delay_alu instid0(VALU_DEP_1)
	v_cmp_eq_u32_e32 vcc_lo, 1, v9
	s_and_b32 exec_lo, exec_lo, vcc_lo
	s_cbranch_execz .LBB418_162
; %bb.161:
	v_mov_b32_e32 v36, 0
	s_delay_alu instid0(VALU_DEP_1) | instskip(NEXT) | instid1(VALU_DEP_1)
	v_lshlrev_b64 v[9:10], 2, v[35:36]
	v_add_co_u32 v9, vcc_lo, s0, v9
	s_delay_alu instid0(VALU_DEP_2)
	v_add_co_ci_u32_e32 v10, vcc_lo, s1, v10, vcc_lo
	global_store_b32 v[9:10], v8, off
.LBB418_162:
	s_or_b32 exec_lo, exec_lo, s3
	v_cmp_lt_u32_e32 vcc_lo, v33, v43
	s_or_b32 s4, s23, vcc_lo
	s_delay_alu instid0(SALU_CYCLE_1)
	s_and_saveexec_b32 s3, s4
	s_cbranch_execz .LBB418_165
; %bb.163:
	v_and_b32_e32 v9, 1, v41
	s_delay_alu instid0(VALU_DEP_1)
	v_cmp_eq_u32_e32 vcc_lo, 1, v9
	s_and_b32 exec_lo, exec_lo, vcc_lo
	s_cbranch_execz .LBB418_165
; %bb.164:
	v_mov_b32_e32 v34, 0
	s_delay_alu instid0(VALU_DEP_1) | instskip(NEXT) | instid1(VALU_DEP_1)
	v_lshlrev_b64 v[9:10], 2, v[33:34]
	v_add_co_u32 v9, vcc_lo, s0, v9
	s_delay_alu instid0(VALU_DEP_2)
	v_add_co_ci_u32_e32 v10, vcc_lo, s1, v10, vcc_lo
	global_store_b32 v[9:10], v5, off
.LBB418_165:
	;; [unrolled: 21-line block ×7, first 2 shown]
	s_or_b32 exec_lo, exec_lo, s3
.LBB418_181:
	s_and_b32 s0, s2, s22
	s_delay_alu instid0(SALU_CYCLE_1)
	s_and_saveexec_b32 s1, s0
	s_cbranch_execz .LBB418_204
.LBB418_182:
	v_add_co_u32 v0, s0, s10, v19
	s_delay_alu instid0(VALU_DEP_1) | instskip(SKIP_1) | instid1(VALU_DEP_3)
	v_add_co_ci_u32_e64 v1, null, s11, 0, s0
	v_mov_b32_e32 v2, 0
	v_add_co_u32 v0, vcc_lo, v0, v20
	s_delay_alu instid0(VALU_DEP_3)
	v_add_co_ci_u32_e32 v1, vcc_lo, 0, v1, vcc_lo
	global_store_b64 v2, v[0:1], s[12:13]
	s_nop 0
	s_sendmsg sendmsg(MSG_DEALLOC_VGPRS)
	s_endpgm
.LBB418_183:
	s_and_b32 vcc_lo, exec_lo, s0
	s_cbranch_vccz .LBB418_181
; %bb.184:
	s_mov_b32 s0, exec_lo
	v_cmpx_eq_u32_e32 1, v17
	s_cbranch_execz .LBB418_186
; %bb.185:
	v_sub_nc_u32_e32 v9, v37, v20
	s_delay_alu instid0(VALU_DEP_1)
	v_lshlrev_b32_e32 v9, 2, v9
	ds_store_b32 v9, v7
.LBB418_186:
	s_or_b32 exec_lo, exec_lo, s0
	v_and_b32_e32 v7, 1, v42
	s_mov_b32 s0, exec_lo
	s_delay_alu instid0(VALU_DEP_1)
	v_cmpx_eq_u32_e32 1, v7
	s_cbranch_execz .LBB418_188
; %bb.187:
	v_sub_nc_u32_e32 v7, v35, v20
	s_delay_alu instid0(VALU_DEP_1)
	v_lshlrev_b32_e32 v7, 2, v7
	ds_store_b32 v7, v8
.LBB418_188:
	s_or_b32 exec_lo, exec_lo, s0
	v_and_b32_e32 v7, 1, v41
	s_mov_b32 s0, exec_lo
	s_delay_alu instid0(VALU_DEP_1)
	;; [unrolled: 12-line block ×7, first 2 shown]
	v_cmpx_eq_u32_e32 1, v1
	s_cbranch_execz .LBB418_200
; %bb.199:
	v_sub_nc_u32_e32 v1, v23, v20
	s_delay_alu instid0(VALU_DEP_1)
	v_lshlrev_b32_e32 v1, 2, v1
	ds_store_b32 v1, v2
.LBB418_200:
	s_or_b32 exec_lo, exec_lo, s0
	s_delay_alu instid0(SALU_CYCLE_1)
	s_mov_b32 s1, exec_lo
	s_waitcnt lgkmcnt(0)
	s_waitcnt_vscnt null, 0x0
	s_barrier
	buffer_gl0_inv
	v_cmpx_lt_u32_e64 v0, v19
	s_cbranch_execz .LBB418_203
; %bb.201:
	v_dual_mov_b32 v1, 0 :: v_dual_mov_b32 v2, v20
	s_lshl_b64 s[4:5], s[10:11], 2
	v_lshlrev_b32_e32 v4, 2, v0
	s_add_u32 s0, s18, s4
	s_delay_alu instid0(VALU_DEP_2) | instskip(SKIP_1) | instid1(VALU_DEP_1)
	v_mov_b32_e32 v3, v1
	s_addc_u32 s3, s19, s5
	v_lshlrev_b64 v[2:3], 2, v[2:3]
	s_delay_alu instid0(VALU_DEP_1) | instskip(NEXT) | instid1(VALU_DEP_2)
	v_add_co_u32 v2, vcc_lo, s0, v2
	v_add_co_ci_u32_e32 v3, vcc_lo, s3, v3, vcc_lo
	s_mov_b32 s3, 0
	.p2align	6
.LBB418_202:                            ; =>This Inner Loop Header: Depth=1
	ds_load_b32 v7, v4
	v_lshlrev_b64 v[5:6], 2, v[0:1]
	v_add_nc_u32_e32 v0, 0x180, v0
	v_add_nc_u32_e32 v4, 0x600, v4
	s_delay_alu instid0(VALU_DEP_2) | instskip(NEXT) | instid1(VALU_DEP_4)
	v_cmp_ge_u32_e32 vcc_lo, v0, v19
	v_add_co_u32 v5, s0, v2, v5
	s_delay_alu instid0(VALU_DEP_1)
	v_add_co_ci_u32_e64 v6, s0, v3, v6, s0
	s_or_b32 s3, vcc_lo, s3
	s_waitcnt lgkmcnt(0)
	global_store_b32 v[5:6], v7, off
	s_and_not1_b32 exec_lo, exec_lo, s3
	s_cbranch_execnz .LBB418_202
.LBB418_203:
	s_or_b32 exec_lo, exec_lo, s1
	s_and_b32 s0, s2, s22
	s_delay_alu instid0(SALU_CYCLE_1)
	s_and_saveexec_b32 s1, s0
	s_cbranch_execnz .LBB418_182
.LBB418_204:
	s_nop 0
	s_sendmsg sendmsg(MSG_DEALLOC_VGPRS)
	s_endpgm
	.section	.rodata,"a",@progbits
	.p2align	6, 0x0
	.amdhsa_kernel _ZN7rocprim17ROCPRIM_400000_NS6detail17trampoline_kernelINS0_14default_configENS1_25partition_config_selectorILNS1_17partition_subalgoE9EiibEEZZNS1_14partition_implILS5_9ELb0ES3_jN6thrust23THRUST_200600_302600_NS6detail15normal_iteratorINS9_10device_ptrIiEEEESE_PNS0_10empty_typeENS0_5tupleIJSE_SF_EEENSH_IJSE_SG_EEENS0_18inequality_wrapperINS9_8equal_toIiEEEEPmJSF_EEE10hipError_tPvRmT3_T4_T5_T6_T7_T9_mT8_P12ihipStream_tbDpT10_ENKUlT_T0_E_clISt17integral_constantIbLb1EES18_EEDaS13_S14_EUlS13_E_NS1_11comp_targetILNS1_3genE9ELNS1_11target_archE1100ELNS1_3gpuE3ELNS1_3repE0EEENS1_30default_config_static_selectorELNS0_4arch9wavefront6targetE0EEEvT1_
		.amdhsa_group_segment_fixed_size 12680
		.amdhsa_private_segment_fixed_size 0
		.amdhsa_kernarg_size 128
		.amdhsa_user_sgpr_count 15
		.amdhsa_user_sgpr_dispatch_ptr 0
		.amdhsa_user_sgpr_queue_ptr 0
		.amdhsa_user_sgpr_kernarg_segment_ptr 1
		.amdhsa_user_sgpr_dispatch_id 0
		.amdhsa_user_sgpr_private_segment_size 0
		.amdhsa_wavefront_size32 1
		.amdhsa_uses_dynamic_stack 0
		.amdhsa_enable_private_segment 0
		.amdhsa_system_sgpr_workgroup_id_x 1
		.amdhsa_system_sgpr_workgroup_id_y 0
		.amdhsa_system_sgpr_workgroup_id_z 0
		.amdhsa_system_sgpr_workgroup_info 0
		.amdhsa_system_vgpr_workitem_id 0
		.amdhsa_next_free_vgpr 51
		.amdhsa_next_free_sgpr 29
		.amdhsa_reserve_vcc 1
		.amdhsa_float_round_mode_32 0
		.amdhsa_float_round_mode_16_64 0
		.amdhsa_float_denorm_mode_32 3
		.amdhsa_float_denorm_mode_16_64 3
		.amdhsa_dx10_clamp 1
		.amdhsa_ieee_mode 1
		.amdhsa_fp16_overflow 0
		.amdhsa_workgroup_processor_mode 1
		.amdhsa_memory_ordered 1
		.amdhsa_forward_progress 0
		.amdhsa_shared_vgpr_count 0
		.amdhsa_exception_fp_ieee_invalid_op 0
		.amdhsa_exception_fp_denorm_src 0
		.amdhsa_exception_fp_ieee_div_zero 0
		.amdhsa_exception_fp_ieee_overflow 0
		.amdhsa_exception_fp_ieee_underflow 0
		.amdhsa_exception_fp_ieee_inexact 0
		.amdhsa_exception_int_div_zero 0
	.end_amdhsa_kernel
	.section	.text._ZN7rocprim17ROCPRIM_400000_NS6detail17trampoline_kernelINS0_14default_configENS1_25partition_config_selectorILNS1_17partition_subalgoE9EiibEEZZNS1_14partition_implILS5_9ELb0ES3_jN6thrust23THRUST_200600_302600_NS6detail15normal_iteratorINS9_10device_ptrIiEEEESE_PNS0_10empty_typeENS0_5tupleIJSE_SF_EEENSH_IJSE_SG_EEENS0_18inequality_wrapperINS9_8equal_toIiEEEEPmJSF_EEE10hipError_tPvRmT3_T4_T5_T6_T7_T9_mT8_P12ihipStream_tbDpT10_ENKUlT_T0_E_clISt17integral_constantIbLb1EES18_EEDaS13_S14_EUlS13_E_NS1_11comp_targetILNS1_3genE9ELNS1_11target_archE1100ELNS1_3gpuE3ELNS1_3repE0EEENS1_30default_config_static_selectorELNS0_4arch9wavefront6targetE0EEEvT1_,"axG",@progbits,_ZN7rocprim17ROCPRIM_400000_NS6detail17trampoline_kernelINS0_14default_configENS1_25partition_config_selectorILNS1_17partition_subalgoE9EiibEEZZNS1_14partition_implILS5_9ELb0ES3_jN6thrust23THRUST_200600_302600_NS6detail15normal_iteratorINS9_10device_ptrIiEEEESE_PNS0_10empty_typeENS0_5tupleIJSE_SF_EEENSH_IJSE_SG_EEENS0_18inequality_wrapperINS9_8equal_toIiEEEEPmJSF_EEE10hipError_tPvRmT3_T4_T5_T6_T7_T9_mT8_P12ihipStream_tbDpT10_ENKUlT_T0_E_clISt17integral_constantIbLb1EES18_EEDaS13_S14_EUlS13_E_NS1_11comp_targetILNS1_3genE9ELNS1_11target_archE1100ELNS1_3gpuE3ELNS1_3repE0EEENS1_30default_config_static_selectorELNS0_4arch9wavefront6targetE0EEEvT1_,comdat
.Lfunc_end418:
	.size	_ZN7rocprim17ROCPRIM_400000_NS6detail17trampoline_kernelINS0_14default_configENS1_25partition_config_selectorILNS1_17partition_subalgoE9EiibEEZZNS1_14partition_implILS5_9ELb0ES3_jN6thrust23THRUST_200600_302600_NS6detail15normal_iteratorINS9_10device_ptrIiEEEESE_PNS0_10empty_typeENS0_5tupleIJSE_SF_EEENSH_IJSE_SG_EEENS0_18inequality_wrapperINS9_8equal_toIiEEEEPmJSF_EEE10hipError_tPvRmT3_T4_T5_T6_T7_T9_mT8_P12ihipStream_tbDpT10_ENKUlT_T0_E_clISt17integral_constantIbLb1EES18_EEDaS13_S14_EUlS13_E_NS1_11comp_targetILNS1_3genE9ELNS1_11target_archE1100ELNS1_3gpuE3ELNS1_3repE0EEENS1_30default_config_static_selectorELNS0_4arch9wavefront6targetE0EEEvT1_, .Lfunc_end418-_ZN7rocprim17ROCPRIM_400000_NS6detail17trampoline_kernelINS0_14default_configENS1_25partition_config_selectorILNS1_17partition_subalgoE9EiibEEZZNS1_14partition_implILS5_9ELb0ES3_jN6thrust23THRUST_200600_302600_NS6detail15normal_iteratorINS9_10device_ptrIiEEEESE_PNS0_10empty_typeENS0_5tupleIJSE_SF_EEENSH_IJSE_SG_EEENS0_18inequality_wrapperINS9_8equal_toIiEEEEPmJSF_EEE10hipError_tPvRmT3_T4_T5_T6_T7_T9_mT8_P12ihipStream_tbDpT10_ENKUlT_T0_E_clISt17integral_constantIbLb1EES18_EEDaS13_S14_EUlS13_E_NS1_11comp_targetILNS1_3genE9ELNS1_11target_archE1100ELNS1_3gpuE3ELNS1_3repE0EEENS1_30default_config_static_selectorELNS0_4arch9wavefront6targetE0EEEvT1_
                                        ; -- End function
	.section	.AMDGPU.csdata,"",@progbits
; Kernel info:
; codeLenInByte = 9460
; NumSgprs: 31
; NumVgprs: 51
; ScratchSize: 0
; MemoryBound: 0
; FloatMode: 240
; IeeeMode: 1
; LDSByteSize: 12680 bytes/workgroup (compile time only)
; SGPRBlocks: 3
; VGPRBlocks: 6
; NumSGPRsForWavesPerEU: 31
; NumVGPRsForWavesPerEU: 51
; Occupancy: 15
; WaveLimiterHint : 1
; COMPUTE_PGM_RSRC2:SCRATCH_EN: 0
; COMPUTE_PGM_RSRC2:USER_SGPR: 15
; COMPUTE_PGM_RSRC2:TRAP_HANDLER: 0
; COMPUTE_PGM_RSRC2:TGID_X_EN: 1
; COMPUTE_PGM_RSRC2:TGID_Y_EN: 0
; COMPUTE_PGM_RSRC2:TGID_Z_EN: 0
; COMPUTE_PGM_RSRC2:TIDIG_COMP_CNT: 0
	.section	.text._ZN7rocprim17ROCPRIM_400000_NS6detail17trampoline_kernelINS0_14default_configENS1_25partition_config_selectorILNS1_17partition_subalgoE9EiibEEZZNS1_14partition_implILS5_9ELb0ES3_jN6thrust23THRUST_200600_302600_NS6detail15normal_iteratorINS9_10device_ptrIiEEEESE_PNS0_10empty_typeENS0_5tupleIJSE_SF_EEENSH_IJSE_SG_EEENS0_18inequality_wrapperINS9_8equal_toIiEEEEPmJSF_EEE10hipError_tPvRmT3_T4_T5_T6_T7_T9_mT8_P12ihipStream_tbDpT10_ENKUlT_T0_E_clISt17integral_constantIbLb1EES18_EEDaS13_S14_EUlS13_E_NS1_11comp_targetILNS1_3genE8ELNS1_11target_archE1030ELNS1_3gpuE2ELNS1_3repE0EEENS1_30default_config_static_selectorELNS0_4arch9wavefront6targetE0EEEvT1_,"axG",@progbits,_ZN7rocprim17ROCPRIM_400000_NS6detail17trampoline_kernelINS0_14default_configENS1_25partition_config_selectorILNS1_17partition_subalgoE9EiibEEZZNS1_14partition_implILS5_9ELb0ES3_jN6thrust23THRUST_200600_302600_NS6detail15normal_iteratorINS9_10device_ptrIiEEEESE_PNS0_10empty_typeENS0_5tupleIJSE_SF_EEENSH_IJSE_SG_EEENS0_18inequality_wrapperINS9_8equal_toIiEEEEPmJSF_EEE10hipError_tPvRmT3_T4_T5_T6_T7_T9_mT8_P12ihipStream_tbDpT10_ENKUlT_T0_E_clISt17integral_constantIbLb1EES18_EEDaS13_S14_EUlS13_E_NS1_11comp_targetILNS1_3genE8ELNS1_11target_archE1030ELNS1_3gpuE2ELNS1_3repE0EEENS1_30default_config_static_selectorELNS0_4arch9wavefront6targetE0EEEvT1_,comdat
	.protected	_ZN7rocprim17ROCPRIM_400000_NS6detail17trampoline_kernelINS0_14default_configENS1_25partition_config_selectorILNS1_17partition_subalgoE9EiibEEZZNS1_14partition_implILS5_9ELb0ES3_jN6thrust23THRUST_200600_302600_NS6detail15normal_iteratorINS9_10device_ptrIiEEEESE_PNS0_10empty_typeENS0_5tupleIJSE_SF_EEENSH_IJSE_SG_EEENS0_18inequality_wrapperINS9_8equal_toIiEEEEPmJSF_EEE10hipError_tPvRmT3_T4_T5_T6_T7_T9_mT8_P12ihipStream_tbDpT10_ENKUlT_T0_E_clISt17integral_constantIbLb1EES18_EEDaS13_S14_EUlS13_E_NS1_11comp_targetILNS1_3genE8ELNS1_11target_archE1030ELNS1_3gpuE2ELNS1_3repE0EEENS1_30default_config_static_selectorELNS0_4arch9wavefront6targetE0EEEvT1_ ; -- Begin function _ZN7rocprim17ROCPRIM_400000_NS6detail17trampoline_kernelINS0_14default_configENS1_25partition_config_selectorILNS1_17partition_subalgoE9EiibEEZZNS1_14partition_implILS5_9ELb0ES3_jN6thrust23THRUST_200600_302600_NS6detail15normal_iteratorINS9_10device_ptrIiEEEESE_PNS0_10empty_typeENS0_5tupleIJSE_SF_EEENSH_IJSE_SG_EEENS0_18inequality_wrapperINS9_8equal_toIiEEEEPmJSF_EEE10hipError_tPvRmT3_T4_T5_T6_T7_T9_mT8_P12ihipStream_tbDpT10_ENKUlT_T0_E_clISt17integral_constantIbLb1EES18_EEDaS13_S14_EUlS13_E_NS1_11comp_targetILNS1_3genE8ELNS1_11target_archE1030ELNS1_3gpuE2ELNS1_3repE0EEENS1_30default_config_static_selectorELNS0_4arch9wavefront6targetE0EEEvT1_
	.globl	_ZN7rocprim17ROCPRIM_400000_NS6detail17trampoline_kernelINS0_14default_configENS1_25partition_config_selectorILNS1_17partition_subalgoE9EiibEEZZNS1_14partition_implILS5_9ELb0ES3_jN6thrust23THRUST_200600_302600_NS6detail15normal_iteratorINS9_10device_ptrIiEEEESE_PNS0_10empty_typeENS0_5tupleIJSE_SF_EEENSH_IJSE_SG_EEENS0_18inequality_wrapperINS9_8equal_toIiEEEEPmJSF_EEE10hipError_tPvRmT3_T4_T5_T6_T7_T9_mT8_P12ihipStream_tbDpT10_ENKUlT_T0_E_clISt17integral_constantIbLb1EES18_EEDaS13_S14_EUlS13_E_NS1_11comp_targetILNS1_3genE8ELNS1_11target_archE1030ELNS1_3gpuE2ELNS1_3repE0EEENS1_30default_config_static_selectorELNS0_4arch9wavefront6targetE0EEEvT1_
	.p2align	8
	.type	_ZN7rocprim17ROCPRIM_400000_NS6detail17trampoline_kernelINS0_14default_configENS1_25partition_config_selectorILNS1_17partition_subalgoE9EiibEEZZNS1_14partition_implILS5_9ELb0ES3_jN6thrust23THRUST_200600_302600_NS6detail15normal_iteratorINS9_10device_ptrIiEEEESE_PNS0_10empty_typeENS0_5tupleIJSE_SF_EEENSH_IJSE_SG_EEENS0_18inequality_wrapperINS9_8equal_toIiEEEEPmJSF_EEE10hipError_tPvRmT3_T4_T5_T6_T7_T9_mT8_P12ihipStream_tbDpT10_ENKUlT_T0_E_clISt17integral_constantIbLb1EES18_EEDaS13_S14_EUlS13_E_NS1_11comp_targetILNS1_3genE8ELNS1_11target_archE1030ELNS1_3gpuE2ELNS1_3repE0EEENS1_30default_config_static_selectorELNS0_4arch9wavefront6targetE0EEEvT1_,@function
_ZN7rocprim17ROCPRIM_400000_NS6detail17trampoline_kernelINS0_14default_configENS1_25partition_config_selectorILNS1_17partition_subalgoE9EiibEEZZNS1_14partition_implILS5_9ELb0ES3_jN6thrust23THRUST_200600_302600_NS6detail15normal_iteratorINS9_10device_ptrIiEEEESE_PNS0_10empty_typeENS0_5tupleIJSE_SF_EEENSH_IJSE_SG_EEENS0_18inequality_wrapperINS9_8equal_toIiEEEEPmJSF_EEE10hipError_tPvRmT3_T4_T5_T6_T7_T9_mT8_P12ihipStream_tbDpT10_ENKUlT_T0_E_clISt17integral_constantIbLb1EES18_EEDaS13_S14_EUlS13_E_NS1_11comp_targetILNS1_3genE8ELNS1_11target_archE1030ELNS1_3gpuE2ELNS1_3repE0EEENS1_30default_config_static_selectorELNS0_4arch9wavefront6targetE0EEEvT1_: ; @_ZN7rocprim17ROCPRIM_400000_NS6detail17trampoline_kernelINS0_14default_configENS1_25partition_config_selectorILNS1_17partition_subalgoE9EiibEEZZNS1_14partition_implILS5_9ELb0ES3_jN6thrust23THRUST_200600_302600_NS6detail15normal_iteratorINS9_10device_ptrIiEEEESE_PNS0_10empty_typeENS0_5tupleIJSE_SF_EEENSH_IJSE_SG_EEENS0_18inequality_wrapperINS9_8equal_toIiEEEEPmJSF_EEE10hipError_tPvRmT3_T4_T5_T6_T7_T9_mT8_P12ihipStream_tbDpT10_ENKUlT_T0_E_clISt17integral_constantIbLb1EES18_EEDaS13_S14_EUlS13_E_NS1_11comp_targetILNS1_3genE8ELNS1_11target_archE1030ELNS1_3gpuE2ELNS1_3repE0EEENS1_30default_config_static_selectorELNS0_4arch9wavefront6targetE0EEEvT1_
; %bb.0:
	.section	.rodata,"a",@progbits
	.p2align	6, 0x0
	.amdhsa_kernel _ZN7rocprim17ROCPRIM_400000_NS6detail17trampoline_kernelINS0_14default_configENS1_25partition_config_selectorILNS1_17partition_subalgoE9EiibEEZZNS1_14partition_implILS5_9ELb0ES3_jN6thrust23THRUST_200600_302600_NS6detail15normal_iteratorINS9_10device_ptrIiEEEESE_PNS0_10empty_typeENS0_5tupleIJSE_SF_EEENSH_IJSE_SG_EEENS0_18inequality_wrapperINS9_8equal_toIiEEEEPmJSF_EEE10hipError_tPvRmT3_T4_T5_T6_T7_T9_mT8_P12ihipStream_tbDpT10_ENKUlT_T0_E_clISt17integral_constantIbLb1EES18_EEDaS13_S14_EUlS13_E_NS1_11comp_targetILNS1_3genE8ELNS1_11target_archE1030ELNS1_3gpuE2ELNS1_3repE0EEENS1_30default_config_static_selectorELNS0_4arch9wavefront6targetE0EEEvT1_
		.amdhsa_group_segment_fixed_size 0
		.amdhsa_private_segment_fixed_size 0
		.amdhsa_kernarg_size 128
		.amdhsa_user_sgpr_count 15
		.amdhsa_user_sgpr_dispatch_ptr 0
		.amdhsa_user_sgpr_queue_ptr 0
		.amdhsa_user_sgpr_kernarg_segment_ptr 1
		.amdhsa_user_sgpr_dispatch_id 0
		.amdhsa_user_sgpr_private_segment_size 0
		.amdhsa_wavefront_size32 1
		.amdhsa_uses_dynamic_stack 0
		.amdhsa_enable_private_segment 0
		.amdhsa_system_sgpr_workgroup_id_x 1
		.amdhsa_system_sgpr_workgroup_id_y 0
		.amdhsa_system_sgpr_workgroup_id_z 0
		.amdhsa_system_sgpr_workgroup_info 0
		.amdhsa_system_vgpr_workitem_id 0
		.amdhsa_next_free_vgpr 1
		.amdhsa_next_free_sgpr 1
		.amdhsa_reserve_vcc 0
		.amdhsa_float_round_mode_32 0
		.amdhsa_float_round_mode_16_64 0
		.amdhsa_float_denorm_mode_32 3
		.amdhsa_float_denorm_mode_16_64 3
		.amdhsa_dx10_clamp 1
		.amdhsa_ieee_mode 1
		.amdhsa_fp16_overflow 0
		.amdhsa_workgroup_processor_mode 1
		.amdhsa_memory_ordered 1
		.amdhsa_forward_progress 0
		.amdhsa_shared_vgpr_count 0
		.amdhsa_exception_fp_ieee_invalid_op 0
		.amdhsa_exception_fp_denorm_src 0
		.amdhsa_exception_fp_ieee_div_zero 0
		.amdhsa_exception_fp_ieee_overflow 0
		.amdhsa_exception_fp_ieee_underflow 0
		.amdhsa_exception_fp_ieee_inexact 0
		.amdhsa_exception_int_div_zero 0
	.end_amdhsa_kernel
	.section	.text._ZN7rocprim17ROCPRIM_400000_NS6detail17trampoline_kernelINS0_14default_configENS1_25partition_config_selectorILNS1_17partition_subalgoE9EiibEEZZNS1_14partition_implILS5_9ELb0ES3_jN6thrust23THRUST_200600_302600_NS6detail15normal_iteratorINS9_10device_ptrIiEEEESE_PNS0_10empty_typeENS0_5tupleIJSE_SF_EEENSH_IJSE_SG_EEENS0_18inequality_wrapperINS9_8equal_toIiEEEEPmJSF_EEE10hipError_tPvRmT3_T4_T5_T6_T7_T9_mT8_P12ihipStream_tbDpT10_ENKUlT_T0_E_clISt17integral_constantIbLb1EES18_EEDaS13_S14_EUlS13_E_NS1_11comp_targetILNS1_3genE8ELNS1_11target_archE1030ELNS1_3gpuE2ELNS1_3repE0EEENS1_30default_config_static_selectorELNS0_4arch9wavefront6targetE0EEEvT1_,"axG",@progbits,_ZN7rocprim17ROCPRIM_400000_NS6detail17trampoline_kernelINS0_14default_configENS1_25partition_config_selectorILNS1_17partition_subalgoE9EiibEEZZNS1_14partition_implILS5_9ELb0ES3_jN6thrust23THRUST_200600_302600_NS6detail15normal_iteratorINS9_10device_ptrIiEEEESE_PNS0_10empty_typeENS0_5tupleIJSE_SF_EEENSH_IJSE_SG_EEENS0_18inequality_wrapperINS9_8equal_toIiEEEEPmJSF_EEE10hipError_tPvRmT3_T4_T5_T6_T7_T9_mT8_P12ihipStream_tbDpT10_ENKUlT_T0_E_clISt17integral_constantIbLb1EES18_EEDaS13_S14_EUlS13_E_NS1_11comp_targetILNS1_3genE8ELNS1_11target_archE1030ELNS1_3gpuE2ELNS1_3repE0EEENS1_30default_config_static_selectorELNS0_4arch9wavefront6targetE0EEEvT1_,comdat
.Lfunc_end419:
	.size	_ZN7rocprim17ROCPRIM_400000_NS6detail17trampoline_kernelINS0_14default_configENS1_25partition_config_selectorILNS1_17partition_subalgoE9EiibEEZZNS1_14partition_implILS5_9ELb0ES3_jN6thrust23THRUST_200600_302600_NS6detail15normal_iteratorINS9_10device_ptrIiEEEESE_PNS0_10empty_typeENS0_5tupleIJSE_SF_EEENSH_IJSE_SG_EEENS0_18inequality_wrapperINS9_8equal_toIiEEEEPmJSF_EEE10hipError_tPvRmT3_T4_T5_T6_T7_T9_mT8_P12ihipStream_tbDpT10_ENKUlT_T0_E_clISt17integral_constantIbLb1EES18_EEDaS13_S14_EUlS13_E_NS1_11comp_targetILNS1_3genE8ELNS1_11target_archE1030ELNS1_3gpuE2ELNS1_3repE0EEENS1_30default_config_static_selectorELNS0_4arch9wavefront6targetE0EEEvT1_, .Lfunc_end419-_ZN7rocprim17ROCPRIM_400000_NS6detail17trampoline_kernelINS0_14default_configENS1_25partition_config_selectorILNS1_17partition_subalgoE9EiibEEZZNS1_14partition_implILS5_9ELb0ES3_jN6thrust23THRUST_200600_302600_NS6detail15normal_iteratorINS9_10device_ptrIiEEEESE_PNS0_10empty_typeENS0_5tupleIJSE_SF_EEENSH_IJSE_SG_EEENS0_18inequality_wrapperINS9_8equal_toIiEEEEPmJSF_EEE10hipError_tPvRmT3_T4_T5_T6_T7_T9_mT8_P12ihipStream_tbDpT10_ENKUlT_T0_E_clISt17integral_constantIbLb1EES18_EEDaS13_S14_EUlS13_E_NS1_11comp_targetILNS1_3genE8ELNS1_11target_archE1030ELNS1_3gpuE2ELNS1_3repE0EEENS1_30default_config_static_selectorELNS0_4arch9wavefront6targetE0EEEvT1_
                                        ; -- End function
	.section	.AMDGPU.csdata,"",@progbits
; Kernel info:
; codeLenInByte = 0
; NumSgprs: 0
; NumVgprs: 0
; ScratchSize: 0
; MemoryBound: 0
; FloatMode: 240
; IeeeMode: 1
; LDSByteSize: 0 bytes/workgroup (compile time only)
; SGPRBlocks: 0
; VGPRBlocks: 0
; NumSGPRsForWavesPerEU: 1
; NumVGPRsForWavesPerEU: 1
; Occupancy: 16
; WaveLimiterHint : 0
; COMPUTE_PGM_RSRC2:SCRATCH_EN: 0
; COMPUTE_PGM_RSRC2:USER_SGPR: 15
; COMPUTE_PGM_RSRC2:TRAP_HANDLER: 0
; COMPUTE_PGM_RSRC2:TGID_X_EN: 1
; COMPUTE_PGM_RSRC2:TGID_Y_EN: 0
; COMPUTE_PGM_RSRC2:TGID_Z_EN: 0
; COMPUTE_PGM_RSRC2:TIDIG_COMP_CNT: 0
	.section	.text._ZN7rocprim17ROCPRIM_400000_NS6detail17trampoline_kernelINS0_14default_configENS1_25partition_config_selectorILNS1_17partition_subalgoE9EiibEEZZNS1_14partition_implILS5_9ELb0ES3_jN6thrust23THRUST_200600_302600_NS6detail15normal_iteratorINS9_10device_ptrIiEEEESE_PNS0_10empty_typeENS0_5tupleIJSE_SF_EEENSH_IJSE_SG_EEENS0_18inequality_wrapperINS9_8equal_toIiEEEEPmJSF_EEE10hipError_tPvRmT3_T4_T5_T6_T7_T9_mT8_P12ihipStream_tbDpT10_ENKUlT_T0_E_clISt17integral_constantIbLb1EES17_IbLb0EEEEDaS13_S14_EUlS13_E_NS1_11comp_targetILNS1_3genE0ELNS1_11target_archE4294967295ELNS1_3gpuE0ELNS1_3repE0EEENS1_30default_config_static_selectorELNS0_4arch9wavefront6targetE0EEEvT1_,"axG",@progbits,_ZN7rocprim17ROCPRIM_400000_NS6detail17trampoline_kernelINS0_14default_configENS1_25partition_config_selectorILNS1_17partition_subalgoE9EiibEEZZNS1_14partition_implILS5_9ELb0ES3_jN6thrust23THRUST_200600_302600_NS6detail15normal_iteratorINS9_10device_ptrIiEEEESE_PNS0_10empty_typeENS0_5tupleIJSE_SF_EEENSH_IJSE_SG_EEENS0_18inequality_wrapperINS9_8equal_toIiEEEEPmJSF_EEE10hipError_tPvRmT3_T4_T5_T6_T7_T9_mT8_P12ihipStream_tbDpT10_ENKUlT_T0_E_clISt17integral_constantIbLb1EES17_IbLb0EEEEDaS13_S14_EUlS13_E_NS1_11comp_targetILNS1_3genE0ELNS1_11target_archE4294967295ELNS1_3gpuE0ELNS1_3repE0EEENS1_30default_config_static_selectorELNS0_4arch9wavefront6targetE0EEEvT1_,comdat
	.protected	_ZN7rocprim17ROCPRIM_400000_NS6detail17trampoline_kernelINS0_14default_configENS1_25partition_config_selectorILNS1_17partition_subalgoE9EiibEEZZNS1_14partition_implILS5_9ELb0ES3_jN6thrust23THRUST_200600_302600_NS6detail15normal_iteratorINS9_10device_ptrIiEEEESE_PNS0_10empty_typeENS0_5tupleIJSE_SF_EEENSH_IJSE_SG_EEENS0_18inequality_wrapperINS9_8equal_toIiEEEEPmJSF_EEE10hipError_tPvRmT3_T4_T5_T6_T7_T9_mT8_P12ihipStream_tbDpT10_ENKUlT_T0_E_clISt17integral_constantIbLb1EES17_IbLb0EEEEDaS13_S14_EUlS13_E_NS1_11comp_targetILNS1_3genE0ELNS1_11target_archE4294967295ELNS1_3gpuE0ELNS1_3repE0EEENS1_30default_config_static_selectorELNS0_4arch9wavefront6targetE0EEEvT1_ ; -- Begin function _ZN7rocprim17ROCPRIM_400000_NS6detail17trampoline_kernelINS0_14default_configENS1_25partition_config_selectorILNS1_17partition_subalgoE9EiibEEZZNS1_14partition_implILS5_9ELb0ES3_jN6thrust23THRUST_200600_302600_NS6detail15normal_iteratorINS9_10device_ptrIiEEEESE_PNS0_10empty_typeENS0_5tupleIJSE_SF_EEENSH_IJSE_SG_EEENS0_18inequality_wrapperINS9_8equal_toIiEEEEPmJSF_EEE10hipError_tPvRmT3_T4_T5_T6_T7_T9_mT8_P12ihipStream_tbDpT10_ENKUlT_T0_E_clISt17integral_constantIbLb1EES17_IbLb0EEEEDaS13_S14_EUlS13_E_NS1_11comp_targetILNS1_3genE0ELNS1_11target_archE4294967295ELNS1_3gpuE0ELNS1_3repE0EEENS1_30default_config_static_selectorELNS0_4arch9wavefront6targetE0EEEvT1_
	.globl	_ZN7rocprim17ROCPRIM_400000_NS6detail17trampoline_kernelINS0_14default_configENS1_25partition_config_selectorILNS1_17partition_subalgoE9EiibEEZZNS1_14partition_implILS5_9ELb0ES3_jN6thrust23THRUST_200600_302600_NS6detail15normal_iteratorINS9_10device_ptrIiEEEESE_PNS0_10empty_typeENS0_5tupleIJSE_SF_EEENSH_IJSE_SG_EEENS0_18inequality_wrapperINS9_8equal_toIiEEEEPmJSF_EEE10hipError_tPvRmT3_T4_T5_T6_T7_T9_mT8_P12ihipStream_tbDpT10_ENKUlT_T0_E_clISt17integral_constantIbLb1EES17_IbLb0EEEEDaS13_S14_EUlS13_E_NS1_11comp_targetILNS1_3genE0ELNS1_11target_archE4294967295ELNS1_3gpuE0ELNS1_3repE0EEENS1_30default_config_static_selectorELNS0_4arch9wavefront6targetE0EEEvT1_
	.p2align	8
	.type	_ZN7rocprim17ROCPRIM_400000_NS6detail17trampoline_kernelINS0_14default_configENS1_25partition_config_selectorILNS1_17partition_subalgoE9EiibEEZZNS1_14partition_implILS5_9ELb0ES3_jN6thrust23THRUST_200600_302600_NS6detail15normal_iteratorINS9_10device_ptrIiEEEESE_PNS0_10empty_typeENS0_5tupleIJSE_SF_EEENSH_IJSE_SG_EEENS0_18inequality_wrapperINS9_8equal_toIiEEEEPmJSF_EEE10hipError_tPvRmT3_T4_T5_T6_T7_T9_mT8_P12ihipStream_tbDpT10_ENKUlT_T0_E_clISt17integral_constantIbLb1EES17_IbLb0EEEEDaS13_S14_EUlS13_E_NS1_11comp_targetILNS1_3genE0ELNS1_11target_archE4294967295ELNS1_3gpuE0ELNS1_3repE0EEENS1_30default_config_static_selectorELNS0_4arch9wavefront6targetE0EEEvT1_,@function
_ZN7rocprim17ROCPRIM_400000_NS6detail17trampoline_kernelINS0_14default_configENS1_25partition_config_selectorILNS1_17partition_subalgoE9EiibEEZZNS1_14partition_implILS5_9ELb0ES3_jN6thrust23THRUST_200600_302600_NS6detail15normal_iteratorINS9_10device_ptrIiEEEESE_PNS0_10empty_typeENS0_5tupleIJSE_SF_EEENSH_IJSE_SG_EEENS0_18inequality_wrapperINS9_8equal_toIiEEEEPmJSF_EEE10hipError_tPvRmT3_T4_T5_T6_T7_T9_mT8_P12ihipStream_tbDpT10_ENKUlT_T0_E_clISt17integral_constantIbLb1EES17_IbLb0EEEEDaS13_S14_EUlS13_E_NS1_11comp_targetILNS1_3genE0ELNS1_11target_archE4294967295ELNS1_3gpuE0ELNS1_3repE0EEENS1_30default_config_static_selectorELNS0_4arch9wavefront6targetE0EEEvT1_: ; @_ZN7rocprim17ROCPRIM_400000_NS6detail17trampoline_kernelINS0_14default_configENS1_25partition_config_selectorILNS1_17partition_subalgoE9EiibEEZZNS1_14partition_implILS5_9ELb0ES3_jN6thrust23THRUST_200600_302600_NS6detail15normal_iteratorINS9_10device_ptrIiEEEESE_PNS0_10empty_typeENS0_5tupleIJSE_SF_EEENSH_IJSE_SG_EEENS0_18inequality_wrapperINS9_8equal_toIiEEEEPmJSF_EEE10hipError_tPvRmT3_T4_T5_T6_T7_T9_mT8_P12ihipStream_tbDpT10_ENKUlT_T0_E_clISt17integral_constantIbLb1EES17_IbLb0EEEEDaS13_S14_EUlS13_E_NS1_11comp_targetILNS1_3genE0ELNS1_11target_archE4294967295ELNS1_3gpuE0ELNS1_3repE0EEENS1_30default_config_static_selectorELNS0_4arch9wavefront6targetE0EEEvT1_
; %bb.0:
	.section	.rodata,"a",@progbits
	.p2align	6, 0x0
	.amdhsa_kernel _ZN7rocprim17ROCPRIM_400000_NS6detail17trampoline_kernelINS0_14default_configENS1_25partition_config_selectorILNS1_17partition_subalgoE9EiibEEZZNS1_14partition_implILS5_9ELb0ES3_jN6thrust23THRUST_200600_302600_NS6detail15normal_iteratorINS9_10device_ptrIiEEEESE_PNS0_10empty_typeENS0_5tupleIJSE_SF_EEENSH_IJSE_SG_EEENS0_18inequality_wrapperINS9_8equal_toIiEEEEPmJSF_EEE10hipError_tPvRmT3_T4_T5_T6_T7_T9_mT8_P12ihipStream_tbDpT10_ENKUlT_T0_E_clISt17integral_constantIbLb1EES17_IbLb0EEEEDaS13_S14_EUlS13_E_NS1_11comp_targetILNS1_3genE0ELNS1_11target_archE4294967295ELNS1_3gpuE0ELNS1_3repE0EEENS1_30default_config_static_selectorELNS0_4arch9wavefront6targetE0EEEvT1_
		.amdhsa_group_segment_fixed_size 0
		.amdhsa_private_segment_fixed_size 0
		.amdhsa_kernarg_size 112
		.amdhsa_user_sgpr_count 15
		.amdhsa_user_sgpr_dispatch_ptr 0
		.amdhsa_user_sgpr_queue_ptr 0
		.amdhsa_user_sgpr_kernarg_segment_ptr 1
		.amdhsa_user_sgpr_dispatch_id 0
		.amdhsa_user_sgpr_private_segment_size 0
		.amdhsa_wavefront_size32 1
		.amdhsa_uses_dynamic_stack 0
		.amdhsa_enable_private_segment 0
		.amdhsa_system_sgpr_workgroup_id_x 1
		.amdhsa_system_sgpr_workgroup_id_y 0
		.amdhsa_system_sgpr_workgroup_id_z 0
		.amdhsa_system_sgpr_workgroup_info 0
		.amdhsa_system_vgpr_workitem_id 0
		.amdhsa_next_free_vgpr 1
		.amdhsa_next_free_sgpr 1
		.amdhsa_reserve_vcc 0
		.amdhsa_float_round_mode_32 0
		.amdhsa_float_round_mode_16_64 0
		.amdhsa_float_denorm_mode_32 3
		.amdhsa_float_denorm_mode_16_64 3
		.amdhsa_dx10_clamp 1
		.amdhsa_ieee_mode 1
		.amdhsa_fp16_overflow 0
		.amdhsa_workgroup_processor_mode 1
		.amdhsa_memory_ordered 1
		.amdhsa_forward_progress 0
		.amdhsa_shared_vgpr_count 0
		.amdhsa_exception_fp_ieee_invalid_op 0
		.amdhsa_exception_fp_denorm_src 0
		.amdhsa_exception_fp_ieee_div_zero 0
		.amdhsa_exception_fp_ieee_overflow 0
		.amdhsa_exception_fp_ieee_underflow 0
		.amdhsa_exception_fp_ieee_inexact 0
		.amdhsa_exception_int_div_zero 0
	.end_amdhsa_kernel
	.section	.text._ZN7rocprim17ROCPRIM_400000_NS6detail17trampoline_kernelINS0_14default_configENS1_25partition_config_selectorILNS1_17partition_subalgoE9EiibEEZZNS1_14partition_implILS5_9ELb0ES3_jN6thrust23THRUST_200600_302600_NS6detail15normal_iteratorINS9_10device_ptrIiEEEESE_PNS0_10empty_typeENS0_5tupleIJSE_SF_EEENSH_IJSE_SG_EEENS0_18inequality_wrapperINS9_8equal_toIiEEEEPmJSF_EEE10hipError_tPvRmT3_T4_T5_T6_T7_T9_mT8_P12ihipStream_tbDpT10_ENKUlT_T0_E_clISt17integral_constantIbLb1EES17_IbLb0EEEEDaS13_S14_EUlS13_E_NS1_11comp_targetILNS1_3genE0ELNS1_11target_archE4294967295ELNS1_3gpuE0ELNS1_3repE0EEENS1_30default_config_static_selectorELNS0_4arch9wavefront6targetE0EEEvT1_,"axG",@progbits,_ZN7rocprim17ROCPRIM_400000_NS6detail17trampoline_kernelINS0_14default_configENS1_25partition_config_selectorILNS1_17partition_subalgoE9EiibEEZZNS1_14partition_implILS5_9ELb0ES3_jN6thrust23THRUST_200600_302600_NS6detail15normal_iteratorINS9_10device_ptrIiEEEESE_PNS0_10empty_typeENS0_5tupleIJSE_SF_EEENSH_IJSE_SG_EEENS0_18inequality_wrapperINS9_8equal_toIiEEEEPmJSF_EEE10hipError_tPvRmT3_T4_T5_T6_T7_T9_mT8_P12ihipStream_tbDpT10_ENKUlT_T0_E_clISt17integral_constantIbLb1EES17_IbLb0EEEEDaS13_S14_EUlS13_E_NS1_11comp_targetILNS1_3genE0ELNS1_11target_archE4294967295ELNS1_3gpuE0ELNS1_3repE0EEENS1_30default_config_static_selectorELNS0_4arch9wavefront6targetE0EEEvT1_,comdat
.Lfunc_end420:
	.size	_ZN7rocprim17ROCPRIM_400000_NS6detail17trampoline_kernelINS0_14default_configENS1_25partition_config_selectorILNS1_17partition_subalgoE9EiibEEZZNS1_14partition_implILS5_9ELb0ES3_jN6thrust23THRUST_200600_302600_NS6detail15normal_iteratorINS9_10device_ptrIiEEEESE_PNS0_10empty_typeENS0_5tupleIJSE_SF_EEENSH_IJSE_SG_EEENS0_18inequality_wrapperINS9_8equal_toIiEEEEPmJSF_EEE10hipError_tPvRmT3_T4_T5_T6_T7_T9_mT8_P12ihipStream_tbDpT10_ENKUlT_T0_E_clISt17integral_constantIbLb1EES17_IbLb0EEEEDaS13_S14_EUlS13_E_NS1_11comp_targetILNS1_3genE0ELNS1_11target_archE4294967295ELNS1_3gpuE0ELNS1_3repE0EEENS1_30default_config_static_selectorELNS0_4arch9wavefront6targetE0EEEvT1_, .Lfunc_end420-_ZN7rocprim17ROCPRIM_400000_NS6detail17trampoline_kernelINS0_14default_configENS1_25partition_config_selectorILNS1_17partition_subalgoE9EiibEEZZNS1_14partition_implILS5_9ELb0ES3_jN6thrust23THRUST_200600_302600_NS6detail15normal_iteratorINS9_10device_ptrIiEEEESE_PNS0_10empty_typeENS0_5tupleIJSE_SF_EEENSH_IJSE_SG_EEENS0_18inequality_wrapperINS9_8equal_toIiEEEEPmJSF_EEE10hipError_tPvRmT3_T4_T5_T6_T7_T9_mT8_P12ihipStream_tbDpT10_ENKUlT_T0_E_clISt17integral_constantIbLb1EES17_IbLb0EEEEDaS13_S14_EUlS13_E_NS1_11comp_targetILNS1_3genE0ELNS1_11target_archE4294967295ELNS1_3gpuE0ELNS1_3repE0EEENS1_30default_config_static_selectorELNS0_4arch9wavefront6targetE0EEEvT1_
                                        ; -- End function
	.section	.AMDGPU.csdata,"",@progbits
; Kernel info:
; codeLenInByte = 0
; NumSgprs: 0
; NumVgprs: 0
; ScratchSize: 0
; MemoryBound: 0
; FloatMode: 240
; IeeeMode: 1
; LDSByteSize: 0 bytes/workgroup (compile time only)
; SGPRBlocks: 0
; VGPRBlocks: 0
; NumSGPRsForWavesPerEU: 1
; NumVGPRsForWavesPerEU: 1
; Occupancy: 16
; WaveLimiterHint : 0
; COMPUTE_PGM_RSRC2:SCRATCH_EN: 0
; COMPUTE_PGM_RSRC2:USER_SGPR: 15
; COMPUTE_PGM_RSRC2:TRAP_HANDLER: 0
; COMPUTE_PGM_RSRC2:TGID_X_EN: 1
; COMPUTE_PGM_RSRC2:TGID_Y_EN: 0
; COMPUTE_PGM_RSRC2:TGID_Z_EN: 0
; COMPUTE_PGM_RSRC2:TIDIG_COMP_CNT: 0
	.section	.text._ZN7rocprim17ROCPRIM_400000_NS6detail17trampoline_kernelINS0_14default_configENS1_25partition_config_selectorILNS1_17partition_subalgoE9EiibEEZZNS1_14partition_implILS5_9ELb0ES3_jN6thrust23THRUST_200600_302600_NS6detail15normal_iteratorINS9_10device_ptrIiEEEESE_PNS0_10empty_typeENS0_5tupleIJSE_SF_EEENSH_IJSE_SG_EEENS0_18inequality_wrapperINS9_8equal_toIiEEEEPmJSF_EEE10hipError_tPvRmT3_T4_T5_T6_T7_T9_mT8_P12ihipStream_tbDpT10_ENKUlT_T0_E_clISt17integral_constantIbLb1EES17_IbLb0EEEEDaS13_S14_EUlS13_E_NS1_11comp_targetILNS1_3genE5ELNS1_11target_archE942ELNS1_3gpuE9ELNS1_3repE0EEENS1_30default_config_static_selectorELNS0_4arch9wavefront6targetE0EEEvT1_,"axG",@progbits,_ZN7rocprim17ROCPRIM_400000_NS6detail17trampoline_kernelINS0_14default_configENS1_25partition_config_selectorILNS1_17partition_subalgoE9EiibEEZZNS1_14partition_implILS5_9ELb0ES3_jN6thrust23THRUST_200600_302600_NS6detail15normal_iteratorINS9_10device_ptrIiEEEESE_PNS0_10empty_typeENS0_5tupleIJSE_SF_EEENSH_IJSE_SG_EEENS0_18inequality_wrapperINS9_8equal_toIiEEEEPmJSF_EEE10hipError_tPvRmT3_T4_T5_T6_T7_T9_mT8_P12ihipStream_tbDpT10_ENKUlT_T0_E_clISt17integral_constantIbLb1EES17_IbLb0EEEEDaS13_S14_EUlS13_E_NS1_11comp_targetILNS1_3genE5ELNS1_11target_archE942ELNS1_3gpuE9ELNS1_3repE0EEENS1_30default_config_static_selectorELNS0_4arch9wavefront6targetE0EEEvT1_,comdat
	.protected	_ZN7rocprim17ROCPRIM_400000_NS6detail17trampoline_kernelINS0_14default_configENS1_25partition_config_selectorILNS1_17partition_subalgoE9EiibEEZZNS1_14partition_implILS5_9ELb0ES3_jN6thrust23THRUST_200600_302600_NS6detail15normal_iteratorINS9_10device_ptrIiEEEESE_PNS0_10empty_typeENS0_5tupleIJSE_SF_EEENSH_IJSE_SG_EEENS0_18inequality_wrapperINS9_8equal_toIiEEEEPmJSF_EEE10hipError_tPvRmT3_T4_T5_T6_T7_T9_mT8_P12ihipStream_tbDpT10_ENKUlT_T0_E_clISt17integral_constantIbLb1EES17_IbLb0EEEEDaS13_S14_EUlS13_E_NS1_11comp_targetILNS1_3genE5ELNS1_11target_archE942ELNS1_3gpuE9ELNS1_3repE0EEENS1_30default_config_static_selectorELNS0_4arch9wavefront6targetE0EEEvT1_ ; -- Begin function _ZN7rocprim17ROCPRIM_400000_NS6detail17trampoline_kernelINS0_14default_configENS1_25partition_config_selectorILNS1_17partition_subalgoE9EiibEEZZNS1_14partition_implILS5_9ELb0ES3_jN6thrust23THRUST_200600_302600_NS6detail15normal_iteratorINS9_10device_ptrIiEEEESE_PNS0_10empty_typeENS0_5tupleIJSE_SF_EEENSH_IJSE_SG_EEENS0_18inequality_wrapperINS9_8equal_toIiEEEEPmJSF_EEE10hipError_tPvRmT3_T4_T5_T6_T7_T9_mT8_P12ihipStream_tbDpT10_ENKUlT_T0_E_clISt17integral_constantIbLb1EES17_IbLb0EEEEDaS13_S14_EUlS13_E_NS1_11comp_targetILNS1_3genE5ELNS1_11target_archE942ELNS1_3gpuE9ELNS1_3repE0EEENS1_30default_config_static_selectorELNS0_4arch9wavefront6targetE0EEEvT1_
	.globl	_ZN7rocprim17ROCPRIM_400000_NS6detail17trampoline_kernelINS0_14default_configENS1_25partition_config_selectorILNS1_17partition_subalgoE9EiibEEZZNS1_14partition_implILS5_9ELb0ES3_jN6thrust23THRUST_200600_302600_NS6detail15normal_iteratorINS9_10device_ptrIiEEEESE_PNS0_10empty_typeENS0_5tupleIJSE_SF_EEENSH_IJSE_SG_EEENS0_18inequality_wrapperINS9_8equal_toIiEEEEPmJSF_EEE10hipError_tPvRmT3_T4_T5_T6_T7_T9_mT8_P12ihipStream_tbDpT10_ENKUlT_T0_E_clISt17integral_constantIbLb1EES17_IbLb0EEEEDaS13_S14_EUlS13_E_NS1_11comp_targetILNS1_3genE5ELNS1_11target_archE942ELNS1_3gpuE9ELNS1_3repE0EEENS1_30default_config_static_selectorELNS0_4arch9wavefront6targetE0EEEvT1_
	.p2align	8
	.type	_ZN7rocprim17ROCPRIM_400000_NS6detail17trampoline_kernelINS0_14default_configENS1_25partition_config_selectorILNS1_17partition_subalgoE9EiibEEZZNS1_14partition_implILS5_9ELb0ES3_jN6thrust23THRUST_200600_302600_NS6detail15normal_iteratorINS9_10device_ptrIiEEEESE_PNS0_10empty_typeENS0_5tupleIJSE_SF_EEENSH_IJSE_SG_EEENS0_18inequality_wrapperINS9_8equal_toIiEEEEPmJSF_EEE10hipError_tPvRmT3_T4_T5_T6_T7_T9_mT8_P12ihipStream_tbDpT10_ENKUlT_T0_E_clISt17integral_constantIbLb1EES17_IbLb0EEEEDaS13_S14_EUlS13_E_NS1_11comp_targetILNS1_3genE5ELNS1_11target_archE942ELNS1_3gpuE9ELNS1_3repE0EEENS1_30default_config_static_selectorELNS0_4arch9wavefront6targetE0EEEvT1_,@function
_ZN7rocprim17ROCPRIM_400000_NS6detail17trampoline_kernelINS0_14default_configENS1_25partition_config_selectorILNS1_17partition_subalgoE9EiibEEZZNS1_14partition_implILS5_9ELb0ES3_jN6thrust23THRUST_200600_302600_NS6detail15normal_iteratorINS9_10device_ptrIiEEEESE_PNS0_10empty_typeENS0_5tupleIJSE_SF_EEENSH_IJSE_SG_EEENS0_18inequality_wrapperINS9_8equal_toIiEEEEPmJSF_EEE10hipError_tPvRmT3_T4_T5_T6_T7_T9_mT8_P12ihipStream_tbDpT10_ENKUlT_T0_E_clISt17integral_constantIbLb1EES17_IbLb0EEEEDaS13_S14_EUlS13_E_NS1_11comp_targetILNS1_3genE5ELNS1_11target_archE942ELNS1_3gpuE9ELNS1_3repE0EEENS1_30default_config_static_selectorELNS0_4arch9wavefront6targetE0EEEvT1_: ; @_ZN7rocprim17ROCPRIM_400000_NS6detail17trampoline_kernelINS0_14default_configENS1_25partition_config_selectorILNS1_17partition_subalgoE9EiibEEZZNS1_14partition_implILS5_9ELb0ES3_jN6thrust23THRUST_200600_302600_NS6detail15normal_iteratorINS9_10device_ptrIiEEEESE_PNS0_10empty_typeENS0_5tupleIJSE_SF_EEENSH_IJSE_SG_EEENS0_18inequality_wrapperINS9_8equal_toIiEEEEPmJSF_EEE10hipError_tPvRmT3_T4_T5_T6_T7_T9_mT8_P12ihipStream_tbDpT10_ENKUlT_T0_E_clISt17integral_constantIbLb1EES17_IbLb0EEEEDaS13_S14_EUlS13_E_NS1_11comp_targetILNS1_3genE5ELNS1_11target_archE942ELNS1_3gpuE9ELNS1_3repE0EEENS1_30default_config_static_selectorELNS0_4arch9wavefront6targetE0EEEvT1_
; %bb.0:
	.section	.rodata,"a",@progbits
	.p2align	6, 0x0
	.amdhsa_kernel _ZN7rocprim17ROCPRIM_400000_NS6detail17trampoline_kernelINS0_14default_configENS1_25partition_config_selectorILNS1_17partition_subalgoE9EiibEEZZNS1_14partition_implILS5_9ELb0ES3_jN6thrust23THRUST_200600_302600_NS6detail15normal_iteratorINS9_10device_ptrIiEEEESE_PNS0_10empty_typeENS0_5tupleIJSE_SF_EEENSH_IJSE_SG_EEENS0_18inequality_wrapperINS9_8equal_toIiEEEEPmJSF_EEE10hipError_tPvRmT3_T4_T5_T6_T7_T9_mT8_P12ihipStream_tbDpT10_ENKUlT_T0_E_clISt17integral_constantIbLb1EES17_IbLb0EEEEDaS13_S14_EUlS13_E_NS1_11comp_targetILNS1_3genE5ELNS1_11target_archE942ELNS1_3gpuE9ELNS1_3repE0EEENS1_30default_config_static_selectorELNS0_4arch9wavefront6targetE0EEEvT1_
		.amdhsa_group_segment_fixed_size 0
		.amdhsa_private_segment_fixed_size 0
		.amdhsa_kernarg_size 112
		.amdhsa_user_sgpr_count 15
		.amdhsa_user_sgpr_dispatch_ptr 0
		.amdhsa_user_sgpr_queue_ptr 0
		.amdhsa_user_sgpr_kernarg_segment_ptr 1
		.amdhsa_user_sgpr_dispatch_id 0
		.amdhsa_user_sgpr_private_segment_size 0
		.amdhsa_wavefront_size32 1
		.amdhsa_uses_dynamic_stack 0
		.amdhsa_enable_private_segment 0
		.amdhsa_system_sgpr_workgroup_id_x 1
		.amdhsa_system_sgpr_workgroup_id_y 0
		.amdhsa_system_sgpr_workgroup_id_z 0
		.amdhsa_system_sgpr_workgroup_info 0
		.amdhsa_system_vgpr_workitem_id 0
		.amdhsa_next_free_vgpr 1
		.amdhsa_next_free_sgpr 1
		.amdhsa_reserve_vcc 0
		.amdhsa_float_round_mode_32 0
		.amdhsa_float_round_mode_16_64 0
		.amdhsa_float_denorm_mode_32 3
		.amdhsa_float_denorm_mode_16_64 3
		.amdhsa_dx10_clamp 1
		.amdhsa_ieee_mode 1
		.amdhsa_fp16_overflow 0
		.amdhsa_workgroup_processor_mode 1
		.amdhsa_memory_ordered 1
		.amdhsa_forward_progress 0
		.amdhsa_shared_vgpr_count 0
		.amdhsa_exception_fp_ieee_invalid_op 0
		.amdhsa_exception_fp_denorm_src 0
		.amdhsa_exception_fp_ieee_div_zero 0
		.amdhsa_exception_fp_ieee_overflow 0
		.amdhsa_exception_fp_ieee_underflow 0
		.amdhsa_exception_fp_ieee_inexact 0
		.amdhsa_exception_int_div_zero 0
	.end_amdhsa_kernel
	.section	.text._ZN7rocprim17ROCPRIM_400000_NS6detail17trampoline_kernelINS0_14default_configENS1_25partition_config_selectorILNS1_17partition_subalgoE9EiibEEZZNS1_14partition_implILS5_9ELb0ES3_jN6thrust23THRUST_200600_302600_NS6detail15normal_iteratorINS9_10device_ptrIiEEEESE_PNS0_10empty_typeENS0_5tupleIJSE_SF_EEENSH_IJSE_SG_EEENS0_18inequality_wrapperINS9_8equal_toIiEEEEPmJSF_EEE10hipError_tPvRmT3_T4_T5_T6_T7_T9_mT8_P12ihipStream_tbDpT10_ENKUlT_T0_E_clISt17integral_constantIbLb1EES17_IbLb0EEEEDaS13_S14_EUlS13_E_NS1_11comp_targetILNS1_3genE5ELNS1_11target_archE942ELNS1_3gpuE9ELNS1_3repE0EEENS1_30default_config_static_selectorELNS0_4arch9wavefront6targetE0EEEvT1_,"axG",@progbits,_ZN7rocprim17ROCPRIM_400000_NS6detail17trampoline_kernelINS0_14default_configENS1_25partition_config_selectorILNS1_17partition_subalgoE9EiibEEZZNS1_14partition_implILS5_9ELb0ES3_jN6thrust23THRUST_200600_302600_NS6detail15normal_iteratorINS9_10device_ptrIiEEEESE_PNS0_10empty_typeENS0_5tupleIJSE_SF_EEENSH_IJSE_SG_EEENS0_18inequality_wrapperINS9_8equal_toIiEEEEPmJSF_EEE10hipError_tPvRmT3_T4_T5_T6_T7_T9_mT8_P12ihipStream_tbDpT10_ENKUlT_T0_E_clISt17integral_constantIbLb1EES17_IbLb0EEEEDaS13_S14_EUlS13_E_NS1_11comp_targetILNS1_3genE5ELNS1_11target_archE942ELNS1_3gpuE9ELNS1_3repE0EEENS1_30default_config_static_selectorELNS0_4arch9wavefront6targetE0EEEvT1_,comdat
.Lfunc_end421:
	.size	_ZN7rocprim17ROCPRIM_400000_NS6detail17trampoline_kernelINS0_14default_configENS1_25partition_config_selectorILNS1_17partition_subalgoE9EiibEEZZNS1_14partition_implILS5_9ELb0ES3_jN6thrust23THRUST_200600_302600_NS6detail15normal_iteratorINS9_10device_ptrIiEEEESE_PNS0_10empty_typeENS0_5tupleIJSE_SF_EEENSH_IJSE_SG_EEENS0_18inequality_wrapperINS9_8equal_toIiEEEEPmJSF_EEE10hipError_tPvRmT3_T4_T5_T6_T7_T9_mT8_P12ihipStream_tbDpT10_ENKUlT_T0_E_clISt17integral_constantIbLb1EES17_IbLb0EEEEDaS13_S14_EUlS13_E_NS1_11comp_targetILNS1_3genE5ELNS1_11target_archE942ELNS1_3gpuE9ELNS1_3repE0EEENS1_30default_config_static_selectorELNS0_4arch9wavefront6targetE0EEEvT1_, .Lfunc_end421-_ZN7rocprim17ROCPRIM_400000_NS6detail17trampoline_kernelINS0_14default_configENS1_25partition_config_selectorILNS1_17partition_subalgoE9EiibEEZZNS1_14partition_implILS5_9ELb0ES3_jN6thrust23THRUST_200600_302600_NS6detail15normal_iteratorINS9_10device_ptrIiEEEESE_PNS0_10empty_typeENS0_5tupleIJSE_SF_EEENSH_IJSE_SG_EEENS0_18inequality_wrapperINS9_8equal_toIiEEEEPmJSF_EEE10hipError_tPvRmT3_T4_T5_T6_T7_T9_mT8_P12ihipStream_tbDpT10_ENKUlT_T0_E_clISt17integral_constantIbLb1EES17_IbLb0EEEEDaS13_S14_EUlS13_E_NS1_11comp_targetILNS1_3genE5ELNS1_11target_archE942ELNS1_3gpuE9ELNS1_3repE0EEENS1_30default_config_static_selectorELNS0_4arch9wavefront6targetE0EEEvT1_
                                        ; -- End function
	.section	.AMDGPU.csdata,"",@progbits
; Kernel info:
; codeLenInByte = 0
; NumSgprs: 0
; NumVgprs: 0
; ScratchSize: 0
; MemoryBound: 0
; FloatMode: 240
; IeeeMode: 1
; LDSByteSize: 0 bytes/workgroup (compile time only)
; SGPRBlocks: 0
; VGPRBlocks: 0
; NumSGPRsForWavesPerEU: 1
; NumVGPRsForWavesPerEU: 1
; Occupancy: 16
; WaveLimiterHint : 0
; COMPUTE_PGM_RSRC2:SCRATCH_EN: 0
; COMPUTE_PGM_RSRC2:USER_SGPR: 15
; COMPUTE_PGM_RSRC2:TRAP_HANDLER: 0
; COMPUTE_PGM_RSRC2:TGID_X_EN: 1
; COMPUTE_PGM_RSRC2:TGID_Y_EN: 0
; COMPUTE_PGM_RSRC2:TGID_Z_EN: 0
; COMPUTE_PGM_RSRC2:TIDIG_COMP_CNT: 0
	.section	.text._ZN7rocprim17ROCPRIM_400000_NS6detail17trampoline_kernelINS0_14default_configENS1_25partition_config_selectorILNS1_17partition_subalgoE9EiibEEZZNS1_14partition_implILS5_9ELb0ES3_jN6thrust23THRUST_200600_302600_NS6detail15normal_iteratorINS9_10device_ptrIiEEEESE_PNS0_10empty_typeENS0_5tupleIJSE_SF_EEENSH_IJSE_SG_EEENS0_18inequality_wrapperINS9_8equal_toIiEEEEPmJSF_EEE10hipError_tPvRmT3_T4_T5_T6_T7_T9_mT8_P12ihipStream_tbDpT10_ENKUlT_T0_E_clISt17integral_constantIbLb1EES17_IbLb0EEEEDaS13_S14_EUlS13_E_NS1_11comp_targetILNS1_3genE4ELNS1_11target_archE910ELNS1_3gpuE8ELNS1_3repE0EEENS1_30default_config_static_selectorELNS0_4arch9wavefront6targetE0EEEvT1_,"axG",@progbits,_ZN7rocprim17ROCPRIM_400000_NS6detail17trampoline_kernelINS0_14default_configENS1_25partition_config_selectorILNS1_17partition_subalgoE9EiibEEZZNS1_14partition_implILS5_9ELb0ES3_jN6thrust23THRUST_200600_302600_NS6detail15normal_iteratorINS9_10device_ptrIiEEEESE_PNS0_10empty_typeENS0_5tupleIJSE_SF_EEENSH_IJSE_SG_EEENS0_18inequality_wrapperINS9_8equal_toIiEEEEPmJSF_EEE10hipError_tPvRmT3_T4_T5_T6_T7_T9_mT8_P12ihipStream_tbDpT10_ENKUlT_T0_E_clISt17integral_constantIbLb1EES17_IbLb0EEEEDaS13_S14_EUlS13_E_NS1_11comp_targetILNS1_3genE4ELNS1_11target_archE910ELNS1_3gpuE8ELNS1_3repE0EEENS1_30default_config_static_selectorELNS0_4arch9wavefront6targetE0EEEvT1_,comdat
	.protected	_ZN7rocprim17ROCPRIM_400000_NS6detail17trampoline_kernelINS0_14default_configENS1_25partition_config_selectorILNS1_17partition_subalgoE9EiibEEZZNS1_14partition_implILS5_9ELb0ES3_jN6thrust23THRUST_200600_302600_NS6detail15normal_iteratorINS9_10device_ptrIiEEEESE_PNS0_10empty_typeENS0_5tupleIJSE_SF_EEENSH_IJSE_SG_EEENS0_18inequality_wrapperINS9_8equal_toIiEEEEPmJSF_EEE10hipError_tPvRmT3_T4_T5_T6_T7_T9_mT8_P12ihipStream_tbDpT10_ENKUlT_T0_E_clISt17integral_constantIbLb1EES17_IbLb0EEEEDaS13_S14_EUlS13_E_NS1_11comp_targetILNS1_3genE4ELNS1_11target_archE910ELNS1_3gpuE8ELNS1_3repE0EEENS1_30default_config_static_selectorELNS0_4arch9wavefront6targetE0EEEvT1_ ; -- Begin function _ZN7rocprim17ROCPRIM_400000_NS6detail17trampoline_kernelINS0_14default_configENS1_25partition_config_selectorILNS1_17partition_subalgoE9EiibEEZZNS1_14partition_implILS5_9ELb0ES3_jN6thrust23THRUST_200600_302600_NS6detail15normal_iteratorINS9_10device_ptrIiEEEESE_PNS0_10empty_typeENS0_5tupleIJSE_SF_EEENSH_IJSE_SG_EEENS0_18inequality_wrapperINS9_8equal_toIiEEEEPmJSF_EEE10hipError_tPvRmT3_T4_T5_T6_T7_T9_mT8_P12ihipStream_tbDpT10_ENKUlT_T0_E_clISt17integral_constantIbLb1EES17_IbLb0EEEEDaS13_S14_EUlS13_E_NS1_11comp_targetILNS1_3genE4ELNS1_11target_archE910ELNS1_3gpuE8ELNS1_3repE0EEENS1_30default_config_static_selectorELNS0_4arch9wavefront6targetE0EEEvT1_
	.globl	_ZN7rocprim17ROCPRIM_400000_NS6detail17trampoline_kernelINS0_14default_configENS1_25partition_config_selectorILNS1_17partition_subalgoE9EiibEEZZNS1_14partition_implILS5_9ELb0ES3_jN6thrust23THRUST_200600_302600_NS6detail15normal_iteratorINS9_10device_ptrIiEEEESE_PNS0_10empty_typeENS0_5tupleIJSE_SF_EEENSH_IJSE_SG_EEENS0_18inequality_wrapperINS9_8equal_toIiEEEEPmJSF_EEE10hipError_tPvRmT3_T4_T5_T6_T7_T9_mT8_P12ihipStream_tbDpT10_ENKUlT_T0_E_clISt17integral_constantIbLb1EES17_IbLb0EEEEDaS13_S14_EUlS13_E_NS1_11comp_targetILNS1_3genE4ELNS1_11target_archE910ELNS1_3gpuE8ELNS1_3repE0EEENS1_30default_config_static_selectorELNS0_4arch9wavefront6targetE0EEEvT1_
	.p2align	8
	.type	_ZN7rocprim17ROCPRIM_400000_NS6detail17trampoline_kernelINS0_14default_configENS1_25partition_config_selectorILNS1_17partition_subalgoE9EiibEEZZNS1_14partition_implILS5_9ELb0ES3_jN6thrust23THRUST_200600_302600_NS6detail15normal_iteratorINS9_10device_ptrIiEEEESE_PNS0_10empty_typeENS0_5tupleIJSE_SF_EEENSH_IJSE_SG_EEENS0_18inequality_wrapperINS9_8equal_toIiEEEEPmJSF_EEE10hipError_tPvRmT3_T4_T5_T6_T7_T9_mT8_P12ihipStream_tbDpT10_ENKUlT_T0_E_clISt17integral_constantIbLb1EES17_IbLb0EEEEDaS13_S14_EUlS13_E_NS1_11comp_targetILNS1_3genE4ELNS1_11target_archE910ELNS1_3gpuE8ELNS1_3repE0EEENS1_30default_config_static_selectorELNS0_4arch9wavefront6targetE0EEEvT1_,@function
_ZN7rocprim17ROCPRIM_400000_NS6detail17trampoline_kernelINS0_14default_configENS1_25partition_config_selectorILNS1_17partition_subalgoE9EiibEEZZNS1_14partition_implILS5_9ELb0ES3_jN6thrust23THRUST_200600_302600_NS6detail15normal_iteratorINS9_10device_ptrIiEEEESE_PNS0_10empty_typeENS0_5tupleIJSE_SF_EEENSH_IJSE_SG_EEENS0_18inequality_wrapperINS9_8equal_toIiEEEEPmJSF_EEE10hipError_tPvRmT3_T4_T5_T6_T7_T9_mT8_P12ihipStream_tbDpT10_ENKUlT_T0_E_clISt17integral_constantIbLb1EES17_IbLb0EEEEDaS13_S14_EUlS13_E_NS1_11comp_targetILNS1_3genE4ELNS1_11target_archE910ELNS1_3gpuE8ELNS1_3repE0EEENS1_30default_config_static_selectorELNS0_4arch9wavefront6targetE0EEEvT1_: ; @_ZN7rocprim17ROCPRIM_400000_NS6detail17trampoline_kernelINS0_14default_configENS1_25partition_config_selectorILNS1_17partition_subalgoE9EiibEEZZNS1_14partition_implILS5_9ELb0ES3_jN6thrust23THRUST_200600_302600_NS6detail15normal_iteratorINS9_10device_ptrIiEEEESE_PNS0_10empty_typeENS0_5tupleIJSE_SF_EEENSH_IJSE_SG_EEENS0_18inequality_wrapperINS9_8equal_toIiEEEEPmJSF_EEE10hipError_tPvRmT3_T4_T5_T6_T7_T9_mT8_P12ihipStream_tbDpT10_ENKUlT_T0_E_clISt17integral_constantIbLb1EES17_IbLb0EEEEDaS13_S14_EUlS13_E_NS1_11comp_targetILNS1_3genE4ELNS1_11target_archE910ELNS1_3gpuE8ELNS1_3repE0EEENS1_30default_config_static_selectorELNS0_4arch9wavefront6targetE0EEEvT1_
; %bb.0:
	.section	.rodata,"a",@progbits
	.p2align	6, 0x0
	.amdhsa_kernel _ZN7rocprim17ROCPRIM_400000_NS6detail17trampoline_kernelINS0_14default_configENS1_25partition_config_selectorILNS1_17partition_subalgoE9EiibEEZZNS1_14partition_implILS5_9ELb0ES3_jN6thrust23THRUST_200600_302600_NS6detail15normal_iteratorINS9_10device_ptrIiEEEESE_PNS0_10empty_typeENS0_5tupleIJSE_SF_EEENSH_IJSE_SG_EEENS0_18inequality_wrapperINS9_8equal_toIiEEEEPmJSF_EEE10hipError_tPvRmT3_T4_T5_T6_T7_T9_mT8_P12ihipStream_tbDpT10_ENKUlT_T0_E_clISt17integral_constantIbLb1EES17_IbLb0EEEEDaS13_S14_EUlS13_E_NS1_11comp_targetILNS1_3genE4ELNS1_11target_archE910ELNS1_3gpuE8ELNS1_3repE0EEENS1_30default_config_static_selectorELNS0_4arch9wavefront6targetE0EEEvT1_
		.amdhsa_group_segment_fixed_size 0
		.amdhsa_private_segment_fixed_size 0
		.amdhsa_kernarg_size 112
		.amdhsa_user_sgpr_count 15
		.amdhsa_user_sgpr_dispatch_ptr 0
		.amdhsa_user_sgpr_queue_ptr 0
		.amdhsa_user_sgpr_kernarg_segment_ptr 1
		.amdhsa_user_sgpr_dispatch_id 0
		.amdhsa_user_sgpr_private_segment_size 0
		.amdhsa_wavefront_size32 1
		.amdhsa_uses_dynamic_stack 0
		.amdhsa_enable_private_segment 0
		.amdhsa_system_sgpr_workgroup_id_x 1
		.amdhsa_system_sgpr_workgroup_id_y 0
		.amdhsa_system_sgpr_workgroup_id_z 0
		.amdhsa_system_sgpr_workgroup_info 0
		.amdhsa_system_vgpr_workitem_id 0
		.amdhsa_next_free_vgpr 1
		.amdhsa_next_free_sgpr 1
		.amdhsa_reserve_vcc 0
		.amdhsa_float_round_mode_32 0
		.amdhsa_float_round_mode_16_64 0
		.amdhsa_float_denorm_mode_32 3
		.amdhsa_float_denorm_mode_16_64 3
		.amdhsa_dx10_clamp 1
		.amdhsa_ieee_mode 1
		.amdhsa_fp16_overflow 0
		.amdhsa_workgroup_processor_mode 1
		.amdhsa_memory_ordered 1
		.amdhsa_forward_progress 0
		.amdhsa_shared_vgpr_count 0
		.amdhsa_exception_fp_ieee_invalid_op 0
		.amdhsa_exception_fp_denorm_src 0
		.amdhsa_exception_fp_ieee_div_zero 0
		.amdhsa_exception_fp_ieee_overflow 0
		.amdhsa_exception_fp_ieee_underflow 0
		.amdhsa_exception_fp_ieee_inexact 0
		.amdhsa_exception_int_div_zero 0
	.end_amdhsa_kernel
	.section	.text._ZN7rocprim17ROCPRIM_400000_NS6detail17trampoline_kernelINS0_14default_configENS1_25partition_config_selectorILNS1_17partition_subalgoE9EiibEEZZNS1_14partition_implILS5_9ELb0ES3_jN6thrust23THRUST_200600_302600_NS6detail15normal_iteratorINS9_10device_ptrIiEEEESE_PNS0_10empty_typeENS0_5tupleIJSE_SF_EEENSH_IJSE_SG_EEENS0_18inequality_wrapperINS9_8equal_toIiEEEEPmJSF_EEE10hipError_tPvRmT3_T4_T5_T6_T7_T9_mT8_P12ihipStream_tbDpT10_ENKUlT_T0_E_clISt17integral_constantIbLb1EES17_IbLb0EEEEDaS13_S14_EUlS13_E_NS1_11comp_targetILNS1_3genE4ELNS1_11target_archE910ELNS1_3gpuE8ELNS1_3repE0EEENS1_30default_config_static_selectorELNS0_4arch9wavefront6targetE0EEEvT1_,"axG",@progbits,_ZN7rocprim17ROCPRIM_400000_NS6detail17trampoline_kernelINS0_14default_configENS1_25partition_config_selectorILNS1_17partition_subalgoE9EiibEEZZNS1_14partition_implILS5_9ELb0ES3_jN6thrust23THRUST_200600_302600_NS6detail15normal_iteratorINS9_10device_ptrIiEEEESE_PNS0_10empty_typeENS0_5tupleIJSE_SF_EEENSH_IJSE_SG_EEENS0_18inequality_wrapperINS9_8equal_toIiEEEEPmJSF_EEE10hipError_tPvRmT3_T4_T5_T6_T7_T9_mT8_P12ihipStream_tbDpT10_ENKUlT_T0_E_clISt17integral_constantIbLb1EES17_IbLb0EEEEDaS13_S14_EUlS13_E_NS1_11comp_targetILNS1_3genE4ELNS1_11target_archE910ELNS1_3gpuE8ELNS1_3repE0EEENS1_30default_config_static_selectorELNS0_4arch9wavefront6targetE0EEEvT1_,comdat
.Lfunc_end422:
	.size	_ZN7rocprim17ROCPRIM_400000_NS6detail17trampoline_kernelINS0_14default_configENS1_25partition_config_selectorILNS1_17partition_subalgoE9EiibEEZZNS1_14partition_implILS5_9ELb0ES3_jN6thrust23THRUST_200600_302600_NS6detail15normal_iteratorINS9_10device_ptrIiEEEESE_PNS0_10empty_typeENS0_5tupleIJSE_SF_EEENSH_IJSE_SG_EEENS0_18inequality_wrapperINS9_8equal_toIiEEEEPmJSF_EEE10hipError_tPvRmT3_T4_T5_T6_T7_T9_mT8_P12ihipStream_tbDpT10_ENKUlT_T0_E_clISt17integral_constantIbLb1EES17_IbLb0EEEEDaS13_S14_EUlS13_E_NS1_11comp_targetILNS1_3genE4ELNS1_11target_archE910ELNS1_3gpuE8ELNS1_3repE0EEENS1_30default_config_static_selectorELNS0_4arch9wavefront6targetE0EEEvT1_, .Lfunc_end422-_ZN7rocprim17ROCPRIM_400000_NS6detail17trampoline_kernelINS0_14default_configENS1_25partition_config_selectorILNS1_17partition_subalgoE9EiibEEZZNS1_14partition_implILS5_9ELb0ES3_jN6thrust23THRUST_200600_302600_NS6detail15normal_iteratorINS9_10device_ptrIiEEEESE_PNS0_10empty_typeENS0_5tupleIJSE_SF_EEENSH_IJSE_SG_EEENS0_18inequality_wrapperINS9_8equal_toIiEEEEPmJSF_EEE10hipError_tPvRmT3_T4_T5_T6_T7_T9_mT8_P12ihipStream_tbDpT10_ENKUlT_T0_E_clISt17integral_constantIbLb1EES17_IbLb0EEEEDaS13_S14_EUlS13_E_NS1_11comp_targetILNS1_3genE4ELNS1_11target_archE910ELNS1_3gpuE8ELNS1_3repE0EEENS1_30default_config_static_selectorELNS0_4arch9wavefront6targetE0EEEvT1_
                                        ; -- End function
	.section	.AMDGPU.csdata,"",@progbits
; Kernel info:
; codeLenInByte = 0
; NumSgprs: 0
; NumVgprs: 0
; ScratchSize: 0
; MemoryBound: 0
; FloatMode: 240
; IeeeMode: 1
; LDSByteSize: 0 bytes/workgroup (compile time only)
; SGPRBlocks: 0
; VGPRBlocks: 0
; NumSGPRsForWavesPerEU: 1
; NumVGPRsForWavesPerEU: 1
; Occupancy: 15
; WaveLimiterHint : 0
; COMPUTE_PGM_RSRC2:SCRATCH_EN: 0
; COMPUTE_PGM_RSRC2:USER_SGPR: 15
; COMPUTE_PGM_RSRC2:TRAP_HANDLER: 0
; COMPUTE_PGM_RSRC2:TGID_X_EN: 1
; COMPUTE_PGM_RSRC2:TGID_Y_EN: 0
; COMPUTE_PGM_RSRC2:TGID_Z_EN: 0
; COMPUTE_PGM_RSRC2:TIDIG_COMP_CNT: 0
	.section	.text._ZN7rocprim17ROCPRIM_400000_NS6detail17trampoline_kernelINS0_14default_configENS1_25partition_config_selectorILNS1_17partition_subalgoE9EiibEEZZNS1_14partition_implILS5_9ELb0ES3_jN6thrust23THRUST_200600_302600_NS6detail15normal_iteratorINS9_10device_ptrIiEEEESE_PNS0_10empty_typeENS0_5tupleIJSE_SF_EEENSH_IJSE_SG_EEENS0_18inequality_wrapperINS9_8equal_toIiEEEEPmJSF_EEE10hipError_tPvRmT3_T4_T5_T6_T7_T9_mT8_P12ihipStream_tbDpT10_ENKUlT_T0_E_clISt17integral_constantIbLb1EES17_IbLb0EEEEDaS13_S14_EUlS13_E_NS1_11comp_targetILNS1_3genE3ELNS1_11target_archE908ELNS1_3gpuE7ELNS1_3repE0EEENS1_30default_config_static_selectorELNS0_4arch9wavefront6targetE0EEEvT1_,"axG",@progbits,_ZN7rocprim17ROCPRIM_400000_NS6detail17trampoline_kernelINS0_14default_configENS1_25partition_config_selectorILNS1_17partition_subalgoE9EiibEEZZNS1_14partition_implILS5_9ELb0ES3_jN6thrust23THRUST_200600_302600_NS6detail15normal_iteratorINS9_10device_ptrIiEEEESE_PNS0_10empty_typeENS0_5tupleIJSE_SF_EEENSH_IJSE_SG_EEENS0_18inequality_wrapperINS9_8equal_toIiEEEEPmJSF_EEE10hipError_tPvRmT3_T4_T5_T6_T7_T9_mT8_P12ihipStream_tbDpT10_ENKUlT_T0_E_clISt17integral_constantIbLb1EES17_IbLb0EEEEDaS13_S14_EUlS13_E_NS1_11comp_targetILNS1_3genE3ELNS1_11target_archE908ELNS1_3gpuE7ELNS1_3repE0EEENS1_30default_config_static_selectorELNS0_4arch9wavefront6targetE0EEEvT1_,comdat
	.protected	_ZN7rocprim17ROCPRIM_400000_NS6detail17trampoline_kernelINS0_14default_configENS1_25partition_config_selectorILNS1_17partition_subalgoE9EiibEEZZNS1_14partition_implILS5_9ELb0ES3_jN6thrust23THRUST_200600_302600_NS6detail15normal_iteratorINS9_10device_ptrIiEEEESE_PNS0_10empty_typeENS0_5tupleIJSE_SF_EEENSH_IJSE_SG_EEENS0_18inequality_wrapperINS9_8equal_toIiEEEEPmJSF_EEE10hipError_tPvRmT3_T4_T5_T6_T7_T9_mT8_P12ihipStream_tbDpT10_ENKUlT_T0_E_clISt17integral_constantIbLb1EES17_IbLb0EEEEDaS13_S14_EUlS13_E_NS1_11comp_targetILNS1_3genE3ELNS1_11target_archE908ELNS1_3gpuE7ELNS1_3repE0EEENS1_30default_config_static_selectorELNS0_4arch9wavefront6targetE0EEEvT1_ ; -- Begin function _ZN7rocprim17ROCPRIM_400000_NS6detail17trampoline_kernelINS0_14default_configENS1_25partition_config_selectorILNS1_17partition_subalgoE9EiibEEZZNS1_14partition_implILS5_9ELb0ES3_jN6thrust23THRUST_200600_302600_NS6detail15normal_iteratorINS9_10device_ptrIiEEEESE_PNS0_10empty_typeENS0_5tupleIJSE_SF_EEENSH_IJSE_SG_EEENS0_18inequality_wrapperINS9_8equal_toIiEEEEPmJSF_EEE10hipError_tPvRmT3_T4_T5_T6_T7_T9_mT8_P12ihipStream_tbDpT10_ENKUlT_T0_E_clISt17integral_constantIbLb1EES17_IbLb0EEEEDaS13_S14_EUlS13_E_NS1_11comp_targetILNS1_3genE3ELNS1_11target_archE908ELNS1_3gpuE7ELNS1_3repE0EEENS1_30default_config_static_selectorELNS0_4arch9wavefront6targetE0EEEvT1_
	.globl	_ZN7rocprim17ROCPRIM_400000_NS6detail17trampoline_kernelINS0_14default_configENS1_25partition_config_selectorILNS1_17partition_subalgoE9EiibEEZZNS1_14partition_implILS5_9ELb0ES3_jN6thrust23THRUST_200600_302600_NS6detail15normal_iteratorINS9_10device_ptrIiEEEESE_PNS0_10empty_typeENS0_5tupleIJSE_SF_EEENSH_IJSE_SG_EEENS0_18inequality_wrapperINS9_8equal_toIiEEEEPmJSF_EEE10hipError_tPvRmT3_T4_T5_T6_T7_T9_mT8_P12ihipStream_tbDpT10_ENKUlT_T0_E_clISt17integral_constantIbLb1EES17_IbLb0EEEEDaS13_S14_EUlS13_E_NS1_11comp_targetILNS1_3genE3ELNS1_11target_archE908ELNS1_3gpuE7ELNS1_3repE0EEENS1_30default_config_static_selectorELNS0_4arch9wavefront6targetE0EEEvT1_
	.p2align	8
	.type	_ZN7rocprim17ROCPRIM_400000_NS6detail17trampoline_kernelINS0_14default_configENS1_25partition_config_selectorILNS1_17partition_subalgoE9EiibEEZZNS1_14partition_implILS5_9ELb0ES3_jN6thrust23THRUST_200600_302600_NS6detail15normal_iteratorINS9_10device_ptrIiEEEESE_PNS0_10empty_typeENS0_5tupleIJSE_SF_EEENSH_IJSE_SG_EEENS0_18inequality_wrapperINS9_8equal_toIiEEEEPmJSF_EEE10hipError_tPvRmT3_T4_T5_T6_T7_T9_mT8_P12ihipStream_tbDpT10_ENKUlT_T0_E_clISt17integral_constantIbLb1EES17_IbLb0EEEEDaS13_S14_EUlS13_E_NS1_11comp_targetILNS1_3genE3ELNS1_11target_archE908ELNS1_3gpuE7ELNS1_3repE0EEENS1_30default_config_static_selectorELNS0_4arch9wavefront6targetE0EEEvT1_,@function
_ZN7rocprim17ROCPRIM_400000_NS6detail17trampoline_kernelINS0_14default_configENS1_25partition_config_selectorILNS1_17partition_subalgoE9EiibEEZZNS1_14partition_implILS5_9ELb0ES3_jN6thrust23THRUST_200600_302600_NS6detail15normal_iteratorINS9_10device_ptrIiEEEESE_PNS0_10empty_typeENS0_5tupleIJSE_SF_EEENSH_IJSE_SG_EEENS0_18inequality_wrapperINS9_8equal_toIiEEEEPmJSF_EEE10hipError_tPvRmT3_T4_T5_T6_T7_T9_mT8_P12ihipStream_tbDpT10_ENKUlT_T0_E_clISt17integral_constantIbLb1EES17_IbLb0EEEEDaS13_S14_EUlS13_E_NS1_11comp_targetILNS1_3genE3ELNS1_11target_archE908ELNS1_3gpuE7ELNS1_3repE0EEENS1_30default_config_static_selectorELNS0_4arch9wavefront6targetE0EEEvT1_: ; @_ZN7rocprim17ROCPRIM_400000_NS6detail17trampoline_kernelINS0_14default_configENS1_25partition_config_selectorILNS1_17partition_subalgoE9EiibEEZZNS1_14partition_implILS5_9ELb0ES3_jN6thrust23THRUST_200600_302600_NS6detail15normal_iteratorINS9_10device_ptrIiEEEESE_PNS0_10empty_typeENS0_5tupleIJSE_SF_EEENSH_IJSE_SG_EEENS0_18inequality_wrapperINS9_8equal_toIiEEEEPmJSF_EEE10hipError_tPvRmT3_T4_T5_T6_T7_T9_mT8_P12ihipStream_tbDpT10_ENKUlT_T0_E_clISt17integral_constantIbLb1EES17_IbLb0EEEEDaS13_S14_EUlS13_E_NS1_11comp_targetILNS1_3genE3ELNS1_11target_archE908ELNS1_3gpuE7ELNS1_3repE0EEENS1_30default_config_static_selectorELNS0_4arch9wavefront6targetE0EEEvT1_
; %bb.0:
	.section	.rodata,"a",@progbits
	.p2align	6, 0x0
	.amdhsa_kernel _ZN7rocprim17ROCPRIM_400000_NS6detail17trampoline_kernelINS0_14default_configENS1_25partition_config_selectorILNS1_17partition_subalgoE9EiibEEZZNS1_14partition_implILS5_9ELb0ES3_jN6thrust23THRUST_200600_302600_NS6detail15normal_iteratorINS9_10device_ptrIiEEEESE_PNS0_10empty_typeENS0_5tupleIJSE_SF_EEENSH_IJSE_SG_EEENS0_18inequality_wrapperINS9_8equal_toIiEEEEPmJSF_EEE10hipError_tPvRmT3_T4_T5_T6_T7_T9_mT8_P12ihipStream_tbDpT10_ENKUlT_T0_E_clISt17integral_constantIbLb1EES17_IbLb0EEEEDaS13_S14_EUlS13_E_NS1_11comp_targetILNS1_3genE3ELNS1_11target_archE908ELNS1_3gpuE7ELNS1_3repE0EEENS1_30default_config_static_selectorELNS0_4arch9wavefront6targetE0EEEvT1_
		.amdhsa_group_segment_fixed_size 0
		.amdhsa_private_segment_fixed_size 0
		.amdhsa_kernarg_size 112
		.amdhsa_user_sgpr_count 15
		.amdhsa_user_sgpr_dispatch_ptr 0
		.amdhsa_user_sgpr_queue_ptr 0
		.amdhsa_user_sgpr_kernarg_segment_ptr 1
		.amdhsa_user_sgpr_dispatch_id 0
		.amdhsa_user_sgpr_private_segment_size 0
		.amdhsa_wavefront_size32 1
		.amdhsa_uses_dynamic_stack 0
		.amdhsa_enable_private_segment 0
		.amdhsa_system_sgpr_workgroup_id_x 1
		.amdhsa_system_sgpr_workgroup_id_y 0
		.amdhsa_system_sgpr_workgroup_id_z 0
		.amdhsa_system_sgpr_workgroup_info 0
		.amdhsa_system_vgpr_workitem_id 0
		.amdhsa_next_free_vgpr 1
		.amdhsa_next_free_sgpr 1
		.amdhsa_reserve_vcc 0
		.amdhsa_float_round_mode_32 0
		.amdhsa_float_round_mode_16_64 0
		.amdhsa_float_denorm_mode_32 3
		.amdhsa_float_denorm_mode_16_64 3
		.amdhsa_dx10_clamp 1
		.amdhsa_ieee_mode 1
		.amdhsa_fp16_overflow 0
		.amdhsa_workgroup_processor_mode 1
		.amdhsa_memory_ordered 1
		.amdhsa_forward_progress 0
		.amdhsa_shared_vgpr_count 0
		.amdhsa_exception_fp_ieee_invalid_op 0
		.amdhsa_exception_fp_denorm_src 0
		.amdhsa_exception_fp_ieee_div_zero 0
		.amdhsa_exception_fp_ieee_overflow 0
		.amdhsa_exception_fp_ieee_underflow 0
		.amdhsa_exception_fp_ieee_inexact 0
		.amdhsa_exception_int_div_zero 0
	.end_amdhsa_kernel
	.section	.text._ZN7rocprim17ROCPRIM_400000_NS6detail17trampoline_kernelINS0_14default_configENS1_25partition_config_selectorILNS1_17partition_subalgoE9EiibEEZZNS1_14partition_implILS5_9ELb0ES3_jN6thrust23THRUST_200600_302600_NS6detail15normal_iteratorINS9_10device_ptrIiEEEESE_PNS0_10empty_typeENS0_5tupleIJSE_SF_EEENSH_IJSE_SG_EEENS0_18inequality_wrapperINS9_8equal_toIiEEEEPmJSF_EEE10hipError_tPvRmT3_T4_T5_T6_T7_T9_mT8_P12ihipStream_tbDpT10_ENKUlT_T0_E_clISt17integral_constantIbLb1EES17_IbLb0EEEEDaS13_S14_EUlS13_E_NS1_11comp_targetILNS1_3genE3ELNS1_11target_archE908ELNS1_3gpuE7ELNS1_3repE0EEENS1_30default_config_static_selectorELNS0_4arch9wavefront6targetE0EEEvT1_,"axG",@progbits,_ZN7rocprim17ROCPRIM_400000_NS6detail17trampoline_kernelINS0_14default_configENS1_25partition_config_selectorILNS1_17partition_subalgoE9EiibEEZZNS1_14partition_implILS5_9ELb0ES3_jN6thrust23THRUST_200600_302600_NS6detail15normal_iteratorINS9_10device_ptrIiEEEESE_PNS0_10empty_typeENS0_5tupleIJSE_SF_EEENSH_IJSE_SG_EEENS0_18inequality_wrapperINS9_8equal_toIiEEEEPmJSF_EEE10hipError_tPvRmT3_T4_T5_T6_T7_T9_mT8_P12ihipStream_tbDpT10_ENKUlT_T0_E_clISt17integral_constantIbLb1EES17_IbLb0EEEEDaS13_S14_EUlS13_E_NS1_11comp_targetILNS1_3genE3ELNS1_11target_archE908ELNS1_3gpuE7ELNS1_3repE0EEENS1_30default_config_static_selectorELNS0_4arch9wavefront6targetE0EEEvT1_,comdat
.Lfunc_end423:
	.size	_ZN7rocprim17ROCPRIM_400000_NS6detail17trampoline_kernelINS0_14default_configENS1_25partition_config_selectorILNS1_17partition_subalgoE9EiibEEZZNS1_14partition_implILS5_9ELb0ES3_jN6thrust23THRUST_200600_302600_NS6detail15normal_iteratorINS9_10device_ptrIiEEEESE_PNS0_10empty_typeENS0_5tupleIJSE_SF_EEENSH_IJSE_SG_EEENS0_18inequality_wrapperINS9_8equal_toIiEEEEPmJSF_EEE10hipError_tPvRmT3_T4_T5_T6_T7_T9_mT8_P12ihipStream_tbDpT10_ENKUlT_T0_E_clISt17integral_constantIbLb1EES17_IbLb0EEEEDaS13_S14_EUlS13_E_NS1_11comp_targetILNS1_3genE3ELNS1_11target_archE908ELNS1_3gpuE7ELNS1_3repE0EEENS1_30default_config_static_selectorELNS0_4arch9wavefront6targetE0EEEvT1_, .Lfunc_end423-_ZN7rocprim17ROCPRIM_400000_NS6detail17trampoline_kernelINS0_14default_configENS1_25partition_config_selectorILNS1_17partition_subalgoE9EiibEEZZNS1_14partition_implILS5_9ELb0ES3_jN6thrust23THRUST_200600_302600_NS6detail15normal_iteratorINS9_10device_ptrIiEEEESE_PNS0_10empty_typeENS0_5tupleIJSE_SF_EEENSH_IJSE_SG_EEENS0_18inequality_wrapperINS9_8equal_toIiEEEEPmJSF_EEE10hipError_tPvRmT3_T4_T5_T6_T7_T9_mT8_P12ihipStream_tbDpT10_ENKUlT_T0_E_clISt17integral_constantIbLb1EES17_IbLb0EEEEDaS13_S14_EUlS13_E_NS1_11comp_targetILNS1_3genE3ELNS1_11target_archE908ELNS1_3gpuE7ELNS1_3repE0EEENS1_30default_config_static_selectorELNS0_4arch9wavefront6targetE0EEEvT1_
                                        ; -- End function
	.section	.AMDGPU.csdata,"",@progbits
; Kernel info:
; codeLenInByte = 0
; NumSgprs: 0
; NumVgprs: 0
; ScratchSize: 0
; MemoryBound: 0
; FloatMode: 240
; IeeeMode: 1
; LDSByteSize: 0 bytes/workgroup (compile time only)
; SGPRBlocks: 0
; VGPRBlocks: 0
; NumSGPRsForWavesPerEU: 1
; NumVGPRsForWavesPerEU: 1
; Occupancy: 16
; WaveLimiterHint : 0
; COMPUTE_PGM_RSRC2:SCRATCH_EN: 0
; COMPUTE_PGM_RSRC2:USER_SGPR: 15
; COMPUTE_PGM_RSRC2:TRAP_HANDLER: 0
; COMPUTE_PGM_RSRC2:TGID_X_EN: 1
; COMPUTE_PGM_RSRC2:TGID_Y_EN: 0
; COMPUTE_PGM_RSRC2:TGID_Z_EN: 0
; COMPUTE_PGM_RSRC2:TIDIG_COMP_CNT: 0
	.section	.text._ZN7rocprim17ROCPRIM_400000_NS6detail17trampoline_kernelINS0_14default_configENS1_25partition_config_selectorILNS1_17partition_subalgoE9EiibEEZZNS1_14partition_implILS5_9ELb0ES3_jN6thrust23THRUST_200600_302600_NS6detail15normal_iteratorINS9_10device_ptrIiEEEESE_PNS0_10empty_typeENS0_5tupleIJSE_SF_EEENSH_IJSE_SG_EEENS0_18inequality_wrapperINS9_8equal_toIiEEEEPmJSF_EEE10hipError_tPvRmT3_T4_T5_T6_T7_T9_mT8_P12ihipStream_tbDpT10_ENKUlT_T0_E_clISt17integral_constantIbLb1EES17_IbLb0EEEEDaS13_S14_EUlS13_E_NS1_11comp_targetILNS1_3genE2ELNS1_11target_archE906ELNS1_3gpuE6ELNS1_3repE0EEENS1_30default_config_static_selectorELNS0_4arch9wavefront6targetE0EEEvT1_,"axG",@progbits,_ZN7rocprim17ROCPRIM_400000_NS6detail17trampoline_kernelINS0_14default_configENS1_25partition_config_selectorILNS1_17partition_subalgoE9EiibEEZZNS1_14partition_implILS5_9ELb0ES3_jN6thrust23THRUST_200600_302600_NS6detail15normal_iteratorINS9_10device_ptrIiEEEESE_PNS0_10empty_typeENS0_5tupleIJSE_SF_EEENSH_IJSE_SG_EEENS0_18inequality_wrapperINS9_8equal_toIiEEEEPmJSF_EEE10hipError_tPvRmT3_T4_T5_T6_T7_T9_mT8_P12ihipStream_tbDpT10_ENKUlT_T0_E_clISt17integral_constantIbLb1EES17_IbLb0EEEEDaS13_S14_EUlS13_E_NS1_11comp_targetILNS1_3genE2ELNS1_11target_archE906ELNS1_3gpuE6ELNS1_3repE0EEENS1_30default_config_static_selectorELNS0_4arch9wavefront6targetE0EEEvT1_,comdat
	.protected	_ZN7rocprim17ROCPRIM_400000_NS6detail17trampoline_kernelINS0_14default_configENS1_25partition_config_selectorILNS1_17partition_subalgoE9EiibEEZZNS1_14partition_implILS5_9ELb0ES3_jN6thrust23THRUST_200600_302600_NS6detail15normal_iteratorINS9_10device_ptrIiEEEESE_PNS0_10empty_typeENS0_5tupleIJSE_SF_EEENSH_IJSE_SG_EEENS0_18inequality_wrapperINS9_8equal_toIiEEEEPmJSF_EEE10hipError_tPvRmT3_T4_T5_T6_T7_T9_mT8_P12ihipStream_tbDpT10_ENKUlT_T0_E_clISt17integral_constantIbLb1EES17_IbLb0EEEEDaS13_S14_EUlS13_E_NS1_11comp_targetILNS1_3genE2ELNS1_11target_archE906ELNS1_3gpuE6ELNS1_3repE0EEENS1_30default_config_static_selectorELNS0_4arch9wavefront6targetE0EEEvT1_ ; -- Begin function _ZN7rocprim17ROCPRIM_400000_NS6detail17trampoline_kernelINS0_14default_configENS1_25partition_config_selectorILNS1_17partition_subalgoE9EiibEEZZNS1_14partition_implILS5_9ELb0ES3_jN6thrust23THRUST_200600_302600_NS6detail15normal_iteratorINS9_10device_ptrIiEEEESE_PNS0_10empty_typeENS0_5tupleIJSE_SF_EEENSH_IJSE_SG_EEENS0_18inequality_wrapperINS9_8equal_toIiEEEEPmJSF_EEE10hipError_tPvRmT3_T4_T5_T6_T7_T9_mT8_P12ihipStream_tbDpT10_ENKUlT_T0_E_clISt17integral_constantIbLb1EES17_IbLb0EEEEDaS13_S14_EUlS13_E_NS1_11comp_targetILNS1_3genE2ELNS1_11target_archE906ELNS1_3gpuE6ELNS1_3repE0EEENS1_30default_config_static_selectorELNS0_4arch9wavefront6targetE0EEEvT1_
	.globl	_ZN7rocprim17ROCPRIM_400000_NS6detail17trampoline_kernelINS0_14default_configENS1_25partition_config_selectorILNS1_17partition_subalgoE9EiibEEZZNS1_14partition_implILS5_9ELb0ES3_jN6thrust23THRUST_200600_302600_NS6detail15normal_iteratorINS9_10device_ptrIiEEEESE_PNS0_10empty_typeENS0_5tupleIJSE_SF_EEENSH_IJSE_SG_EEENS0_18inequality_wrapperINS9_8equal_toIiEEEEPmJSF_EEE10hipError_tPvRmT3_T4_T5_T6_T7_T9_mT8_P12ihipStream_tbDpT10_ENKUlT_T0_E_clISt17integral_constantIbLb1EES17_IbLb0EEEEDaS13_S14_EUlS13_E_NS1_11comp_targetILNS1_3genE2ELNS1_11target_archE906ELNS1_3gpuE6ELNS1_3repE0EEENS1_30default_config_static_selectorELNS0_4arch9wavefront6targetE0EEEvT1_
	.p2align	8
	.type	_ZN7rocprim17ROCPRIM_400000_NS6detail17trampoline_kernelINS0_14default_configENS1_25partition_config_selectorILNS1_17partition_subalgoE9EiibEEZZNS1_14partition_implILS5_9ELb0ES3_jN6thrust23THRUST_200600_302600_NS6detail15normal_iteratorINS9_10device_ptrIiEEEESE_PNS0_10empty_typeENS0_5tupleIJSE_SF_EEENSH_IJSE_SG_EEENS0_18inequality_wrapperINS9_8equal_toIiEEEEPmJSF_EEE10hipError_tPvRmT3_T4_T5_T6_T7_T9_mT8_P12ihipStream_tbDpT10_ENKUlT_T0_E_clISt17integral_constantIbLb1EES17_IbLb0EEEEDaS13_S14_EUlS13_E_NS1_11comp_targetILNS1_3genE2ELNS1_11target_archE906ELNS1_3gpuE6ELNS1_3repE0EEENS1_30default_config_static_selectorELNS0_4arch9wavefront6targetE0EEEvT1_,@function
_ZN7rocprim17ROCPRIM_400000_NS6detail17trampoline_kernelINS0_14default_configENS1_25partition_config_selectorILNS1_17partition_subalgoE9EiibEEZZNS1_14partition_implILS5_9ELb0ES3_jN6thrust23THRUST_200600_302600_NS6detail15normal_iteratorINS9_10device_ptrIiEEEESE_PNS0_10empty_typeENS0_5tupleIJSE_SF_EEENSH_IJSE_SG_EEENS0_18inequality_wrapperINS9_8equal_toIiEEEEPmJSF_EEE10hipError_tPvRmT3_T4_T5_T6_T7_T9_mT8_P12ihipStream_tbDpT10_ENKUlT_T0_E_clISt17integral_constantIbLb1EES17_IbLb0EEEEDaS13_S14_EUlS13_E_NS1_11comp_targetILNS1_3genE2ELNS1_11target_archE906ELNS1_3gpuE6ELNS1_3repE0EEENS1_30default_config_static_selectorELNS0_4arch9wavefront6targetE0EEEvT1_: ; @_ZN7rocprim17ROCPRIM_400000_NS6detail17trampoline_kernelINS0_14default_configENS1_25partition_config_selectorILNS1_17partition_subalgoE9EiibEEZZNS1_14partition_implILS5_9ELb0ES3_jN6thrust23THRUST_200600_302600_NS6detail15normal_iteratorINS9_10device_ptrIiEEEESE_PNS0_10empty_typeENS0_5tupleIJSE_SF_EEENSH_IJSE_SG_EEENS0_18inequality_wrapperINS9_8equal_toIiEEEEPmJSF_EEE10hipError_tPvRmT3_T4_T5_T6_T7_T9_mT8_P12ihipStream_tbDpT10_ENKUlT_T0_E_clISt17integral_constantIbLb1EES17_IbLb0EEEEDaS13_S14_EUlS13_E_NS1_11comp_targetILNS1_3genE2ELNS1_11target_archE906ELNS1_3gpuE6ELNS1_3repE0EEENS1_30default_config_static_selectorELNS0_4arch9wavefront6targetE0EEEvT1_
; %bb.0:
	.section	.rodata,"a",@progbits
	.p2align	6, 0x0
	.amdhsa_kernel _ZN7rocprim17ROCPRIM_400000_NS6detail17trampoline_kernelINS0_14default_configENS1_25partition_config_selectorILNS1_17partition_subalgoE9EiibEEZZNS1_14partition_implILS5_9ELb0ES3_jN6thrust23THRUST_200600_302600_NS6detail15normal_iteratorINS9_10device_ptrIiEEEESE_PNS0_10empty_typeENS0_5tupleIJSE_SF_EEENSH_IJSE_SG_EEENS0_18inequality_wrapperINS9_8equal_toIiEEEEPmJSF_EEE10hipError_tPvRmT3_T4_T5_T6_T7_T9_mT8_P12ihipStream_tbDpT10_ENKUlT_T0_E_clISt17integral_constantIbLb1EES17_IbLb0EEEEDaS13_S14_EUlS13_E_NS1_11comp_targetILNS1_3genE2ELNS1_11target_archE906ELNS1_3gpuE6ELNS1_3repE0EEENS1_30default_config_static_selectorELNS0_4arch9wavefront6targetE0EEEvT1_
		.amdhsa_group_segment_fixed_size 0
		.amdhsa_private_segment_fixed_size 0
		.amdhsa_kernarg_size 112
		.amdhsa_user_sgpr_count 15
		.amdhsa_user_sgpr_dispatch_ptr 0
		.amdhsa_user_sgpr_queue_ptr 0
		.amdhsa_user_sgpr_kernarg_segment_ptr 1
		.amdhsa_user_sgpr_dispatch_id 0
		.amdhsa_user_sgpr_private_segment_size 0
		.amdhsa_wavefront_size32 1
		.amdhsa_uses_dynamic_stack 0
		.amdhsa_enable_private_segment 0
		.amdhsa_system_sgpr_workgroup_id_x 1
		.amdhsa_system_sgpr_workgroup_id_y 0
		.amdhsa_system_sgpr_workgroup_id_z 0
		.amdhsa_system_sgpr_workgroup_info 0
		.amdhsa_system_vgpr_workitem_id 0
		.amdhsa_next_free_vgpr 1
		.amdhsa_next_free_sgpr 1
		.amdhsa_reserve_vcc 0
		.amdhsa_float_round_mode_32 0
		.amdhsa_float_round_mode_16_64 0
		.amdhsa_float_denorm_mode_32 3
		.amdhsa_float_denorm_mode_16_64 3
		.amdhsa_dx10_clamp 1
		.amdhsa_ieee_mode 1
		.amdhsa_fp16_overflow 0
		.amdhsa_workgroup_processor_mode 1
		.amdhsa_memory_ordered 1
		.amdhsa_forward_progress 0
		.amdhsa_shared_vgpr_count 0
		.amdhsa_exception_fp_ieee_invalid_op 0
		.amdhsa_exception_fp_denorm_src 0
		.amdhsa_exception_fp_ieee_div_zero 0
		.amdhsa_exception_fp_ieee_overflow 0
		.amdhsa_exception_fp_ieee_underflow 0
		.amdhsa_exception_fp_ieee_inexact 0
		.amdhsa_exception_int_div_zero 0
	.end_amdhsa_kernel
	.section	.text._ZN7rocprim17ROCPRIM_400000_NS6detail17trampoline_kernelINS0_14default_configENS1_25partition_config_selectorILNS1_17partition_subalgoE9EiibEEZZNS1_14partition_implILS5_9ELb0ES3_jN6thrust23THRUST_200600_302600_NS6detail15normal_iteratorINS9_10device_ptrIiEEEESE_PNS0_10empty_typeENS0_5tupleIJSE_SF_EEENSH_IJSE_SG_EEENS0_18inequality_wrapperINS9_8equal_toIiEEEEPmJSF_EEE10hipError_tPvRmT3_T4_T5_T6_T7_T9_mT8_P12ihipStream_tbDpT10_ENKUlT_T0_E_clISt17integral_constantIbLb1EES17_IbLb0EEEEDaS13_S14_EUlS13_E_NS1_11comp_targetILNS1_3genE2ELNS1_11target_archE906ELNS1_3gpuE6ELNS1_3repE0EEENS1_30default_config_static_selectorELNS0_4arch9wavefront6targetE0EEEvT1_,"axG",@progbits,_ZN7rocprim17ROCPRIM_400000_NS6detail17trampoline_kernelINS0_14default_configENS1_25partition_config_selectorILNS1_17partition_subalgoE9EiibEEZZNS1_14partition_implILS5_9ELb0ES3_jN6thrust23THRUST_200600_302600_NS6detail15normal_iteratorINS9_10device_ptrIiEEEESE_PNS0_10empty_typeENS0_5tupleIJSE_SF_EEENSH_IJSE_SG_EEENS0_18inequality_wrapperINS9_8equal_toIiEEEEPmJSF_EEE10hipError_tPvRmT3_T4_T5_T6_T7_T9_mT8_P12ihipStream_tbDpT10_ENKUlT_T0_E_clISt17integral_constantIbLb1EES17_IbLb0EEEEDaS13_S14_EUlS13_E_NS1_11comp_targetILNS1_3genE2ELNS1_11target_archE906ELNS1_3gpuE6ELNS1_3repE0EEENS1_30default_config_static_selectorELNS0_4arch9wavefront6targetE0EEEvT1_,comdat
.Lfunc_end424:
	.size	_ZN7rocprim17ROCPRIM_400000_NS6detail17trampoline_kernelINS0_14default_configENS1_25partition_config_selectorILNS1_17partition_subalgoE9EiibEEZZNS1_14partition_implILS5_9ELb0ES3_jN6thrust23THRUST_200600_302600_NS6detail15normal_iteratorINS9_10device_ptrIiEEEESE_PNS0_10empty_typeENS0_5tupleIJSE_SF_EEENSH_IJSE_SG_EEENS0_18inequality_wrapperINS9_8equal_toIiEEEEPmJSF_EEE10hipError_tPvRmT3_T4_T5_T6_T7_T9_mT8_P12ihipStream_tbDpT10_ENKUlT_T0_E_clISt17integral_constantIbLb1EES17_IbLb0EEEEDaS13_S14_EUlS13_E_NS1_11comp_targetILNS1_3genE2ELNS1_11target_archE906ELNS1_3gpuE6ELNS1_3repE0EEENS1_30default_config_static_selectorELNS0_4arch9wavefront6targetE0EEEvT1_, .Lfunc_end424-_ZN7rocprim17ROCPRIM_400000_NS6detail17trampoline_kernelINS0_14default_configENS1_25partition_config_selectorILNS1_17partition_subalgoE9EiibEEZZNS1_14partition_implILS5_9ELb0ES3_jN6thrust23THRUST_200600_302600_NS6detail15normal_iteratorINS9_10device_ptrIiEEEESE_PNS0_10empty_typeENS0_5tupleIJSE_SF_EEENSH_IJSE_SG_EEENS0_18inequality_wrapperINS9_8equal_toIiEEEEPmJSF_EEE10hipError_tPvRmT3_T4_T5_T6_T7_T9_mT8_P12ihipStream_tbDpT10_ENKUlT_T0_E_clISt17integral_constantIbLb1EES17_IbLb0EEEEDaS13_S14_EUlS13_E_NS1_11comp_targetILNS1_3genE2ELNS1_11target_archE906ELNS1_3gpuE6ELNS1_3repE0EEENS1_30default_config_static_selectorELNS0_4arch9wavefront6targetE0EEEvT1_
                                        ; -- End function
	.section	.AMDGPU.csdata,"",@progbits
; Kernel info:
; codeLenInByte = 0
; NumSgprs: 0
; NumVgprs: 0
; ScratchSize: 0
; MemoryBound: 0
; FloatMode: 240
; IeeeMode: 1
; LDSByteSize: 0 bytes/workgroup (compile time only)
; SGPRBlocks: 0
; VGPRBlocks: 0
; NumSGPRsForWavesPerEU: 1
; NumVGPRsForWavesPerEU: 1
; Occupancy: 16
; WaveLimiterHint : 0
; COMPUTE_PGM_RSRC2:SCRATCH_EN: 0
; COMPUTE_PGM_RSRC2:USER_SGPR: 15
; COMPUTE_PGM_RSRC2:TRAP_HANDLER: 0
; COMPUTE_PGM_RSRC2:TGID_X_EN: 1
; COMPUTE_PGM_RSRC2:TGID_Y_EN: 0
; COMPUTE_PGM_RSRC2:TGID_Z_EN: 0
; COMPUTE_PGM_RSRC2:TIDIG_COMP_CNT: 0
	.section	.text._ZN7rocprim17ROCPRIM_400000_NS6detail17trampoline_kernelINS0_14default_configENS1_25partition_config_selectorILNS1_17partition_subalgoE9EiibEEZZNS1_14partition_implILS5_9ELb0ES3_jN6thrust23THRUST_200600_302600_NS6detail15normal_iteratorINS9_10device_ptrIiEEEESE_PNS0_10empty_typeENS0_5tupleIJSE_SF_EEENSH_IJSE_SG_EEENS0_18inequality_wrapperINS9_8equal_toIiEEEEPmJSF_EEE10hipError_tPvRmT3_T4_T5_T6_T7_T9_mT8_P12ihipStream_tbDpT10_ENKUlT_T0_E_clISt17integral_constantIbLb1EES17_IbLb0EEEEDaS13_S14_EUlS13_E_NS1_11comp_targetILNS1_3genE10ELNS1_11target_archE1200ELNS1_3gpuE4ELNS1_3repE0EEENS1_30default_config_static_selectorELNS0_4arch9wavefront6targetE0EEEvT1_,"axG",@progbits,_ZN7rocprim17ROCPRIM_400000_NS6detail17trampoline_kernelINS0_14default_configENS1_25partition_config_selectorILNS1_17partition_subalgoE9EiibEEZZNS1_14partition_implILS5_9ELb0ES3_jN6thrust23THRUST_200600_302600_NS6detail15normal_iteratorINS9_10device_ptrIiEEEESE_PNS0_10empty_typeENS0_5tupleIJSE_SF_EEENSH_IJSE_SG_EEENS0_18inequality_wrapperINS9_8equal_toIiEEEEPmJSF_EEE10hipError_tPvRmT3_T4_T5_T6_T7_T9_mT8_P12ihipStream_tbDpT10_ENKUlT_T0_E_clISt17integral_constantIbLb1EES17_IbLb0EEEEDaS13_S14_EUlS13_E_NS1_11comp_targetILNS1_3genE10ELNS1_11target_archE1200ELNS1_3gpuE4ELNS1_3repE0EEENS1_30default_config_static_selectorELNS0_4arch9wavefront6targetE0EEEvT1_,comdat
	.protected	_ZN7rocprim17ROCPRIM_400000_NS6detail17trampoline_kernelINS0_14default_configENS1_25partition_config_selectorILNS1_17partition_subalgoE9EiibEEZZNS1_14partition_implILS5_9ELb0ES3_jN6thrust23THRUST_200600_302600_NS6detail15normal_iteratorINS9_10device_ptrIiEEEESE_PNS0_10empty_typeENS0_5tupleIJSE_SF_EEENSH_IJSE_SG_EEENS0_18inequality_wrapperINS9_8equal_toIiEEEEPmJSF_EEE10hipError_tPvRmT3_T4_T5_T6_T7_T9_mT8_P12ihipStream_tbDpT10_ENKUlT_T0_E_clISt17integral_constantIbLb1EES17_IbLb0EEEEDaS13_S14_EUlS13_E_NS1_11comp_targetILNS1_3genE10ELNS1_11target_archE1200ELNS1_3gpuE4ELNS1_3repE0EEENS1_30default_config_static_selectorELNS0_4arch9wavefront6targetE0EEEvT1_ ; -- Begin function _ZN7rocprim17ROCPRIM_400000_NS6detail17trampoline_kernelINS0_14default_configENS1_25partition_config_selectorILNS1_17partition_subalgoE9EiibEEZZNS1_14partition_implILS5_9ELb0ES3_jN6thrust23THRUST_200600_302600_NS6detail15normal_iteratorINS9_10device_ptrIiEEEESE_PNS0_10empty_typeENS0_5tupleIJSE_SF_EEENSH_IJSE_SG_EEENS0_18inequality_wrapperINS9_8equal_toIiEEEEPmJSF_EEE10hipError_tPvRmT3_T4_T5_T6_T7_T9_mT8_P12ihipStream_tbDpT10_ENKUlT_T0_E_clISt17integral_constantIbLb1EES17_IbLb0EEEEDaS13_S14_EUlS13_E_NS1_11comp_targetILNS1_3genE10ELNS1_11target_archE1200ELNS1_3gpuE4ELNS1_3repE0EEENS1_30default_config_static_selectorELNS0_4arch9wavefront6targetE0EEEvT1_
	.globl	_ZN7rocprim17ROCPRIM_400000_NS6detail17trampoline_kernelINS0_14default_configENS1_25partition_config_selectorILNS1_17partition_subalgoE9EiibEEZZNS1_14partition_implILS5_9ELb0ES3_jN6thrust23THRUST_200600_302600_NS6detail15normal_iteratorINS9_10device_ptrIiEEEESE_PNS0_10empty_typeENS0_5tupleIJSE_SF_EEENSH_IJSE_SG_EEENS0_18inequality_wrapperINS9_8equal_toIiEEEEPmJSF_EEE10hipError_tPvRmT3_T4_T5_T6_T7_T9_mT8_P12ihipStream_tbDpT10_ENKUlT_T0_E_clISt17integral_constantIbLb1EES17_IbLb0EEEEDaS13_S14_EUlS13_E_NS1_11comp_targetILNS1_3genE10ELNS1_11target_archE1200ELNS1_3gpuE4ELNS1_3repE0EEENS1_30default_config_static_selectorELNS0_4arch9wavefront6targetE0EEEvT1_
	.p2align	8
	.type	_ZN7rocprim17ROCPRIM_400000_NS6detail17trampoline_kernelINS0_14default_configENS1_25partition_config_selectorILNS1_17partition_subalgoE9EiibEEZZNS1_14partition_implILS5_9ELb0ES3_jN6thrust23THRUST_200600_302600_NS6detail15normal_iteratorINS9_10device_ptrIiEEEESE_PNS0_10empty_typeENS0_5tupleIJSE_SF_EEENSH_IJSE_SG_EEENS0_18inequality_wrapperINS9_8equal_toIiEEEEPmJSF_EEE10hipError_tPvRmT3_T4_T5_T6_T7_T9_mT8_P12ihipStream_tbDpT10_ENKUlT_T0_E_clISt17integral_constantIbLb1EES17_IbLb0EEEEDaS13_S14_EUlS13_E_NS1_11comp_targetILNS1_3genE10ELNS1_11target_archE1200ELNS1_3gpuE4ELNS1_3repE0EEENS1_30default_config_static_selectorELNS0_4arch9wavefront6targetE0EEEvT1_,@function
_ZN7rocprim17ROCPRIM_400000_NS6detail17trampoline_kernelINS0_14default_configENS1_25partition_config_selectorILNS1_17partition_subalgoE9EiibEEZZNS1_14partition_implILS5_9ELb0ES3_jN6thrust23THRUST_200600_302600_NS6detail15normal_iteratorINS9_10device_ptrIiEEEESE_PNS0_10empty_typeENS0_5tupleIJSE_SF_EEENSH_IJSE_SG_EEENS0_18inequality_wrapperINS9_8equal_toIiEEEEPmJSF_EEE10hipError_tPvRmT3_T4_T5_T6_T7_T9_mT8_P12ihipStream_tbDpT10_ENKUlT_T0_E_clISt17integral_constantIbLb1EES17_IbLb0EEEEDaS13_S14_EUlS13_E_NS1_11comp_targetILNS1_3genE10ELNS1_11target_archE1200ELNS1_3gpuE4ELNS1_3repE0EEENS1_30default_config_static_selectorELNS0_4arch9wavefront6targetE0EEEvT1_: ; @_ZN7rocprim17ROCPRIM_400000_NS6detail17trampoline_kernelINS0_14default_configENS1_25partition_config_selectorILNS1_17partition_subalgoE9EiibEEZZNS1_14partition_implILS5_9ELb0ES3_jN6thrust23THRUST_200600_302600_NS6detail15normal_iteratorINS9_10device_ptrIiEEEESE_PNS0_10empty_typeENS0_5tupleIJSE_SF_EEENSH_IJSE_SG_EEENS0_18inequality_wrapperINS9_8equal_toIiEEEEPmJSF_EEE10hipError_tPvRmT3_T4_T5_T6_T7_T9_mT8_P12ihipStream_tbDpT10_ENKUlT_T0_E_clISt17integral_constantIbLb1EES17_IbLb0EEEEDaS13_S14_EUlS13_E_NS1_11comp_targetILNS1_3genE10ELNS1_11target_archE1200ELNS1_3gpuE4ELNS1_3repE0EEENS1_30default_config_static_selectorELNS0_4arch9wavefront6targetE0EEEvT1_
; %bb.0:
	.section	.rodata,"a",@progbits
	.p2align	6, 0x0
	.amdhsa_kernel _ZN7rocprim17ROCPRIM_400000_NS6detail17trampoline_kernelINS0_14default_configENS1_25partition_config_selectorILNS1_17partition_subalgoE9EiibEEZZNS1_14partition_implILS5_9ELb0ES3_jN6thrust23THRUST_200600_302600_NS6detail15normal_iteratorINS9_10device_ptrIiEEEESE_PNS0_10empty_typeENS0_5tupleIJSE_SF_EEENSH_IJSE_SG_EEENS0_18inequality_wrapperINS9_8equal_toIiEEEEPmJSF_EEE10hipError_tPvRmT3_T4_T5_T6_T7_T9_mT8_P12ihipStream_tbDpT10_ENKUlT_T0_E_clISt17integral_constantIbLb1EES17_IbLb0EEEEDaS13_S14_EUlS13_E_NS1_11comp_targetILNS1_3genE10ELNS1_11target_archE1200ELNS1_3gpuE4ELNS1_3repE0EEENS1_30default_config_static_selectorELNS0_4arch9wavefront6targetE0EEEvT1_
		.amdhsa_group_segment_fixed_size 0
		.amdhsa_private_segment_fixed_size 0
		.amdhsa_kernarg_size 112
		.amdhsa_user_sgpr_count 15
		.amdhsa_user_sgpr_dispatch_ptr 0
		.amdhsa_user_sgpr_queue_ptr 0
		.amdhsa_user_sgpr_kernarg_segment_ptr 1
		.amdhsa_user_sgpr_dispatch_id 0
		.amdhsa_user_sgpr_private_segment_size 0
		.amdhsa_wavefront_size32 1
		.amdhsa_uses_dynamic_stack 0
		.amdhsa_enable_private_segment 0
		.amdhsa_system_sgpr_workgroup_id_x 1
		.amdhsa_system_sgpr_workgroup_id_y 0
		.amdhsa_system_sgpr_workgroup_id_z 0
		.amdhsa_system_sgpr_workgroup_info 0
		.amdhsa_system_vgpr_workitem_id 0
		.amdhsa_next_free_vgpr 1
		.amdhsa_next_free_sgpr 1
		.amdhsa_reserve_vcc 0
		.amdhsa_float_round_mode_32 0
		.amdhsa_float_round_mode_16_64 0
		.amdhsa_float_denorm_mode_32 3
		.amdhsa_float_denorm_mode_16_64 3
		.amdhsa_dx10_clamp 1
		.amdhsa_ieee_mode 1
		.amdhsa_fp16_overflow 0
		.amdhsa_workgroup_processor_mode 1
		.amdhsa_memory_ordered 1
		.amdhsa_forward_progress 0
		.amdhsa_shared_vgpr_count 0
		.amdhsa_exception_fp_ieee_invalid_op 0
		.amdhsa_exception_fp_denorm_src 0
		.amdhsa_exception_fp_ieee_div_zero 0
		.amdhsa_exception_fp_ieee_overflow 0
		.amdhsa_exception_fp_ieee_underflow 0
		.amdhsa_exception_fp_ieee_inexact 0
		.amdhsa_exception_int_div_zero 0
	.end_amdhsa_kernel
	.section	.text._ZN7rocprim17ROCPRIM_400000_NS6detail17trampoline_kernelINS0_14default_configENS1_25partition_config_selectorILNS1_17partition_subalgoE9EiibEEZZNS1_14partition_implILS5_9ELb0ES3_jN6thrust23THRUST_200600_302600_NS6detail15normal_iteratorINS9_10device_ptrIiEEEESE_PNS0_10empty_typeENS0_5tupleIJSE_SF_EEENSH_IJSE_SG_EEENS0_18inequality_wrapperINS9_8equal_toIiEEEEPmJSF_EEE10hipError_tPvRmT3_T4_T5_T6_T7_T9_mT8_P12ihipStream_tbDpT10_ENKUlT_T0_E_clISt17integral_constantIbLb1EES17_IbLb0EEEEDaS13_S14_EUlS13_E_NS1_11comp_targetILNS1_3genE10ELNS1_11target_archE1200ELNS1_3gpuE4ELNS1_3repE0EEENS1_30default_config_static_selectorELNS0_4arch9wavefront6targetE0EEEvT1_,"axG",@progbits,_ZN7rocprim17ROCPRIM_400000_NS6detail17trampoline_kernelINS0_14default_configENS1_25partition_config_selectorILNS1_17partition_subalgoE9EiibEEZZNS1_14partition_implILS5_9ELb0ES3_jN6thrust23THRUST_200600_302600_NS6detail15normal_iteratorINS9_10device_ptrIiEEEESE_PNS0_10empty_typeENS0_5tupleIJSE_SF_EEENSH_IJSE_SG_EEENS0_18inequality_wrapperINS9_8equal_toIiEEEEPmJSF_EEE10hipError_tPvRmT3_T4_T5_T6_T7_T9_mT8_P12ihipStream_tbDpT10_ENKUlT_T0_E_clISt17integral_constantIbLb1EES17_IbLb0EEEEDaS13_S14_EUlS13_E_NS1_11comp_targetILNS1_3genE10ELNS1_11target_archE1200ELNS1_3gpuE4ELNS1_3repE0EEENS1_30default_config_static_selectorELNS0_4arch9wavefront6targetE0EEEvT1_,comdat
.Lfunc_end425:
	.size	_ZN7rocprim17ROCPRIM_400000_NS6detail17trampoline_kernelINS0_14default_configENS1_25partition_config_selectorILNS1_17partition_subalgoE9EiibEEZZNS1_14partition_implILS5_9ELb0ES3_jN6thrust23THRUST_200600_302600_NS6detail15normal_iteratorINS9_10device_ptrIiEEEESE_PNS0_10empty_typeENS0_5tupleIJSE_SF_EEENSH_IJSE_SG_EEENS0_18inequality_wrapperINS9_8equal_toIiEEEEPmJSF_EEE10hipError_tPvRmT3_T4_T5_T6_T7_T9_mT8_P12ihipStream_tbDpT10_ENKUlT_T0_E_clISt17integral_constantIbLb1EES17_IbLb0EEEEDaS13_S14_EUlS13_E_NS1_11comp_targetILNS1_3genE10ELNS1_11target_archE1200ELNS1_3gpuE4ELNS1_3repE0EEENS1_30default_config_static_selectorELNS0_4arch9wavefront6targetE0EEEvT1_, .Lfunc_end425-_ZN7rocprim17ROCPRIM_400000_NS6detail17trampoline_kernelINS0_14default_configENS1_25partition_config_selectorILNS1_17partition_subalgoE9EiibEEZZNS1_14partition_implILS5_9ELb0ES3_jN6thrust23THRUST_200600_302600_NS6detail15normal_iteratorINS9_10device_ptrIiEEEESE_PNS0_10empty_typeENS0_5tupleIJSE_SF_EEENSH_IJSE_SG_EEENS0_18inequality_wrapperINS9_8equal_toIiEEEEPmJSF_EEE10hipError_tPvRmT3_T4_T5_T6_T7_T9_mT8_P12ihipStream_tbDpT10_ENKUlT_T0_E_clISt17integral_constantIbLb1EES17_IbLb0EEEEDaS13_S14_EUlS13_E_NS1_11comp_targetILNS1_3genE10ELNS1_11target_archE1200ELNS1_3gpuE4ELNS1_3repE0EEENS1_30default_config_static_selectorELNS0_4arch9wavefront6targetE0EEEvT1_
                                        ; -- End function
	.section	.AMDGPU.csdata,"",@progbits
; Kernel info:
; codeLenInByte = 0
; NumSgprs: 0
; NumVgprs: 0
; ScratchSize: 0
; MemoryBound: 0
; FloatMode: 240
; IeeeMode: 1
; LDSByteSize: 0 bytes/workgroup (compile time only)
; SGPRBlocks: 0
; VGPRBlocks: 0
; NumSGPRsForWavesPerEU: 1
; NumVGPRsForWavesPerEU: 1
; Occupancy: 15
; WaveLimiterHint : 0
; COMPUTE_PGM_RSRC2:SCRATCH_EN: 0
; COMPUTE_PGM_RSRC2:USER_SGPR: 15
; COMPUTE_PGM_RSRC2:TRAP_HANDLER: 0
; COMPUTE_PGM_RSRC2:TGID_X_EN: 1
; COMPUTE_PGM_RSRC2:TGID_Y_EN: 0
; COMPUTE_PGM_RSRC2:TGID_Z_EN: 0
; COMPUTE_PGM_RSRC2:TIDIG_COMP_CNT: 0
	.section	.text._ZN7rocprim17ROCPRIM_400000_NS6detail17trampoline_kernelINS0_14default_configENS1_25partition_config_selectorILNS1_17partition_subalgoE9EiibEEZZNS1_14partition_implILS5_9ELb0ES3_jN6thrust23THRUST_200600_302600_NS6detail15normal_iteratorINS9_10device_ptrIiEEEESE_PNS0_10empty_typeENS0_5tupleIJSE_SF_EEENSH_IJSE_SG_EEENS0_18inequality_wrapperINS9_8equal_toIiEEEEPmJSF_EEE10hipError_tPvRmT3_T4_T5_T6_T7_T9_mT8_P12ihipStream_tbDpT10_ENKUlT_T0_E_clISt17integral_constantIbLb1EES17_IbLb0EEEEDaS13_S14_EUlS13_E_NS1_11comp_targetILNS1_3genE9ELNS1_11target_archE1100ELNS1_3gpuE3ELNS1_3repE0EEENS1_30default_config_static_selectorELNS0_4arch9wavefront6targetE0EEEvT1_,"axG",@progbits,_ZN7rocprim17ROCPRIM_400000_NS6detail17trampoline_kernelINS0_14default_configENS1_25partition_config_selectorILNS1_17partition_subalgoE9EiibEEZZNS1_14partition_implILS5_9ELb0ES3_jN6thrust23THRUST_200600_302600_NS6detail15normal_iteratorINS9_10device_ptrIiEEEESE_PNS0_10empty_typeENS0_5tupleIJSE_SF_EEENSH_IJSE_SG_EEENS0_18inequality_wrapperINS9_8equal_toIiEEEEPmJSF_EEE10hipError_tPvRmT3_T4_T5_T6_T7_T9_mT8_P12ihipStream_tbDpT10_ENKUlT_T0_E_clISt17integral_constantIbLb1EES17_IbLb0EEEEDaS13_S14_EUlS13_E_NS1_11comp_targetILNS1_3genE9ELNS1_11target_archE1100ELNS1_3gpuE3ELNS1_3repE0EEENS1_30default_config_static_selectorELNS0_4arch9wavefront6targetE0EEEvT1_,comdat
	.protected	_ZN7rocprim17ROCPRIM_400000_NS6detail17trampoline_kernelINS0_14default_configENS1_25partition_config_selectorILNS1_17partition_subalgoE9EiibEEZZNS1_14partition_implILS5_9ELb0ES3_jN6thrust23THRUST_200600_302600_NS6detail15normal_iteratorINS9_10device_ptrIiEEEESE_PNS0_10empty_typeENS0_5tupleIJSE_SF_EEENSH_IJSE_SG_EEENS0_18inequality_wrapperINS9_8equal_toIiEEEEPmJSF_EEE10hipError_tPvRmT3_T4_T5_T6_T7_T9_mT8_P12ihipStream_tbDpT10_ENKUlT_T0_E_clISt17integral_constantIbLb1EES17_IbLb0EEEEDaS13_S14_EUlS13_E_NS1_11comp_targetILNS1_3genE9ELNS1_11target_archE1100ELNS1_3gpuE3ELNS1_3repE0EEENS1_30default_config_static_selectorELNS0_4arch9wavefront6targetE0EEEvT1_ ; -- Begin function _ZN7rocprim17ROCPRIM_400000_NS6detail17trampoline_kernelINS0_14default_configENS1_25partition_config_selectorILNS1_17partition_subalgoE9EiibEEZZNS1_14partition_implILS5_9ELb0ES3_jN6thrust23THRUST_200600_302600_NS6detail15normal_iteratorINS9_10device_ptrIiEEEESE_PNS0_10empty_typeENS0_5tupleIJSE_SF_EEENSH_IJSE_SG_EEENS0_18inequality_wrapperINS9_8equal_toIiEEEEPmJSF_EEE10hipError_tPvRmT3_T4_T5_T6_T7_T9_mT8_P12ihipStream_tbDpT10_ENKUlT_T0_E_clISt17integral_constantIbLb1EES17_IbLb0EEEEDaS13_S14_EUlS13_E_NS1_11comp_targetILNS1_3genE9ELNS1_11target_archE1100ELNS1_3gpuE3ELNS1_3repE0EEENS1_30default_config_static_selectorELNS0_4arch9wavefront6targetE0EEEvT1_
	.globl	_ZN7rocprim17ROCPRIM_400000_NS6detail17trampoline_kernelINS0_14default_configENS1_25partition_config_selectorILNS1_17partition_subalgoE9EiibEEZZNS1_14partition_implILS5_9ELb0ES3_jN6thrust23THRUST_200600_302600_NS6detail15normal_iteratorINS9_10device_ptrIiEEEESE_PNS0_10empty_typeENS0_5tupleIJSE_SF_EEENSH_IJSE_SG_EEENS0_18inequality_wrapperINS9_8equal_toIiEEEEPmJSF_EEE10hipError_tPvRmT3_T4_T5_T6_T7_T9_mT8_P12ihipStream_tbDpT10_ENKUlT_T0_E_clISt17integral_constantIbLb1EES17_IbLb0EEEEDaS13_S14_EUlS13_E_NS1_11comp_targetILNS1_3genE9ELNS1_11target_archE1100ELNS1_3gpuE3ELNS1_3repE0EEENS1_30default_config_static_selectorELNS0_4arch9wavefront6targetE0EEEvT1_
	.p2align	8
	.type	_ZN7rocprim17ROCPRIM_400000_NS6detail17trampoline_kernelINS0_14default_configENS1_25partition_config_selectorILNS1_17partition_subalgoE9EiibEEZZNS1_14partition_implILS5_9ELb0ES3_jN6thrust23THRUST_200600_302600_NS6detail15normal_iteratorINS9_10device_ptrIiEEEESE_PNS0_10empty_typeENS0_5tupleIJSE_SF_EEENSH_IJSE_SG_EEENS0_18inequality_wrapperINS9_8equal_toIiEEEEPmJSF_EEE10hipError_tPvRmT3_T4_T5_T6_T7_T9_mT8_P12ihipStream_tbDpT10_ENKUlT_T0_E_clISt17integral_constantIbLb1EES17_IbLb0EEEEDaS13_S14_EUlS13_E_NS1_11comp_targetILNS1_3genE9ELNS1_11target_archE1100ELNS1_3gpuE3ELNS1_3repE0EEENS1_30default_config_static_selectorELNS0_4arch9wavefront6targetE0EEEvT1_,@function
_ZN7rocprim17ROCPRIM_400000_NS6detail17trampoline_kernelINS0_14default_configENS1_25partition_config_selectorILNS1_17partition_subalgoE9EiibEEZZNS1_14partition_implILS5_9ELb0ES3_jN6thrust23THRUST_200600_302600_NS6detail15normal_iteratorINS9_10device_ptrIiEEEESE_PNS0_10empty_typeENS0_5tupleIJSE_SF_EEENSH_IJSE_SG_EEENS0_18inequality_wrapperINS9_8equal_toIiEEEEPmJSF_EEE10hipError_tPvRmT3_T4_T5_T6_T7_T9_mT8_P12ihipStream_tbDpT10_ENKUlT_T0_E_clISt17integral_constantIbLb1EES17_IbLb0EEEEDaS13_S14_EUlS13_E_NS1_11comp_targetILNS1_3genE9ELNS1_11target_archE1100ELNS1_3gpuE3ELNS1_3repE0EEENS1_30default_config_static_selectorELNS0_4arch9wavefront6targetE0EEEvT1_: ; @_ZN7rocprim17ROCPRIM_400000_NS6detail17trampoline_kernelINS0_14default_configENS1_25partition_config_selectorILNS1_17partition_subalgoE9EiibEEZZNS1_14partition_implILS5_9ELb0ES3_jN6thrust23THRUST_200600_302600_NS6detail15normal_iteratorINS9_10device_ptrIiEEEESE_PNS0_10empty_typeENS0_5tupleIJSE_SF_EEENSH_IJSE_SG_EEENS0_18inequality_wrapperINS9_8equal_toIiEEEEPmJSF_EEE10hipError_tPvRmT3_T4_T5_T6_T7_T9_mT8_P12ihipStream_tbDpT10_ENKUlT_T0_E_clISt17integral_constantIbLb1EES17_IbLb0EEEEDaS13_S14_EUlS13_E_NS1_11comp_targetILNS1_3genE9ELNS1_11target_archE1100ELNS1_3gpuE3ELNS1_3repE0EEENS1_30default_config_static_selectorELNS0_4arch9wavefront6targetE0EEEvT1_
; %bb.0:
	s_clause 0x4
	s_load_b128 s[4:7], s[0:1], 0x8
	s_load_b32 s14, s[0:1], 0x68
	s_load_b128 s[16:19], s[0:1], 0x40
	s_load_b64 s[2:3], s[0:1], 0x50
	s_load_b64 s[8:9], s[0:1], 0x18
	s_mov_b32 s23, 0
	s_mul_i32 s22, s15, 0xc00
	v_lshrrev_b32_e32 v18, 3, v0
	v_add_nc_u32_e32 v23, 0x180, v0
	v_add_nc_u32_e32 v22, 0x300, v0
	;; [unrolled: 1-line block ×3, first 2 shown]
	v_or_b32_e32 v24, 0x600, v0
	v_add_nc_u32_e32 v20, 0x780, v0
	v_add_nc_u32_e32 v17, 0x900, v0
	;; [unrolled: 1-line block ×3, first 2 shown]
	s_waitcnt lgkmcnt(0)
	s_lshl_b64 s[12:13], s[6:7], 2
	s_mul_i32 s20, s14, 0xc00
	s_add_u32 s21, s4, s12
	s_addc_u32 s24, s5, s13
	s_add_i32 s4, s20, s6
	s_load_b64 s[10:11], s[18:19], 0x0
	s_sub_i32 s19, s2, s4
	s_add_i32 s14, s14, -1
	s_addk_i32 s19, 0xc00
	s_add_u32 s4, s6, s20
	s_addc_u32 s5, s7, 0
	s_cmp_eq_u32 s15, s14
	v_cmp_ge_u64_e64 s2, s[4:5], s[2:3]
	s_cselect_b32 s14, -1, 0
	s_lshl_b64 s[4:5], s[22:23], 2
	s_mov_b32 s22, -1
	s_delay_alu instid0(VALU_DEP_1) | instskip(NEXT) | instid1(SALU_CYCLE_1)
	s_and_b32 s20, s14, s2
	s_xor_b32 s18, s20, -1
	s_add_u32 s21, s21, s4
	s_addc_u32 s3, s24, s5
	s_and_b32 vcc_lo, exec_lo, s18
	s_cbranch_vccz .LBB426_2
; %bb.1:
	v_lshlrev_b32_e32 v7, 2, v0
	v_lshrrev_b32_e32 v11, 3, v23
	v_lshrrev_b32_e32 v12, 3, v22
	;; [unrolled: 1-line block ×4, first 2 shown]
	v_add_co_u32 v1, s2, s21, v7
	s_delay_alu instid0(VALU_DEP_1) | instskip(SKIP_1) | instid1(VALU_DEP_3)
	v_add_co_ci_u32_e64 v2, null, s3, 0, s2
	v_lshrrev_b32_e32 v15, 3, v20
	v_add_co_u32 v3, vcc_lo, 0x1000, v1
	s_delay_alu instid0(VALU_DEP_3)
	v_add_co_ci_u32_e32 v4, vcc_lo, 0, v2, vcc_lo
	v_add_co_u32 v5, vcc_lo, 0x2000, v1
	v_add_co_ci_u32_e32 v6, vcc_lo, 0, v2, vcc_lo
	s_clause 0x7
	flat_load_b32 v8, v[1:2]
	flat_load_b32 v9, v[1:2] offset:1536
	flat_load_b32 v1, v[1:2] offset:3072
	;; [unrolled: 1-line block ×7, first 2 shown]
	v_and_b32_e32 v6, 60, v18
	v_lshrrev_b32_e32 v16, 3, v17
	v_lshrrev_b32_e32 v19, 3, v21
	v_and_b32_e32 v11, 0x7c, v11
	v_and_b32_e32 v12, 0xfc, v12
	;; [unrolled: 1-line block ×4, first 2 shown]
	v_add_nc_u32_e32 v6, v6, v7
	v_and_b32_e32 v15, 0x1fc, v15
	v_and_b32_e32 v16, 0x17c, v16
	;; [unrolled: 1-line block ×3, first 2 shown]
	v_add_nc_u32_e32 v11, v11, v7
	v_add_nc_u32_e32 v12, v12, v7
	;; [unrolled: 1-line block ×4, first 2 shown]
	s_mov_b32 s22, 0
	v_add_nc_u32_e32 v15, v15, v7
	v_add_nc_u32_e32 v16, v16, v7
	v_add_nc_u32_e32 v7, v19, v7
	s_waitcnt vmcnt(7) lgkmcnt(0)
	ds_store_b32 v6, v8
	s_waitcnt vmcnt(6)
	ds_store_b32 v11, v9 offset:1536
	s_waitcnt vmcnt(5)
	ds_store_b32 v12, v1 offset:3072
	;; [unrolled: 2-line block ×7, first 2 shown]
	s_waitcnt lgkmcnt(0)
	s_barrier
.LBB426_2:
	v_cmp_gt_u32_e64 s2, s19, v0
	s_and_not1_b32 vcc_lo, exec_lo, s22
	s_cbranch_vccnz .LBB426_20
; %bb.3:
                                        ; implicit-def: $vgpr1_vgpr2_vgpr3_vgpr4_vgpr5_vgpr6_vgpr7_vgpr8
	s_delay_alu instid0(VALU_DEP_1)
	s_and_saveexec_b32 s22, s2
	s_cbranch_execz .LBB426_11
; %bb.4:
	v_lshlrev_b32_e32 v1, 2, v0
	s_delay_alu instid0(VALU_DEP_1) | instskip(NEXT) | instid1(VALU_DEP_1)
	v_add_co_u32 v1, s2, s21, v1
	v_add_co_ci_u32_e64 v2, null, s3, 0, s2
	flat_load_b32 v1, v[1:2]
	s_or_b32 exec_lo, exec_lo, s22
	s_delay_alu instid0(SALU_CYCLE_1)
	s_mov_b32 s2, exec_lo
	v_cmpx_gt_u32_e64 s19, v23
	s_cbranch_execnz .LBB426_12
.LBB426_5:
	s_or_b32 exec_lo, exec_lo, s2
	s_delay_alu instid0(SALU_CYCLE_1)
	s_mov_b32 s2, exec_lo
	v_cmpx_gt_u32_e64 s19, v22
	s_cbranch_execz .LBB426_13
.LBB426_6:
	v_lshlrev_b32_e32 v3, 2, v0
	s_delay_alu instid0(VALU_DEP_1) | instskip(NEXT) | instid1(VALU_DEP_1)
	v_add_co_u32 v9, s22, s21, v3
	v_add_co_ci_u32_e64 v10, null, s3, 0, s22
	flat_load_b32 v3, v[9:10] offset:3072
	s_or_b32 exec_lo, exec_lo, s2
	s_delay_alu instid0(SALU_CYCLE_1)
	s_mov_b32 s2, exec_lo
	v_cmpx_gt_u32_e64 s19, v25
	s_cbranch_execnz .LBB426_14
.LBB426_7:
	s_or_b32 exec_lo, exec_lo, s2
	s_delay_alu instid0(SALU_CYCLE_1)
	s_mov_b32 s2, exec_lo
	v_cmpx_gt_u32_e64 s19, v24
	s_cbranch_execz .LBB426_15
.LBB426_8:
	v_lshlrev_b32_e32 v5, 2, v24
	s_delay_alu instid0(VALU_DEP_1) | instskip(NEXT) | instid1(VALU_DEP_1)
	v_add_co_u32 v9, s22, s21, v5
	v_add_co_ci_u32_e64 v10, null, s3, 0, s22
	flat_load_b32 v5, v[9:10]
	s_or_b32 exec_lo, exec_lo, s2
	s_delay_alu instid0(SALU_CYCLE_1)
	s_mov_b32 s2, exec_lo
	v_cmpx_gt_u32_e64 s19, v20
	s_cbranch_execnz .LBB426_16
.LBB426_9:
	s_or_b32 exec_lo, exec_lo, s2
	s_delay_alu instid0(SALU_CYCLE_1)
	s_mov_b32 s2, exec_lo
	v_cmpx_gt_u32_e64 s19, v17
	s_cbranch_execz .LBB426_17
.LBB426_10:
	v_lshlrev_b32_e32 v7, 2, v17
	s_delay_alu instid0(VALU_DEP_1) | instskip(NEXT) | instid1(VALU_DEP_1)
	v_add_co_u32 v9, s22, s21, v7
	v_add_co_ci_u32_e64 v10, null, s3, 0, s22
	flat_load_b32 v7, v[9:10]
	s_or_b32 exec_lo, exec_lo, s2
	s_delay_alu instid0(SALU_CYCLE_1)
	s_mov_b32 s2, exec_lo
	v_cmpx_gt_u32_e64 s19, v21
	s_cbranch_execnz .LBB426_18
	s_branch .LBB426_19
.LBB426_11:
	s_or_b32 exec_lo, exec_lo, s22
	s_delay_alu instid0(SALU_CYCLE_1)
	s_mov_b32 s2, exec_lo
	v_cmpx_gt_u32_e64 s19, v23
	s_cbranch_execz .LBB426_5
.LBB426_12:
	v_lshlrev_b32_e32 v2, 2, v0
	s_delay_alu instid0(VALU_DEP_1) | instskip(NEXT) | instid1(VALU_DEP_1)
	v_add_co_u32 v9, s22, s21, v2
	v_add_co_ci_u32_e64 v10, null, s3, 0, s22
	flat_load_b32 v2, v[9:10] offset:1536
	s_or_b32 exec_lo, exec_lo, s2
	s_delay_alu instid0(SALU_CYCLE_1)
	s_mov_b32 s2, exec_lo
	v_cmpx_gt_u32_e64 s19, v22
	s_cbranch_execnz .LBB426_6
.LBB426_13:
	s_or_b32 exec_lo, exec_lo, s2
	s_delay_alu instid0(SALU_CYCLE_1)
	s_mov_b32 s2, exec_lo
	v_cmpx_gt_u32_e64 s19, v25
	s_cbranch_execz .LBB426_7
.LBB426_14:
	v_lshlrev_b32_e32 v4, 2, v25
	s_delay_alu instid0(VALU_DEP_1) | instskip(NEXT) | instid1(VALU_DEP_1)
	v_add_co_u32 v9, s22, s21, v4
	v_add_co_ci_u32_e64 v10, null, s3, 0, s22
	flat_load_b32 v4, v[9:10]
	s_or_b32 exec_lo, exec_lo, s2
	s_delay_alu instid0(SALU_CYCLE_1)
	s_mov_b32 s2, exec_lo
	v_cmpx_gt_u32_e64 s19, v24
	s_cbranch_execnz .LBB426_8
.LBB426_15:
	s_or_b32 exec_lo, exec_lo, s2
	s_delay_alu instid0(SALU_CYCLE_1)
	s_mov_b32 s2, exec_lo
	v_cmpx_gt_u32_e64 s19, v20
	s_cbranch_execz .LBB426_9
.LBB426_16:
	v_lshlrev_b32_e32 v6, 2, v20
	s_delay_alu instid0(VALU_DEP_1) | instskip(NEXT) | instid1(VALU_DEP_1)
	v_add_co_u32 v9, s22, s21, v6
	v_add_co_ci_u32_e64 v10, null, s3, 0, s22
	flat_load_b32 v6, v[9:10]
	s_or_b32 exec_lo, exec_lo, s2
	s_delay_alu instid0(SALU_CYCLE_1)
	s_mov_b32 s2, exec_lo
	v_cmpx_gt_u32_e64 s19, v17
	s_cbranch_execnz .LBB426_10
.LBB426_17:
	s_or_b32 exec_lo, exec_lo, s2
	s_delay_alu instid0(SALU_CYCLE_1)
	s_mov_b32 s2, exec_lo
	v_cmpx_gt_u32_e64 s19, v21
	s_cbranch_execz .LBB426_19
.LBB426_18:
	v_lshlrev_b32_e32 v8, 2, v21
	s_delay_alu instid0(VALU_DEP_1) | instskip(NEXT) | instid1(VALU_DEP_1)
	v_add_co_u32 v8, s22, s21, v8
	v_add_co_ci_u32_e64 v9, null, s3, 0, s22
	flat_load_b32 v8, v[8:9]
.LBB426_19:
	s_or_b32 exec_lo, exec_lo, s2
	v_lshrrev_b32_e32 v9, 3, v23
	v_lshrrev_b32_e32 v10, 3, v22
	;; [unrolled: 1-line block ×4, first 2 shown]
	v_and_b32_e32 v11, 60, v18
	v_lshlrev_b32_e32 v12, 2, v0
	v_lshrrev_b32_e32 v15, 3, v20
	v_lshrrev_b32_e32 v16, 3, v17
	;; [unrolled: 1-line block ×3, first 2 shown]
	v_and_b32_e32 v9, 0x7c, v9
	v_and_b32_e32 v10, 0xfc, v10
	;; [unrolled: 1-line block ×4, first 2 shown]
	v_add_nc_u32_e32 v11, v11, v12
	v_and_b32_e32 v15, 0x1fc, v15
	v_and_b32_e32 v16, 0x1fc, v16
	;; [unrolled: 1-line block ×3, first 2 shown]
	v_add_nc_u32_e32 v9, v9, v12
	v_add_nc_u32_e32 v10, v10, v12
	v_add_nc_u32_e32 v13, v13, v12
	v_add_nc_u32_e32 v14, v14, v12
	v_add_nc_u32_e32 v15, v15, v12
	v_add_nc_u32_e32 v16, v16, v12
	v_add_nc_u32_e32 v12, v19, v12
	s_waitcnt vmcnt(0) lgkmcnt(0)
	ds_store_b32 v11, v1
	ds_store_b32 v9, v2 offset:1536
	ds_store_b32 v10, v3 offset:3072
	;; [unrolled: 1-line block ×7, first 2 shown]
	s_waitcnt lgkmcnt(0)
	s_barrier
.LBB426_20:
	v_lshlrev_b32_e32 v19, 3, v0
	v_lshrrev_b32_e32 v1, 2, v0
	s_waitcnt lgkmcnt(0)
	buffer_gl0_inv
	s_add_u32 s2, s8, s12
	s_addc_u32 s8, s9, s13
	s_add_u32 s2, s2, s4
	v_add_lshl_u32 v1, v1, v19, 2
	s_addc_u32 s4, s8, s5
	s_and_b32 vcc_lo, exec_lo, s18
	s_mov_b32 s5, -1
	ds_load_2addr_b32 v[15:16], v1 offset1:1
	ds_load_2addr_b32 v[13:14], v1 offset0:2 offset1:3
	ds_load_2addr_b32 v[11:12], v1 offset0:4 offset1:5
	;; [unrolled: 1-line block ×3, first 2 shown]
	s_waitcnt lgkmcnt(0)
	s_barrier
	buffer_gl0_inv
	s_cbranch_vccz .LBB426_22
; %bb.21:
	v_lshlrev_b32_e32 v8, 2, v0
	v_lshrrev_b32_e32 v29, 3, v23
	v_lshrrev_b32_e32 v30, 3, v22
	;; [unrolled: 1-line block ×4, first 2 shown]
	v_add_co_u32 v2, s5, s2, v8
	s_delay_alu instid0(VALU_DEP_1) | instskip(SKIP_1) | instid1(VALU_DEP_3)
	v_add_co_ci_u32_e64 v3, null, s4, 0, s5
	v_lshrrev_b32_e32 v33, 3, v20
	v_add_co_u32 v4, vcc_lo, 0x1000, v2
	s_delay_alu instid0(VALU_DEP_3)
	v_add_co_ci_u32_e32 v5, vcc_lo, 0, v3, vcc_lo
	v_add_co_u32 v6, vcc_lo, 0x2000, v2
	v_add_co_ci_u32_e32 v7, vcc_lo, 0, v3, vcc_lo
	s_clause 0x7
	flat_load_b32 v26, v[2:3]
	flat_load_b32 v27, v[2:3] offset:1536
	flat_load_b32 v2, v[2:3] offset:3072
	flat_load_b32 v3, v[4:5] offset:512
	flat_load_b32 v28, v[4:5] offset:2048
	flat_load_b32 v4, v[4:5] offset:3584
	flat_load_b32 v5, v[6:7] offset:1024
	flat_load_b32 v6, v[6:7] offset:2560
	v_and_b32_e32 v7, 60, v18
	v_lshrrev_b32_e32 v34, 3, v17
	v_lshrrev_b32_e32 v35, 3, v21
	v_and_b32_e32 v29, 0x7c, v29
	v_and_b32_e32 v30, 0xfc, v30
	;; [unrolled: 1-line block ×4, first 2 shown]
	v_add_nc_u32_e32 v7, v7, v8
	v_and_b32_e32 v33, 0x1fc, v33
	v_and_b32_e32 v34, 0x17c, v34
	;; [unrolled: 1-line block ×3, first 2 shown]
	v_add_nc_u32_e32 v29, v29, v8
	v_add_nc_u32_e32 v30, v30, v8
	;; [unrolled: 1-line block ×4, first 2 shown]
	s_mov_b32 s5, 0
	v_add_nc_u32_e32 v33, v33, v8
	v_add_nc_u32_e32 v34, v34, v8
	;; [unrolled: 1-line block ×3, first 2 shown]
	s_waitcnt vmcnt(7) lgkmcnt(7)
	ds_store_b32 v7, v26
	s_waitcnt vmcnt(6) lgkmcnt(7)
	ds_store_b32 v29, v27 offset:1536
	s_waitcnt vmcnt(5) lgkmcnt(7)
	ds_store_b32 v30, v2 offset:3072
	;; [unrolled: 2-line block ×7, first 2 shown]
	s_waitcnt lgkmcnt(0)
	s_barrier
.LBB426_22:
	s_and_not1_b32 vcc_lo, exec_lo, s5
	s_cbranch_vccnz .LBB426_40
; %bb.23:
	s_mov_b32 s5, exec_lo
                                        ; implicit-def: $vgpr2
	v_cmpx_gt_u32_e64 s19, v0
	s_cbranch_execz .LBB426_25
; %bb.24:
	v_lshlrev_b32_e32 v2, 2, v0
	s_delay_alu instid0(VALU_DEP_1) | instskip(NEXT) | instid1(VALU_DEP_1)
	v_add_co_u32 v2, s8, s2, v2
	v_add_co_ci_u32_e64 v3, null, s4, 0, s8
	flat_load_b32 v2, v[2:3]
.LBB426_25:
	s_or_b32 exec_lo, exec_lo, s5
	s_delay_alu instid0(SALU_CYCLE_1)
	s_mov_b32 s5, exec_lo
                                        ; implicit-def: $vgpr3
	v_cmpx_gt_u32_e64 s19, v23
	s_cbranch_execz .LBB426_27
; %bb.26:
	v_lshlrev_b32_e32 v3, 2, v0
	s_delay_alu instid0(VALU_DEP_1) | instskip(NEXT) | instid1(VALU_DEP_1)
	v_add_co_u32 v3, s8, s2, v3
	v_add_co_ci_u32_e64 v4, null, s4, 0, s8
	flat_load_b32 v3, v[3:4] offset:1536
.LBB426_27:
	s_or_b32 exec_lo, exec_lo, s5
	s_delay_alu instid0(SALU_CYCLE_1)
	s_mov_b32 s5, exec_lo
                                        ; implicit-def: $vgpr4
	v_cmpx_gt_u32_e64 s19, v22
	s_cbranch_execz .LBB426_29
; %bb.28:
	v_lshlrev_b32_e32 v4, 2, v0
	s_delay_alu instid0(VALU_DEP_1) | instskip(NEXT) | instid1(VALU_DEP_1)
	v_add_co_u32 v4, s8, s2, v4
	v_add_co_ci_u32_e64 v5, null, s4, 0, s8
	flat_load_b32 v4, v[4:5] offset:3072
.LBB426_29:
	s_or_b32 exec_lo, exec_lo, s5
	s_delay_alu instid0(SALU_CYCLE_1)
	s_mov_b32 s5, exec_lo
                                        ; implicit-def: $vgpr5
	v_cmpx_gt_u32_e64 s19, v25
	s_cbranch_execz .LBB426_31
; %bb.30:
	v_lshlrev_b32_e32 v5, 2, v25
	s_delay_alu instid0(VALU_DEP_1) | instskip(NEXT) | instid1(VALU_DEP_1)
	v_add_co_u32 v5, s8, s2, v5
	v_add_co_ci_u32_e64 v6, null, s4, 0, s8
	flat_load_b32 v5, v[5:6]
.LBB426_31:
	s_or_b32 exec_lo, exec_lo, s5
	s_delay_alu instid0(SALU_CYCLE_1)
	s_mov_b32 s5, exec_lo
                                        ; implicit-def: $vgpr6
	v_cmpx_gt_u32_e64 s19, v24
	s_cbranch_execz .LBB426_33
; %bb.32:
	v_lshlrev_b32_e32 v6, 2, v24
	s_delay_alu instid0(VALU_DEP_1) | instskip(NEXT) | instid1(VALU_DEP_1)
	v_add_co_u32 v6, s8, s2, v6
	v_add_co_ci_u32_e64 v7, null, s4, 0, s8
	flat_load_b32 v6, v[6:7]
.LBB426_33:
	s_or_b32 exec_lo, exec_lo, s5
	s_delay_alu instid0(SALU_CYCLE_1)
	s_mov_b32 s5, exec_lo
                                        ; implicit-def: $vgpr7
	v_cmpx_gt_u32_e64 s19, v20
	s_cbranch_execz .LBB426_35
; %bb.34:
	v_lshlrev_b32_e32 v7, 2, v20
	s_delay_alu instid0(VALU_DEP_1) | instskip(NEXT) | instid1(VALU_DEP_1)
	v_add_co_u32 v7, s8, s2, v7
	v_add_co_ci_u32_e64 v8, null, s4, 0, s8
	flat_load_b32 v7, v[7:8]
.LBB426_35:
	s_or_b32 exec_lo, exec_lo, s5
	s_delay_alu instid0(SALU_CYCLE_1)
	s_mov_b32 s5, exec_lo
                                        ; implicit-def: $vgpr8
	v_cmpx_gt_u32_e64 s19, v17
	s_cbranch_execz .LBB426_37
; %bb.36:
	v_lshlrev_b32_e32 v8, 2, v17
	s_delay_alu instid0(VALU_DEP_1) | instskip(NEXT) | instid1(VALU_DEP_1)
	v_add_co_u32 v26, s8, s2, v8
	v_add_co_ci_u32_e64 v27, null, s4, 0, s8
	flat_load_b32 v8, v[26:27]
.LBB426_37:
	s_or_b32 exec_lo, exec_lo, s5
	s_delay_alu instid0(SALU_CYCLE_1)
	s_mov_b32 s5, exec_lo
                                        ; implicit-def: $vgpr26
	v_cmpx_gt_u32_e64 s19, v21
	s_cbranch_execz .LBB426_39
; %bb.38:
	v_lshlrev_b32_e32 v26, 2, v21
	s_delay_alu instid0(VALU_DEP_1) | instskip(NEXT) | instid1(VALU_DEP_1)
	v_add_co_u32 v26, s2, s2, v26
	v_add_co_ci_u32_e64 v27, null, s4, 0, s2
	flat_load_b32 v26, v[26:27]
.LBB426_39:
	s_or_b32 exec_lo, exec_lo, s5
	v_lshrrev_b32_e32 v23, 3, v23
	v_lshrrev_b32_e32 v22, 3, v22
	;; [unrolled: 1-line block ×4, first 2 shown]
	v_and_b32_e32 v18, 60, v18
	v_lshlrev_b32_e32 v27, 2, v0
	v_lshrrev_b32_e32 v20, 3, v20
	v_lshrrev_b32_e32 v17, 3, v17
	v_lshrrev_b32_e32 v21, 3, v21
	v_and_b32_e32 v23, 0x7c, v23
	v_and_b32_e32 v22, 0xfc, v22
	;; [unrolled: 1-line block ×4, first 2 shown]
	v_add_nc_u32_e32 v18, v18, v27
	v_and_b32_e32 v20, 0x1fc, v20
	v_and_b32_e32 v17, 0x1fc, v17
	;; [unrolled: 1-line block ×3, first 2 shown]
	v_add_nc_u32_e32 v23, v23, v27
	v_add_nc_u32_e32 v22, v22, v27
	;; [unrolled: 1-line block ×7, first 2 shown]
	s_waitcnt vmcnt(0) lgkmcnt(0)
	ds_store_b32 v18, v2
	ds_store_b32 v23, v3 offset:1536
	ds_store_b32 v22, v4 offset:3072
	;; [unrolled: 1-line block ×7, first 2 shown]
	s_waitcnt lgkmcnt(0)
	s_barrier
.LBB426_40:
	buffer_gl0_inv
	ds_load_2addr_b32 v[7:8], v1 offset1:1
	ds_load_2addr_b32 v[5:6], v1 offset0:2 offset1:3
	ds_load_2addr_b32 v[3:4], v1 offset0:4 offset1:5
	;; [unrolled: 1-line block ×3, first 2 shown]
	s_cmp_lg_u32 s15, 0
	s_mov_b32 s12, 0
	s_cselect_b32 s9, -1, 0
	s_cmp_lg_u64 s[6:7], 0
	s_waitcnt lgkmcnt(0)
	s_cselect_b32 s2, -1, 0
	s_barrier
	s_or_b32 s2, s9, s2
	buffer_gl0_inv
	s_and_b32 vcc_lo, exec_lo, s2
	s_cbranch_vccz .LBB426_45
; %bb.41:
	v_add_co_u32 v17, s2, -4, s21
	s_delay_alu instid0(VALU_DEP_1)
	v_add_co_ci_u32_e64 v18, null, -1, s3, s2
	v_lshlrev_b32_e32 v21, 2, v0
	s_mov_b32 s3, -1
	s_and_b32 vcc_lo, exec_lo, s18
	flat_load_b32 v20, v[17:18]
	ds_store_b32 v21, v10
	s_cbranch_vccz .LBB426_46
; %bb.42:
	s_waitcnt vmcnt(0) lgkmcnt(1)
	v_mov_b32_e32 v17, v20
	s_mov_b32 s3, 0
	s_mov_b32 s2, exec_lo
	s_waitcnt lgkmcnt(0)
	s_barrier
	buffer_gl0_inv
	v_cmpx_ne_u32_e32 0, v0
	s_cbranch_execz .LBB426_44
; %bb.43:
	v_add_nc_u32_e32 v17, -4, v21
	ds_load_b32 v17, v17
.LBB426_44:
	s_or_b32 exec_lo, exec_lo, s2
	v_cmp_ne_u32_e32 vcc_lo, v9, v10
	s_waitcnt lgkmcnt(0)
	v_cmp_ne_u32_e64 s2, v17, v15
	v_cndmask_b32_e64 v18, 0, 1, vcc_lo
	v_cmp_ne_u32_e32 vcc_lo, v12, v9
	s_delay_alu instid0(VALU_DEP_2) | instskip(SKIP_2) | instid1(VALU_DEP_2)
	v_lshlrev_b16 v18, 8, v18
	v_cndmask_b32_e64 v22, 0, 1, vcc_lo
	v_cmp_ne_u32_e32 vcc_lo, v11, v12
	v_or_b32_e32 v18, v22, v18
	v_cndmask_b32_e64 v23, 0, 1, vcc_lo
	v_cmp_ne_u32_e32 vcc_lo, v13, v14
	s_delay_alu instid0(VALU_DEP_3) | instskip(NEXT) | instid1(VALU_DEP_3)
	v_lshlrev_b32_e32 v18, 16, v18
	v_lshlrev_b16 v23, 8, v23
	v_cndmask_b32_e64 v24, 0, 1, vcc_lo
	v_cmp_ne_u32_e32 vcc_lo, v14, v11
	s_delay_alu instid0(VALU_DEP_2) | instskip(SKIP_2) | instid1(VALU_DEP_2)
	v_lshlrev_b16 v24, 8, v24
	v_cndmask_b32_e64 v25, 0, 1, vcc_lo
	v_cmp_ne_u32_e32 vcc_lo, v16, v13
	v_or_b32_e32 v23, v25, v23
	v_cndmask_b32_e64 v26, 0, 1, vcc_lo
	v_cmp_ne_u32_e32 vcc_lo, v15, v16
	s_delay_alu instid0(VALU_DEP_3) | instskip(NEXT) | instid1(VALU_DEP_3)
	v_and_b32_e32 v23, 0xffff, v23
	v_or_b32_e32 v24, v26, v24
	v_cndmask_b32_e64 v27, 0, 1, vcc_lo
	s_delay_alu instid0(VALU_DEP_3) | instskip(NEXT) | instid1(VALU_DEP_3)
	v_or_b32_e32 v18, v23, v18
	v_lshlrev_b32_e32 v22, 16, v24
	s_delay_alu instid0(VALU_DEP_3) | instskip(NEXT) | instid1(VALU_DEP_1)
	v_lshlrev_b16 v26, 8, v27
	v_and_b32_e32 v24, 0xffff, v26
	s_delay_alu instid0(VALU_DEP_1)
	v_or_b32_e32 v17, v24, v22
	s_and_b32 vcc_lo, exec_lo, s3
	s_cbranch_vccnz .LBB426_47
	s_branch .LBB426_50
.LBB426_45:
                                        ; implicit-def: $sgpr2
                                        ; implicit-def: $vgpr18
	s_branch .LBB426_51
.LBB426_46:
                                        ; implicit-def: $sgpr2
                                        ; implicit-def: $vgpr18
	s_and_b32 vcc_lo, exec_lo, s3
	s_cbranch_vccz .LBB426_50
.LBB426_47:
	s_mov_b32 s2, exec_lo
	s_waitcnt vmcnt(0) lgkmcnt(0)
	s_barrier
	buffer_gl0_inv
	v_cmpx_ne_u32_e32 0, v0
	s_cbranch_execz .LBB426_49
; %bb.48:
	v_add_nc_u32_e32 v17, -4, v21
	ds_load_b32 v20, v17
.LBB426_49:
	s_or_b32 exec_lo, exec_lo, s2
	v_or_b32_e32 v17, 7, v19
	v_or_b32_e32 v18, 6, v19
	;; [unrolled: 1-line block ×3, first 2 shown]
	v_cmp_ne_u32_e32 vcc_lo, v9, v10
	v_cmp_ne_u32_e64 s3, v12, v9
	v_cmp_gt_u32_e64 s2, s19, v17
	v_cmp_gt_u32_e64 s5, s19, v18
	v_cmp_ne_u32_e64 s4, v11, v12
	v_cmp_gt_u32_e64 s6, s19, v21
	v_or_b32_e32 v18, 3, v19
	s_and_b32 s2, s2, vcc_lo
	v_or_b32_e32 v22, 4, v19
	v_cndmask_b32_e64 v17, 0, 1, s2
	s_and_b32 s2, s5, s3
	v_cmp_gt_u32_e32 vcc_lo, s19, v18
	v_cndmask_b32_e64 v21, 0, 1, s2
	s_and_b32 s2, s6, s4
	v_or_b32_e32 v18, 2, v19
	v_cndmask_b32_e64 v23, 0, 1, s2
	v_cmp_ne_u32_e64 s2, v13, v14
	v_cmp_gt_u32_e64 s3, s19, v22
	v_or_b32_e32 v22, 1, v19
	v_cmp_ne_u32_e64 s4, v14, v11
	v_cmp_ne_u32_e64 s6, v15, v16
	s_and_b32 s2, vcc_lo, s2
	v_cmp_gt_u32_e32 vcc_lo, s19, v18
	v_cndmask_b32_e64 v24, 0, 1, s2
	v_cmp_ne_u32_e64 s2, v16, v13
	v_cmp_gt_u32_e64 s5, s19, v22
	s_and_b32 s3, s3, s4
	v_lshlrev_b16 v23, 8, v23
	v_cndmask_b32_e64 v18, 0, 1, s3
	s_and_b32 s2, vcc_lo, s2
	v_lshlrev_b16 v24, 8, v24
	v_cndmask_b32_e64 v22, 0, 1, s2
	s_and_b32 s2, s5, s6
	v_lshlrev_b16 v17, 8, v17
	v_cndmask_b32_e64 v25, 0, 1, s2
	v_or_b32_e32 v18, v18, v23
	v_or_b32_e32 v22, v22, v24
	v_cmp_gt_u32_e32 vcc_lo, s19, v19
	v_or_b32_e32 v17, v21, v17
	v_lshlrev_b16 v24, 8, v25
	v_and_b32_e32 v18, 0xffff, v18
	v_lshlrev_b32_e32 v21, 16, v22
	s_waitcnt lgkmcnt(0)
	v_cmp_ne_u32_e64 s2, v20, v15
	v_lshlrev_b32_e32 v23, 16, v17
	v_and_b32_e32 v22, 0xffff, v24
	s_delay_alu instid0(VALU_DEP_3) | instskip(NEXT) | instid1(VALU_DEP_2)
	s_and_b32 s2, vcc_lo, s2
	v_or_b32_e32 v18, v18, v23
	s_delay_alu instid0(VALU_DEP_2)
	v_or_b32_e32 v17, v22, v21
.LBB426_50:
	s_mov_b32 s12, -1
	s_cbranch_execnz .LBB426_59
.LBB426_51:
	s_waitcnt vmcnt(0) lgkmcnt(1)
	v_lshlrev_b32_e32 v20, 2, v0
	v_cmp_ne_u32_e64 s3, v9, v10
	v_cmp_ne_u32_e64 s4, v12, v9
	;; [unrolled: 1-line block ×7, first 2 shown]
	s_and_b32 vcc_lo, exec_lo, s18
	ds_store_b32 v20, v10
	s_cbranch_vccz .LBB426_55
; %bb.52:
	v_cndmask_b32_e64 v17, 0, 1, s3
	v_cndmask_b32_e64 v21, 0, 1, s5
	;; [unrolled: 1-line block ×7, first 2 shown]
	v_lshlrev_b16 v21, 8, v21
	v_lshlrev_b16 v17, 8, v17
	;; [unrolled: 1-line block ×4, first 2 shown]
	s_mov_b32 s3, 0
	v_or_b32_e32 v21, v22, v21
	v_or_b32_e32 v17, v18, v17
	;; [unrolled: 1-line block ×4, first 2 shown]
	s_mov_b32 s4, exec_lo
	v_and_b32_e32 v21, 0xffff, v21
	v_lshlrev_b32_e32 v17, 16, v17
	v_lshlrev_b32_e32 v23, 16, v18
	v_and_b32_e32 v22, 0xffff, v22
	s_waitcnt lgkmcnt(0)
	s_barrier
	v_or_b32_e32 v18, v21, v17
	buffer_gl0_inv
	v_or_b32_e32 v17, v22, v23
                                        ; implicit-def: $sgpr2
	v_cmpx_ne_u32_e32 0, v0
	s_xor_b32 s4, exec_lo, s4
	s_cbranch_execz .LBB426_54
; %bb.53:
	v_add_nc_u32_e32 v21, -4, v20
	s_or_b32 s12, s12, exec_lo
	ds_load_b32 v21, v21
	s_waitcnt lgkmcnt(0)
	v_cmp_ne_u32_e32 vcc_lo, v21, v15
	s_and_b32 s2, vcc_lo, exec_lo
.LBB426_54:
	s_or_b32 exec_lo, exec_lo, s4
	s_delay_alu instid0(SALU_CYCLE_1)
	s_and_b32 vcc_lo, exec_lo, s3
	s_cbranch_vccnz .LBB426_56
	s_branch .LBB426_59
.LBB426_55:
                                        ; implicit-def: $sgpr2
                                        ; implicit-def: $vgpr18
	s_cbranch_execz .LBB426_59
.LBB426_56:
	v_or_b32_e32 v17, 7, v19
	v_or_b32_e32 v18, 6, v19
	v_cmp_ne_u32_e32 vcc_lo, v9, v10
	v_cmp_ne_u32_e64 s3, v12, v9
	v_or_b32_e32 v21, 5, v19
	v_cmp_gt_u32_e64 s2, s19, v17
	v_cmp_gt_u32_e64 s4, s19, v18
	v_or_b32_e32 v17, 4, v19
	v_or_b32_e32 v22, 3, v19
	v_cmp_gt_u32_e64 s5, s19, v21
	s_and_b32 s2, s2, vcc_lo
	v_cmp_ne_u32_e32 vcc_lo, v11, v12
	v_cndmask_b32_e64 v18, 0, 1, s2
	s_and_b32 s2, s4, s3
	v_cmp_ne_u32_e64 s3, v14, v11
	v_cndmask_b32_e64 v21, 0, 1, s2
	v_cmp_gt_u32_e64 s2, s19, v17
	v_or_b32_e32 v23, 1, v19
	s_and_b32 s4, s5, vcc_lo
	v_cmp_gt_u32_e32 vcc_lo, s19, v22
	v_cndmask_b32_e64 v17, 0, 1, s4
	s_and_b32 s2, s2, s3
	v_or_b32_e32 v25, 2, v19
	v_cndmask_b32_e64 v24, 0, 1, s2
	v_cmp_ne_u32_e64 s2, v13, v14
	v_cmp_gt_u32_e64 s3, s19, v23
	v_cmp_ne_u32_e64 s4, v15, v16
	v_cmp_gt_u32_e64 s5, s19, v25
	v_cmp_ne_u32_e64 s6, v16, v13
	s_and_b32 s2, vcc_lo, s2
	v_lshlrev_b16 v17, 8, v17
	v_cndmask_b32_e64 v22, 0, 1, s2
	s_and_b32 s2, s3, s4
	v_lshlrev_b16 v18, 8, v18
	v_cndmask_b32_e64 v23, 0, 1, s2
	s_and_b32 s2, s5, s6
	v_lshlrev_b16 v22, 8, v22
	v_cndmask_b32_e64 v25, 0, 1, s2
	v_or_b32_e32 v17, v24, v17
	v_lshlrev_b16 v23, 8, v23
	v_or_b32_e32 v18, v21, v18
	s_mov_b32 s3, exec_lo
	v_or_b32_e32 v21, v25, v22
	v_and_b32_e32 v17, 0xffff, v17
	v_or_b32_e32 v22, 1, v23
	v_lshlrev_b32_e32 v18, 16, v18
	s_waitcnt lgkmcnt(0)
	v_lshlrev_b32_e32 v21, 16, v21
	s_barrier
	v_and_b32_e32 v22, 0xffff, v22
	v_or_b32_e32 v18, v17, v18
	buffer_gl0_inv
                                        ; implicit-def: $sgpr2
	v_or_b32_e32 v17, v22, v21
	v_cmpx_ne_u32_e32 0, v0
	s_cbranch_execz .LBB426_58
; %bb.57:
	v_add_nc_u32_e32 v20, -4, v20
	v_cmp_gt_u32_e32 vcc_lo, s19, v19
	s_or_b32 s12, s12, exec_lo
	ds_load_b32 v20, v20
	s_waitcnt lgkmcnt(0)
	v_cmp_ne_u32_e64 s2, v20, v15
	s_delay_alu instid0(VALU_DEP_1) | instskip(NEXT) | instid1(SALU_CYCLE_1)
	s_and_b32 s2, vcc_lo, s2
	s_and_b32 s2, s2, exec_lo
.LBB426_58:
	s_or_b32 exec_lo, exec_lo, s3
.LBB426_59:
	s_and_saveexec_b32 s3, s12
	s_cbranch_execz .LBB426_61
; %bb.60:
	s_waitcnt vmcnt(0) lgkmcnt(1)
	v_and_b32_e32 v20, 0xffffff00, v17
	v_cndmask_b32_e64 v21, 0, 1, s2
	s_delay_alu instid0(VALU_DEP_1) | instskip(NEXT) | instid1(VALU_DEP_1)
	v_or_b32_e32 v20, v21, v20
	v_and_b32_e32 v20, 0xffff, v20
	s_delay_alu instid0(VALU_DEP_1)
	v_and_or_b32 v17, 0xffff0000, v17, v20
.LBB426_61:
	s_or_b32 exec_lo, exec_lo, s3
	s_load_b64 s[12:13], s[0:1], 0x60
	s_and_not1_b32 vcc_lo, exec_lo, s20
	s_cbranch_vccnz .LBB426_63
; %bb.62:
	v_cmp_gt_u32_e32 vcc_lo, s19, v19
	v_or_b32_e32 v21, 1, v19
	v_and_b32_e32 v22, 0xffffff00, v18
	v_or_b32_e32 v23, 2, v19
	s_waitcnt vmcnt(0) lgkmcnt(0)
	v_cndmask_b32_e32 v20, 0, v17, vcc_lo
	v_cmp_gt_u32_e32 vcc_lo, s19, v21
	v_or_b32_e32 v21, 4, v19
	v_cmp_gt_u32_e64 s2, s19, v23
	v_or_b32_e32 v23, 3, v19
	v_and_b32_e32 v20, 0xff, v20
	s_delay_alu instid0(VALU_DEP_2) | instskip(NEXT) | instid1(VALU_DEP_2)
	v_cmp_gt_u32_e64 s3, s19, v23
	v_cndmask_b32_e32 v20, v20, v17, vcc_lo
	v_cmp_gt_u32_e32 vcc_lo, s19, v21
	s_delay_alu instid0(VALU_DEP_2) | instskip(SKIP_1) | instid1(VALU_DEP_2)
	v_dual_cndmask_b32 v21, v22, v18 :: v_dual_and_b32 v20, 0xffff, v20
	v_or_b32_e32 v22, 5, v19
	v_cndmask_b32_e64 v20, v20, v17, s2
	s_delay_alu instid0(VALU_DEP_3) | instskip(NEXT) | instid1(VALU_DEP_3)
	v_and_b32_e32 v21, 0xffff00ff, v21
	v_cmp_gt_u32_e64 s2, s19, v22
	v_or_b32_e32 v22, 6, v19
	v_or_b32_e32 v19, 7, v19
	v_and_b32_e32 v20, 0xffffff, v20
	s_delay_alu instid0(VALU_DEP_4) | instskip(NEXT) | instid1(VALU_DEP_2)
	v_cndmask_b32_e64 v21, v21, v18, s2
	v_cndmask_b32_e64 v20, v20, v17, s3
	s_delay_alu instid0(VALU_DEP_2) | instskip(NEXT) | instid1(VALU_DEP_2)
	v_and_b32_e32 v21, 0xff00ffff, v21
	v_cndmask_b32_e32 v20, v20, v17, vcc_lo
	v_cmp_gt_u32_e32 vcc_lo, s19, v22
	s_delay_alu instid0(VALU_DEP_2) | instskip(NEXT) | instid1(VALU_DEP_1)
	v_cndmask_b32_e64 v20, v20, v17, s2
	v_dual_cndmask_b32 v21, v21, v18 :: v_dual_cndmask_b32 v20, v20, v17
	s_delay_alu instid0(VALU_DEP_1) | instskip(SKIP_1) | instid1(VALU_DEP_2)
	v_and_b32_e32 v21, 0xffffff, v21
	v_cmp_gt_u32_e32 vcc_lo, s19, v19
	v_dual_cndmask_b32 v18, v21, v18 :: v_dual_cndmask_b32 v17, v20, v17
.LBB426_63:
	s_delay_alu instid0(VALU_DEP_1) | instskip(NEXT) | instid1(VALU_DEP_2)
	v_and_b32_e32 v28, 0xff, v17
	v_alignbit_b32 v19, v18, v17, 24
	v_bfe_u32 v30, v17, 8, 8
	v_bfe_u32 v32, v17, 16, 8
	v_and_b32_e32 v36, 0xff, v18
	v_bfe_u32 v38, v18, 8, 8
	v_and_b32_e32 v34, 0xff, v19
	v_add_nc_u32_e32 v19, v30, v28
	s_waitcnt vmcnt(0) lgkmcnt(0)
	v_and_b32_e32 v20, 0x1e0, v0
	v_mbcnt_lo_u32_b32 v41, -1, 0
	v_bfe_u32 v40, v18, 16, 8
	v_lshrrev_b32_e32 v39, 24, v18
	v_add3_u32 v19, v19, v32, v34
	v_min_u32_e32 v20, 0x160, v20
	v_and_b32_e32 v21, 15, v41
	v_lshrrev_b32_e32 v42, 5, v0
	s_and_b32 vcc_lo, exec_lo, s9
	v_add3_u32 v19, v19, v36, v38
	v_or_b32_e32 v20, 31, v20
	v_cmp_eq_u32_e64 s4, 0, v21
	v_cmp_lt_u32_e64 s5, 1, v21
	v_cmp_lt_u32_e64 s3, 3, v21
	v_add3_u32 v43, v19, v40, v39
	v_and_b32_e32 v19, 16, v41
	v_cmp_lt_u32_e64 s2, 7, v21
	v_cmp_eq_u32_e64 s6, v20, v0
	s_mov_b32 s8, -1
	s_delay_alu instid0(VALU_DEP_3)
	v_cmp_eq_u32_e64 s7, 0, v19
	s_barrier
	buffer_gl0_inv
	s_cbranch_vccz .LBB426_94
; %bb.64:
	v_mov_b32_dpp v19, v43 row_shr:1 row_mask:0xf bank_mask:0xf
	s_delay_alu instid0(VALU_DEP_1) | instskip(NEXT) | instid1(VALU_DEP_1)
	v_cndmask_b32_e64 v19, v19, 0, s4
	v_add_nc_u32_e32 v19, v19, v43
	s_delay_alu instid0(VALU_DEP_1) | instskip(NEXT) | instid1(VALU_DEP_1)
	v_mov_b32_dpp v20, v19 row_shr:2 row_mask:0xf bank_mask:0xf
	v_cndmask_b32_e64 v20, 0, v20, s5
	s_delay_alu instid0(VALU_DEP_1) | instskip(NEXT) | instid1(VALU_DEP_1)
	v_add_nc_u32_e32 v19, v19, v20
	v_mov_b32_dpp v20, v19 row_shr:4 row_mask:0xf bank_mask:0xf
	s_delay_alu instid0(VALU_DEP_1) | instskip(NEXT) | instid1(VALU_DEP_1)
	v_cndmask_b32_e64 v20, 0, v20, s3
	v_add_nc_u32_e32 v19, v19, v20
	s_delay_alu instid0(VALU_DEP_1) | instskip(NEXT) | instid1(VALU_DEP_1)
	v_mov_b32_dpp v20, v19 row_shr:8 row_mask:0xf bank_mask:0xf
	v_cndmask_b32_e64 v20, 0, v20, s2
	s_delay_alu instid0(VALU_DEP_1) | instskip(SKIP_3) | instid1(VALU_DEP_1)
	v_add_nc_u32_e32 v19, v19, v20
	ds_swizzle_b32 v20, v19 offset:swizzle(BROADCAST,32,15)
	s_waitcnt lgkmcnt(0)
	v_cndmask_b32_e64 v20, v20, 0, s7
	v_add_nc_u32_e32 v19, v19, v20
	s_and_saveexec_b32 s8, s6
	s_cbranch_execz .LBB426_66
; %bb.65:
	v_lshlrev_b32_e32 v20, 2, v42
	ds_store_b32 v20, v19
.LBB426_66:
	s_or_b32 exec_lo, exec_lo, s8
	s_delay_alu instid0(SALU_CYCLE_1)
	s_mov_b32 s8, exec_lo
	s_waitcnt lgkmcnt(0)
	s_barrier
	buffer_gl0_inv
	v_cmpx_gt_u32_e32 12, v0
	s_cbranch_execz .LBB426_68
; %bb.67:
	v_lshlrev_b32_e32 v20, 2, v0
	ds_load_b32 v21, v20
	s_waitcnt lgkmcnt(0)
	v_mov_b32_dpp v22, v21 row_shr:1 row_mask:0xf bank_mask:0xf
	s_delay_alu instid0(VALU_DEP_1) | instskip(NEXT) | instid1(VALU_DEP_1)
	v_cndmask_b32_e64 v22, v22, 0, s4
	v_add_nc_u32_e32 v21, v22, v21
	s_delay_alu instid0(VALU_DEP_1) | instskip(NEXT) | instid1(VALU_DEP_1)
	v_mov_b32_dpp v22, v21 row_shr:2 row_mask:0xf bank_mask:0xf
	v_cndmask_b32_e64 v22, 0, v22, s5
	s_delay_alu instid0(VALU_DEP_1) | instskip(NEXT) | instid1(VALU_DEP_1)
	v_add_nc_u32_e32 v21, v21, v22
	v_mov_b32_dpp v22, v21 row_shr:4 row_mask:0xf bank_mask:0xf
	s_delay_alu instid0(VALU_DEP_1) | instskip(NEXT) | instid1(VALU_DEP_1)
	v_cndmask_b32_e64 v22, 0, v22, s3
	v_add_nc_u32_e32 v21, v21, v22
	s_delay_alu instid0(VALU_DEP_1) | instskip(NEXT) | instid1(VALU_DEP_1)
	v_mov_b32_dpp v22, v21 row_shr:8 row_mask:0xf bank_mask:0xf
	v_cndmask_b32_e64 v22, 0, v22, s2
	s_delay_alu instid0(VALU_DEP_1)
	v_add_nc_u32_e32 v21, v21, v22
	ds_store_b32 v20, v21
.LBB426_68:
	s_or_b32 exec_lo, exec_lo, s8
	v_cmp_gt_u32_e32 vcc_lo, 32, v0
	s_mov_b32 s9, exec_lo
	s_waitcnt lgkmcnt(0)
	s_barrier
	buffer_gl0_inv
                                        ; implicit-def: $vgpr27
	v_cmpx_lt_u32_e32 31, v0
	s_cbranch_execz .LBB426_70
; %bb.69:
	v_lshl_add_u32 v20, v42, 2, -4
	ds_load_b32 v27, v20
	s_waitcnt lgkmcnt(0)
	v_add_nc_u32_e32 v19, v27, v19
.LBB426_70:
	s_or_b32 exec_lo, exec_lo, s9
	v_add_nc_u32_e32 v20, -1, v41
	s_delay_alu instid0(VALU_DEP_1) | instskip(NEXT) | instid1(VALU_DEP_1)
	v_cmp_gt_i32_e64 s8, 0, v20
	v_cndmask_b32_e64 v20, v20, v41, s8
	v_cmp_eq_u32_e64 s8, 0, v41
	s_delay_alu instid0(VALU_DEP_2)
	v_lshlrev_b32_e32 v20, 2, v20
	ds_bpermute_b32 v29, v20, v19
	s_and_saveexec_b32 s9, vcc_lo
	s_cbranch_execz .LBB426_93
; %bb.71:
	v_mov_b32_e32 v23, 0
	ds_load_b32 v19, v23 offset:44
	s_and_saveexec_b32 s19, s8
	s_cbranch_execz .LBB426_73
; %bb.72:
	s_add_i32 s20, s15, 32
	s_mov_b32 s21, 0
	v_mov_b32_e32 v20, 1
	s_lshl_b64 s[20:21], s[20:21], 3
	s_delay_alu instid0(SALU_CYCLE_1)
	s_add_u32 s20, s12, s20
	s_addc_u32 s21, s13, s21
	s_waitcnt lgkmcnt(0)
	global_store_b64 v23, v[19:20], s[20:21]
.LBB426_73:
	s_or_b32 exec_lo, exec_lo, s19
	v_xad_u32 v21, v41, -1, s15
	s_mov_b32 s20, 0
	s_mov_b32 s19, exec_lo
	s_delay_alu instid0(VALU_DEP_1) | instskip(NEXT) | instid1(VALU_DEP_1)
	v_add_nc_u32_e32 v22, 32, v21
	v_lshlrev_b64 v[22:23], 3, v[22:23]
	s_delay_alu instid0(VALU_DEP_1) | instskip(NEXT) | instid1(VALU_DEP_2)
	v_add_co_u32 v25, vcc_lo, s12, v22
	v_add_co_ci_u32_e32 v26, vcc_lo, s13, v23, vcc_lo
	global_load_b64 v[23:24], v[25:26], off glc
	s_waitcnt vmcnt(0)
	v_and_b32_e32 v20, 0xff, v24
	s_delay_alu instid0(VALU_DEP_1)
	v_cmpx_eq_u16_e32 0, v20
	s_cbranch_execz .LBB426_79
; %bb.74:
	s_mov_b32 s21, 1
	.p2align	6
.LBB426_75:                             ; =>This Loop Header: Depth=1
                                        ;     Child Loop BB426_76 Depth 2
	s_delay_alu instid0(SALU_CYCLE_1)
	s_max_u32 s22, s21, 1
.LBB426_76:                             ;   Parent Loop BB426_75 Depth=1
                                        ; =>  This Inner Loop Header: Depth=2
	s_delay_alu instid0(SALU_CYCLE_1)
	s_add_i32 s22, s22, -1
	s_sleep 1
	s_cmp_eq_u32 s22, 0
	s_cbranch_scc0 .LBB426_76
; %bb.77:                               ;   in Loop: Header=BB426_75 Depth=1
	global_load_b64 v[23:24], v[25:26], off glc
	s_cmp_lt_u32 s21, 32
	s_cselect_b32 s22, -1, 0
	s_delay_alu instid0(SALU_CYCLE_1) | instskip(SKIP_3) | instid1(VALU_DEP_1)
	s_cmp_lg_u32 s22, 0
	s_addc_u32 s21, s21, 0
	s_waitcnt vmcnt(0)
	v_and_b32_e32 v20, 0xff, v24
	v_cmp_ne_u16_e32 vcc_lo, 0, v20
	s_or_b32 s20, vcc_lo, s20
	s_delay_alu instid0(SALU_CYCLE_1)
	s_and_not1_b32 exec_lo, exec_lo, s20
	s_cbranch_execnz .LBB426_75
; %bb.78:
	s_or_b32 exec_lo, exec_lo, s20
.LBB426_79:
	s_delay_alu instid0(SALU_CYCLE_1)
	s_or_b32 exec_lo, exec_lo, s19
	v_cmp_ne_u32_e32 vcc_lo, 31, v41
	v_lshlrev_b32_e64 v33, v41, -1
	v_add_nc_u32_e32 v37, 2, v41
	v_add_nc_u32_e32 v45, 4, v41
	;; [unrolled: 1-line block ×3, first 2 shown]
	v_add_co_ci_u32_e32 v20, vcc_lo, 0, v41, vcc_lo
	v_add_nc_u32_e32 v49, 16, v41
	s_delay_alu instid0(VALU_DEP_2)
	v_lshlrev_b32_e32 v31, 2, v20
	v_and_b32_e32 v20, 0xff, v24
	ds_bpermute_b32 v22, v31, v23
	v_cmp_eq_u16_e32 vcc_lo, 2, v20
	v_and_or_b32 v20, vcc_lo, v33, 0x80000000
	v_cmp_gt_u32_e32 vcc_lo, 30, v41
	s_delay_alu instid0(VALU_DEP_2) | instskip(SKIP_1) | instid1(VALU_DEP_2)
	v_ctz_i32_b32_e32 v20, v20
	v_cndmask_b32_e64 v25, 0, 1, vcc_lo
	v_cmp_lt_u32_e32 vcc_lo, v41, v20
	s_waitcnt lgkmcnt(0)
	s_delay_alu instid0(VALU_DEP_2) | instskip(NEXT) | instid1(VALU_DEP_1)
	v_dual_cndmask_b32 v22, 0, v22 :: v_dual_lshlrev_b32 v25, 1, v25
	v_add_lshl_u32 v35, v25, v41, 2
	v_cmp_gt_u32_e32 vcc_lo, 28, v41
	s_delay_alu instid0(VALU_DEP_3) | instskip(SKIP_4) | instid1(VALU_DEP_1)
	v_add_nc_u32_e32 v22, v22, v23
	v_cndmask_b32_e64 v25, 0, 1, vcc_lo
	v_cmp_le_u32_e32 vcc_lo, v37, v20
	ds_bpermute_b32 v23, v35, v22
	v_lshlrev_b32_e32 v25, 2, v25
	v_add_lshl_u32 v44, v25, v41, 2
	s_waitcnt lgkmcnt(0)
	v_cndmask_b32_e32 v23, 0, v23, vcc_lo
	v_cmp_gt_u32_e32 vcc_lo, 24, v41
	s_delay_alu instid0(VALU_DEP_2) | instskip(SKIP_4) | instid1(VALU_DEP_1)
	v_add_nc_u32_e32 v22, v22, v23
	v_cndmask_b32_e64 v25, 0, 1, vcc_lo
	v_cmp_le_u32_e32 vcc_lo, v45, v20
	ds_bpermute_b32 v23, v44, v22
	v_lshlrev_b32_e32 v25, 3, v25
	v_add_lshl_u32 v46, v25, v41, 2
	s_waitcnt lgkmcnt(0)
	v_cndmask_b32_e32 v23, 0, v23, vcc_lo
	v_cmp_gt_u32_e32 vcc_lo, 16, v41
	s_delay_alu instid0(VALU_DEP_2) | instskip(SKIP_4) | instid1(VALU_DEP_1)
	v_add_nc_u32_e32 v22, v22, v23
	v_cndmask_b32_e64 v25, 0, 1, vcc_lo
	v_cmp_le_u32_e32 vcc_lo, v47, v20
	ds_bpermute_b32 v23, v46, v22
	v_lshlrev_b32_e32 v25, 4, v25
	v_add_lshl_u32 v48, v25, v41, 2
	s_waitcnt lgkmcnt(0)
	v_cndmask_b32_e32 v23, 0, v23, vcc_lo
	v_cmp_le_u32_e32 vcc_lo, v49, v20
	s_delay_alu instid0(VALU_DEP_2) | instskip(SKIP_3) | instid1(VALU_DEP_1)
	v_add_nc_u32_e32 v22, v22, v23
	ds_bpermute_b32 v23, v48, v22
	s_waitcnt lgkmcnt(0)
	v_cndmask_b32_e32 v20, 0, v23, vcc_lo
	v_dual_mov_b32 v22, 0 :: v_dual_add_nc_u32 v23, v22, v20
	s_branch .LBB426_81
.LBB426_80:                             ;   in Loop: Header=BB426_81 Depth=1
	s_or_b32 exec_lo, exec_lo, s19
	ds_bpermute_b32 v26, v31, v23
	v_and_b32_e32 v25, 0xff, v24
	v_subrev_nc_u32_e32 v21, 32, v21
	s_delay_alu instid0(VALU_DEP_2) | instskip(SKIP_1) | instid1(VALU_DEP_1)
	v_cmp_eq_u16_e32 vcc_lo, 2, v25
	v_and_or_b32 v25, vcc_lo, v33, 0x80000000
	v_ctz_i32_b32_e32 v25, v25
	s_delay_alu instid0(VALU_DEP_1) | instskip(SKIP_3) | instid1(VALU_DEP_2)
	v_cmp_lt_u32_e32 vcc_lo, v41, v25
	s_waitcnt lgkmcnt(0)
	v_cndmask_b32_e32 v26, 0, v26, vcc_lo
	v_cmp_le_u32_e32 vcc_lo, v37, v25
	v_add_nc_u32_e32 v23, v26, v23
	ds_bpermute_b32 v26, v35, v23
	s_waitcnt lgkmcnt(0)
	v_cndmask_b32_e32 v26, 0, v26, vcc_lo
	v_cmp_le_u32_e32 vcc_lo, v45, v25
	s_delay_alu instid0(VALU_DEP_2) | instskip(SKIP_4) | instid1(VALU_DEP_2)
	v_add_nc_u32_e32 v23, v23, v26
	ds_bpermute_b32 v26, v44, v23
	s_waitcnt lgkmcnt(0)
	v_cndmask_b32_e32 v26, 0, v26, vcc_lo
	v_cmp_le_u32_e32 vcc_lo, v47, v25
	v_add_nc_u32_e32 v23, v23, v26
	ds_bpermute_b32 v26, v46, v23
	s_waitcnt lgkmcnt(0)
	v_cndmask_b32_e32 v26, 0, v26, vcc_lo
	v_cmp_le_u32_e32 vcc_lo, v49, v25
	s_delay_alu instid0(VALU_DEP_2) | instskip(SKIP_3) | instid1(VALU_DEP_1)
	v_add_nc_u32_e32 v23, v23, v26
	ds_bpermute_b32 v26, v48, v23
	s_waitcnt lgkmcnt(0)
	v_cndmask_b32_e32 v25, 0, v26, vcc_lo
	v_add3_u32 v23, v25, v20, v23
.LBB426_81:                             ; =>This Loop Header: Depth=1
                                        ;     Child Loop BB426_84 Depth 2
                                        ;       Child Loop BB426_85 Depth 3
	v_and_b32_e32 v20, 0xff, v24
	s_delay_alu instid0(VALU_DEP_1) | instskip(SKIP_2) | instid1(VALU_DEP_1)
	v_cmp_ne_u16_e32 vcc_lo, 2, v20
	v_cndmask_b32_e64 v20, 0, 1, vcc_lo
	;;#ASMSTART
	;;#ASMEND
	v_cmp_ne_u32_e32 vcc_lo, 0, v20
	v_mov_b32_e32 v20, v23
	s_cmp_lg_u32 vcc_lo, exec_lo
	s_cbranch_scc1 .LBB426_88
; %bb.82:                               ;   in Loop: Header=BB426_81 Depth=1
	v_lshlrev_b64 v[23:24], 3, v[21:22]
	s_mov_b32 s19, exec_lo
	s_delay_alu instid0(VALU_DEP_1) | instskip(NEXT) | instid1(VALU_DEP_2)
	v_add_co_u32 v25, vcc_lo, s12, v23
	v_add_co_ci_u32_e32 v26, vcc_lo, s13, v24, vcc_lo
	global_load_b64 v[23:24], v[25:26], off glc
	s_waitcnt vmcnt(0)
	v_and_b32_e32 v50, 0xff, v24
	s_delay_alu instid0(VALU_DEP_1)
	v_cmpx_eq_u16_e32 0, v50
	s_cbranch_execz .LBB426_80
; %bb.83:                               ;   in Loop: Header=BB426_81 Depth=1
	s_mov_b32 s21, 1
	s_mov_b32 s20, 0
	.p2align	6
.LBB426_84:                             ;   Parent Loop BB426_81 Depth=1
                                        ; =>  This Loop Header: Depth=2
                                        ;       Child Loop BB426_85 Depth 3
	s_max_u32 s22, s21, 1
.LBB426_85:                             ;   Parent Loop BB426_81 Depth=1
                                        ;     Parent Loop BB426_84 Depth=2
                                        ; =>    This Inner Loop Header: Depth=3
	s_delay_alu instid0(SALU_CYCLE_1)
	s_add_i32 s22, s22, -1
	s_sleep 1
	s_cmp_eq_u32 s22, 0
	s_cbranch_scc0 .LBB426_85
; %bb.86:                               ;   in Loop: Header=BB426_84 Depth=2
	global_load_b64 v[23:24], v[25:26], off glc
	s_cmp_lt_u32 s21, 32
	s_cselect_b32 s22, -1, 0
	s_delay_alu instid0(SALU_CYCLE_1) | instskip(SKIP_3) | instid1(VALU_DEP_1)
	s_cmp_lg_u32 s22, 0
	s_addc_u32 s21, s21, 0
	s_waitcnt vmcnt(0)
	v_and_b32_e32 v50, 0xff, v24
	v_cmp_ne_u16_e32 vcc_lo, 0, v50
	s_or_b32 s20, vcc_lo, s20
	s_delay_alu instid0(SALU_CYCLE_1)
	s_and_not1_b32 exec_lo, exec_lo, s20
	s_cbranch_execnz .LBB426_84
; %bb.87:                               ;   in Loop: Header=BB426_81 Depth=1
	s_or_b32 exec_lo, exec_lo, s20
	s_branch .LBB426_80
.LBB426_88:                             ;   in Loop: Header=BB426_81 Depth=1
                                        ; implicit-def: $vgpr23
                                        ; implicit-def: $vgpr24
	s_cbranch_execz .LBB426_81
; %bb.89:
	s_and_saveexec_b32 s19, s8
	s_cbranch_execz .LBB426_91
; %bb.90:
	s_add_i32 s20, s15, 32
	s_mov_b32 s21, 0
	v_dual_mov_b32 v22, 2 :: v_dual_add_nc_u32 v21, v20, v19
	s_lshl_b64 s[20:21], s[20:21], 3
	v_mov_b32_e32 v23, 0
	s_add_u32 s20, s12, s20
	s_addc_u32 s21, s13, s21
	global_store_b64 v23, v[21:22], s[20:21]
	ds_store_b64 v23, v[19:20] offset:12672
.LBB426_91:
	s_or_b32 exec_lo, exec_lo, s19
	v_cmp_eq_u32_e32 vcc_lo, 0, v0
	s_and_b32 exec_lo, exec_lo, vcc_lo
	s_cbranch_execz .LBB426_93
; %bb.92:
	v_mov_b32_e32 v19, 0
	ds_store_b32 v19, v20 offset:44
.LBB426_93:
	s_or_b32 exec_lo, exec_lo, s9
	v_mov_b32_e32 v19, 0
	s_waitcnt lgkmcnt(0)
	s_waitcnt_vscnt null, 0x0
	s_barrier
	buffer_gl0_inv
	v_cndmask_b32_e64 v21, v29, v27, s8
	ds_load_b32 v20, v19 offset:44
	v_cmp_ne_u32_e32 vcc_lo, 0, v0
	s_waitcnt lgkmcnt(0)
	s_barrier
	buffer_gl0_inv
	v_cndmask_b32_e32 v21, 0, v21, vcc_lo
	s_delay_alu instid0(VALU_DEP_1) | instskip(SKIP_2) | instid1(VALU_DEP_1)
	v_add_nc_u32_e32 v37, v20, v21
	ds_load_b64 v[19:20], v19 offset:12672
	v_add_nc_u32_e32 v35, v37, v28
	v_add_nc_u32_e32 v33, v35, v30
	s_delay_alu instid0(VALU_DEP_1) | instskip(NEXT) | instid1(VALU_DEP_1)
	v_add_nc_u32_e32 v31, v33, v32
	v_add_nc_u32_e32 v29, v31, v34
	s_delay_alu instid0(VALU_DEP_1) | instskip(NEXT) | instid1(VALU_DEP_1)
	v_add_nc_u32_e32 v27, v29, v36
	v_add_nc_u32_e32 v25, v27, v38
	s_delay_alu instid0(VALU_DEP_1)
	v_add_nc_u32_e32 v23, v25, v40
	v_lshrrev_b64 v[21:22], 24, v[17:18]
	s_branch .LBB426_104
.LBB426_94:
                                        ; implicit-def: $vgpr23
                                        ; implicit-def: $vgpr25
                                        ; implicit-def: $vgpr27
                                        ; implicit-def: $vgpr29
                                        ; implicit-def: $vgpr31
                                        ; implicit-def: $vgpr33
                                        ; implicit-def: $vgpr35
                                        ; implicit-def: $vgpr37
                                        ; implicit-def: $vgpr20
	v_lshrrev_b64 v[21:22], 24, v[17:18]
	s_and_b32 vcc_lo, exec_lo, s8
	s_cbranch_vccz .LBB426_104
; %bb.95:
	s_waitcnt lgkmcnt(0)
	v_mov_b32_dpp v19, v43 row_shr:1 row_mask:0xf bank_mask:0xf
	s_delay_alu instid0(VALU_DEP_1) | instskip(NEXT) | instid1(VALU_DEP_1)
	v_cndmask_b32_e64 v19, v19, 0, s4
	v_add_nc_u32_e32 v19, v19, v43
	s_delay_alu instid0(VALU_DEP_1) | instskip(NEXT) | instid1(VALU_DEP_1)
	v_mov_b32_dpp v20, v19 row_shr:2 row_mask:0xf bank_mask:0xf
	v_cndmask_b32_e64 v20, 0, v20, s5
	s_delay_alu instid0(VALU_DEP_1) | instskip(NEXT) | instid1(VALU_DEP_1)
	v_add_nc_u32_e32 v19, v19, v20
	v_mov_b32_dpp v20, v19 row_shr:4 row_mask:0xf bank_mask:0xf
	s_delay_alu instid0(VALU_DEP_1) | instskip(NEXT) | instid1(VALU_DEP_1)
	v_cndmask_b32_e64 v20, 0, v20, s3
	v_add_nc_u32_e32 v19, v19, v20
	s_delay_alu instid0(VALU_DEP_1) | instskip(NEXT) | instid1(VALU_DEP_1)
	v_mov_b32_dpp v20, v19 row_shr:8 row_mask:0xf bank_mask:0xf
	v_cndmask_b32_e64 v20, 0, v20, s2
	s_delay_alu instid0(VALU_DEP_1) | instskip(SKIP_3) | instid1(VALU_DEP_1)
	v_add_nc_u32_e32 v19, v19, v20
	ds_swizzle_b32 v20, v19 offset:swizzle(BROADCAST,32,15)
	s_waitcnt lgkmcnt(0)
	v_cndmask_b32_e64 v20, v20, 0, s7
	v_add_nc_u32_e32 v19, v19, v20
	s_and_saveexec_b32 s7, s6
	s_cbranch_execz .LBB426_97
; %bb.96:
	v_lshlrev_b32_e32 v20, 2, v42
	ds_store_b32 v20, v19
.LBB426_97:
	s_or_b32 exec_lo, exec_lo, s7
	s_delay_alu instid0(SALU_CYCLE_1)
	s_mov_b32 s6, exec_lo
	s_waitcnt lgkmcnt(0)
	s_barrier
	buffer_gl0_inv
	v_cmpx_gt_u32_e32 12, v0
	s_cbranch_execz .LBB426_99
; %bb.98:
	v_lshlrev_b32_e32 v20, 2, v0
	ds_load_b32 v22, v20
	s_waitcnt lgkmcnt(0)
	v_mov_b32_dpp v23, v22 row_shr:1 row_mask:0xf bank_mask:0xf
	s_delay_alu instid0(VALU_DEP_1) | instskip(NEXT) | instid1(VALU_DEP_1)
	v_cndmask_b32_e64 v23, v23, 0, s4
	v_add_nc_u32_e32 v22, v23, v22
	s_delay_alu instid0(VALU_DEP_1) | instskip(NEXT) | instid1(VALU_DEP_1)
	v_mov_b32_dpp v23, v22 row_shr:2 row_mask:0xf bank_mask:0xf
	v_cndmask_b32_e64 v23, 0, v23, s5
	s_delay_alu instid0(VALU_DEP_1) | instskip(NEXT) | instid1(VALU_DEP_1)
	v_add_nc_u32_e32 v22, v22, v23
	v_mov_b32_dpp v23, v22 row_shr:4 row_mask:0xf bank_mask:0xf
	s_delay_alu instid0(VALU_DEP_1) | instskip(NEXT) | instid1(VALU_DEP_1)
	v_cndmask_b32_e64 v23, 0, v23, s3
	v_add_nc_u32_e32 v22, v22, v23
	s_delay_alu instid0(VALU_DEP_1) | instskip(NEXT) | instid1(VALU_DEP_1)
	v_mov_b32_dpp v23, v22 row_shr:8 row_mask:0xf bank_mask:0xf
	v_cndmask_b32_e64 v23, 0, v23, s2
	s_delay_alu instid0(VALU_DEP_1)
	v_add_nc_u32_e32 v22, v22, v23
	ds_store_b32 v20, v22
.LBB426_99:
	s_or_b32 exec_lo, exec_lo, s6
	v_mov_b32_e32 v20, 0
	v_mov_b32_e32 v22, 0
	s_mov_b32 s2, exec_lo
	s_waitcnt lgkmcnt(0)
	s_barrier
	buffer_gl0_inv
	v_cmpx_lt_u32_e32 31, v0
	s_cbranch_execz .LBB426_101
; %bb.100:
	v_lshl_add_u32 v22, v42, 2, -4
	ds_load_b32 v22, v22
.LBB426_101:
	s_or_b32 exec_lo, exec_lo, s2
	v_add_nc_u32_e32 v23, -1, v41
	s_waitcnt lgkmcnt(0)
	v_add_nc_u32_e32 v19, v22, v19
	s_delay_alu instid0(VALU_DEP_2) | instskip(SKIP_2) | instid1(VALU_DEP_2)
	v_cmp_gt_i32_e32 vcc_lo, 0, v23
	v_cndmask_b32_e32 v23, v23, v41, vcc_lo
	v_cmp_eq_u32_e32 vcc_lo, 0, v0
	v_lshlrev_b32_e32 v23, 2, v23
	ds_bpermute_b32 v23, v23, v19
	ds_load_b32 v19, v20 offset:44
	s_and_saveexec_b32 s2, vcc_lo
	s_cbranch_execz .LBB426_103
; %bb.102:
	v_mov_b32_e32 v24, 0
	v_mov_b32_e32 v20, 2
	s_waitcnt lgkmcnt(0)
	global_store_b64 v24, v[19:20], s[12:13] offset:256
.LBB426_103:
	s_or_b32 exec_lo, exec_lo, s2
	v_cmp_eq_u32_e64 s2, 0, v41
	s_waitcnt lgkmcnt(0)
	s_waitcnt_vscnt null, 0x0
	s_barrier
	buffer_gl0_inv
	v_cndmask_b32_e64 v20, v23, v22, s2
	s_delay_alu instid0(VALU_DEP_1) | instskip(NEXT) | instid1(VALU_DEP_1)
	v_cndmask_b32_e64 v37, v20, 0, vcc_lo
	v_dual_mov_b32 v20, 0 :: v_dual_add_nc_u32 v35, v37, v28
	s_delay_alu instid0(VALU_DEP_1) | instskip(NEXT) | instid1(VALU_DEP_1)
	v_add_nc_u32_e32 v33, v35, v30
	v_add_nc_u32_e32 v31, v33, v32
	s_delay_alu instid0(VALU_DEP_1) | instskip(NEXT) | instid1(VALU_DEP_1)
	v_add_nc_u32_e32 v29, v31, v34
	v_add_nc_u32_e32 v27, v29, v36
	;; [unrolled: 3-line block ×3, first 2 shown]
.LBB426_104:
	s_load_b128 s[4:7], s[0:1], 0x28
	s_waitcnt lgkmcnt(0)
	v_add_nc_u32_e32 v43, v20, v19
	v_cmp_gt_u32_e64 s0, 0x181, v19
	v_lshrrev_b32_e32 v42, 8, v17
	v_lshrrev_b32_e32 v41, 16, v17
	;; [unrolled: 1-line block ×4, first 2 shown]
	v_cmp_lt_u32_e64 s1, v37, v43
	s_and_b32 vcc_lo, exec_lo, s0
	s_mov_b32 s2, -1
	s_cbranch_vccz .LBB426_130
; %bb.105:
	s_lshl_b64 s[2:3], s[10:11], 2
	s_delay_alu instid0(SALU_CYCLE_1) | instskip(SKIP_2) | instid1(SALU_CYCLE_1)
	s_add_u32 s2, s4, s2
	s_addc_u32 s3, s5, s3
	s_or_b32 s8, s18, s1
	s_and_saveexec_b32 s1, s8
	s_cbranch_execz .LBB426_108
; %bb.106:
	v_and_b32_e32 v24, 1, v17
	s_delay_alu instid0(VALU_DEP_1)
	v_cmp_eq_u32_e32 vcc_lo, 1, v24
	s_and_b32 exec_lo, exec_lo, vcc_lo
	s_cbranch_execz .LBB426_108
; %bb.107:
	v_mov_b32_e32 v38, 0
	s_delay_alu instid0(VALU_DEP_1) | instskip(NEXT) | instid1(VALU_DEP_1)
	v_lshlrev_b64 v[44:45], 2, v[37:38]
	v_add_co_u32 v44, vcc_lo, s2, v44
	s_delay_alu instid0(VALU_DEP_2)
	v_add_co_ci_u32_e32 v45, vcc_lo, s3, v45, vcc_lo
	global_store_b32 v[44:45], v15, off
.LBB426_108:
	s_or_b32 exec_lo, exec_lo, s1
	v_cmp_lt_u32_e32 vcc_lo, v35, v43
	s_or_b32 s8, s18, vcc_lo
	s_delay_alu instid0(SALU_CYCLE_1)
	s_and_saveexec_b32 s1, s8
	s_cbranch_execz .LBB426_111
; %bb.109:
	v_and_b32_e32 v24, 1, v42
	s_delay_alu instid0(VALU_DEP_1)
	v_cmp_eq_u32_e32 vcc_lo, 1, v24
	s_and_b32 exec_lo, exec_lo, vcc_lo
	s_cbranch_execz .LBB426_111
; %bb.110:
	v_mov_b32_e32 v36, 0
	s_delay_alu instid0(VALU_DEP_1) | instskip(NEXT) | instid1(VALU_DEP_1)
	v_lshlrev_b64 v[44:45], 2, v[35:36]
	v_add_co_u32 v44, vcc_lo, s2, v44
	s_delay_alu instid0(VALU_DEP_2)
	v_add_co_ci_u32_e32 v45, vcc_lo, s3, v45, vcc_lo
	global_store_b32 v[44:45], v16, off
.LBB426_111:
	s_or_b32 exec_lo, exec_lo, s1
	v_cmp_lt_u32_e32 vcc_lo, v33, v43
	s_or_b32 s8, s18, vcc_lo
	s_delay_alu instid0(SALU_CYCLE_1)
	;; [unrolled: 21-line block ×7, first 2 shown]
	s_and_saveexec_b32 s1, s8
	s_cbranch_execz .LBB426_129
; %bb.127:
	v_and_b32_e32 v24, 1, v39
	s_delay_alu instid0(VALU_DEP_1)
	v_cmp_eq_u32_e32 vcc_lo, 1, v24
	s_and_b32 exec_lo, exec_lo, vcc_lo
	s_cbranch_execz .LBB426_129
; %bb.128:
	v_mov_b32_e32 v24, 0
	s_delay_alu instid0(VALU_DEP_1) | instskip(NEXT) | instid1(VALU_DEP_1)
	v_lshlrev_b64 v[44:45], 2, v[23:24]
	v_add_co_u32 v44, vcc_lo, s2, v44
	s_delay_alu instid0(VALU_DEP_2)
	v_add_co_ci_u32_e32 v45, vcc_lo, s3, v45, vcc_lo
	global_store_b32 v[44:45], v10, off
.LBB426_129:
	s_or_b32 exec_lo, exec_lo, s1
	s_mov_b32 s2, 0
.LBB426_130:
	v_and_b32_e32 v17, 1, v17
	s_and_b32 vcc_lo, exec_lo, s2
	s_delay_alu instid0(VALU_DEP_1)
	v_cmp_eq_u32_e64 s1, 1, v17
	s_cbranch_vccz .LBB426_151
; %bb.131:
	s_delay_alu instid0(VALU_DEP_1)
	s_and_saveexec_b32 s2, s1
	s_cbranch_execz .LBB426_133
; %bb.132:
	v_sub_nc_u32_e32 v24, v37, v20
	s_delay_alu instid0(VALU_DEP_1)
	v_lshlrev_b32_e32 v24, 2, v24
	ds_store_b32 v24, v15
.LBB426_133:
	s_or_b32 exec_lo, exec_lo, s2
	v_and_b32_e32 v15, 1, v42
	s_mov_b32 s1, exec_lo
	s_delay_alu instid0(VALU_DEP_1)
	v_cmpx_eq_u32_e32 1, v15
	s_cbranch_execz .LBB426_135
; %bb.134:
	v_sub_nc_u32_e32 v15, v35, v20
	s_delay_alu instid0(VALU_DEP_1)
	v_lshlrev_b32_e32 v15, 2, v15
	ds_store_b32 v15, v16
.LBB426_135:
	s_or_b32 exec_lo, exec_lo, s1
	v_and_b32_e32 v15, 1, v41
	s_mov_b32 s1, exec_lo
	s_delay_alu instid0(VALU_DEP_1)
	v_cmpx_eq_u32_e32 1, v15
	;; [unrolled: 12-line block ×7, first 2 shown]
	s_cbranch_execz .LBB426_147
; %bb.146:
	v_sub_nc_u32_e32 v9, v23, v20
	s_delay_alu instid0(VALU_DEP_1)
	v_lshlrev_b32_e32 v9, 2, v9
	ds_store_b32 v9, v10
.LBB426_147:
	s_or_b32 exec_lo, exec_lo, s1
	s_delay_alu instid0(SALU_CYCLE_1)
	s_mov_b32 s2, exec_lo
	s_waitcnt lgkmcnt(0)
	s_waitcnt_vscnt null, 0x0
	s_barrier
	buffer_gl0_inv
	v_cmpx_lt_u32_e64 v0, v19
	s_cbranch_execz .LBB426_150
; %bb.148:
	v_dual_mov_b32 v10, 0 :: v_dual_mov_b32 v9, v20
	s_lshl_b64 s[8:9], s[10:11], 2
	v_lshlrev_b32_e32 v11, 2, v0
	s_add_u32 s1, s4, s8
	s_addc_u32 s3, s5, s9
	v_lshlrev_b64 v[12:13], 2, v[9:10]
	v_mov_b32_e32 v9, v0
	s_delay_alu instid0(VALU_DEP_2) | instskip(NEXT) | instid1(VALU_DEP_3)
	v_add_co_u32 v12, vcc_lo, s1, v12
	v_add_co_ci_u32_e32 v13, vcc_lo, s3, v13, vcc_lo
	s_mov_b32 s3, 0
	.p2align	6
.LBB426_149:                            ; =>This Inner Loop Header: Depth=1
	ds_load_b32 v16, v11
	v_lshlrev_b64 v[14:15], 2, v[9:10]
	v_add_nc_u32_e32 v9, 0x180, v9
	v_add_nc_u32_e32 v11, 0x600, v11
	s_delay_alu instid0(VALU_DEP_2) | instskip(NEXT) | instid1(VALU_DEP_4)
	v_cmp_ge_u32_e32 vcc_lo, v9, v19
	v_add_co_u32 v14, s1, v12, v14
	s_delay_alu instid0(VALU_DEP_1)
	v_add_co_ci_u32_e64 v15, s1, v13, v15, s1
	s_or_b32 s3, vcc_lo, s3
	s_waitcnt lgkmcnt(0)
	global_store_b32 v[14:15], v16, off
	s_and_not1_b32 exec_lo, exec_lo, s3
	s_cbranch_execnz .LBB426_149
.LBB426_150:
	s_or_b32 exec_lo, exec_lo, s2
.LBB426_151:
	s_delay_alu instid0(SALU_CYCLE_1)
	s_and_b32 vcc_lo, exec_lo, s0
	s_mov_b32 s0, -1
	s_waitcnt_vscnt null, 0x0
	s_barrier
	buffer_gl0_inv
	s_cbranch_vccz .LBB426_179
; %bb.152:
	v_cmp_lt_u32_e32 vcc_lo, v37, v43
	s_lshl_b64 s[0:1], s[10:11], 2
	s_delay_alu instid0(SALU_CYCLE_1) | instskip(SKIP_2) | instid1(SALU_CYCLE_1)
	s_add_u32 s0, s6, s0
	s_addc_u32 s1, s7, s1
	s_or_b32 s3, s18, vcc_lo
	s_and_saveexec_b32 s2, s3
	s_cbranch_execz .LBB426_155
; %bb.153:
	v_cmp_eq_u32_e32 vcc_lo, 1, v17
	s_and_b32 exec_lo, exec_lo, vcc_lo
	s_cbranch_execz .LBB426_155
; %bb.154:
	v_mov_b32_e32 v38, 0
	s_delay_alu instid0(VALU_DEP_1) | instskip(NEXT) | instid1(VALU_DEP_1)
	v_lshlrev_b64 v[9:10], 2, v[37:38]
	v_add_co_u32 v9, vcc_lo, s0, v9
	s_delay_alu instid0(VALU_DEP_2)
	v_add_co_ci_u32_e32 v10, vcc_lo, s1, v10, vcc_lo
	global_store_b32 v[9:10], v7, off
.LBB426_155:
	s_or_b32 exec_lo, exec_lo, s2
	v_cmp_lt_u32_e32 vcc_lo, v35, v43
	s_or_b32 s3, s18, vcc_lo
	s_delay_alu instid0(SALU_CYCLE_1)
	s_and_saveexec_b32 s2, s3
	s_cbranch_execz .LBB426_158
; %bb.156:
	v_and_b32_e32 v9, 1, v42
	s_delay_alu instid0(VALU_DEP_1)
	v_cmp_eq_u32_e32 vcc_lo, 1, v9
	s_and_b32 exec_lo, exec_lo, vcc_lo
	s_cbranch_execz .LBB426_158
; %bb.157:
	v_mov_b32_e32 v36, 0
	s_delay_alu instid0(VALU_DEP_1) | instskip(NEXT) | instid1(VALU_DEP_1)
	v_lshlrev_b64 v[9:10], 2, v[35:36]
	v_add_co_u32 v9, vcc_lo, s0, v9
	s_delay_alu instid0(VALU_DEP_2)
	v_add_co_ci_u32_e32 v10, vcc_lo, s1, v10, vcc_lo
	global_store_b32 v[9:10], v8, off
.LBB426_158:
	s_or_b32 exec_lo, exec_lo, s2
	v_cmp_lt_u32_e32 vcc_lo, v33, v43
	s_or_b32 s3, s18, vcc_lo
	s_delay_alu instid0(SALU_CYCLE_1)
	s_and_saveexec_b32 s2, s3
	s_cbranch_execz .LBB426_161
; %bb.159:
	v_and_b32_e32 v9, 1, v41
	s_delay_alu instid0(VALU_DEP_1)
	v_cmp_eq_u32_e32 vcc_lo, 1, v9
	s_and_b32 exec_lo, exec_lo, vcc_lo
	s_cbranch_execz .LBB426_161
; %bb.160:
	v_mov_b32_e32 v34, 0
	s_delay_alu instid0(VALU_DEP_1) | instskip(NEXT) | instid1(VALU_DEP_1)
	v_lshlrev_b64 v[9:10], 2, v[33:34]
	v_add_co_u32 v9, vcc_lo, s0, v9
	s_delay_alu instid0(VALU_DEP_2)
	v_add_co_ci_u32_e32 v10, vcc_lo, s1, v10, vcc_lo
	global_store_b32 v[9:10], v5, off
.LBB426_161:
	;; [unrolled: 21-line block ×7, first 2 shown]
	s_or_b32 exec_lo, exec_lo, s2
.LBB426_177:
	v_cmp_eq_u32_e32 vcc_lo, 0, v0
	s_and_b32 s0, vcc_lo, s14
	s_delay_alu instid0(SALU_CYCLE_1)
	s_and_saveexec_b32 s1, s0
	s_cbranch_execz .LBB426_200
.LBB426_178:
	v_add_co_u32 v0, s0, s10, v19
	s_delay_alu instid0(VALU_DEP_1) | instskip(SKIP_1) | instid1(VALU_DEP_3)
	v_add_co_ci_u32_e64 v1, null, s11, 0, s0
	v_mov_b32_e32 v2, 0
	v_add_co_u32 v0, vcc_lo, v0, v20
	s_delay_alu instid0(VALU_DEP_3)
	v_add_co_ci_u32_e32 v1, vcc_lo, 0, v1, vcc_lo
	global_store_b64 v2, v[0:1], s[16:17]
	s_nop 0
	s_sendmsg sendmsg(MSG_DEALLOC_VGPRS)
	s_endpgm
.LBB426_179:
	s_and_b32 vcc_lo, exec_lo, s0
	s_cbranch_vccz .LBB426_177
; %bb.180:
	s_mov_b32 s0, exec_lo
	v_cmpx_eq_u32_e32 1, v17
	s_cbranch_execz .LBB426_182
; %bb.181:
	v_sub_nc_u32_e32 v9, v37, v20
	s_delay_alu instid0(VALU_DEP_1)
	v_lshlrev_b32_e32 v9, 2, v9
	ds_store_b32 v9, v7
.LBB426_182:
	s_or_b32 exec_lo, exec_lo, s0
	v_and_b32_e32 v7, 1, v42
	s_mov_b32 s0, exec_lo
	s_delay_alu instid0(VALU_DEP_1)
	v_cmpx_eq_u32_e32 1, v7
	s_cbranch_execz .LBB426_184
; %bb.183:
	v_sub_nc_u32_e32 v7, v35, v20
	s_delay_alu instid0(VALU_DEP_1)
	v_lshlrev_b32_e32 v7, 2, v7
	ds_store_b32 v7, v8
.LBB426_184:
	s_or_b32 exec_lo, exec_lo, s0
	v_and_b32_e32 v7, 1, v41
	s_mov_b32 s0, exec_lo
	s_delay_alu instid0(VALU_DEP_1)
	;; [unrolled: 12-line block ×7, first 2 shown]
	v_cmpx_eq_u32_e32 1, v1
	s_cbranch_execz .LBB426_196
; %bb.195:
	v_sub_nc_u32_e32 v1, v23, v20
	s_delay_alu instid0(VALU_DEP_1)
	v_lshlrev_b32_e32 v1, 2, v1
	ds_store_b32 v1, v2
.LBB426_196:
	s_or_b32 exec_lo, exec_lo, s0
	s_delay_alu instid0(SALU_CYCLE_1)
	s_mov_b32 s1, exec_lo
	s_waitcnt lgkmcnt(0)
	s_waitcnt_vscnt null, 0x0
	s_barrier
	buffer_gl0_inv
	v_cmpx_lt_u32_e64 v0, v19
	s_cbranch_execz .LBB426_199
; %bb.197:
	v_dual_mov_b32 v2, 0 :: v_dual_mov_b32 v1, v20
	s_lshl_b64 s[2:3], s[10:11], 2
	v_lshlrev_b32_e32 v3, 2, v0
	s_add_u32 s0, s6, s2
	s_addc_u32 s2, s7, s3
	v_lshlrev_b64 v[4:5], 2, v[1:2]
	v_mov_b32_e32 v1, v0
	s_delay_alu instid0(VALU_DEP_2) | instskip(NEXT) | instid1(VALU_DEP_3)
	v_add_co_u32 v4, vcc_lo, s0, v4
	v_add_co_ci_u32_e32 v5, vcc_lo, s2, v5, vcc_lo
	s_mov_b32 s2, 0
	.p2align	6
.LBB426_198:                            ; =>This Inner Loop Header: Depth=1
	ds_load_b32 v8, v3
	v_lshlrev_b64 v[6:7], 2, v[1:2]
	v_add_nc_u32_e32 v1, 0x180, v1
	v_add_nc_u32_e32 v3, 0x600, v3
	s_delay_alu instid0(VALU_DEP_2) | instskip(NEXT) | instid1(VALU_DEP_4)
	v_cmp_ge_u32_e32 vcc_lo, v1, v19
	v_add_co_u32 v6, s0, v4, v6
	s_delay_alu instid0(VALU_DEP_1)
	v_add_co_ci_u32_e64 v7, s0, v5, v7, s0
	s_or_b32 s2, vcc_lo, s2
	s_waitcnt lgkmcnt(0)
	global_store_b32 v[6:7], v8, off
	s_and_not1_b32 exec_lo, exec_lo, s2
	s_cbranch_execnz .LBB426_198
.LBB426_199:
	s_or_b32 exec_lo, exec_lo, s1
	v_cmp_eq_u32_e32 vcc_lo, 0, v0
	s_and_b32 s0, vcc_lo, s14
	s_delay_alu instid0(SALU_CYCLE_1)
	s_and_saveexec_b32 s1, s0
	s_cbranch_execnz .LBB426_178
.LBB426_200:
	s_nop 0
	s_sendmsg sendmsg(MSG_DEALLOC_VGPRS)
	s_endpgm
	.section	.rodata,"a",@progbits
	.p2align	6, 0x0
	.amdhsa_kernel _ZN7rocprim17ROCPRIM_400000_NS6detail17trampoline_kernelINS0_14default_configENS1_25partition_config_selectorILNS1_17partition_subalgoE9EiibEEZZNS1_14partition_implILS5_9ELb0ES3_jN6thrust23THRUST_200600_302600_NS6detail15normal_iteratorINS9_10device_ptrIiEEEESE_PNS0_10empty_typeENS0_5tupleIJSE_SF_EEENSH_IJSE_SG_EEENS0_18inequality_wrapperINS9_8equal_toIiEEEEPmJSF_EEE10hipError_tPvRmT3_T4_T5_T6_T7_T9_mT8_P12ihipStream_tbDpT10_ENKUlT_T0_E_clISt17integral_constantIbLb1EES17_IbLb0EEEEDaS13_S14_EUlS13_E_NS1_11comp_targetILNS1_3genE9ELNS1_11target_archE1100ELNS1_3gpuE3ELNS1_3repE0EEENS1_30default_config_static_selectorELNS0_4arch9wavefront6targetE0EEEvT1_
		.amdhsa_group_segment_fixed_size 12680
		.amdhsa_private_segment_fixed_size 0
		.amdhsa_kernarg_size 112
		.amdhsa_user_sgpr_count 15
		.amdhsa_user_sgpr_dispatch_ptr 0
		.amdhsa_user_sgpr_queue_ptr 0
		.amdhsa_user_sgpr_kernarg_segment_ptr 1
		.amdhsa_user_sgpr_dispatch_id 0
		.amdhsa_user_sgpr_private_segment_size 0
		.amdhsa_wavefront_size32 1
		.amdhsa_uses_dynamic_stack 0
		.amdhsa_enable_private_segment 0
		.amdhsa_system_sgpr_workgroup_id_x 1
		.amdhsa_system_sgpr_workgroup_id_y 0
		.amdhsa_system_sgpr_workgroup_id_z 0
		.amdhsa_system_sgpr_workgroup_info 0
		.amdhsa_system_vgpr_workitem_id 0
		.amdhsa_next_free_vgpr 51
		.amdhsa_next_free_sgpr 25
		.amdhsa_reserve_vcc 1
		.amdhsa_float_round_mode_32 0
		.amdhsa_float_round_mode_16_64 0
		.amdhsa_float_denorm_mode_32 3
		.amdhsa_float_denorm_mode_16_64 3
		.amdhsa_dx10_clamp 1
		.amdhsa_ieee_mode 1
		.amdhsa_fp16_overflow 0
		.amdhsa_workgroup_processor_mode 1
		.amdhsa_memory_ordered 1
		.amdhsa_forward_progress 0
		.amdhsa_shared_vgpr_count 0
		.amdhsa_exception_fp_ieee_invalid_op 0
		.amdhsa_exception_fp_denorm_src 0
		.amdhsa_exception_fp_ieee_div_zero 0
		.amdhsa_exception_fp_ieee_overflow 0
		.amdhsa_exception_fp_ieee_underflow 0
		.amdhsa_exception_fp_ieee_inexact 0
		.amdhsa_exception_int_div_zero 0
	.end_amdhsa_kernel
	.section	.text._ZN7rocprim17ROCPRIM_400000_NS6detail17trampoline_kernelINS0_14default_configENS1_25partition_config_selectorILNS1_17partition_subalgoE9EiibEEZZNS1_14partition_implILS5_9ELb0ES3_jN6thrust23THRUST_200600_302600_NS6detail15normal_iteratorINS9_10device_ptrIiEEEESE_PNS0_10empty_typeENS0_5tupleIJSE_SF_EEENSH_IJSE_SG_EEENS0_18inequality_wrapperINS9_8equal_toIiEEEEPmJSF_EEE10hipError_tPvRmT3_T4_T5_T6_T7_T9_mT8_P12ihipStream_tbDpT10_ENKUlT_T0_E_clISt17integral_constantIbLb1EES17_IbLb0EEEEDaS13_S14_EUlS13_E_NS1_11comp_targetILNS1_3genE9ELNS1_11target_archE1100ELNS1_3gpuE3ELNS1_3repE0EEENS1_30default_config_static_selectorELNS0_4arch9wavefront6targetE0EEEvT1_,"axG",@progbits,_ZN7rocprim17ROCPRIM_400000_NS6detail17trampoline_kernelINS0_14default_configENS1_25partition_config_selectorILNS1_17partition_subalgoE9EiibEEZZNS1_14partition_implILS5_9ELb0ES3_jN6thrust23THRUST_200600_302600_NS6detail15normal_iteratorINS9_10device_ptrIiEEEESE_PNS0_10empty_typeENS0_5tupleIJSE_SF_EEENSH_IJSE_SG_EEENS0_18inequality_wrapperINS9_8equal_toIiEEEEPmJSF_EEE10hipError_tPvRmT3_T4_T5_T6_T7_T9_mT8_P12ihipStream_tbDpT10_ENKUlT_T0_E_clISt17integral_constantIbLb1EES17_IbLb0EEEEDaS13_S14_EUlS13_E_NS1_11comp_targetILNS1_3genE9ELNS1_11target_archE1100ELNS1_3gpuE3ELNS1_3repE0EEENS1_30default_config_static_selectorELNS0_4arch9wavefront6targetE0EEEvT1_,comdat
.Lfunc_end426:
	.size	_ZN7rocprim17ROCPRIM_400000_NS6detail17trampoline_kernelINS0_14default_configENS1_25partition_config_selectorILNS1_17partition_subalgoE9EiibEEZZNS1_14partition_implILS5_9ELb0ES3_jN6thrust23THRUST_200600_302600_NS6detail15normal_iteratorINS9_10device_ptrIiEEEESE_PNS0_10empty_typeENS0_5tupleIJSE_SF_EEENSH_IJSE_SG_EEENS0_18inequality_wrapperINS9_8equal_toIiEEEEPmJSF_EEE10hipError_tPvRmT3_T4_T5_T6_T7_T9_mT8_P12ihipStream_tbDpT10_ENKUlT_T0_E_clISt17integral_constantIbLb1EES17_IbLb0EEEEDaS13_S14_EUlS13_E_NS1_11comp_targetILNS1_3genE9ELNS1_11target_archE1100ELNS1_3gpuE3ELNS1_3repE0EEENS1_30default_config_static_selectorELNS0_4arch9wavefront6targetE0EEEvT1_, .Lfunc_end426-_ZN7rocprim17ROCPRIM_400000_NS6detail17trampoline_kernelINS0_14default_configENS1_25partition_config_selectorILNS1_17partition_subalgoE9EiibEEZZNS1_14partition_implILS5_9ELb0ES3_jN6thrust23THRUST_200600_302600_NS6detail15normal_iteratorINS9_10device_ptrIiEEEESE_PNS0_10empty_typeENS0_5tupleIJSE_SF_EEENSH_IJSE_SG_EEENS0_18inequality_wrapperINS9_8equal_toIiEEEEPmJSF_EEE10hipError_tPvRmT3_T4_T5_T6_T7_T9_mT8_P12ihipStream_tbDpT10_ENKUlT_T0_E_clISt17integral_constantIbLb1EES17_IbLb0EEEEDaS13_S14_EUlS13_E_NS1_11comp_targetILNS1_3genE9ELNS1_11target_archE1100ELNS1_3gpuE3ELNS1_3repE0EEENS1_30default_config_static_selectorELNS0_4arch9wavefront6targetE0EEEvT1_
                                        ; -- End function
	.section	.AMDGPU.csdata,"",@progbits
; Kernel info:
; codeLenInByte = 9320
; NumSgprs: 27
; NumVgprs: 51
; ScratchSize: 0
; MemoryBound: 0
; FloatMode: 240
; IeeeMode: 1
; LDSByteSize: 12680 bytes/workgroup (compile time only)
; SGPRBlocks: 3
; VGPRBlocks: 6
; NumSGPRsForWavesPerEU: 27
; NumVGPRsForWavesPerEU: 51
; Occupancy: 15
; WaveLimiterHint : 1
; COMPUTE_PGM_RSRC2:SCRATCH_EN: 0
; COMPUTE_PGM_RSRC2:USER_SGPR: 15
; COMPUTE_PGM_RSRC2:TRAP_HANDLER: 0
; COMPUTE_PGM_RSRC2:TGID_X_EN: 1
; COMPUTE_PGM_RSRC2:TGID_Y_EN: 0
; COMPUTE_PGM_RSRC2:TGID_Z_EN: 0
; COMPUTE_PGM_RSRC2:TIDIG_COMP_CNT: 0
	.section	.text._ZN7rocprim17ROCPRIM_400000_NS6detail17trampoline_kernelINS0_14default_configENS1_25partition_config_selectorILNS1_17partition_subalgoE9EiibEEZZNS1_14partition_implILS5_9ELb0ES3_jN6thrust23THRUST_200600_302600_NS6detail15normal_iteratorINS9_10device_ptrIiEEEESE_PNS0_10empty_typeENS0_5tupleIJSE_SF_EEENSH_IJSE_SG_EEENS0_18inequality_wrapperINS9_8equal_toIiEEEEPmJSF_EEE10hipError_tPvRmT3_T4_T5_T6_T7_T9_mT8_P12ihipStream_tbDpT10_ENKUlT_T0_E_clISt17integral_constantIbLb1EES17_IbLb0EEEEDaS13_S14_EUlS13_E_NS1_11comp_targetILNS1_3genE8ELNS1_11target_archE1030ELNS1_3gpuE2ELNS1_3repE0EEENS1_30default_config_static_selectorELNS0_4arch9wavefront6targetE0EEEvT1_,"axG",@progbits,_ZN7rocprim17ROCPRIM_400000_NS6detail17trampoline_kernelINS0_14default_configENS1_25partition_config_selectorILNS1_17partition_subalgoE9EiibEEZZNS1_14partition_implILS5_9ELb0ES3_jN6thrust23THRUST_200600_302600_NS6detail15normal_iteratorINS9_10device_ptrIiEEEESE_PNS0_10empty_typeENS0_5tupleIJSE_SF_EEENSH_IJSE_SG_EEENS0_18inequality_wrapperINS9_8equal_toIiEEEEPmJSF_EEE10hipError_tPvRmT3_T4_T5_T6_T7_T9_mT8_P12ihipStream_tbDpT10_ENKUlT_T0_E_clISt17integral_constantIbLb1EES17_IbLb0EEEEDaS13_S14_EUlS13_E_NS1_11comp_targetILNS1_3genE8ELNS1_11target_archE1030ELNS1_3gpuE2ELNS1_3repE0EEENS1_30default_config_static_selectorELNS0_4arch9wavefront6targetE0EEEvT1_,comdat
	.protected	_ZN7rocprim17ROCPRIM_400000_NS6detail17trampoline_kernelINS0_14default_configENS1_25partition_config_selectorILNS1_17partition_subalgoE9EiibEEZZNS1_14partition_implILS5_9ELb0ES3_jN6thrust23THRUST_200600_302600_NS6detail15normal_iteratorINS9_10device_ptrIiEEEESE_PNS0_10empty_typeENS0_5tupleIJSE_SF_EEENSH_IJSE_SG_EEENS0_18inequality_wrapperINS9_8equal_toIiEEEEPmJSF_EEE10hipError_tPvRmT3_T4_T5_T6_T7_T9_mT8_P12ihipStream_tbDpT10_ENKUlT_T0_E_clISt17integral_constantIbLb1EES17_IbLb0EEEEDaS13_S14_EUlS13_E_NS1_11comp_targetILNS1_3genE8ELNS1_11target_archE1030ELNS1_3gpuE2ELNS1_3repE0EEENS1_30default_config_static_selectorELNS0_4arch9wavefront6targetE0EEEvT1_ ; -- Begin function _ZN7rocprim17ROCPRIM_400000_NS6detail17trampoline_kernelINS0_14default_configENS1_25partition_config_selectorILNS1_17partition_subalgoE9EiibEEZZNS1_14partition_implILS5_9ELb0ES3_jN6thrust23THRUST_200600_302600_NS6detail15normal_iteratorINS9_10device_ptrIiEEEESE_PNS0_10empty_typeENS0_5tupleIJSE_SF_EEENSH_IJSE_SG_EEENS0_18inequality_wrapperINS9_8equal_toIiEEEEPmJSF_EEE10hipError_tPvRmT3_T4_T5_T6_T7_T9_mT8_P12ihipStream_tbDpT10_ENKUlT_T0_E_clISt17integral_constantIbLb1EES17_IbLb0EEEEDaS13_S14_EUlS13_E_NS1_11comp_targetILNS1_3genE8ELNS1_11target_archE1030ELNS1_3gpuE2ELNS1_3repE0EEENS1_30default_config_static_selectorELNS0_4arch9wavefront6targetE0EEEvT1_
	.globl	_ZN7rocprim17ROCPRIM_400000_NS6detail17trampoline_kernelINS0_14default_configENS1_25partition_config_selectorILNS1_17partition_subalgoE9EiibEEZZNS1_14partition_implILS5_9ELb0ES3_jN6thrust23THRUST_200600_302600_NS6detail15normal_iteratorINS9_10device_ptrIiEEEESE_PNS0_10empty_typeENS0_5tupleIJSE_SF_EEENSH_IJSE_SG_EEENS0_18inequality_wrapperINS9_8equal_toIiEEEEPmJSF_EEE10hipError_tPvRmT3_T4_T5_T6_T7_T9_mT8_P12ihipStream_tbDpT10_ENKUlT_T0_E_clISt17integral_constantIbLb1EES17_IbLb0EEEEDaS13_S14_EUlS13_E_NS1_11comp_targetILNS1_3genE8ELNS1_11target_archE1030ELNS1_3gpuE2ELNS1_3repE0EEENS1_30default_config_static_selectorELNS0_4arch9wavefront6targetE0EEEvT1_
	.p2align	8
	.type	_ZN7rocprim17ROCPRIM_400000_NS6detail17trampoline_kernelINS0_14default_configENS1_25partition_config_selectorILNS1_17partition_subalgoE9EiibEEZZNS1_14partition_implILS5_9ELb0ES3_jN6thrust23THRUST_200600_302600_NS6detail15normal_iteratorINS9_10device_ptrIiEEEESE_PNS0_10empty_typeENS0_5tupleIJSE_SF_EEENSH_IJSE_SG_EEENS0_18inequality_wrapperINS9_8equal_toIiEEEEPmJSF_EEE10hipError_tPvRmT3_T4_T5_T6_T7_T9_mT8_P12ihipStream_tbDpT10_ENKUlT_T0_E_clISt17integral_constantIbLb1EES17_IbLb0EEEEDaS13_S14_EUlS13_E_NS1_11comp_targetILNS1_3genE8ELNS1_11target_archE1030ELNS1_3gpuE2ELNS1_3repE0EEENS1_30default_config_static_selectorELNS0_4arch9wavefront6targetE0EEEvT1_,@function
_ZN7rocprim17ROCPRIM_400000_NS6detail17trampoline_kernelINS0_14default_configENS1_25partition_config_selectorILNS1_17partition_subalgoE9EiibEEZZNS1_14partition_implILS5_9ELb0ES3_jN6thrust23THRUST_200600_302600_NS6detail15normal_iteratorINS9_10device_ptrIiEEEESE_PNS0_10empty_typeENS0_5tupleIJSE_SF_EEENSH_IJSE_SG_EEENS0_18inequality_wrapperINS9_8equal_toIiEEEEPmJSF_EEE10hipError_tPvRmT3_T4_T5_T6_T7_T9_mT8_P12ihipStream_tbDpT10_ENKUlT_T0_E_clISt17integral_constantIbLb1EES17_IbLb0EEEEDaS13_S14_EUlS13_E_NS1_11comp_targetILNS1_3genE8ELNS1_11target_archE1030ELNS1_3gpuE2ELNS1_3repE0EEENS1_30default_config_static_selectorELNS0_4arch9wavefront6targetE0EEEvT1_: ; @_ZN7rocprim17ROCPRIM_400000_NS6detail17trampoline_kernelINS0_14default_configENS1_25partition_config_selectorILNS1_17partition_subalgoE9EiibEEZZNS1_14partition_implILS5_9ELb0ES3_jN6thrust23THRUST_200600_302600_NS6detail15normal_iteratorINS9_10device_ptrIiEEEESE_PNS0_10empty_typeENS0_5tupleIJSE_SF_EEENSH_IJSE_SG_EEENS0_18inequality_wrapperINS9_8equal_toIiEEEEPmJSF_EEE10hipError_tPvRmT3_T4_T5_T6_T7_T9_mT8_P12ihipStream_tbDpT10_ENKUlT_T0_E_clISt17integral_constantIbLb1EES17_IbLb0EEEEDaS13_S14_EUlS13_E_NS1_11comp_targetILNS1_3genE8ELNS1_11target_archE1030ELNS1_3gpuE2ELNS1_3repE0EEENS1_30default_config_static_selectorELNS0_4arch9wavefront6targetE0EEEvT1_
; %bb.0:
	.section	.rodata,"a",@progbits
	.p2align	6, 0x0
	.amdhsa_kernel _ZN7rocprim17ROCPRIM_400000_NS6detail17trampoline_kernelINS0_14default_configENS1_25partition_config_selectorILNS1_17partition_subalgoE9EiibEEZZNS1_14partition_implILS5_9ELb0ES3_jN6thrust23THRUST_200600_302600_NS6detail15normal_iteratorINS9_10device_ptrIiEEEESE_PNS0_10empty_typeENS0_5tupleIJSE_SF_EEENSH_IJSE_SG_EEENS0_18inequality_wrapperINS9_8equal_toIiEEEEPmJSF_EEE10hipError_tPvRmT3_T4_T5_T6_T7_T9_mT8_P12ihipStream_tbDpT10_ENKUlT_T0_E_clISt17integral_constantIbLb1EES17_IbLb0EEEEDaS13_S14_EUlS13_E_NS1_11comp_targetILNS1_3genE8ELNS1_11target_archE1030ELNS1_3gpuE2ELNS1_3repE0EEENS1_30default_config_static_selectorELNS0_4arch9wavefront6targetE0EEEvT1_
		.amdhsa_group_segment_fixed_size 0
		.amdhsa_private_segment_fixed_size 0
		.amdhsa_kernarg_size 112
		.amdhsa_user_sgpr_count 15
		.amdhsa_user_sgpr_dispatch_ptr 0
		.amdhsa_user_sgpr_queue_ptr 0
		.amdhsa_user_sgpr_kernarg_segment_ptr 1
		.amdhsa_user_sgpr_dispatch_id 0
		.amdhsa_user_sgpr_private_segment_size 0
		.amdhsa_wavefront_size32 1
		.amdhsa_uses_dynamic_stack 0
		.amdhsa_enable_private_segment 0
		.amdhsa_system_sgpr_workgroup_id_x 1
		.amdhsa_system_sgpr_workgroup_id_y 0
		.amdhsa_system_sgpr_workgroup_id_z 0
		.amdhsa_system_sgpr_workgroup_info 0
		.amdhsa_system_vgpr_workitem_id 0
		.amdhsa_next_free_vgpr 1
		.amdhsa_next_free_sgpr 1
		.amdhsa_reserve_vcc 0
		.amdhsa_float_round_mode_32 0
		.amdhsa_float_round_mode_16_64 0
		.amdhsa_float_denorm_mode_32 3
		.amdhsa_float_denorm_mode_16_64 3
		.amdhsa_dx10_clamp 1
		.amdhsa_ieee_mode 1
		.amdhsa_fp16_overflow 0
		.amdhsa_workgroup_processor_mode 1
		.amdhsa_memory_ordered 1
		.amdhsa_forward_progress 0
		.amdhsa_shared_vgpr_count 0
		.amdhsa_exception_fp_ieee_invalid_op 0
		.amdhsa_exception_fp_denorm_src 0
		.amdhsa_exception_fp_ieee_div_zero 0
		.amdhsa_exception_fp_ieee_overflow 0
		.amdhsa_exception_fp_ieee_underflow 0
		.amdhsa_exception_fp_ieee_inexact 0
		.amdhsa_exception_int_div_zero 0
	.end_amdhsa_kernel
	.section	.text._ZN7rocprim17ROCPRIM_400000_NS6detail17trampoline_kernelINS0_14default_configENS1_25partition_config_selectorILNS1_17partition_subalgoE9EiibEEZZNS1_14partition_implILS5_9ELb0ES3_jN6thrust23THRUST_200600_302600_NS6detail15normal_iteratorINS9_10device_ptrIiEEEESE_PNS0_10empty_typeENS0_5tupleIJSE_SF_EEENSH_IJSE_SG_EEENS0_18inequality_wrapperINS9_8equal_toIiEEEEPmJSF_EEE10hipError_tPvRmT3_T4_T5_T6_T7_T9_mT8_P12ihipStream_tbDpT10_ENKUlT_T0_E_clISt17integral_constantIbLb1EES17_IbLb0EEEEDaS13_S14_EUlS13_E_NS1_11comp_targetILNS1_3genE8ELNS1_11target_archE1030ELNS1_3gpuE2ELNS1_3repE0EEENS1_30default_config_static_selectorELNS0_4arch9wavefront6targetE0EEEvT1_,"axG",@progbits,_ZN7rocprim17ROCPRIM_400000_NS6detail17trampoline_kernelINS0_14default_configENS1_25partition_config_selectorILNS1_17partition_subalgoE9EiibEEZZNS1_14partition_implILS5_9ELb0ES3_jN6thrust23THRUST_200600_302600_NS6detail15normal_iteratorINS9_10device_ptrIiEEEESE_PNS0_10empty_typeENS0_5tupleIJSE_SF_EEENSH_IJSE_SG_EEENS0_18inequality_wrapperINS9_8equal_toIiEEEEPmJSF_EEE10hipError_tPvRmT3_T4_T5_T6_T7_T9_mT8_P12ihipStream_tbDpT10_ENKUlT_T0_E_clISt17integral_constantIbLb1EES17_IbLb0EEEEDaS13_S14_EUlS13_E_NS1_11comp_targetILNS1_3genE8ELNS1_11target_archE1030ELNS1_3gpuE2ELNS1_3repE0EEENS1_30default_config_static_selectorELNS0_4arch9wavefront6targetE0EEEvT1_,comdat
.Lfunc_end427:
	.size	_ZN7rocprim17ROCPRIM_400000_NS6detail17trampoline_kernelINS0_14default_configENS1_25partition_config_selectorILNS1_17partition_subalgoE9EiibEEZZNS1_14partition_implILS5_9ELb0ES3_jN6thrust23THRUST_200600_302600_NS6detail15normal_iteratorINS9_10device_ptrIiEEEESE_PNS0_10empty_typeENS0_5tupleIJSE_SF_EEENSH_IJSE_SG_EEENS0_18inequality_wrapperINS9_8equal_toIiEEEEPmJSF_EEE10hipError_tPvRmT3_T4_T5_T6_T7_T9_mT8_P12ihipStream_tbDpT10_ENKUlT_T0_E_clISt17integral_constantIbLb1EES17_IbLb0EEEEDaS13_S14_EUlS13_E_NS1_11comp_targetILNS1_3genE8ELNS1_11target_archE1030ELNS1_3gpuE2ELNS1_3repE0EEENS1_30default_config_static_selectorELNS0_4arch9wavefront6targetE0EEEvT1_, .Lfunc_end427-_ZN7rocprim17ROCPRIM_400000_NS6detail17trampoline_kernelINS0_14default_configENS1_25partition_config_selectorILNS1_17partition_subalgoE9EiibEEZZNS1_14partition_implILS5_9ELb0ES3_jN6thrust23THRUST_200600_302600_NS6detail15normal_iteratorINS9_10device_ptrIiEEEESE_PNS0_10empty_typeENS0_5tupleIJSE_SF_EEENSH_IJSE_SG_EEENS0_18inequality_wrapperINS9_8equal_toIiEEEEPmJSF_EEE10hipError_tPvRmT3_T4_T5_T6_T7_T9_mT8_P12ihipStream_tbDpT10_ENKUlT_T0_E_clISt17integral_constantIbLb1EES17_IbLb0EEEEDaS13_S14_EUlS13_E_NS1_11comp_targetILNS1_3genE8ELNS1_11target_archE1030ELNS1_3gpuE2ELNS1_3repE0EEENS1_30default_config_static_selectorELNS0_4arch9wavefront6targetE0EEEvT1_
                                        ; -- End function
	.section	.AMDGPU.csdata,"",@progbits
; Kernel info:
; codeLenInByte = 0
; NumSgprs: 0
; NumVgprs: 0
; ScratchSize: 0
; MemoryBound: 0
; FloatMode: 240
; IeeeMode: 1
; LDSByteSize: 0 bytes/workgroup (compile time only)
; SGPRBlocks: 0
; VGPRBlocks: 0
; NumSGPRsForWavesPerEU: 1
; NumVGPRsForWavesPerEU: 1
; Occupancy: 16
; WaveLimiterHint : 0
; COMPUTE_PGM_RSRC2:SCRATCH_EN: 0
; COMPUTE_PGM_RSRC2:USER_SGPR: 15
; COMPUTE_PGM_RSRC2:TRAP_HANDLER: 0
; COMPUTE_PGM_RSRC2:TGID_X_EN: 1
; COMPUTE_PGM_RSRC2:TGID_Y_EN: 0
; COMPUTE_PGM_RSRC2:TGID_Z_EN: 0
; COMPUTE_PGM_RSRC2:TIDIG_COMP_CNT: 0
	.section	.text._ZN7rocprim17ROCPRIM_400000_NS6detail17trampoline_kernelINS0_14default_configENS1_25partition_config_selectorILNS1_17partition_subalgoE9EiibEEZZNS1_14partition_implILS5_9ELb0ES3_jN6thrust23THRUST_200600_302600_NS6detail15normal_iteratorINS9_10device_ptrIiEEEESE_PNS0_10empty_typeENS0_5tupleIJSE_SF_EEENSH_IJSE_SG_EEENS0_18inequality_wrapperINS9_8equal_toIiEEEEPmJSF_EEE10hipError_tPvRmT3_T4_T5_T6_T7_T9_mT8_P12ihipStream_tbDpT10_ENKUlT_T0_E_clISt17integral_constantIbLb0EES17_IbLb1EEEEDaS13_S14_EUlS13_E_NS1_11comp_targetILNS1_3genE0ELNS1_11target_archE4294967295ELNS1_3gpuE0ELNS1_3repE0EEENS1_30default_config_static_selectorELNS0_4arch9wavefront6targetE0EEEvT1_,"axG",@progbits,_ZN7rocprim17ROCPRIM_400000_NS6detail17trampoline_kernelINS0_14default_configENS1_25partition_config_selectorILNS1_17partition_subalgoE9EiibEEZZNS1_14partition_implILS5_9ELb0ES3_jN6thrust23THRUST_200600_302600_NS6detail15normal_iteratorINS9_10device_ptrIiEEEESE_PNS0_10empty_typeENS0_5tupleIJSE_SF_EEENSH_IJSE_SG_EEENS0_18inequality_wrapperINS9_8equal_toIiEEEEPmJSF_EEE10hipError_tPvRmT3_T4_T5_T6_T7_T9_mT8_P12ihipStream_tbDpT10_ENKUlT_T0_E_clISt17integral_constantIbLb0EES17_IbLb1EEEEDaS13_S14_EUlS13_E_NS1_11comp_targetILNS1_3genE0ELNS1_11target_archE4294967295ELNS1_3gpuE0ELNS1_3repE0EEENS1_30default_config_static_selectorELNS0_4arch9wavefront6targetE0EEEvT1_,comdat
	.protected	_ZN7rocprim17ROCPRIM_400000_NS6detail17trampoline_kernelINS0_14default_configENS1_25partition_config_selectorILNS1_17partition_subalgoE9EiibEEZZNS1_14partition_implILS5_9ELb0ES3_jN6thrust23THRUST_200600_302600_NS6detail15normal_iteratorINS9_10device_ptrIiEEEESE_PNS0_10empty_typeENS0_5tupleIJSE_SF_EEENSH_IJSE_SG_EEENS0_18inequality_wrapperINS9_8equal_toIiEEEEPmJSF_EEE10hipError_tPvRmT3_T4_T5_T6_T7_T9_mT8_P12ihipStream_tbDpT10_ENKUlT_T0_E_clISt17integral_constantIbLb0EES17_IbLb1EEEEDaS13_S14_EUlS13_E_NS1_11comp_targetILNS1_3genE0ELNS1_11target_archE4294967295ELNS1_3gpuE0ELNS1_3repE0EEENS1_30default_config_static_selectorELNS0_4arch9wavefront6targetE0EEEvT1_ ; -- Begin function _ZN7rocprim17ROCPRIM_400000_NS6detail17trampoline_kernelINS0_14default_configENS1_25partition_config_selectorILNS1_17partition_subalgoE9EiibEEZZNS1_14partition_implILS5_9ELb0ES3_jN6thrust23THRUST_200600_302600_NS6detail15normal_iteratorINS9_10device_ptrIiEEEESE_PNS0_10empty_typeENS0_5tupleIJSE_SF_EEENSH_IJSE_SG_EEENS0_18inequality_wrapperINS9_8equal_toIiEEEEPmJSF_EEE10hipError_tPvRmT3_T4_T5_T6_T7_T9_mT8_P12ihipStream_tbDpT10_ENKUlT_T0_E_clISt17integral_constantIbLb0EES17_IbLb1EEEEDaS13_S14_EUlS13_E_NS1_11comp_targetILNS1_3genE0ELNS1_11target_archE4294967295ELNS1_3gpuE0ELNS1_3repE0EEENS1_30default_config_static_selectorELNS0_4arch9wavefront6targetE0EEEvT1_
	.globl	_ZN7rocprim17ROCPRIM_400000_NS6detail17trampoline_kernelINS0_14default_configENS1_25partition_config_selectorILNS1_17partition_subalgoE9EiibEEZZNS1_14partition_implILS5_9ELb0ES3_jN6thrust23THRUST_200600_302600_NS6detail15normal_iteratorINS9_10device_ptrIiEEEESE_PNS0_10empty_typeENS0_5tupleIJSE_SF_EEENSH_IJSE_SG_EEENS0_18inequality_wrapperINS9_8equal_toIiEEEEPmJSF_EEE10hipError_tPvRmT3_T4_T5_T6_T7_T9_mT8_P12ihipStream_tbDpT10_ENKUlT_T0_E_clISt17integral_constantIbLb0EES17_IbLb1EEEEDaS13_S14_EUlS13_E_NS1_11comp_targetILNS1_3genE0ELNS1_11target_archE4294967295ELNS1_3gpuE0ELNS1_3repE0EEENS1_30default_config_static_selectorELNS0_4arch9wavefront6targetE0EEEvT1_
	.p2align	8
	.type	_ZN7rocprim17ROCPRIM_400000_NS6detail17trampoline_kernelINS0_14default_configENS1_25partition_config_selectorILNS1_17partition_subalgoE9EiibEEZZNS1_14partition_implILS5_9ELb0ES3_jN6thrust23THRUST_200600_302600_NS6detail15normal_iteratorINS9_10device_ptrIiEEEESE_PNS0_10empty_typeENS0_5tupleIJSE_SF_EEENSH_IJSE_SG_EEENS0_18inequality_wrapperINS9_8equal_toIiEEEEPmJSF_EEE10hipError_tPvRmT3_T4_T5_T6_T7_T9_mT8_P12ihipStream_tbDpT10_ENKUlT_T0_E_clISt17integral_constantIbLb0EES17_IbLb1EEEEDaS13_S14_EUlS13_E_NS1_11comp_targetILNS1_3genE0ELNS1_11target_archE4294967295ELNS1_3gpuE0ELNS1_3repE0EEENS1_30default_config_static_selectorELNS0_4arch9wavefront6targetE0EEEvT1_,@function
_ZN7rocprim17ROCPRIM_400000_NS6detail17trampoline_kernelINS0_14default_configENS1_25partition_config_selectorILNS1_17partition_subalgoE9EiibEEZZNS1_14partition_implILS5_9ELb0ES3_jN6thrust23THRUST_200600_302600_NS6detail15normal_iteratorINS9_10device_ptrIiEEEESE_PNS0_10empty_typeENS0_5tupleIJSE_SF_EEENSH_IJSE_SG_EEENS0_18inequality_wrapperINS9_8equal_toIiEEEEPmJSF_EEE10hipError_tPvRmT3_T4_T5_T6_T7_T9_mT8_P12ihipStream_tbDpT10_ENKUlT_T0_E_clISt17integral_constantIbLb0EES17_IbLb1EEEEDaS13_S14_EUlS13_E_NS1_11comp_targetILNS1_3genE0ELNS1_11target_archE4294967295ELNS1_3gpuE0ELNS1_3repE0EEENS1_30default_config_static_selectorELNS0_4arch9wavefront6targetE0EEEvT1_: ; @_ZN7rocprim17ROCPRIM_400000_NS6detail17trampoline_kernelINS0_14default_configENS1_25partition_config_selectorILNS1_17partition_subalgoE9EiibEEZZNS1_14partition_implILS5_9ELb0ES3_jN6thrust23THRUST_200600_302600_NS6detail15normal_iteratorINS9_10device_ptrIiEEEESE_PNS0_10empty_typeENS0_5tupleIJSE_SF_EEENSH_IJSE_SG_EEENS0_18inequality_wrapperINS9_8equal_toIiEEEEPmJSF_EEE10hipError_tPvRmT3_T4_T5_T6_T7_T9_mT8_P12ihipStream_tbDpT10_ENKUlT_T0_E_clISt17integral_constantIbLb0EES17_IbLb1EEEEDaS13_S14_EUlS13_E_NS1_11comp_targetILNS1_3genE0ELNS1_11target_archE4294967295ELNS1_3gpuE0ELNS1_3repE0EEENS1_30default_config_static_selectorELNS0_4arch9wavefront6targetE0EEEvT1_
; %bb.0:
	.section	.rodata,"a",@progbits
	.p2align	6, 0x0
	.amdhsa_kernel _ZN7rocprim17ROCPRIM_400000_NS6detail17trampoline_kernelINS0_14default_configENS1_25partition_config_selectorILNS1_17partition_subalgoE9EiibEEZZNS1_14partition_implILS5_9ELb0ES3_jN6thrust23THRUST_200600_302600_NS6detail15normal_iteratorINS9_10device_ptrIiEEEESE_PNS0_10empty_typeENS0_5tupleIJSE_SF_EEENSH_IJSE_SG_EEENS0_18inequality_wrapperINS9_8equal_toIiEEEEPmJSF_EEE10hipError_tPvRmT3_T4_T5_T6_T7_T9_mT8_P12ihipStream_tbDpT10_ENKUlT_T0_E_clISt17integral_constantIbLb0EES17_IbLb1EEEEDaS13_S14_EUlS13_E_NS1_11comp_targetILNS1_3genE0ELNS1_11target_archE4294967295ELNS1_3gpuE0ELNS1_3repE0EEENS1_30default_config_static_selectorELNS0_4arch9wavefront6targetE0EEEvT1_
		.amdhsa_group_segment_fixed_size 0
		.amdhsa_private_segment_fixed_size 0
		.amdhsa_kernarg_size 128
		.amdhsa_user_sgpr_count 15
		.amdhsa_user_sgpr_dispatch_ptr 0
		.amdhsa_user_sgpr_queue_ptr 0
		.amdhsa_user_sgpr_kernarg_segment_ptr 1
		.amdhsa_user_sgpr_dispatch_id 0
		.amdhsa_user_sgpr_private_segment_size 0
		.amdhsa_wavefront_size32 1
		.amdhsa_uses_dynamic_stack 0
		.amdhsa_enable_private_segment 0
		.amdhsa_system_sgpr_workgroup_id_x 1
		.amdhsa_system_sgpr_workgroup_id_y 0
		.amdhsa_system_sgpr_workgroup_id_z 0
		.amdhsa_system_sgpr_workgroup_info 0
		.amdhsa_system_vgpr_workitem_id 0
		.amdhsa_next_free_vgpr 1
		.amdhsa_next_free_sgpr 1
		.amdhsa_reserve_vcc 0
		.amdhsa_float_round_mode_32 0
		.amdhsa_float_round_mode_16_64 0
		.amdhsa_float_denorm_mode_32 3
		.amdhsa_float_denorm_mode_16_64 3
		.amdhsa_dx10_clamp 1
		.amdhsa_ieee_mode 1
		.amdhsa_fp16_overflow 0
		.amdhsa_workgroup_processor_mode 1
		.amdhsa_memory_ordered 1
		.amdhsa_forward_progress 0
		.amdhsa_shared_vgpr_count 0
		.amdhsa_exception_fp_ieee_invalid_op 0
		.amdhsa_exception_fp_denorm_src 0
		.amdhsa_exception_fp_ieee_div_zero 0
		.amdhsa_exception_fp_ieee_overflow 0
		.amdhsa_exception_fp_ieee_underflow 0
		.amdhsa_exception_fp_ieee_inexact 0
		.amdhsa_exception_int_div_zero 0
	.end_amdhsa_kernel
	.section	.text._ZN7rocprim17ROCPRIM_400000_NS6detail17trampoline_kernelINS0_14default_configENS1_25partition_config_selectorILNS1_17partition_subalgoE9EiibEEZZNS1_14partition_implILS5_9ELb0ES3_jN6thrust23THRUST_200600_302600_NS6detail15normal_iteratorINS9_10device_ptrIiEEEESE_PNS0_10empty_typeENS0_5tupleIJSE_SF_EEENSH_IJSE_SG_EEENS0_18inequality_wrapperINS9_8equal_toIiEEEEPmJSF_EEE10hipError_tPvRmT3_T4_T5_T6_T7_T9_mT8_P12ihipStream_tbDpT10_ENKUlT_T0_E_clISt17integral_constantIbLb0EES17_IbLb1EEEEDaS13_S14_EUlS13_E_NS1_11comp_targetILNS1_3genE0ELNS1_11target_archE4294967295ELNS1_3gpuE0ELNS1_3repE0EEENS1_30default_config_static_selectorELNS0_4arch9wavefront6targetE0EEEvT1_,"axG",@progbits,_ZN7rocprim17ROCPRIM_400000_NS6detail17trampoline_kernelINS0_14default_configENS1_25partition_config_selectorILNS1_17partition_subalgoE9EiibEEZZNS1_14partition_implILS5_9ELb0ES3_jN6thrust23THRUST_200600_302600_NS6detail15normal_iteratorINS9_10device_ptrIiEEEESE_PNS0_10empty_typeENS0_5tupleIJSE_SF_EEENSH_IJSE_SG_EEENS0_18inequality_wrapperINS9_8equal_toIiEEEEPmJSF_EEE10hipError_tPvRmT3_T4_T5_T6_T7_T9_mT8_P12ihipStream_tbDpT10_ENKUlT_T0_E_clISt17integral_constantIbLb0EES17_IbLb1EEEEDaS13_S14_EUlS13_E_NS1_11comp_targetILNS1_3genE0ELNS1_11target_archE4294967295ELNS1_3gpuE0ELNS1_3repE0EEENS1_30default_config_static_selectorELNS0_4arch9wavefront6targetE0EEEvT1_,comdat
.Lfunc_end428:
	.size	_ZN7rocprim17ROCPRIM_400000_NS6detail17trampoline_kernelINS0_14default_configENS1_25partition_config_selectorILNS1_17partition_subalgoE9EiibEEZZNS1_14partition_implILS5_9ELb0ES3_jN6thrust23THRUST_200600_302600_NS6detail15normal_iteratorINS9_10device_ptrIiEEEESE_PNS0_10empty_typeENS0_5tupleIJSE_SF_EEENSH_IJSE_SG_EEENS0_18inequality_wrapperINS9_8equal_toIiEEEEPmJSF_EEE10hipError_tPvRmT3_T4_T5_T6_T7_T9_mT8_P12ihipStream_tbDpT10_ENKUlT_T0_E_clISt17integral_constantIbLb0EES17_IbLb1EEEEDaS13_S14_EUlS13_E_NS1_11comp_targetILNS1_3genE0ELNS1_11target_archE4294967295ELNS1_3gpuE0ELNS1_3repE0EEENS1_30default_config_static_selectorELNS0_4arch9wavefront6targetE0EEEvT1_, .Lfunc_end428-_ZN7rocprim17ROCPRIM_400000_NS6detail17trampoline_kernelINS0_14default_configENS1_25partition_config_selectorILNS1_17partition_subalgoE9EiibEEZZNS1_14partition_implILS5_9ELb0ES3_jN6thrust23THRUST_200600_302600_NS6detail15normal_iteratorINS9_10device_ptrIiEEEESE_PNS0_10empty_typeENS0_5tupleIJSE_SF_EEENSH_IJSE_SG_EEENS0_18inequality_wrapperINS9_8equal_toIiEEEEPmJSF_EEE10hipError_tPvRmT3_T4_T5_T6_T7_T9_mT8_P12ihipStream_tbDpT10_ENKUlT_T0_E_clISt17integral_constantIbLb0EES17_IbLb1EEEEDaS13_S14_EUlS13_E_NS1_11comp_targetILNS1_3genE0ELNS1_11target_archE4294967295ELNS1_3gpuE0ELNS1_3repE0EEENS1_30default_config_static_selectorELNS0_4arch9wavefront6targetE0EEEvT1_
                                        ; -- End function
	.section	.AMDGPU.csdata,"",@progbits
; Kernel info:
; codeLenInByte = 0
; NumSgprs: 0
; NumVgprs: 0
; ScratchSize: 0
; MemoryBound: 0
; FloatMode: 240
; IeeeMode: 1
; LDSByteSize: 0 bytes/workgroup (compile time only)
; SGPRBlocks: 0
; VGPRBlocks: 0
; NumSGPRsForWavesPerEU: 1
; NumVGPRsForWavesPerEU: 1
; Occupancy: 16
; WaveLimiterHint : 0
; COMPUTE_PGM_RSRC2:SCRATCH_EN: 0
; COMPUTE_PGM_RSRC2:USER_SGPR: 15
; COMPUTE_PGM_RSRC2:TRAP_HANDLER: 0
; COMPUTE_PGM_RSRC2:TGID_X_EN: 1
; COMPUTE_PGM_RSRC2:TGID_Y_EN: 0
; COMPUTE_PGM_RSRC2:TGID_Z_EN: 0
; COMPUTE_PGM_RSRC2:TIDIG_COMP_CNT: 0
	.section	.text._ZN7rocprim17ROCPRIM_400000_NS6detail17trampoline_kernelINS0_14default_configENS1_25partition_config_selectorILNS1_17partition_subalgoE9EiibEEZZNS1_14partition_implILS5_9ELb0ES3_jN6thrust23THRUST_200600_302600_NS6detail15normal_iteratorINS9_10device_ptrIiEEEESE_PNS0_10empty_typeENS0_5tupleIJSE_SF_EEENSH_IJSE_SG_EEENS0_18inequality_wrapperINS9_8equal_toIiEEEEPmJSF_EEE10hipError_tPvRmT3_T4_T5_T6_T7_T9_mT8_P12ihipStream_tbDpT10_ENKUlT_T0_E_clISt17integral_constantIbLb0EES17_IbLb1EEEEDaS13_S14_EUlS13_E_NS1_11comp_targetILNS1_3genE5ELNS1_11target_archE942ELNS1_3gpuE9ELNS1_3repE0EEENS1_30default_config_static_selectorELNS0_4arch9wavefront6targetE0EEEvT1_,"axG",@progbits,_ZN7rocprim17ROCPRIM_400000_NS6detail17trampoline_kernelINS0_14default_configENS1_25partition_config_selectorILNS1_17partition_subalgoE9EiibEEZZNS1_14partition_implILS5_9ELb0ES3_jN6thrust23THRUST_200600_302600_NS6detail15normal_iteratorINS9_10device_ptrIiEEEESE_PNS0_10empty_typeENS0_5tupleIJSE_SF_EEENSH_IJSE_SG_EEENS0_18inequality_wrapperINS9_8equal_toIiEEEEPmJSF_EEE10hipError_tPvRmT3_T4_T5_T6_T7_T9_mT8_P12ihipStream_tbDpT10_ENKUlT_T0_E_clISt17integral_constantIbLb0EES17_IbLb1EEEEDaS13_S14_EUlS13_E_NS1_11comp_targetILNS1_3genE5ELNS1_11target_archE942ELNS1_3gpuE9ELNS1_3repE0EEENS1_30default_config_static_selectorELNS0_4arch9wavefront6targetE0EEEvT1_,comdat
	.protected	_ZN7rocprim17ROCPRIM_400000_NS6detail17trampoline_kernelINS0_14default_configENS1_25partition_config_selectorILNS1_17partition_subalgoE9EiibEEZZNS1_14partition_implILS5_9ELb0ES3_jN6thrust23THRUST_200600_302600_NS6detail15normal_iteratorINS9_10device_ptrIiEEEESE_PNS0_10empty_typeENS0_5tupleIJSE_SF_EEENSH_IJSE_SG_EEENS0_18inequality_wrapperINS9_8equal_toIiEEEEPmJSF_EEE10hipError_tPvRmT3_T4_T5_T6_T7_T9_mT8_P12ihipStream_tbDpT10_ENKUlT_T0_E_clISt17integral_constantIbLb0EES17_IbLb1EEEEDaS13_S14_EUlS13_E_NS1_11comp_targetILNS1_3genE5ELNS1_11target_archE942ELNS1_3gpuE9ELNS1_3repE0EEENS1_30default_config_static_selectorELNS0_4arch9wavefront6targetE0EEEvT1_ ; -- Begin function _ZN7rocprim17ROCPRIM_400000_NS6detail17trampoline_kernelINS0_14default_configENS1_25partition_config_selectorILNS1_17partition_subalgoE9EiibEEZZNS1_14partition_implILS5_9ELb0ES3_jN6thrust23THRUST_200600_302600_NS6detail15normal_iteratorINS9_10device_ptrIiEEEESE_PNS0_10empty_typeENS0_5tupleIJSE_SF_EEENSH_IJSE_SG_EEENS0_18inequality_wrapperINS9_8equal_toIiEEEEPmJSF_EEE10hipError_tPvRmT3_T4_T5_T6_T7_T9_mT8_P12ihipStream_tbDpT10_ENKUlT_T0_E_clISt17integral_constantIbLb0EES17_IbLb1EEEEDaS13_S14_EUlS13_E_NS1_11comp_targetILNS1_3genE5ELNS1_11target_archE942ELNS1_3gpuE9ELNS1_3repE0EEENS1_30default_config_static_selectorELNS0_4arch9wavefront6targetE0EEEvT1_
	.globl	_ZN7rocprim17ROCPRIM_400000_NS6detail17trampoline_kernelINS0_14default_configENS1_25partition_config_selectorILNS1_17partition_subalgoE9EiibEEZZNS1_14partition_implILS5_9ELb0ES3_jN6thrust23THRUST_200600_302600_NS6detail15normal_iteratorINS9_10device_ptrIiEEEESE_PNS0_10empty_typeENS0_5tupleIJSE_SF_EEENSH_IJSE_SG_EEENS0_18inequality_wrapperINS9_8equal_toIiEEEEPmJSF_EEE10hipError_tPvRmT3_T4_T5_T6_T7_T9_mT8_P12ihipStream_tbDpT10_ENKUlT_T0_E_clISt17integral_constantIbLb0EES17_IbLb1EEEEDaS13_S14_EUlS13_E_NS1_11comp_targetILNS1_3genE5ELNS1_11target_archE942ELNS1_3gpuE9ELNS1_3repE0EEENS1_30default_config_static_selectorELNS0_4arch9wavefront6targetE0EEEvT1_
	.p2align	8
	.type	_ZN7rocprim17ROCPRIM_400000_NS6detail17trampoline_kernelINS0_14default_configENS1_25partition_config_selectorILNS1_17partition_subalgoE9EiibEEZZNS1_14partition_implILS5_9ELb0ES3_jN6thrust23THRUST_200600_302600_NS6detail15normal_iteratorINS9_10device_ptrIiEEEESE_PNS0_10empty_typeENS0_5tupleIJSE_SF_EEENSH_IJSE_SG_EEENS0_18inequality_wrapperINS9_8equal_toIiEEEEPmJSF_EEE10hipError_tPvRmT3_T4_T5_T6_T7_T9_mT8_P12ihipStream_tbDpT10_ENKUlT_T0_E_clISt17integral_constantIbLb0EES17_IbLb1EEEEDaS13_S14_EUlS13_E_NS1_11comp_targetILNS1_3genE5ELNS1_11target_archE942ELNS1_3gpuE9ELNS1_3repE0EEENS1_30default_config_static_selectorELNS0_4arch9wavefront6targetE0EEEvT1_,@function
_ZN7rocprim17ROCPRIM_400000_NS6detail17trampoline_kernelINS0_14default_configENS1_25partition_config_selectorILNS1_17partition_subalgoE9EiibEEZZNS1_14partition_implILS5_9ELb0ES3_jN6thrust23THRUST_200600_302600_NS6detail15normal_iteratorINS9_10device_ptrIiEEEESE_PNS0_10empty_typeENS0_5tupleIJSE_SF_EEENSH_IJSE_SG_EEENS0_18inequality_wrapperINS9_8equal_toIiEEEEPmJSF_EEE10hipError_tPvRmT3_T4_T5_T6_T7_T9_mT8_P12ihipStream_tbDpT10_ENKUlT_T0_E_clISt17integral_constantIbLb0EES17_IbLb1EEEEDaS13_S14_EUlS13_E_NS1_11comp_targetILNS1_3genE5ELNS1_11target_archE942ELNS1_3gpuE9ELNS1_3repE0EEENS1_30default_config_static_selectorELNS0_4arch9wavefront6targetE0EEEvT1_: ; @_ZN7rocprim17ROCPRIM_400000_NS6detail17trampoline_kernelINS0_14default_configENS1_25partition_config_selectorILNS1_17partition_subalgoE9EiibEEZZNS1_14partition_implILS5_9ELb0ES3_jN6thrust23THRUST_200600_302600_NS6detail15normal_iteratorINS9_10device_ptrIiEEEESE_PNS0_10empty_typeENS0_5tupleIJSE_SF_EEENSH_IJSE_SG_EEENS0_18inequality_wrapperINS9_8equal_toIiEEEEPmJSF_EEE10hipError_tPvRmT3_T4_T5_T6_T7_T9_mT8_P12ihipStream_tbDpT10_ENKUlT_T0_E_clISt17integral_constantIbLb0EES17_IbLb1EEEEDaS13_S14_EUlS13_E_NS1_11comp_targetILNS1_3genE5ELNS1_11target_archE942ELNS1_3gpuE9ELNS1_3repE0EEENS1_30default_config_static_selectorELNS0_4arch9wavefront6targetE0EEEvT1_
; %bb.0:
	.section	.rodata,"a",@progbits
	.p2align	6, 0x0
	.amdhsa_kernel _ZN7rocprim17ROCPRIM_400000_NS6detail17trampoline_kernelINS0_14default_configENS1_25partition_config_selectorILNS1_17partition_subalgoE9EiibEEZZNS1_14partition_implILS5_9ELb0ES3_jN6thrust23THRUST_200600_302600_NS6detail15normal_iteratorINS9_10device_ptrIiEEEESE_PNS0_10empty_typeENS0_5tupleIJSE_SF_EEENSH_IJSE_SG_EEENS0_18inequality_wrapperINS9_8equal_toIiEEEEPmJSF_EEE10hipError_tPvRmT3_T4_T5_T6_T7_T9_mT8_P12ihipStream_tbDpT10_ENKUlT_T0_E_clISt17integral_constantIbLb0EES17_IbLb1EEEEDaS13_S14_EUlS13_E_NS1_11comp_targetILNS1_3genE5ELNS1_11target_archE942ELNS1_3gpuE9ELNS1_3repE0EEENS1_30default_config_static_selectorELNS0_4arch9wavefront6targetE0EEEvT1_
		.amdhsa_group_segment_fixed_size 0
		.amdhsa_private_segment_fixed_size 0
		.amdhsa_kernarg_size 128
		.amdhsa_user_sgpr_count 15
		.amdhsa_user_sgpr_dispatch_ptr 0
		.amdhsa_user_sgpr_queue_ptr 0
		.amdhsa_user_sgpr_kernarg_segment_ptr 1
		.amdhsa_user_sgpr_dispatch_id 0
		.amdhsa_user_sgpr_private_segment_size 0
		.amdhsa_wavefront_size32 1
		.amdhsa_uses_dynamic_stack 0
		.amdhsa_enable_private_segment 0
		.amdhsa_system_sgpr_workgroup_id_x 1
		.amdhsa_system_sgpr_workgroup_id_y 0
		.amdhsa_system_sgpr_workgroup_id_z 0
		.amdhsa_system_sgpr_workgroup_info 0
		.amdhsa_system_vgpr_workitem_id 0
		.amdhsa_next_free_vgpr 1
		.amdhsa_next_free_sgpr 1
		.amdhsa_reserve_vcc 0
		.amdhsa_float_round_mode_32 0
		.amdhsa_float_round_mode_16_64 0
		.amdhsa_float_denorm_mode_32 3
		.amdhsa_float_denorm_mode_16_64 3
		.amdhsa_dx10_clamp 1
		.amdhsa_ieee_mode 1
		.amdhsa_fp16_overflow 0
		.amdhsa_workgroup_processor_mode 1
		.amdhsa_memory_ordered 1
		.amdhsa_forward_progress 0
		.amdhsa_shared_vgpr_count 0
		.amdhsa_exception_fp_ieee_invalid_op 0
		.amdhsa_exception_fp_denorm_src 0
		.amdhsa_exception_fp_ieee_div_zero 0
		.amdhsa_exception_fp_ieee_overflow 0
		.amdhsa_exception_fp_ieee_underflow 0
		.amdhsa_exception_fp_ieee_inexact 0
		.amdhsa_exception_int_div_zero 0
	.end_amdhsa_kernel
	.section	.text._ZN7rocprim17ROCPRIM_400000_NS6detail17trampoline_kernelINS0_14default_configENS1_25partition_config_selectorILNS1_17partition_subalgoE9EiibEEZZNS1_14partition_implILS5_9ELb0ES3_jN6thrust23THRUST_200600_302600_NS6detail15normal_iteratorINS9_10device_ptrIiEEEESE_PNS0_10empty_typeENS0_5tupleIJSE_SF_EEENSH_IJSE_SG_EEENS0_18inequality_wrapperINS9_8equal_toIiEEEEPmJSF_EEE10hipError_tPvRmT3_T4_T5_T6_T7_T9_mT8_P12ihipStream_tbDpT10_ENKUlT_T0_E_clISt17integral_constantIbLb0EES17_IbLb1EEEEDaS13_S14_EUlS13_E_NS1_11comp_targetILNS1_3genE5ELNS1_11target_archE942ELNS1_3gpuE9ELNS1_3repE0EEENS1_30default_config_static_selectorELNS0_4arch9wavefront6targetE0EEEvT1_,"axG",@progbits,_ZN7rocprim17ROCPRIM_400000_NS6detail17trampoline_kernelINS0_14default_configENS1_25partition_config_selectorILNS1_17partition_subalgoE9EiibEEZZNS1_14partition_implILS5_9ELb0ES3_jN6thrust23THRUST_200600_302600_NS6detail15normal_iteratorINS9_10device_ptrIiEEEESE_PNS0_10empty_typeENS0_5tupleIJSE_SF_EEENSH_IJSE_SG_EEENS0_18inequality_wrapperINS9_8equal_toIiEEEEPmJSF_EEE10hipError_tPvRmT3_T4_T5_T6_T7_T9_mT8_P12ihipStream_tbDpT10_ENKUlT_T0_E_clISt17integral_constantIbLb0EES17_IbLb1EEEEDaS13_S14_EUlS13_E_NS1_11comp_targetILNS1_3genE5ELNS1_11target_archE942ELNS1_3gpuE9ELNS1_3repE0EEENS1_30default_config_static_selectorELNS0_4arch9wavefront6targetE0EEEvT1_,comdat
.Lfunc_end429:
	.size	_ZN7rocprim17ROCPRIM_400000_NS6detail17trampoline_kernelINS0_14default_configENS1_25partition_config_selectorILNS1_17partition_subalgoE9EiibEEZZNS1_14partition_implILS5_9ELb0ES3_jN6thrust23THRUST_200600_302600_NS6detail15normal_iteratorINS9_10device_ptrIiEEEESE_PNS0_10empty_typeENS0_5tupleIJSE_SF_EEENSH_IJSE_SG_EEENS0_18inequality_wrapperINS9_8equal_toIiEEEEPmJSF_EEE10hipError_tPvRmT3_T4_T5_T6_T7_T9_mT8_P12ihipStream_tbDpT10_ENKUlT_T0_E_clISt17integral_constantIbLb0EES17_IbLb1EEEEDaS13_S14_EUlS13_E_NS1_11comp_targetILNS1_3genE5ELNS1_11target_archE942ELNS1_3gpuE9ELNS1_3repE0EEENS1_30default_config_static_selectorELNS0_4arch9wavefront6targetE0EEEvT1_, .Lfunc_end429-_ZN7rocprim17ROCPRIM_400000_NS6detail17trampoline_kernelINS0_14default_configENS1_25partition_config_selectorILNS1_17partition_subalgoE9EiibEEZZNS1_14partition_implILS5_9ELb0ES3_jN6thrust23THRUST_200600_302600_NS6detail15normal_iteratorINS9_10device_ptrIiEEEESE_PNS0_10empty_typeENS0_5tupleIJSE_SF_EEENSH_IJSE_SG_EEENS0_18inequality_wrapperINS9_8equal_toIiEEEEPmJSF_EEE10hipError_tPvRmT3_T4_T5_T6_T7_T9_mT8_P12ihipStream_tbDpT10_ENKUlT_T0_E_clISt17integral_constantIbLb0EES17_IbLb1EEEEDaS13_S14_EUlS13_E_NS1_11comp_targetILNS1_3genE5ELNS1_11target_archE942ELNS1_3gpuE9ELNS1_3repE0EEENS1_30default_config_static_selectorELNS0_4arch9wavefront6targetE0EEEvT1_
                                        ; -- End function
	.section	.AMDGPU.csdata,"",@progbits
; Kernel info:
; codeLenInByte = 0
; NumSgprs: 0
; NumVgprs: 0
; ScratchSize: 0
; MemoryBound: 0
; FloatMode: 240
; IeeeMode: 1
; LDSByteSize: 0 bytes/workgroup (compile time only)
; SGPRBlocks: 0
; VGPRBlocks: 0
; NumSGPRsForWavesPerEU: 1
; NumVGPRsForWavesPerEU: 1
; Occupancy: 16
; WaveLimiterHint : 0
; COMPUTE_PGM_RSRC2:SCRATCH_EN: 0
; COMPUTE_PGM_RSRC2:USER_SGPR: 15
; COMPUTE_PGM_RSRC2:TRAP_HANDLER: 0
; COMPUTE_PGM_RSRC2:TGID_X_EN: 1
; COMPUTE_PGM_RSRC2:TGID_Y_EN: 0
; COMPUTE_PGM_RSRC2:TGID_Z_EN: 0
; COMPUTE_PGM_RSRC2:TIDIG_COMP_CNT: 0
	.section	.text._ZN7rocprim17ROCPRIM_400000_NS6detail17trampoline_kernelINS0_14default_configENS1_25partition_config_selectorILNS1_17partition_subalgoE9EiibEEZZNS1_14partition_implILS5_9ELb0ES3_jN6thrust23THRUST_200600_302600_NS6detail15normal_iteratorINS9_10device_ptrIiEEEESE_PNS0_10empty_typeENS0_5tupleIJSE_SF_EEENSH_IJSE_SG_EEENS0_18inequality_wrapperINS9_8equal_toIiEEEEPmJSF_EEE10hipError_tPvRmT3_T4_T5_T6_T7_T9_mT8_P12ihipStream_tbDpT10_ENKUlT_T0_E_clISt17integral_constantIbLb0EES17_IbLb1EEEEDaS13_S14_EUlS13_E_NS1_11comp_targetILNS1_3genE4ELNS1_11target_archE910ELNS1_3gpuE8ELNS1_3repE0EEENS1_30default_config_static_selectorELNS0_4arch9wavefront6targetE0EEEvT1_,"axG",@progbits,_ZN7rocprim17ROCPRIM_400000_NS6detail17trampoline_kernelINS0_14default_configENS1_25partition_config_selectorILNS1_17partition_subalgoE9EiibEEZZNS1_14partition_implILS5_9ELb0ES3_jN6thrust23THRUST_200600_302600_NS6detail15normal_iteratorINS9_10device_ptrIiEEEESE_PNS0_10empty_typeENS0_5tupleIJSE_SF_EEENSH_IJSE_SG_EEENS0_18inequality_wrapperINS9_8equal_toIiEEEEPmJSF_EEE10hipError_tPvRmT3_T4_T5_T6_T7_T9_mT8_P12ihipStream_tbDpT10_ENKUlT_T0_E_clISt17integral_constantIbLb0EES17_IbLb1EEEEDaS13_S14_EUlS13_E_NS1_11comp_targetILNS1_3genE4ELNS1_11target_archE910ELNS1_3gpuE8ELNS1_3repE0EEENS1_30default_config_static_selectorELNS0_4arch9wavefront6targetE0EEEvT1_,comdat
	.protected	_ZN7rocprim17ROCPRIM_400000_NS6detail17trampoline_kernelINS0_14default_configENS1_25partition_config_selectorILNS1_17partition_subalgoE9EiibEEZZNS1_14partition_implILS5_9ELb0ES3_jN6thrust23THRUST_200600_302600_NS6detail15normal_iteratorINS9_10device_ptrIiEEEESE_PNS0_10empty_typeENS0_5tupleIJSE_SF_EEENSH_IJSE_SG_EEENS0_18inequality_wrapperINS9_8equal_toIiEEEEPmJSF_EEE10hipError_tPvRmT3_T4_T5_T6_T7_T9_mT8_P12ihipStream_tbDpT10_ENKUlT_T0_E_clISt17integral_constantIbLb0EES17_IbLb1EEEEDaS13_S14_EUlS13_E_NS1_11comp_targetILNS1_3genE4ELNS1_11target_archE910ELNS1_3gpuE8ELNS1_3repE0EEENS1_30default_config_static_selectorELNS0_4arch9wavefront6targetE0EEEvT1_ ; -- Begin function _ZN7rocprim17ROCPRIM_400000_NS6detail17trampoline_kernelINS0_14default_configENS1_25partition_config_selectorILNS1_17partition_subalgoE9EiibEEZZNS1_14partition_implILS5_9ELb0ES3_jN6thrust23THRUST_200600_302600_NS6detail15normal_iteratorINS9_10device_ptrIiEEEESE_PNS0_10empty_typeENS0_5tupleIJSE_SF_EEENSH_IJSE_SG_EEENS0_18inequality_wrapperINS9_8equal_toIiEEEEPmJSF_EEE10hipError_tPvRmT3_T4_T5_T6_T7_T9_mT8_P12ihipStream_tbDpT10_ENKUlT_T0_E_clISt17integral_constantIbLb0EES17_IbLb1EEEEDaS13_S14_EUlS13_E_NS1_11comp_targetILNS1_3genE4ELNS1_11target_archE910ELNS1_3gpuE8ELNS1_3repE0EEENS1_30default_config_static_selectorELNS0_4arch9wavefront6targetE0EEEvT1_
	.globl	_ZN7rocprim17ROCPRIM_400000_NS6detail17trampoline_kernelINS0_14default_configENS1_25partition_config_selectorILNS1_17partition_subalgoE9EiibEEZZNS1_14partition_implILS5_9ELb0ES3_jN6thrust23THRUST_200600_302600_NS6detail15normal_iteratorINS9_10device_ptrIiEEEESE_PNS0_10empty_typeENS0_5tupleIJSE_SF_EEENSH_IJSE_SG_EEENS0_18inequality_wrapperINS9_8equal_toIiEEEEPmJSF_EEE10hipError_tPvRmT3_T4_T5_T6_T7_T9_mT8_P12ihipStream_tbDpT10_ENKUlT_T0_E_clISt17integral_constantIbLb0EES17_IbLb1EEEEDaS13_S14_EUlS13_E_NS1_11comp_targetILNS1_3genE4ELNS1_11target_archE910ELNS1_3gpuE8ELNS1_3repE0EEENS1_30default_config_static_selectorELNS0_4arch9wavefront6targetE0EEEvT1_
	.p2align	8
	.type	_ZN7rocprim17ROCPRIM_400000_NS6detail17trampoline_kernelINS0_14default_configENS1_25partition_config_selectorILNS1_17partition_subalgoE9EiibEEZZNS1_14partition_implILS5_9ELb0ES3_jN6thrust23THRUST_200600_302600_NS6detail15normal_iteratorINS9_10device_ptrIiEEEESE_PNS0_10empty_typeENS0_5tupleIJSE_SF_EEENSH_IJSE_SG_EEENS0_18inequality_wrapperINS9_8equal_toIiEEEEPmJSF_EEE10hipError_tPvRmT3_T4_T5_T6_T7_T9_mT8_P12ihipStream_tbDpT10_ENKUlT_T0_E_clISt17integral_constantIbLb0EES17_IbLb1EEEEDaS13_S14_EUlS13_E_NS1_11comp_targetILNS1_3genE4ELNS1_11target_archE910ELNS1_3gpuE8ELNS1_3repE0EEENS1_30default_config_static_selectorELNS0_4arch9wavefront6targetE0EEEvT1_,@function
_ZN7rocprim17ROCPRIM_400000_NS6detail17trampoline_kernelINS0_14default_configENS1_25partition_config_selectorILNS1_17partition_subalgoE9EiibEEZZNS1_14partition_implILS5_9ELb0ES3_jN6thrust23THRUST_200600_302600_NS6detail15normal_iteratorINS9_10device_ptrIiEEEESE_PNS0_10empty_typeENS0_5tupleIJSE_SF_EEENSH_IJSE_SG_EEENS0_18inequality_wrapperINS9_8equal_toIiEEEEPmJSF_EEE10hipError_tPvRmT3_T4_T5_T6_T7_T9_mT8_P12ihipStream_tbDpT10_ENKUlT_T0_E_clISt17integral_constantIbLb0EES17_IbLb1EEEEDaS13_S14_EUlS13_E_NS1_11comp_targetILNS1_3genE4ELNS1_11target_archE910ELNS1_3gpuE8ELNS1_3repE0EEENS1_30default_config_static_selectorELNS0_4arch9wavefront6targetE0EEEvT1_: ; @_ZN7rocprim17ROCPRIM_400000_NS6detail17trampoline_kernelINS0_14default_configENS1_25partition_config_selectorILNS1_17partition_subalgoE9EiibEEZZNS1_14partition_implILS5_9ELb0ES3_jN6thrust23THRUST_200600_302600_NS6detail15normal_iteratorINS9_10device_ptrIiEEEESE_PNS0_10empty_typeENS0_5tupleIJSE_SF_EEENSH_IJSE_SG_EEENS0_18inequality_wrapperINS9_8equal_toIiEEEEPmJSF_EEE10hipError_tPvRmT3_T4_T5_T6_T7_T9_mT8_P12ihipStream_tbDpT10_ENKUlT_T0_E_clISt17integral_constantIbLb0EES17_IbLb1EEEEDaS13_S14_EUlS13_E_NS1_11comp_targetILNS1_3genE4ELNS1_11target_archE910ELNS1_3gpuE8ELNS1_3repE0EEENS1_30default_config_static_selectorELNS0_4arch9wavefront6targetE0EEEvT1_
; %bb.0:
	.section	.rodata,"a",@progbits
	.p2align	6, 0x0
	.amdhsa_kernel _ZN7rocprim17ROCPRIM_400000_NS6detail17trampoline_kernelINS0_14default_configENS1_25partition_config_selectorILNS1_17partition_subalgoE9EiibEEZZNS1_14partition_implILS5_9ELb0ES3_jN6thrust23THRUST_200600_302600_NS6detail15normal_iteratorINS9_10device_ptrIiEEEESE_PNS0_10empty_typeENS0_5tupleIJSE_SF_EEENSH_IJSE_SG_EEENS0_18inequality_wrapperINS9_8equal_toIiEEEEPmJSF_EEE10hipError_tPvRmT3_T4_T5_T6_T7_T9_mT8_P12ihipStream_tbDpT10_ENKUlT_T0_E_clISt17integral_constantIbLb0EES17_IbLb1EEEEDaS13_S14_EUlS13_E_NS1_11comp_targetILNS1_3genE4ELNS1_11target_archE910ELNS1_3gpuE8ELNS1_3repE0EEENS1_30default_config_static_selectorELNS0_4arch9wavefront6targetE0EEEvT1_
		.amdhsa_group_segment_fixed_size 0
		.amdhsa_private_segment_fixed_size 0
		.amdhsa_kernarg_size 128
		.amdhsa_user_sgpr_count 15
		.amdhsa_user_sgpr_dispatch_ptr 0
		.amdhsa_user_sgpr_queue_ptr 0
		.amdhsa_user_sgpr_kernarg_segment_ptr 1
		.amdhsa_user_sgpr_dispatch_id 0
		.amdhsa_user_sgpr_private_segment_size 0
		.amdhsa_wavefront_size32 1
		.amdhsa_uses_dynamic_stack 0
		.amdhsa_enable_private_segment 0
		.amdhsa_system_sgpr_workgroup_id_x 1
		.amdhsa_system_sgpr_workgroup_id_y 0
		.amdhsa_system_sgpr_workgroup_id_z 0
		.amdhsa_system_sgpr_workgroup_info 0
		.amdhsa_system_vgpr_workitem_id 0
		.amdhsa_next_free_vgpr 1
		.amdhsa_next_free_sgpr 1
		.amdhsa_reserve_vcc 0
		.amdhsa_float_round_mode_32 0
		.amdhsa_float_round_mode_16_64 0
		.amdhsa_float_denorm_mode_32 3
		.amdhsa_float_denorm_mode_16_64 3
		.amdhsa_dx10_clamp 1
		.amdhsa_ieee_mode 1
		.amdhsa_fp16_overflow 0
		.amdhsa_workgroup_processor_mode 1
		.amdhsa_memory_ordered 1
		.amdhsa_forward_progress 0
		.amdhsa_shared_vgpr_count 0
		.amdhsa_exception_fp_ieee_invalid_op 0
		.amdhsa_exception_fp_denorm_src 0
		.amdhsa_exception_fp_ieee_div_zero 0
		.amdhsa_exception_fp_ieee_overflow 0
		.amdhsa_exception_fp_ieee_underflow 0
		.amdhsa_exception_fp_ieee_inexact 0
		.amdhsa_exception_int_div_zero 0
	.end_amdhsa_kernel
	.section	.text._ZN7rocprim17ROCPRIM_400000_NS6detail17trampoline_kernelINS0_14default_configENS1_25partition_config_selectorILNS1_17partition_subalgoE9EiibEEZZNS1_14partition_implILS5_9ELb0ES3_jN6thrust23THRUST_200600_302600_NS6detail15normal_iteratorINS9_10device_ptrIiEEEESE_PNS0_10empty_typeENS0_5tupleIJSE_SF_EEENSH_IJSE_SG_EEENS0_18inequality_wrapperINS9_8equal_toIiEEEEPmJSF_EEE10hipError_tPvRmT3_T4_T5_T6_T7_T9_mT8_P12ihipStream_tbDpT10_ENKUlT_T0_E_clISt17integral_constantIbLb0EES17_IbLb1EEEEDaS13_S14_EUlS13_E_NS1_11comp_targetILNS1_3genE4ELNS1_11target_archE910ELNS1_3gpuE8ELNS1_3repE0EEENS1_30default_config_static_selectorELNS0_4arch9wavefront6targetE0EEEvT1_,"axG",@progbits,_ZN7rocprim17ROCPRIM_400000_NS6detail17trampoline_kernelINS0_14default_configENS1_25partition_config_selectorILNS1_17partition_subalgoE9EiibEEZZNS1_14partition_implILS5_9ELb0ES3_jN6thrust23THRUST_200600_302600_NS6detail15normal_iteratorINS9_10device_ptrIiEEEESE_PNS0_10empty_typeENS0_5tupleIJSE_SF_EEENSH_IJSE_SG_EEENS0_18inequality_wrapperINS9_8equal_toIiEEEEPmJSF_EEE10hipError_tPvRmT3_T4_T5_T6_T7_T9_mT8_P12ihipStream_tbDpT10_ENKUlT_T0_E_clISt17integral_constantIbLb0EES17_IbLb1EEEEDaS13_S14_EUlS13_E_NS1_11comp_targetILNS1_3genE4ELNS1_11target_archE910ELNS1_3gpuE8ELNS1_3repE0EEENS1_30default_config_static_selectorELNS0_4arch9wavefront6targetE0EEEvT1_,comdat
.Lfunc_end430:
	.size	_ZN7rocprim17ROCPRIM_400000_NS6detail17trampoline_kernelINS0_14default_configENS1_25partition_config_selectorILNS1_17partition_subalgoE9EiibEEZZNS1_14partition_implILS5_9ELb0ES3_jN6thrust23THRUST_200600_302600_NS6detail15normal_iteratorINS9_10device_ptrIiEEEESE_PNS0_10empty_typeENS0_5tupleIJSE_SF_EEENSH_IJSE_SG_EEENS0_18inequality_wrapperINS9_8equal_toIiEEEEPmJSF_EEE10hipError_tPvRmT3_T4_T5_T6_T7_T9_mT8_P12ihipStream_tbDpT10_ENKUlT_T0_E_clISt17integral_constantIbLb0EES17_IbLb1EEEEDaS13_S14_EUlS13_E_NS1_11comp_targetILNS1_3genE4ELNS1_11target_archE910ELNS1_3gpuE8ELNS1_3repE0EEENS1_30default_config_static_selectorELNS0_4arch9wavefront6targetE0EEEvT1_, .Lfunc_end430-_ZN7rocprim17ROCPRIM_400000_NS6detail17trampoline_kernelINS0_14default_configENS1_25partition_config_selectorILNS1_17partition_subalgoE9EiibEEZZNS1_14partition_implILS5_9ELb0ES3_jN6thrust23THRUST_200600_302600_NS6detail15normal_iteratorINS9_10device_ptrIiEEEESE_PNS0_10empty_typeENS0_5tupleIJSE_SF_EEENSH_IJSE_SG_EEENS0_18inequality_wrapperINS9_8equal_toIiEEEEPmJSF_EEE10hipError_tPvRmT3_T4_T5_T6_T7_T9_mT8_P12ihipStream_tbDpT10_ENKUlT_T0_E_clISt17integral_constantIbLb0EES17_IbLb1EEEEDaS13_S14_EUlS13_E_NS1_11comp_targetILNS1_3genE4ELNS1_11target_archE910ELNS1_3gpuE8ELNS1_3repE0EEENS1_30default_config_static_selectorELNS0_4arch9wavefront6targetE0EEEvT1_
                                        ; -- End function
	.section	.AMDGPU.csdata,"",@progbits
; Kernel info:
; codeLenInByte = 0
; NumSgprs: 0
; NumVgprs: 0
; ScratchSize: 0
; MemoryBound: 0
; FloatMode: 240
; IeeeMode: 1
; LDSByteSize: 0 bytes/workgroup (compile time only)
; SGPRBlocks: 0
; VGPRBlocks: 0
; NumSGPRsForWavesPerEU: 1
; NumVGPRsForWavesPerEU: 1
; Occupancy: 15
; WaveLimiterHint : 0
; COMPUTE_PGM_RSRC2:SCRATCH_EN: 0
; COMPUTE_PGM_RSRC2:USER_SGPR: 15
; COMPUTE_PGM_RSRC2:TRAP_HANDLER: 0
; COMPUTE_PGM_RSRC2:TGID_X_EN: 1
; COMPUTE_PGM_RSRC2:TGID_Y_EN: 0
; COMPUTE_PGM_RSRC2:TGID_Z_EN: 0
; COMPUTE_PGM_RSRC2:TIDIG_COMP_CNT: 0
	.section	.text._ZN7rocprim17ROCPRIM_400000_NS6detail17trampoline_kernelINS0_14default_configENS1_25partition_config_selectorILNS1_17partition_subalgoE9EiibEEZZNS1_14partition_implILS5_9ELb0ES3_jN6thrust23THRUST_200600_302600_NS6detail15normal_iteratorINS9_10device_ptrIiEEEESE_PNS0_10empty_typeENS0_5tupleIJSE_SF_EEENSH_IJSE_SG_EEENS0_18inequality_wrapperINS9_8equal_toIiEEEEPmJSF_EEE10hipError_tPvRmT3_T4_T5_T6_T7_T9_mT8_P12ihipStream_tbDpT10_ENKUlT_T0_E_clISt17integral_constantIbLb0EES17_IbLb1EEEEDaS13_S14_EUlS13_E_NS1_11comp_targetILNS1_3genE3ELNS1_11target_archE908ELNS1_3gpuE7ELNS1_3repE0EEENS1_30default_config_static_selectorELNS0_4arch9wavefront6targetE0EEEvT1_,"axG",@progbits,_ZN7rocprim17ROCPRIM_400000_NS6detail17trampoline_kernelINS0_14default_configENS1_25partition_config_selectorILNS1_17partition_subalgoE9EiibEEZZNS1_14partition_implILS5_9ELb0ES3_jN6thrust23THRUST_200600_302600_NS6detail15normal_iteratorINS9_10device_ptrIiEEEESE_PNS0_10empty_typeENS0_5tupleIJSE_SF_EEENSH_IJSE_SG_EEENS0_18inequality_wrapperINS9_8equal_toIiEEEEPmJSF_EEE10hipError_tPvRmT3_T4_T5_T6_T7_T9_mT8_P12ihipStream_tbDpT10_ENKUlT_T0_E_clISt17integral_constantIbLb0EES17_IbLb1EEEEDaS13_S14_EUlS13_E_NS1_11comp_targetILNS1_3genE3ELNS1_11target_archE908ELNS1_3gpuE7ELNS1_3repE0EEENS1_30default_config_static_selectorELNS0_4arch9wavefront6targetE0EEEvT1_,comdat
	.protected	_ZN7rocprim17ROCPRIM_400000_NS6detail17trampoline_kernelINS0_14default_configENS1_25partition_config_selectorILNS1_17partition_subalgoE9EiibEEZZNS1_14partition_implILS5_9ELb0ES3_jN6thrust23THRUST_200600_302600_NS6detail15normal_iteratorINS9_10device_ptrIiEEEESE_PNS0_10empty_typeENS0_5tupleIJSE_SF_EEENSH_IJSE_SG_EEENS0_18inequality_wrapperINS9_8equal_toIiEEEEPmJSF_EEE10hipError_tPvRmT3_T4_T5_T6_T7_T9_mT8_P12ihipStream_tbDpT10_ENKUlT_T0_E_clISt17integral_constantIbLb0EES17_IbLb1EEEEDaS13_S14_EUlS13_E_NS1_11comp_targetILNS1_3genE3ELNS1_11target_archE908ELNS1_3gpuE7ELNS1_3repE0EEENS1_30default_config_static_selectorELNS0_4arch9wavefront6targetE0EEEvT1_ ; -- Begin function _ZN7rocprim17ROCPRIM_400000_NS6detail17trampoline_kernelINS0_14default_configENS1_25partition_config_selectorILNS1_17partition_subalgoE9EiibEEZZNS1_14partition_implILS5_9ELb0ES3_jN6thrust23THRUST_200600_302600_NS6detail15normal_iteratorINS9_10device_ptrIiEEEESE_PNS0_10empty_typeENS0_5tupleIJSE_SF_EEENSH_IJSE_SG_EEENS0_18inequality_wrapperINS9_8equal_toIiEEEEPmJSF_EEE10hipError_tPvRmT3_T4_T5_T6_T7_T9_mT8_P12ihipStream_tbDpT10_ENKUlT_T0_E_clISt17integral_constantIbLb0EES17_IbLb1EEEEDaS13_S14_EUlS13_E_NS1_11comp_targetILNS1_3genE3ELNS1_11target_archE908ELNS1_3gpuE7ELNS1_3repE0EEENS1_30default_config_static_selectorELNS0_4arch9wavefront6targetE0EEEvT1_
	.globl	_ZN7rocprim17ROCPRIM_400000_NS6detail17trampoline_kernelINS0_14default_configENS1_25partition_config_selectorILNS1_17partition_subalgoE9EiibEEZZNS1_14partition_implILS5_9ELb0ES3_jN6thrust23THRUST_200600_302600_NS6detail15normal_iteratorINS9_10device_ptrIiEEEESE_PNS0_10empty_typeENS0_5tupleIJSE_SF_EEENSH_IJSE_SG_EEENS0_18inequality_wrapperINS9_8equal_toIiEEEEPmJSF_EEE10hipError_tPvRmT3_T4_T5_T6_T7_T9_mT8_P12ihipStream_tbDpT10_ENKUlT_T0_E_clISt17integral_constantIbLb0EES17_IbLb1EEEEDaS13_S14_EUlS13_E_NS1_11comp_targetILNS1_3genE3ELNS1_11target_archE908ELNS1_3gpuE7ELNS1_3repE0EEENS1_30default_config_static_selectorELNS0_4arch9wavefront6targetE0EEEvT1_
	.p2align	8
	.type	_ZN7rocprim17ROCPRIM_400000_NS6detail17trampoline_kernelINS0_14default_configENS1_25partition_config_selectorILNS1_17partition_subalgoE9EiibEEZZNS1_14partition_implILS5_9ELb0ES3_jN6thrust23THRUST_200600_302600_NS6detail15normal_iteratorINS9_10device_ptrIiEEEESE_PNS0_10empty_typeENS0_5tupleIJSE_SF_EEENSH_IJSE_SG_EEENS0_18inequality_wrapperINS9_8equal_toIiEEEEPmJSF_EEE10hipError_tPvRmT3_T4_T5_T6_T7_T9_mT8_P12ihipStream_tbDpT10_ENKUlT_T0_E_clISt17integral_constantIbLb0EES17_IbLb1EEEEDaS13_S14_EUlS13_E_NS1_11comp_targetILNS1_3genE3ELNS1_11target_archE908ELNS1_3gpuE7ELNS1_3repE0EEENS1_30default_config_static_selectorELNS0_4arch9wavefront6targetE0EEEvT1_,@function
_ZN7rocprim17ROCPRIM_400000_NS6detail17trampoline_kernelINS0_14default_configENS1_25partition_config_selectorILNS1_17partition_subalgoE9EiibEEZZNS1_14partition_implILS5_9ELb0ES3_jN6thrust23THRUST_200600_302600_NS6detail15normal_iteratorINS9_10device_ptrIiEEEESE_PNS0_10empty_typeENS0_5tupleIJSE_SF_EEENSH_IJSE_SG_EEENS0_18inequality_wrapperINS9_8equal_toIiEEEEPmJSF_EEE10hipError_tPvRmT3_T4_T5_T6_T7_T9_mT8_P12ihipStream_tbDpT10_ENKUlT_T0_E_clISt17integral_constantIbLb0EES17_IbLb1EEEEDaS13_S14_EUlS13_E_NS1_11comp_targetILNS1_3genE3ELNS1_11target_archE908ELNS1_3gpuE7ELNS1_3repE0EEENS1_30default_config_static_selectorELNS0_4arch9wavefront6targetE0EEEvT1_: ; @_ZN7rocprim17ROCPRIM_400000_NS6detail17trampoline_kernelINS0_14default_configENS1_25partition_config_selectorILNS1_17partition_subalgoE9EiibEEZZNS1_14partition_implILS5_9ELb0ES3_jN6thrust23THRUST_200600_302600_NS6detail15normal_iteratorINS9_10device_ptrIiEEEESE_PNS0_10empty_typeENS0_5tupleIJSE_SF_EEENSH_IJSE_SG_EEENS0_18inequality_wrapperINS9_8equal_toIiEEEEPmJSF_EEE10hipError_tPvRmT3_T4_T5_T6_T7_T9_mT8_P12ihipStream_tbDpT10_ENKUlT_T0_E_clISt17integral_constantIbLb0EES17_IbLb1EEEEDaS13_S14_EUlS13_E_NS1_11comp_targetILNS1_3genE3ELNS1_11target_archE908ELNS1_3gpuE7ELNS1_3repE0EEENS1_30default_config_static_selectorELNS0_4arch9wavefront6targetE0EEEvT1_
; %bb.0:
	.section	.rodata,"a",@progbits
	.p2align	6, 0x0
	.amdhsa_kernel _ZN7rocprim17ROCPRIM_400000_NS6detail17trampoline_kernelINS0_14default_configENS1_25partition_config_selectorILNS1_17partition_subalgoE9EiibEEZZNS1_14partition_implILS5_9ELb0ES3_jN6thrust23THRUST_200600_302600_NS6detail15normal_iteratorINS9_10device_ptrIiEEEESE_PNS0_10empty_typeENS0_5tupleIJSE_SF_EEENSH_IJSE_SG_EEENS0_18inequality_wrapperINS9_8equal_toIiEEEEPmJSF_EEE10hipError_tPvRmT3_T4_T5_T6_T7_T9_mT8_P12ihipStream_tbDpT10_ENKUlT_T0_E_clISt17integral_constantIbLb0EES17_IbLb1EEEEDaS13_S14_EUlS13_E_NS1_11comp_targetILNS1_3genE3ELNS1_11target_archE908ELNS1_3gpuE7ELNS1_3repE0EEENS1_30default_config_static_selectorELNS0_4arch9wavefront6targetE0EEEvT1_
		.amdhsa_group_segment_fixed_size 0
		.amdhsa_private_segment_fixed_size 0
		.amdhsa_kernarg_size 128
		.amdhsa_user_sgpr_count 15
		.amdhsa_user_sgpr_dispatch_ptr 0
		.amdhsa_user_sgpr_queue_ptr 0
		.amdhsa_user_sgpr_kernarg_segment_ptr 1
		.amdhsa_user_sgpr_dispatch_id 0
		.amdhsa_user_sgpr_private_segment_size 0
		.amdhsa_wavefront_size32 1
		.amdhsa_uses_dynamic_stack 0
		.amdhsa_enable_private_segment 0
		.amdhsa_system_sgpr_workgroup_id_x 1
		.amdhsa_system_sgpr_workgroup_id_y 0
		.amdhsa_system_sgpr_workgroup_id_z 0
		.amdhsa_system_sgpr_workgroup_info 0
		.amdhsa_system_vgpr_workitem_id 0
		.amdhsa_next_free_vgpr 1
		.amdhsa_next_free_sgpr 1
		.amdhsa_reserve_vcc 0
		.amdhsa_float_round_mode_32 0
		.amdhsa_float_round_mode_16_64 0
		.amdhsa_float_denorm_mode_32 3
		.amdhsa_float_denorm_mode_16_64 3
		.amdhsa_dx10_clamp 1
		.amdhsa_ieee_mode 1
		.amdhsa_fp16_overflow 0
		.amdhsa_workgroup_processor_mode 1
		.amdhsa_memory_ordered 1
		.amdhsa_forward_progress 0
		.amdhsa_shared_vgpr_count 0
		.amdhsa_exception_fp_ieee_invalid_op 0
		.amdhsa_exception_fp_denorm_src 0
		.amdhsa_exception_fp_ieee_div_zero 0
		.amdhsa_exception_fp_ieee_overflow 0
		.amdhsa_exception_fp_ieee_underflow 0
		.amdhsa_exception_fp_ieee_inexact 0
		.amdhsa_exception_int_div_zero 0
	.end_amdhsa_kernel
	.section	.text._ZN7rocprim17ROCPRIM_400000_NS6detail17trampoline_kernelINS0_14default_configENS1_25partition_config_selectorILNS1_17partition_subalgoE9EiibEEZZNS1_14partition_implILS5_9ELb0ES3_jN6thrust23THRUST_200600_302600_NS6detail15normal_iteratorINS9_10device_ptrIiEEEESE_PNS0_10empty_typeENS0_5tupleIJSE_SF_EEENSH_IJSE_SG_EEENS0_18inequality_wrapperINS9_8equal_toIiEEEEPmJSF_EEE10hipError_tPvRmT3_T4_T5_T6_T7_T9_mT8_P12ihipStream_tbDpT10_ENKUlT_T0_E_clISt17integral_constantIbLb0EES17_IbLb1EEEEDaS13_S14_EUlS13_E_NS1_11comp_targetILNS1_3genE3ELNS1_11target_archE908ELNS1_3gpuE7ELNS1_3repE0EEENS1_30default_config_static_selectorELNS0_4arch9wavefront6targetE0EEEvT1_,"axG",@progbits,_ZN7rocprim17ROCPRIM_400000_NS6detail17trampoline_kernelINS0_14default_configENS1_25partition_config_selectorILNS1_17partition_subalgoE9EiibEEZZNS1_14partition_implILS5_9ELb0ES3_jN6thrust23THRUST_200600_302600_NS6detail15normal_iteratorINS9_10device_ptrIiEEEESE_PNS0_10empty_typeENS0_5tupleIJSE_SF_EEENSH_IJSE_SG_EEENS0_18inequality_wrapperINS9_8equal_toIiEEEEPmJSF_EEE10hipError_tPvRmT3_T4_T5_T6_T7_T9_mT8_P12ihipStream_tbDpT10_ENKUlT_T0_E_clISt17integral_constantIbLb0EES17_IbLb1EEEEDaS13_S14_EUlS13_E_NS1_11comp_targetILNS1_3genE3ELNS1_11target_archE908ELNS1_3gpuE7ELNS1_3repE0EEENS1_30default_config_static_selectorELNS0_4arch9wavefront6targetE0EEEvT1_,comdat
.Lfunc_end431:
	.size	_ZN7rocprim17ROCPRIM_400000_NS6detail17trampoline_kernelINS0_14default_configENS1_25partition_config_selectorILNS1_17partition_subalgoE9EiibEEZZNS1_14partition_implILS5_9ELb0ES3_jN6thrust23THRUST_200600_302600_NS6detail15normal_iteratorINS9_10device_ptrIiEEEESE_PNS0_10empty_typeENS0_5tupleIJSE_SF_EEENSH_IJSE_SG_EEENS0_18inequality_wrapperINS9_8equal_toIiEEEEPmJSF_EEE10hipError_tPvRmT3_T4_T5_T6_T7_T9_mT8_P12ihipStream_tbDpT10_ENKUlT_T0_E_clISt17integral_constantIbLb0EES17_IbLb1EEEEDaS13_S14_EUlS13_E_NS1_11comp_targetILNS1_3genE3ELNS1_11target_archE908ELNS1_3gpuE7ELNS1_3repE0EEENS1_30default_config_static_selectorELNS0_4arch9wavefront6targetE0EEEvT1_, .Lfunc_end431-_ZN7rocprim17ROCPRIM_400000_NS6detail17trampoline_kernelINS0_14default_configENS1_25partition_config_selectorILNS1_17partition_subalgoE9EiibEEZZNS1_14partition_implILS5_9ELb0ES3_jN6thrust23THRUST_200600_302600_NS6detail15normal_iteratorINS9_10device_ptrIiEEEESE_PNS0_10empty_typeENS0_5tupleIJSE_SF_EEENSH_IJSE_SG_EEENS0_18inequality_wrapperINS9_8equal_toIiEEEEPmJSF_EEE10hipError_tPvRmT3_T4_T5_T6_T7_T9_mT8_P12ihipStream_tbDpT10_ENKUlT_T0_E_clISt17integral_constantIbLb0EES17_IbLb1EEEEDaS13_S14_EUlS13_E_NS1_11comp_targetILNS1_3genE3ELNS1_11target_archE908ELNS1_3gpuE7ELNS1_3repE0EEENS1_30default_config_static_selectorELNS0_4arch9wavefront6targetE0EEEvT1_
                                        ; -- End function
	.section	.AMDGPU.csdata,"",@progbits
; Kernel info:
; codeLenInByte = 0
; NumSgprs: 0
; NumVgprs: 0
; ScratchSize: 0
; MemoryBound: 0
; FloatMode: 240
; IeeeMode: 1
; LDSByteSize: 0 bytes/workgroup (compile time only)
; SGPRBlocks: 0
; VGPRBlocks: 0
; NumSGPRsForWavesPerEU: 1
; NumVGPRsForWavesPerEU: 1
; Occupancy: 16
; WaveLimiterHint : 0
; COMPUTE_PGM_RSRC2:SCRATCH_EN: 0
; COMPUTE_PGM_RSRC2:USER_SGPR: 15
; COMPUTE_PGM_RSRC2:TRAP_HANDLER: 0
; COMPUTE_PGM_RSRC2:TGID_X_EN: 1
; COMPUTE_PGM_RSRC2:TGID_Y_EN: 0
; COMPUTE_PGM_RSRC2:TGID_Z_EN: 0
; COMPUTE_PGM_RSRC2:TIDIG_COMP_CNT: 0
	.section	.text._ZN7rocprim17ROCPRIM_400000_NS6detail17trampoline_kernelINS0_14default_configENS1_25partition_config_selectorILNS1_17partition_subalgoE9EiibEEZZNS1_14partition_implILS5_9ELb0ES3_jN6thrust23THRUST_200600_302600_NS6detail15normal_iteratorINS9_10device_ptrIiEEEESE_PNS0_10empty_typeENS0_5tupleIJSE_SF_EEENSH_IJSE_SG_EEENS0_18inequality_wrapperINS9_8equal_toIiEEEEPmJSF_EEE10hipError_tPvRmT3_T4_T5_T6_T7_T9_mT8_P12ihipStream_tbDpT10_ENKUlT_T0_E_clISt17integral_constantIbLb0EES17_IbLb1EEEEDaS13_S14_EUlS13_E_NS1_11comp_targetILNS1_3genE2ELNS1_11target_archE906ELNS1_3gpuE6ELNS1_3repE0EEENS1_30default_config_static_selectorELNS0_4arch9wavefront6targetE0EEEvT1_,"axG",@progbits,_ZN7rocprim17ROCPRIM_400000_NS6detail17trampoline_kernelINS0_14default_configENS1_25partition_config_selectorILNS1_17partition_subalgoE9EiibEEZZNS1_14partition_implILS5_9ELb0ES3_jN6thrust23THRUST_200600_302600_NS6detail15normal_iteratorINS9_10device_ptrIiEEEESE_PNS0_10empty_typeENS0_5tupleIJSE_SF_EEENSH_IJSE_SG_EEENS0_18inequality_wrapperINS9_8equal_toIiEEEEPmJSF_EEE10hipError_tPvRmT3_T4_T5_T6_T7_T9_mT8_P12ihipStream_tbDpT10_ENKUlT_T0_E_clISt17integral_constantIbLb0EES17_IbLb1EEEEDaS13_S14_EUlS13_E_NS1_11comp_targetILNS1_3genE2ELNS1_11target_archE906ELNS1_3gpuE6ELNS1_3repE0EEENS1_30default_config_static_selectorELNS0_4arch9wavefront6targetE0EEEvT1_,comdat
	.protected	_ZN7rocprim17ROCPRIM_400000_NS6detail17trampoline_kernelINS0_14default_configENS1_25partition_config_selectorILNS1_17partition_subalgoE9EiibEEZZNS1_14partition_implILS5_9ELb0ES3_jN6thrust23THRUST_200600_302600_NS6detail15normal_iteratorINS9_10device_ptrIiEEEESE_PNS0_10empty_typeENS0_5tupleIJSE_SF_EEENSH_IJSE_SG_EEENS0_18inequality_wrapperINS9_8equal_toIiEEEEPmJSF_EEE10hipError_tPvRmT3_T4_T5_T6_T7_T9_mT8_P12ihipStream_tbDpT10_ENKUlT_T0_E_clISt17integral_constantIbLb0EES17_IbLb1EEEEDaS13_S14_EUlS13_E_NS1_11comp_targetILNS1_3genE2ELNS1_11target_archE906ELNS1_3gpuE6ELNS1_3repE0EEENS1_30default_config_static_selectorELNS0_4arch9wavefront6targetE0EEEvT1_ ; -- Begin function _ZN7rocprim17ROCPRIM_400000_NS6detail17trampoline_kernelINS0_14default_configENS1_25partition_config_selectorILNS1_17partition_subalgoE9EiibEEZZNS1_14partition_implILS5_9ELb0ES3_jN6thrust23THRUST_200600_302600_NS6detail15normal_iteratorINS9_10device_ptrIiEEEESE_PNS0_10empty_typeENS0_5tupleIJSE_SF_EEENSH_IJSE_SG_EEENS0_18inequality_wrapperINS9_8equal_toIiEEEEPmJSF_EEE10hipError_tPvRmT3_T4_T5_T6_T7_T9_mT8_P12ihipStream_tbDpT10_ENKUlT_T0_E_clISt17integral_constantIbLb0EES17_IbLb1EEEEDaS13_S14_EUlS13_E_NS1_11comp_targetILNS1_3genE2ELNS1_11target_archE906ELNS1_3gpuE6ELNS1_3repE0EEENS1_30default_config_static_selectorELNS0_4arch9wavefront6targetE0EEEvT1_
	.globl	_ZN7rocprim17ROCPRIM_400000_NS6detail17trampoline_kernelINS0_14default_configENS1_25partition_config_selectorILNS1_17partition_subalgoE9EiibEEZZNS1_14partition_implILS5_9ELb0ES3_jN6thrust23THRUST_200600_302600_NS6detail15normal_iteratorINS9_10device_ptrIiEEEESE_PNS0_10empty_typeENS0_5tupleIJSE_SF_EEENSH_IJSE_SG_EEENS0_18inequality_wrapperINS9_8equal_toIiEEEEPmJSF_EEE10hipError_tPvRmT3_T4_T5_T6_T7_T9_mT8_P12ihipStream_tbDpT10_ENKUlT_T0_E_clISt17integral_constantIbLb0EES17_IbLb1EEEEDaS13_S14_EUlS13_E_NS1_11comp_targetILNS1_3genE2ELNS1_11target_archE906ELNS1_3gpuE6ELNS1_3repE0EEENS1_30default_config_static_selectorELNS0_4arch9wavefront6targetE0EEEvT1_
	.p2align	8
	.type	_ZN7rocprim17ROCPRIM_400000_NS6detail17trampoline_kernelINS0_14default_configENS1_25partition_config_selectorILNS1_17partition_subalgoE9EiibEEZZNS1_14partition_implILS5_9ELb0ES3_jN6thrust23THRUST_200600_302600_NS6detail15normal_iteratorINS9_10device_ptrIiEEEESE_PNS0_10empty_typeENS0_5tupleIJSE_SF_EEENSH_IJSE_SG_EEENS0_18inequality_wrapperINS9_8equal_toIiEEEEPmJSF_EEE10hipError_tPvRmT3_T4_T5_T6_T7_T9_mT8_P12ihipStream_tbDpT10_ENKUlT_T0_E_clISt17integral_constantIbLb0EES17_IbLb1EEEEDaS13_S14_EUlS13_E_NS1_11comp_targetILNS1_3genE2ELNS1_11target_archE906ELNS1_3gpuE6ELNS1_3repE0EEENS1_30default_config_static_selectorELNS0_4arch9wavefront6targetE0EEEvT1_,@function
_ZN7rocprim17ROCPRIM_400000_NS6detail17trampoline_kernelINS0_14default_configENS1_25partition_config_selectorILNS1_17partition_subalgoE9EiibEEZZNS1_14partition_implILS5_9ELb0ES3_jN6thrust23THRUST_200600_302600_NS6detail15normal_iteratorINS9_10device_ptrIiEEEESE_PNS0_10empty_typeENS0_5tupleIJSE_SF_EEENSH_IJSE_SG_EEENS0_18inequality_wrapperINS9_8equal_toIiEEEEPmJSF_EEE10hipError_tPvRmT3_T4_T5_T6_T7_T9_mT8_P12ihipStream_tbDpT10_ENKUlT_T0_E_clISt17integral_constantIbLb0EES17_IbLb1EEEEDaS13_S14_EUlS13_E_NS1_11comp_targetILNS1_3genE2ELNS1_11target_archE906ELNS1_3gpuE6ELNS1_3repE0EEENS1_30default_config_static_selectorELNS0_4arch9wavefront6targetE0EEEvT1_: ; @_ZN7rocprim17ROCPRIM_400000_NS6detail17trampoline_kernelINS0_14default_configENS1_25partition_config_selectorILNS1_17partition_subalgoE9EiibEEZZNS1_14partition_implILS5_9ELb0ES3_jN6thrust23THRUST_200600_302600_NS6detail15normal_iteratorINS9_10device_ptrIiEEEESE_PNS0_10empty_typeENS0_5tupleIJSE_SF_EEENSH_IJSE_SG_EEENS0_18inequality_wrapperINS9_8equal_toIiEEEEPmJSF_EEE10hipError_tPvRmT3_T4_T5_T6_T7_T9_mT8_P12ihipStream_tbDpT10_ENKUlT_T0_E_clISt17integral_constantIbLb0EES17_IbLb1EEEEDaS13_S14_EUlS13_E_NS1_11comp_targetILNS1_3genE2ELNS1_11target_archE906ELNS1_3gpuE6ELNS1_3repE0EEENS1_30default_config_static_selectorELNS0_4arch9wavefront6targetE0EEEvT1_
; %bb.0:
	.section	.rodata,"a",@progbits
	.p2align	6, 0x0
	.amdhsa_kernel _ZN7rocprim17ROCPRIM_400000_NS6detail17trampoline_kernelINS0_14default_configENS1_25partition_config_selectorILNS1_17partition_subalgoE9EiibEEZZNS1_14partition_implILS5_9ELb0ES3_jN6thrust23THRUST_200600_302600_NS6detail15normal_iteratorINS9_10device_ptrIiEEEESE_PNS0_10empty_typeENS0_5tupleIJSE_SF_EEENSH_IJSE_SG_EEENS0_18inequality_wrapperINS9_8equal_toIiEEEEPmJSF_EEE10hipError_tPvRmT3_T4_T5_T6_T7_T9_mT8_P12ihipStream_tbDpT10_ENKUlT_T0_E_clISt17integral_constantIbLb0EES17_IbLb1EEEEDaS13_S14_EUlS13_E_NS1_11comp_targetILNS1_3genE2ELNS1_11target_archE906ELNS1_3gpuE6ELNS1_3repE0EEENS1_30default_config_static_selectorELNS0_4arch9wavefront6targetE0EEEvT1_
		.amdhsa_group_segment_fixed_size 0
		.amdhsa_private_segment_fixed_size 0
		.amdhsa_kernarg_size 128
		.amdhsa_user_sgpr_count 15
		.amdhsa_user_sgpr_dispatch_ptr 0
		.amdhsa_user_sgpr_queue_ptr 0
		.amdhsa_user_sgpr_kernarg_segment_ptr 1
		.amdhsa_user_sgpr_dispatch_id 0
		.amdhsa_user_sgpr_private_segment_size 0
		.amdhsa_wavefront_size32 1
		.amdhsa_uses_dynamic_stack 0
		.amdhsa_enable_private_segment 0
		.amdhsa_system_sgpr_workgroup_id_x 1
		.amdhsa_system_sgpr_workgroup_id_y 0
		.amdhsa_system_sgpr_workgroup_id_z 0
		.amdhsa_system_sgpr_workgroup_info 0
		.amdhsa_system_vgpr_workitem_id 0
		.amdhsa_next_free_vgpr 1
		.amdhsa_next_free_sgpr 1
		.amdhsa_reserve_vcc 0
		.amdhsa_float_round_mode_32 0
		.amdhsa_float_round_mode_16_64 0
		.amdhsa_float_denorm_mode_32 3
		.amdhsa_float_denorm_mode_16_64 3
		.amdhsa_dx10_clamp 1
		.amdhsa_ieee_mode 1
		.amdhsa_fp16_overflow 0
		.amdhsa_workgroup_processor_mode 1
		.amdhsa_memory_ordered 1
		.amdhsa_forward_progress 0
		.amdhsa_shared_vgpr_count 0
		.amdhsa_exception_fp_ieee_invalid_op 0
		.amdhsa_exception_fp_denorm_src 0
		.amdhsa_exception_fp_ieee_div_zero 0
		.amdhsa_exception_fp_ieee_overflow 0
		.amdhsa_exception_fp_ieee_underflow 0
		.amdhsa_exception_fp_ieee_inexact 0
		.amdhsa_exception_int_div_zero 0
	.end_amdhsa_kernel
	.section	.text._ZN7rocprim17ROCPRIM_400000_NS6detail17trampoline_kernelINS0_14default_configENS1_25partition_config_selectorILNS1_17partition_subalgoE9EiibEEZZNS1_14partition_implILS5_9ELb0ES3_jN6thrust23THRUST_200600_302600_NS6detail15normal_iteratorINS9_10device_ptrIiEEEESE_PNS0_10empty_typeENS0_5tupleIJSE_SF_EEENSH_IJSE_SG_EEENS0_18inequality_wrapperINS9_8equal_toIiEEEEPmJSF_EEE10hipError_tPvRmT3_T4_T5_T6_T7_T9_mT8_P12ihipStream_tbDpT10_ENKUlT_T0_E_clISt17integral_constantIbLb0EES17_IbLb1EEEEDaS13_S14_EUlS13_E_NS1_11comp_targetILNS1_3genE2ELNS1_11target_archE906ELNS1_3gpuE6ELNS1_3repE0EEENS1_30default_config_static_selectorELNS0_4arch9wavefront6targetE0EEEvT1_,"axG",@progbits,_ZN7rocprim17ROCPRIM_400000_NS6detail17trampoline_kernelINS0_14default_configENS1_25partition_config_selectorILNS1_17partition_subalgoE9EiibEEZZNS1_14partition_implILS5_9ELb0ES3_jN6thrust23THRUST_200600_302600_NS6detail15normal_iteratorINS9_10device_ptrIiEEEESE_PNS0_10empty_typeENS0_5tupleIJSE_SF_EEENSH_IJSE_SG_EEENS0_18inequality_wrapperINS9_8equal_toIiEEEEPmJSF_EEE10hipError_tPvRmT3_T4_T5_T6_T7_T9_mT8_P12ihipStream_tbDpT10_ENKUlT_T0_E_clISt17integral_constantIbLb0EES17_IbLb1EEEEDaS13_S14_EUlS13_E_NS1_11comp_targetILNS1_3genE2ELNS1_11target_archE906ELNS1_3gpuE6ELNS1_3repE0EEENS1_30default_config_static_selectorELNS0_4arch9wavefront6targetE0EEEvT1_,comdat
.Lfunc_end432:
	.size	_ZN7rocprim17ROCPRIM_400000_NS6detail17trampoline_kernelINS0_14default_configENS1_25partition_config_selectorILNS1_17partition_subalgoE9EiibEEZZNS1_14partition_implILS5_9ELb0ES3_jN6thrust23THRUST_200600_302600_NS6detail15normal_iteratorINS9_10device_ptrIiEEEESE_PNS0_10empty_typeENS0_5tupleIJSE_SF_EEENSH_IJSE_SG_EEENS0_18inequality_wrapperINS9_8equal_toIiEEEEPmJSF_EEE10hipError_tPvRmT3_T4_T5_T6_T7_T9_mT8_P12ihipStream_tbDpT10_ENKUlT_T0_E_clISt17integral_constantIbLb0EES17_IbLb1EEEEDaS13_S14_EUlS13_E_NS1_11comp_targetILNS1_3genE2ELNS1_11target_archE906ELNS1_3gpuE6ELNS1_3repE0EEENS1_30default_config_static_selectorELNS0_4arch9wavefront6targetE0EEEvT1_, .Lfunc_end432-_ZN7rocprim17ROCPRIM_400000_NS6detail17trampoline_kernelINS0_14default_configENS1_25partition_config_selectorILNS1_17partition_subalgoE9EiibEEZZNS1_14partition_implILS5_9ELb0ES3_jN6thrust23THRUST_200600_302600_NS6detail15normal_iteratorINS9_10device_ptrIiEEEESE_PNS0_10empty_typeENS0_5tupleIJSE_SF_EEENSH_IJSE_SG_EEENS0_18inequality_wrapperINS9_8equal_toIiEEEEPmJSF_EEE10hipError_tPvRmT3_T4_T5_T6_T7_T9_mT8_P12ihipStream_tbDpT10_ENKUlT_T0_E_clISt17integral_constantIbLb0EES17_IbLb1EEEEDaS13_S14_EUlS13_E_NS1_11comp_targetILNS1_3genE2ELNS1_11target_archE906ELNS1_3gpuE6ELNS1_3repE0EEENS1_30default_config_static_selectorELNS0_4arch9wavefront6targetE0EEEvT1_
                                        ; -- End function
	.section	.AMDGPU.csdata,"",@progbits
; Kernel info:
; codeLenInByte = 0
; NumSgprs: 0
; NumVgprs: 0
; ScratchSize: 0
; MemoryBound: 0
; FloatMode: 240
; IeeeMode: 1
; LDSByteSize: 0 bytes/workgroup (compile time only)
; SGPRBlocks: 0
; VGPRBlocks: 0
; NumSGPRsForWavesPerEU: 1
; NumVGPRsForWavesPerEU: 1
; Occupancy: 16
; WaveLimiterHint : 0
; COMPUTE_PGM_RSRC2:SCRATCH_EN: 0
; COMPUTE_PGM_RSRC2:USER_SGPR: 15
; COMPUTE_PGM_RSRC2:TRAP_HANDLER: 0
; COMPUTE_PGM_RSRC2:TGID_X_EN: 1
; COMPUTE_PGM_RSRC2:TGID_Y_EN: 0
; COMPUTE_PGM_RSRC2:TGID_Z_EN: 0
; COMPUTE_PGM_RSRC2:TIDIG_COMP_CNT: 0
	.section	.text._ZN7rocprim17ROCPRIM_400000_NS6detail17trampoline_kernelINS0_14default_configENS1_25partition_config_selectorILNS1_17partition_subalgoE9EiibEEZZNS1_14partition_implILS5_9ELb0ES3_jN6thrust23THRUST_200600_302600_NS6detail15normal_iteratorINS9_10device_ptrIiEEEESE_PNS0_10empty_typeENS0_5tupleIJSE_SF_EEENSH_IJSE_SG_EEENS0_18inequality_wrapperINS9_8equal_toIiEEEEPmJSF_EEE10hipError_tPvRmT3_T4_T5_T6_T7_T9_mT8_P12ihipStream_tbDpT10_ENKUlT_T0_E_clISt17integral_constantIbLb0EES17_IbLb1EEEEDaS13_S14_EUlS13_E_NS1_11comp_targetILNS1_3genE10ELNS1_11target_archE1200ELNS1_3gpuE4ELNS1_3repE0EEENS1_30default_config_static_selectorELNS0_4arch9wavefront6targetE0EEEvT1_,"axG",@progbits,_ZN7rocprim17ROCPRIM_400000_NS6detail17trampoline_kernelINS0_14default_configENS1_25partition_config_selectorILNS1_17partition_subalgoE9EiibEEZZNS1_14partition_implILS5_9ELb0ES3_jN6thrust23THRUST_200600_302600_NS6detail15normal_iteratorINS9_10device_ptrIiEEEESE_PNS0_10empty_typeENS0_5tupleIJSE_SF_EEENSH_IJSE_SG_EEENS0_18inequality_wrapperINS9_8equal_toIiEEEEPmJSF_EEE10hipError_tPvRmT3_T4_T5_T6_T7_T9_mT8_P12ihipStream_tbDpT10_ENKUlT_T0_E_clISt17integral_constantIbLb0EES17_IbLb1EEEEDaS13_S14_EUlS13_E_NS1_11comp_targetILNS1_3genE10ELNS1_11target_archE1200ELNS1_3gpuE4ELNS1_3repE0EEENS1_30default_config_static_selectorELNS0_4arch9wavefront6targetE0EEEvT1_,comdat
	.protected	_ZN7rocprim17ROCPRIM_400000_NS6detail17trampoline_kernelINS0_14default_configENS1_25partition_config_selectorILNS1_17partition_subalgoE9EiibEEZZNS1_14partition_implILS5_9ELb0ES3_jN6thrust23THRUST_200600_302600_NS6detail15normal_iteratorINS9_10device_ptrIiEEEESE_PNS0_10empty_typeENS0_5tupleIJSE_SF_EEENSH_IJSE_SG_EEENS0_18inequality_wrapperINS9_8equal_toIiEEEEPmJSF_EEE10hipError_tPvRmT3_T4_T5_T6_T7_T9_mT8_P12ihipStream_tbDpT10_ENKUlT_T0_E_clISt17integral_constantIbLb0EES17_IbLb1EEEEDaS13_S14_EUlS13_E_NS1_11comp_targetILNS1_3genE10ELNS1_11target_archE1200ELNS1_3gpuE4ELNS1_3repE0EEENS1_30default_config_static_selectorELNS0_4arch9wavefront6targetE0EEEvT1_ ; -- Begin function _ZN7rocprim17ROCPRIM_400000_NS6detail17trampoline_kernelINS0_14default_configENS1_25partition_config_selectorILNS1_17partition_subalgoE9EiibEEZZNS1_14partition_implILS5_9ELb0ES3_jN6thrust23THRUST_200600_302600_NS6detail15normal_iteratorINS9_10device_ptrIiEEEESE_PNS0_10empty_typeENS0_5tupleIJSE_SF_EEENSH_IJSE_SG_EEENS0_18inequality_wrapperINS9_8equal_toIiEEEEPmJSF_EEE10hipError_tPvRmT3_T4_T5_T6_T7_T9_mT8_P12ihipStream_tbDpT10_ENKUlT_T0_E_clISt17integral_constantIbLb0EES17_IbLb1EEEEDaS13_S14_EUlS13_E_NS1_11comp_targetILNS1_3genE10ELNS1_11target_archE1200ELNS1_3gpuE4ELNS1_3repE0EEENS1_30default_config_static_selectorELNS0_4arch9wavefront6targetE0EEEvT1_
	.globl	_ZN7rocprim17ROCPRIM_400000_NS6detail17trampoline_kernelINS0_14default_configENS1_25partition_config_selectorILNS1_17partition_subalgoE9EiibEEZZNS1_14partition_implILS5_9ELb0ES3_jN6thrust23THRUST_200600_302600_NS6detail15normal_iteratorINS9_10device_ptrIiEEEESE_PNS0_10empty_typeENS0_5tupleIJSE_SF_EEENSH_IJSE_SG_EEENS0_18inequality_wrapperINS9_8equal_toIiEEEEPmJSF_EEE10hipError_tPvRmT3_T4_T5_T6_T7_T9_mT8_P12ihipStream_tbDpT10_ENKUlT_T0_E_clISt17integral_constantIbLb0EES17_IbLb1EEEEDaS13_S14_EUlS13_E_NS1_11comp_targetILNS1_3genE10ELNS1_11target_archE1200ELNS1_3gpuE4ELNS1_3repE0EEENS1_30default_config_static_selectorELNS0_4arch9wavefront6targetE0EEEvT1_
	.p2align	8
	.type	_ZN7rocprim17ROCPRIM_400000_NS6detail17trampoline_kernelINS0_14default_configENS1_25partition_config_selectorILNS1_17partition_subalgoE9EiibEEZZNS1_14partition_implILS5_9ELb0ES3_jN6thrust23THRUST_200600_302600_NS6detail15normal_iteratorINS9_10device_ptrIiEEEESE_PNS0_10empty_typeENS0_5tupleIJSE_SF_EEENSH_IJSE_SG_EEENS0_18inequality_wrapperINS9_8equal_toIiEEEEPmJSF_EEE10hipError_tPvRmT3_T4_T5_T6_T7_T9_mT8_P12ihipStream_tbDpT10_ENKUlT_T0_E_clISt17integral_constantIbLb0EES17_IbLb1EEEEDaS13_S14_EUlS13_E_NS1_11comp_targetILNS1_3genE10ELNS1_11target_archE1200ELNS1_3gpuE4ELNS1_3repE0EEENS1_30default_config_static_selectorELNS0_4arch9wavefront6targetE0EEEvT1_,@function
_ZN7rocprim17ROCPRIM_400000_NS6detail17trampoline_kernelINS0_14default_configENS1_25partition_config_selectorILNS1_17partition_subalgoE9EiibEEZZNS1_14partition_implILS5_9ELb0ES3_jN6thrust23THRUST_200600_302600_NS6detail15normal_iteratorINS9_10device_ptrIiEEEESE_PNS0_10empty_typeENS0_5tupleIJSE_SF_EEENSH_IJSE_SG_EEENS0_18inequality_wrapperINS9_8equal_toIiEEEEPmJSF_EEE10hipError_tPvRmT3_T4_T5_T6_T7_T9_mT8_P12ihipStream_tbDpT10_ENKUlT_T0_E_clISt17integral_constantIbLb0EES17_IbLb1EEEEDaS13_S14_EUlS13_E_NS1_11comp_targetILNS1_3genE10ELNS1_11target_archE1200ELNS1_3gpuE4ELNS1_3repE0EEENS1_30default_config_static_selectorELNS0_4arch9wavefront6targetE0EEEvT1_: ; @_ZN7rocprim17ROCPRIM_400000_NS6detail17trampoline_kernelINS0_14default_configENS1_25partition_config_selectorILNS1_17partition_subalgoE9EiibEEZZNS1_14partition_implILS5_9ELb0ES3_jN6thrust23THRUST_200600_302600_NS6detail15normal_iteratorINS9_10device_ptrIiEEEESE_PNS0_10empty_typeENS0_5tupleIJSE_SF_EEENSH_IJSE_SG_EEENS0_18inequality_wrapperINS9_8equal_toIiEEEEPmJSF_EEE10hipError_tPvRmT3_T4_T5_T6_T7_T9_mT8_P12ihipStream_tbDpT10_ENKUlT_T0_E_clISt17integral_constantIbLb0EES17_IbLb1EEEEDaS13_S14_EUlS13_E_NS1_11comp_targetILNS1_3genE10ELNS1_11target_archE1200ELNS1_3gpuE4ELNS1_3repE0EEENS1_30default_config_static_selectorELNS0_4arch9wavefront6targetE0EEEvT1_
; %bb.0:
	.section	.rodata,"a",@progbits
	.p2align	6, 0x0
	.amdhsa_kernel _ZN7rocprim17ROCPRIM_400000_NS6detail17trampoline_kernelINS0_14default_configENS1_25partition_config_selectorILNS1_17partition_subalgoE9EiibEEZZNS1_14partition_implILS5_9ELb0ES3_jN6thrust23THRUST_200600_302600_NS6detail15normal_iteratorINS9_10device_ptrIiEEEESE_PNS0_10empty_typeENS0_5tupleIJSE_SF_EEENSH_IJSE_SG_EEENS0_18inequality_wrapperINS9_8equal_toIiEEEEPmJSF_EEE10hipError_tPvRmT3_T4_T5_T6_T7_T9_mT8_P12ihipStream_tbDpT10_ENKUlT_T0_E_clISt17integral_constantIbLb0EES17_IbLb1EEEEDaS13_S14_EUlS13_E_NS1_11comp_targetILNS1_3genE10ELNS1_11target_archE1200ELNS1_3gpuE4ELNS1_3repE0EEENS1_30default_config_static_selectorELNS0_4arch9wavefront6targetE0EEEvT1_
		.amdhsa_group_segment_fixed_size 0
		.amdhsa_private_segment_fixed_size 0
		.amdhsa_kernarg_size 128
		.amdhsa_user_sgpr_count 15
		.amdhsa_user_sgpr_dispatch_ptr 0
		.amdhsa_user_sgpr_queue_ptr 0
		.amdhsa_user_sgpr_kernarg_segment_ptr 1
		.amdhsa_user_sgpr_dispatch_id 0
		.amdhsa_user_sgpr_private_segment_size 0
		.amdhsa_wavefront_size32 1
		.amdhsa_uses_dynamic_stack 0
		.amdhsa_enable_private_segment 0
		.amdhsa_system_sgpr_workgroup_id_x 1
		.amdhsa_system_sgpr_workgroup_id_y 0
		.amdhsa_system_sgpr_workgroup_id_z 0
		.amdhsa_system_sgpr_workgroup_info 0
		.amdhsa_system_vgpr_workitem_id 0
		.amdhsa_next_free_vgpr 1
		.amdhsa_next_free_sgpr 1
		.amdhsa_reserve_vcc 0
		.amdhsa_float_round_mode_32 0
		.amdhsa_float_round_mode_16_64 0
		.amdhsa_float_denorm_mode_32 3
		.amdhsa_float_denorm_mode_16_64 3
		.amdhsa_dx10_clamp 1
		.amdhsa_ieee_mode 1
		.amdhsa_fp16_overflow 0
		.amdhsa_workgroup_processor_mode 1
		.amdhsa_memory_ordered 1
		.amdhsa_forward_progress 0
		.amdhsa_shared_vgpr_count 0
		.amdhsa_exception_fp_ieee_invalid_op 0
		.amdhsa_exception_fp_denorm_src 0
		.amdhsa_exception_fp_ieee_div_zero 0
		.amdhsa_exception_fp_ieee_overflow 0
		.amdhsa_exception_fp_ieee_underflow 0
		.amdhsa_exception_fp_ieee_inexact 0
		.amdhsa_exception_int_div_zero 0
	.end_amdhsa_kernel
	.section	.text._ZN7rocprim17ROCPRIM_400000_NS6detail17trampoline_kernelINS0_14default_configENS1_25partition_config_selectorILNS1_17partition_subalgoE9EiibEEZZNS1_14partition_implILS5_9ELb0ES3_jN6thrust23THRUST_200600_302600_NS6detail15normal_iteratorINS9_10device_ptrIiEEEESE_PNS0_10empty_typeENS0_5tupleIJSE_SF_EEENSH_IJSE_SG_EEENS0_18inequality_wrapperINS9_8equal_toIiEEEEPmJSF_EEE10hipError_tPvRmT3_T4_T5_T6_T7_T9_mT8_P12ihipStream_tbDpT10_ENKUlT_T0_E_clISt17integral_constantIbLb0EES17_IbLb1EEEEDaS13_S14_EUlS13_E_NS1_11comp_targetILNS1_3genE10ELNS1_11target_archE1200ELNS1_3gpuE4ELNS1_3repE0EEENS1_30default_config_static_selectorELNS0_4arch9wavefront6targetE0EEEvT1_,"axG",@progbits,_ZN7rocprim17ROCPRIM_400000_NS6detail17trampoline_kernelINS0_14default_configENS1_25partition_config_selectorILNS1_17partition_subalgoE9EiibEEZZNS1_14partition_implILS5_9ELb0ES3_jN6thrust23THRUST_200600_302600_NS6detail15normal_iteratorINS9_10device_ptrIiEEEESE_PNS0_10empty_typeENS0_5tupleIJSE_SF_EEENSH_IJSE_SG_EEENS0_18inequality_wrapperINS9_8equal_toIiEEEEPmJSF_EEE10hipError_tPvRmT3_T4_T5_T6_T7_T9_mT8_P12ihipStream_tbDpT10_ENKUlT_T0_E_clISt17integral_constantIbLb0EES17_IbLb1EEEEDaS13_S14_EUlS13_E_NS1_11comp_targetILNS1_3genE10ELNS1_11target_archE1200ELNS1_3gpuE4ELNS1_3repE0EEENS1_30default_config_static_selectorELNS0_4arch9wavefront6targetE0EEEvT1_,comdat
.Lfunc_end433:
	.size	_ZN7rocprim17ROCPRIM_400000_NS6detail17trampoline_kernelINS0_14default_configENS1_25partition_config_selectorILNS1_17partition_subalgoE9EiibEEZZNS1_14partition_implILS5_9ELb0ES3_jN6thrust23THRUST_200600_302600_NS6detail15normal_iteratorINS9_10device_ptrIiEEEESE_PNS0_10empty_typeENS0_5tupleIJSE_SF_EEENSH_IJSE_SG_EEENS0_18inequality_wrapperINS9_8equal_toIiEEEEPmJSF_EEE10hipError_tPvRmT3_T4_T5_T6_T7_T9_mT8_P12ihipStream_tbDpT10_ENKUlT_T0_E_clISt17integral_constantIbLb0EES17_IbLb1EEEEDaS13_S14_EUlS13_E_NS1_11comp_targetILNS1_3genE10ELNS1_11target_archE1200ELNS1_3gpuE4ELNS1_3repE0EEENS1_30default_config_static_selectorELNS0_4arch9wavefront6targetE0EEEvT1_, .Lfunc_end433-_ZN7rocprim17ROCPRIM_400000_NS6detail17trampoline_kernelINS0_14default_configENS1_25partition_config_selectorILNS1_17partition_subalgoE9EiibEEZZNS1_14partition_implILS5_9ELb0ES3_jN6thrust23THRUST_200600_302600_NS6detail15normal_iteratorINS9_10device_ptrIiEEEESE_PNS0_10empty_typeENS0_5tupleIJSE_SF_EEENSH_IJSE_SG_EEENS0_18inequality_wrapperINS9_8equal_toIiEEEEPmJSF_EEE10hipError_tPvRmT3_T4_T5_T6_T7_T9_mT8_P12ihipStream_tbDpT10_ENKUlT_T0_E_clISt17integral_constantIbLb0EES17_IbLb1EEEEDaS13_S14_EUlS13_E_NS1_11comp_targetILNS1_3genE10ELNS1_11target_archE1200ELNS1_3gpuE4ELNS1_3repE0EEENS1_30default_config_static_selectorELNS0_4arch9wavefront6targetE0EEEvT1_
                                        ; -- End function
	.section	.AMDGPU.csdata,"",@progbits
; Kernel info:
; codeLenInByte = 0
; NumSgprs: 0
; NumVgprs: 0
; ScratchSize: 0
; MemoryBound: 0
; FloatMode: 240
; IeeeMode: 1
; LDSByteSize: 0 bytes/workgroup (compile time only)
; SGPRBlocks: 0
; VGPRBlocks: 0
; NumSGPRsForWavesPerEU: 1
; NumVGPRsForWavesPerEU: 1
; Occupancy: 15
; WaveLimiterHint : 0
; COMPUTE_PGM_RSRC2:SCRATCH_EN: 0
; COMPUTE_PGM_RSRC2:USER_SGPR: 15
; COMPUTE_PGM_RSRC2:TRAP_HANDLER: 0
; COMPUTE_PGM_RSRC2:TGID_X_EN: 1
; COMPUTE_PGM_RSRC2:TGID_Y_EN: 0
; COMPUTE_PGM_RSRC2:TGID_Z_EN: 0
; COMPUTE_PGM_RSRC2:TIDIG_COMP_CNT: 0
	.section	.text._ZN7rocprim17ROCPRIM_400000_NS6detail17trampoline_kernelINS0_14default_configENS1_25partition_config_selectorILNS1_17partition_subalgoE9EiibEEZZNS1_14partition_implILS5_9ELb0ES3_jN6thrust23THRUST_200600_302600_NS6detail15normal_iteratorINS9_10device_ptrIiEEEESE_PNS0_10empty_typeENS0_5tupleIJSE_SF_EEENSH_IJSE_SG_EEENS0_18inequality_wrapperINS9_8equal_toIiEEEEPmJSF_EEE10hipError_tPvRmT3_T4_T5_T6_T7_T9_mT8_P12ihipStream_tbDpT10_ENKUlT_T0_E_clISt17integral_constantIbLb0EES17_IbLb1EEEEDaS13_S14_EUlS13_E_NS1_11comp_targetILNS1_3genE9ELNS1_11target_archE1100ELNS1_3gpuE3ELNS1_3repE0EEENS1_30default_config_static_selectorELNS0_4arch9wavefront6targetE0EEEvT1_,"axG",@progbits,_ZN7rocprim17ROCPRIM_400000_NS6detail17trampoline_kernelINS0_14default_configENS1_25partition_config_selectorILNS1_17partition_subalgoE9EiibEEZZNS1_14partition_implILS5_9ELb0ES3_jN6thrust23THRUST_200600_302600_NS6detail15normal_iteratorINS9_10device_ptrIiEEEESE_PNS0_10empty_typeENS0_5tupleIJSE_SF_EEENSH_IJSE_SG_EEENS0_18inequality_wrapperINS9_8equal_toIiEEEEPmJSF_EEE10hipError_tPvRmT3_T4_T5_T6_T7_T9_mT8_P12ihipStream_tbDpT10_ENKUlT_T0_E_clISt17integral_constantIbLb0EES17_IbLb1EEEEDaS13_S14_EUlS13_E_NS1_11comp_targetILNS1_3genE9ELNS1_11target_archE1100ELNS1_3gpuE3ELNS1_3repE0EEENS1_30default_config_static_selectorELNS0_4arch9wavefront6targetE0EEEvT1_,comdat
	.protected	_ZN7rocprim17ROCPRIM_400000_NS6detail17trampoline_kernelINS0_14default_configENS1_25partition_config_selectorILNS1_17partition_subalgoE9EiibEEZZNS1_14partition_implILS5_9ELb0ES3_jN6thrust23THRUST_200600_302600_NS6detail15normal_iteratorINS9_10device_ptrIiEEEESE_PNS0_10empty_typeENS0_5tupleIJSE_SF_EEENSH_IJSE_SG_EEENS0_18inequality_wrapperINS9_8equal_toIiEEEEPmJSF_EEE10hipError_tPvRmT3_T4_T5_T6_T7_T9_mT8_P12ihipStream_tbDpT10_ENKUlT_T0_E_clISt17integral_constantIbLb0EES17_IbLb1EEEEDaS13_S14_EUlS13_E_NS1_11comp_targetILNS1_3genE9ELNS1_11target_archE1100ELNS1_3gpuE3ELNS1_3repE0EEENS1_30default_config_static_selectorELNS0_4arch9wavefront6targetE0EEEvT1_ ; -- Begin function _ZN7rocprim17ROCPRIM_400000_NS6detail17trampoline_kernelINS0_14default_configENS1_25partition_config_selectorILNS1_17partition_subalgoE9EiibEEZZNS1_14partition_implILS5_9ELb0ES3_jN6thrust23THRUST_200600_302600_NS6detail15normal_iteratorINS9_10device_ptrIiEEEESE_PNS0_10empty_typeENS0_5tupleIJSE_SF_EEENSH_IJSE_SG_EEENS0_18inequality_wrapperINS9_8equal_toIiEEEEPmJSF_EEE10hipError_tPvRmT3_T4_T5_T6_T7_T9_mT8_P12ihipStream_tbDpT10_ENKUlT_T0_E_clISt17integral_constantIbLb0EES17_IbLb1EEEEDaS13_S14_EUlS13_E_NS1_11comp_targetILNS1_3genE9ELNS1_11target_archE1100ELNS1_3gpuE3ELNS1_3repE0EEENS1_30default_config_static_selectorELNS0_4arch9wavefront6targetE0EEEvT1_
	.globl	_ZN7rocprim17ROCPRIM_400000_NS6detail17trampoline_kernelINS0_14default_configENS1_25partition_config_selectorILNS1_17partition_subalgoE9EiibEEZZNS1_14partition_implILS5_9ELb0ES3_jN6thrust23THRUST_200600_302600_NS6detail15normal_iteratorINS9_10device_ptrIiEEEESE_PNS0_10empty_typeENS0_5tupleIJSE_SF_EEENSH_IJSE_SG_EEENS0_18inequality_wrapperINS9_8equal_toIiEEEEPmJSF_EEE10hipError_tPvRmT3_T4_T5_T6_T7_T9_mT8_P12ihipStream_tbDpT10_ENKUlT_T0_E_clISt17integral_constantIbLb0EES17_IbLb1EEEEDaS13_S14_EUlS13_E_NS1_11comp_targetILNS1_3genE9ELNS1_11target_archE1100ELNS1_3gpuE3ELNS1_3repE0EEENS1_30default_config_static_selectorELNS0_4arch9wavefront6targetE0EEEvT1_
	.p2align	8
	.type	_ZN7rocprim17ROCPRIM_400000_NS6detail17trampoline_kernelINS0_14default_configENS1_25partition_config_selectorILNS1_17partition_subalgoE9EiibEEZZNS1_14partition_implILS5_9ELb0ES3_jN6thrust23THRUST_200600_302600_NS6detail15normal_iteratorINS9_10device_ptrIiEEEESE_PNS0_10empty_typeENS0_5tupleIJSE_SF_EEENSH_IJSE_SG_EEENS0_18inequality_wrapperINS9_8equal_toIiEEEEPmJSF_EEE10hipError_tPvRmT3_T4_T5_T6_T7_T9_mT8_P12ihipStream_tbDpT10_ENKUlT_T0_E_clISt17integral_constantIbLb0EES17_IbLb1EEEEDaS13_S14_EUlS13_E_NS1_11comp_targetILNS1_3genE9ELNS1_11target_archE1100ELNS1_3gpuE3ELNS1_3repE0EEENS1_30default_config_static_selectorELNS0_4arch9wavefront6targetE0EEEvT1_,@function
_ZN7rocprim17ROCPRIM_400000_NS6detail17trampoline_kernelINS0_14default_configENS1_25partition_config_selectorILNS1_17partition_subalgoE9EiibEEZZNS1_14partition_implILS5_9ELb0ES3_jN6thrust23THRUST_200600_302600_NS6detail15normal_iteratorINS9_10device_ptrIiEEEESE_PNS0_10empty_typeENS0_5tupleIJSE_SF_EEENSH_IJSE_SG_EEENS0_18inequality_wrapperINS9_8equal_toIiEEEEPmJSF_EEE10hipError_tPvRmT3_T4_T5_T6_T7_T9_mT8_P12ihipStream_tbDpT10_ENKUlT_T0_E_clISt17integral_constantIbLb0EES17_IbLb1EEEEDaS13_S14_EUlS13_E_NS1_11comp_targetILNS1_3genE9ELNS1_11target_archE1100ELNS1_3gpuE3ELNS1_3repE0EEENS1_30default_config_static_selectorELNS0_4arch9wavefront6targetE0EEEvT1_: ; @_ZN7rocprim17ROCPRIM_400000_NS6detail17trampoline_kernelINS0_14default_configENS1_25partition_config_selectorILNS1_17partition_subalgoE9EiibEEZZNS1_14partition_implILS5_9ELb0ES3_jN6thrust23THRUST_200600_302600_NS6detail15normal_iteratorINS9_10device_ptrIiEEEESE_PNS0_10empty_typeENS0_5tupleIJSE_SF_EEENSH_IJSE_SG_EEENS0_18inequality_wrapperINS9_8equal_toIiEEEEPmJSF_EEE10hipError_tPvRmT3_T4_T5_T6_T7_T9_mT8_P12ihipStream_tbDpT10_ENKUlT_T0_E_clISt17integral_constantIbLb0EES17_IbLb1EEEEDaS13_S14_EUlS13_E_NS1_11comp_targetILNS1_3genE9ELNS1_11target_archE1100ELNS1_3gpuE3ELNS1_3repE0EEENS1_30default_config_static_selectorELNS0_4arch9wavefront6targetE0EEEvT1_
; %bb.0:
	s_clause 0x4
	s_load_b128 s[4:7], s[0:1], 0x8
	s_load_b64 s[8:9], s[0:1], 0x18
	s_load_b128 s[12:15], s[0:1], 0x40
	s_load_b64 s[10:11], s[0:1], 0x50
	s_load_b64 s[20:21], s[0:1], 0x60
	v_cmp_ne_u32_e64 s3, 0, v0
	v_cmp_eq_u32_e64 s2, 0, v0
	s_delay_alu instid0(VALU_DEP_1)
	s_and_saveexec_b32 s16, s2
	s_cbranch_execz .LBB434_4
; %bb.1:
	s_mov_b32 s18, exec_lo
	s_mov_b32 s17, exec_lo
	v_mbcnt_lo_u32_b32 v1, s18, 0
                                        ; implicit-def: $vgpr2
	s_delay_alu instid0(VALU_DEP_1)
	v_cmpx_eq_u32_e32 0, v1
	s_cbranch_execz .LBB434_3
; %bb.2:
	s_load_b64 s[22:23], s[0:1], 0x70
	s_bcnt1_i32_b32 s18, s18
	s_delay_alu instid0(SALU_CYCLE_1)
	v_dual_mov_b32 v2, 0 :: v_dual_mov_b32 v3, s18
	s_waitcnt lgkmcnt(0)
	global_atomic_add_u32 v2, v2, v3, s[22:23] glc
.LBB434_3:
	s_or_b32 exec_lo, exec_lo, s17
	s_waitcnt vmcnt(0)
	v_readfirstlane_b32 s17, v2
	s_delay_alu instid0(VALU_DEP_1)
	v_dual_mov_b32 v2, 0 :: v_dual_add_nc_u32 v1, s17, v1
	ds_store_b32 v2, v1
.LBB434_4:
	s_or_b32 exec_lo, exec_lo, s16
	v_dual_mov_b32 v1, 0 :: v_dual_add_nc_u32 v22, 0x300, v0
	s_clause 0x1
	s_load_b128 s[16:19], s[0:1], 0x28
	s_load_b32 s0, s[0:1], 0x68
	s_waitcnt lgkmcnt(0)
	s_barrier
	buffer_gl0_inv
	ds_load_b32 v3, v1
	s_waitcnt lgkmcnt(0)
	s_barrier
	buffer_gl0_inv
	global_load_b64 v[1:2], v1, s[14:15]
	s_lshl_b64 s[14:15], s[6:7], 2
	s_mov_b32 s1, 0
	s_add_u32 s27, s4, s14
	s_addc_u32 s28, s5, s15
	v_lshrrev_b32_e32 v20, 3, v0
	v_add_nc_u32_e32 v25, 0x180, v0
	v_add_nc_u32_e32 v21, 0x480, v0
	v_or_b32_e32 v23, 0x600, v0
	v_add_nc_u32_e32 v18, 0x780, v0
	v_add_nc_u32_e32 v17, 0x900, v0
	;; [unrolled: 1-line block ×3, first 2 shown]
	s_mul_i32 s22, s0, 0xc00
	s_add_i32 s0, s0, -1
	s_add_i32 s4, s22, s6
	s_delay_alu instid0(SALU_CYCLE_1) | instskip(SKIP_4) | instid1(SALU_CYCLE_1)
	s_sub_i32 s25, s10, s4
	v_readfirstlane_b32 s24, v3
	s_addk_i32 s25, 0xc00
	s_add_u32 s4, s6, s22
	s_addc_u32 s5, s7, 0
	v_cmp_ge_u64_e64 s4, s[4:5], s[10:11]
	s_cmp_eq_u32 s24, s0
	s_mul_i32 s0, s24, 0xc00
	s_cselect_b32 s22, -1, 0
	s_delay_alu instid0(VALU_DEP_1) | instid1(SALU_CYCLE_1)
	s_and_b32 s26, s4, s22
	s_lshl_b64 s[4:5], s[0:1], 2
	s_xor_b32 s23, s26, -1
	s_add_u32 s27, s27, s4
	s_addc_u32 s1, s28, s5
	s_and_b32 vcc_lo, exec_lo, s23
	s_mov_b32 s28, -1
	s_waitcnt vmcnt(0)
	v_readfirstlane_b32 s10, v1
	v_readfirstlane_b32 s11, v2
	s_cbranch_vccz .LBB434_6
; %bb.5:
	v_lshlrev_b32_e32 v7, 2, v0
	v_lshrrev_b32_e32 v11, 3, v25
	v_lshrrev_b32_e32 v12, 3, v22
	;; [unrolled: 1-line block ×4, first 2 shown]
	v_add_co_u32 v1, s0, s27, v7
	s_delay_alu instid0(VALU_DEP_1) | instskip(SKIP_1) | instid1(VALU_DEP_3)
	v_add_co_ci_u32_e64 v2, null, s1, 0, s0
	v_lshrrev_b32_e32 v15, 3, v18
	v_add_co_u32 v3, vcc_lo, 0x1000, v1
	s_delay_alu instid0(VALU_DEP_3)
	v_add_co_ci_u32_e32 v4, vcc_lo, 0, v2, vcc_lo
	v_add_co_u32 v5, vcc_lo, 0x2000, v1
	v_add_co_ci_u32_e32 v6, vcc_lo, 0, v2, vcc_lo
	s_clause 0x7
	flat_load_b32 v8, v[1:2]
	flat_load_b32 v9, v[1:2] offset:1536
	flat_load_b32 v1, v[1:2] offset:3072
	;; [unrolled: 1-line block ×7, first 2 shown]
	v_and_b32_e32 v6, 60, v20
	v_lshrrev_b32_e32 v16, 3, v17
	v_lshrrev_b32_e32 v19, 3, v24
	v_and_b32_e32 v11, 0x7c, v11
	v_and_b32_e32 v12, 0xfc, v12
	;; [unrolled: 1-line block ×4, first 2 shown]
	v_add_nc_u32_e32 v6, v6, v7
	v_and_b32_e32 v15, 0x1fc, v15
	v_and_b32_e32 v16, 0x17c, v16
	;; [unrolled: 1-line block ×3, first 2 shown]
	v_add_nc_u32_e32 v11, v11, v7
	v_add_nc_u32_e32 v12, v12, v7
	;; [unrolled: 1-line block ×4, first 2 shown]
	s_mov_b32 s28, 0
	v_add_nc_u32_e32 v15, v15, v7
	v_add_nc_u32_e32 v16, v16, v7
	;; [unrolled: 1-line block ×3, first 2 shown]
	s_waitcnt vmcnt(7) lgkmcnt(7)
	ds_store_b32 v6, v8
	s_waitcnt vmcnt(6) lgkmcnt(7)
	ds_store_b32 v11, v9 offset:1536
	s_waitcnt vmcnt(5) lgkmcnt(7)
	ds_store_b32 v12, v1 offset:3072
	;; [unrolled: 2-line block ×7, first 2 shown]
	s_waitcnt lgkmcnt(0)
	s_barrier
.LBB434_6:
	v_cmp_gt_u32_e64 s0, s25, v0
	s_and_not1_b32 vcc_lo, exec_lo, s28
	s_cbranch_vccnz .LBB434_24
; %bb.7:
                                        ; implicit-def: $vgpr1_vgpr2_vgpr3_vgpr4_vgpr5_vgpr6_vgpr7_vgpr8
	s_delay_alu instid0(VALU_DEP_1)
	s_and_saveexec_b32 s28, s0
	s_cbranch_execz .LBB434_15
; %bb.8:
	v_lshlrev_b32_e32 v1, 2, v0
	s_delay_alu instid0(VALU_DEP_1) | instskip(NEXT) | instid1(VALU_DEP_1)
	v_add_co_u32 v1, s0, s27, v1
	v_add_co_ci_u32_e64 v2, null, s1, 0, s0
	flat_load_b32 v1, v[1:2]
	s_or_b32 exec_lo, exec_lo, s28
	s_delay_alu instid0(SALU_CYCLE_1)
	s_mov_b32 s0, exec_lo
	v_cmpx_gt_u32_e64 s25, v25
	s_cbranch_execnz .LBB434_16
.LBB434_9:
	s_or_b32 exec_lo, exec_lo, s0
	s_delay_alu instid0(SALU_CYCLE_1)
	s_mov_b32 s0, exec_lo
	v_cmpx_gt_u32_e64 s25, v22
	s_cbranch_execz .LBB434_17
.LBB434_10:
	v_lshlrev_b32_e32 v3, 2, v0
	s_delay_alu instid0(VALU_DEP_1) | instskip(NEXT) | instid1(VALU_DEP_1)
	v_add_co_u32 v9, s28, s27, v3
	v_add_co_ci_u32_e64 v10, null, s1, 0, s28
	flat_load_b32 v3, v[9:10] offset:3072
	s_or_b32 exec_lo, exec_lo, s0
	s_delay_alu instid0(SALU_CYCLE_1)
	s_mov_b32 s0, exec_lo
	v_cmpx_gt_u32_e64 s25, v21
	s_cbranch_execnz .LBB434_18
.LBB434_11:
	s_or_b32 exec_lo, exec_lo, s0
	s_delay_alu instid0(SALU_CYCLE_1)
	s_mov_b32 s0, exec_lo
	v_cmpx_gt_u32_e64 s25, v23
	s_cbranch_execz .LBB434_19
.LBB434_12:
	v_lshlrev_b32_e32 v5, 2, v23
	s_delay_alu instid0(VALU_DEP_1) | instskip(NEXT) | instid1(VALU_DEP_1)
	v_add_co_u32 v9, s28, s27, v5
	v_add_co_ci_u32_e64 v10, null, s1, 0, s28
	flat_load_b32 v5, v[9:10]
	s_or_b32 exec_lo, exec_lo, s0
	s_delay_alu instid0(SALU_CYCLE_1)
	s_mov_b32 s0, exec_lo
	v_cmpx_gt_u32_e64 s25, v18
	s_cbranch_execnz .LBB434_20
.LBB434_13:
	s_or_b32 exec_lo, exec_lo, s0
	s_delay_alu instid0(SALU_CYCLE_1)
	s_mov_b32 s0, exec_lo
	v_cmpx_gt_u32_e64 s25, v17
	s_cbranch_execz .LBB434_21
.LBB434_14:
	v_lshlrev_b32_e32 v7, 2, v17
	s_delay_alu instid0(VALU_DEP_1) | instskip(NEXT) | instid1(VALU_DEP_1)
	v_add_co_u32 v9, s28, s27, v7
	v_add_co_ci_u32_e64 v10, null, s1, 0, s28
	flat_load_b32 v7, v[9:10]
	s_or_b32 exec_lo, exec_lo, s0
	s_delay_alu instid0(SALU_CYCLE_1)
	s_mov_b32 s0, exec_lo
	v_cmpx_gt_u32_e64 s25, v24
	s_cbranch_execnz .LBB434_22
	s_branch .LBB434_23
.LBB434_15:
	s_or_b32 exec_lo, exec_lo, s28
	s_delay_alu instid0(SALU_CYCLE_1)
	s_mov_b32 s0, exec_lo
	v_cmpx_gt_u32_e64 s25, v25
	s_cbranch_execz .LBB434_9
.LBB434_16:
	v_lshlrev_b32_e32 v2, 2, v0
	s_delay_alu instid0(VALU_DEP_1) | instskip(NEXT) | instid1(VALU_DEP_1)
	v_add_co_u32 v9, s28, s27, v2
	v_add_co_ci_u32_e64 v10, null, s1, 0, s28
	flat_load_b32 v2, v[9:10] offset:1536
	s_or_b32 exec_lo, exec_lo, s0
	s_delay_alu instid0(SALU_CYCLE_1)
	s_mov_b32 s0, exec_lo
	v_cmpx_gt_u32_e64 s25, v22
	s_cbranch_execnz .LBB434_10
.LBB434_17:
	s_or_b32 exec_lo, exec_lo, s0
	s_delay_alu instid0(SALU_CYCLE_1)
	s_mov_b32 s0, exec_lo
	v_cmpx_gt_u32_e64 s25, v21
	s_cbranch_execz .LBB434_11
.LBB434_18:
	v_lshlrev_b32_e32 v4, 2, v21
	s_delay_alu instid0(VALU_DEP_1) | instskip(NEXT) | instid1(VALU_DEP_1)
	v_add_co_u32 v9, s28, s27, v4
	v_add_co_ci_u32_e64 v10, null, s1, 0, s28
	flat_load_b32 v4, v[9:10]
	s_or_b32 exec_lo, exec_lo, s0
	s_delay_alu instid0(SALU_CYCLE_1)
	s_mov_b32 s0, exec_lo
	v_cmpx_gt_u32_e64 s25, v23
	s_cbranch_execnz .LBB434_12
.LBB434_19:
	s_or_b32 exec_lo, exec_lo, s0
	s_delay_alu instid0(SALU_CYCLE_1)
	s_mov_b32 s0, exec_lo
	v_cmpx_gt_u32_e64 s25, v18
	s_cbranch_execz .LBB434_13
.LBB434_20:
	v_lshlrev_b32_e32 v6, 2, v18
	s_delay_alu instid0(VALU_DEP_1) | instskip(NEXT) | instid1(VALU_DEP_1)
	v_add_co_u32 v9, s28, s27, v6
	v_add_co_ci_u32_e64 v10, null, s1, 0, s28
	flat_load_b32 v6, v[9:10]
	s_or_b32 exec_lo, exec_lo, s0
	s_delay_alu instid0(SALU_CYCLE_1)
	s_mov_b32 s0, exec_lo
	v_cmpx_gt_u32_e64 s25, v17
	s_cbranch_execnz .LBB434_14
.LBB434_21:
	s_or_b32 exec_lo, exec_lo, s0
	s_delay_alu instid0(SALU_CYCLE_1)
	s_mov_b32 s0, exec_lo
	v_cmpx_gt_u32_e64 s25, v24
	s_cbranch_execz .LBB434_23
.LBB434_22:
	v_lshlrev_b32_e32 v8, 2, v24
	s_delay_alu instid0(VALU_DEP_1) | instskip(NEXT) | instid1(VALU_DEP_1)
	v_add_co_u32 v8, s28, s27, v8
	v_add_co_ci_u32_e64 v9, null, s1, 0, s28
	flat_load_b32 v8, v[8:9]
.LBB434_23:
	s_or_b32 exec_lo, exec_lo, s0
	v_lshrrev_b32_e32 v9, 3, v25
	v_lshrrev_b32_e32 v10, 3, v22
	;; [unrolled: 1-line block ×4, first 2 shown]
	v_and_b32_e32 v11, 60, v20
	v_lshlrev_b32_e32 v12, 2, v0
	v_lshrrev_b32_e32 v15, 3, v18
	v_lshrrev_b32_e32 v16, 3, v17
	;; [unrolled: 1-line block ×3, first 2 shown]
	v_and_b32_e32 v9, 0x7c, v9
	v_and_b32_e32 v10, 0xfc, v10
	;; [unrolled: 1-line block ×4, first 2 shown]
	v_add_nc_u32_e32 v11, v11, v12
	v_and_b32_e32 v15, 0x1fc, v15
	v_and_b32_e32 v16, 0x1fc, v16
	;; [unrolled: 1-line block ×3, first 2 shown]
	v_add_nc_u32_e32 v9, v9, v12
	v_add_nc_u32_e32 v10, v10, v12
	;; [unrolled: 1-line block ×7, first 2 shown]
	s_waitcnt vmcnt(0) lgkmcnt(0)
	ds_store_b32 v11, v1
	ds_store_b32 v9, v2 offset:1536
	ds_store_b32 v10, v3 offset:3072
	;; [unrolled: 1-line block ×7, first 2 shown]
	s_waitcnt lgkmcnt(0)
	s_barrier
.LBB434_24:
	v_lshlrev_b32_e32 v19, 3, v0
	v_lshrrev_b32_e32 v1, 2, v0
	buffer_gl0_inv
	s_add_u32 s0, s8, s14
	s_addc_u32 s8, s9, s15
	s_add_u32 s0, s0, s4
	v_add_lshl_u32 v1, v1, v19, 2
	s_addc_u32 s4, s8, s5
	s_and_b32 vcc_lo, exec_lo, s23
	s_mov_b32 s5, -1
	ds_load_2addr_b32 v[15:16], v1 offset1:1
	ds_load_2addr_b32 v[13:14], v1 offset0:2 offset1:3
	ds_load_2addr_b32 v[11:12], v1 offset0:4 offset1:5
	;; [unrolled: 1-line block ×3, first 2 shown]
	s_waitcnt lgkmcnt(0)
	s_barrier
	buffer_gl0_inv
	s_cbranch_vccz .LBB434_26
; %bb.25:
	v_lshlrev_b32_e32 v8, 2, v0
	v_lshrrev_b32_e32 v29, 3, v25
	v_lshrrev_b32_e32 v30, 3, v22
	;; [unrolled: 1-line block ×4, first 2 shown]
	v_add_co_u32 v2, s5, s0, v8
	s_delay_alu instid0(VALU_DEP_1) | instskip(SKIP_1) | instid1(VALU_DEP_3)
	v_add_co_ci_u32_e64 v3, null, s4, 0, s5
	v_lshrrev_b32_e32 v33, 3, v18
	v_add_co_u32 v4, vcc_lo, 0x1000, v2
	s_delay_alu instid0(VALU_DEP_3)
	v_add_co_ci_u32_e32 v5, vcc_lo, 0, v3, vcc_lo
	v_add_co_u32 v6, vcc_lo, 0x2000, v2
	v_add_co_ci_u32_e32 v7, vcc_lo, 0, v3, vcc_lo
	s_clause 0x7
	flat_load_b32 v26, v[2:3]
	flat_load_b32 v27, v[2:3] offset:1536
	flat_load_b32 v2, v[2:3] offset:3072
	;; [unrolled: 1-line block ×7, first 2 shown]
	v_and_b32_e32 v7, 60, v20
	v_lshrrev_b32_e32 v34, 3, v17
	v_lshrrev_b32_e32 v35, 3, v24
	v_and_b32_e32 v29, 0x7c, v29
	v_and_b32_e32 v30, 0xfc, v30
	;; [unrolled: 1-line block ×4, first 2 shown]
	v_add_nc_u32_e32 v7, v7, v8
	v_and_b32_e32 v33, 0x1fc, v33
	v_and_b32_e32 v34, 0x17c, v34
	;; [unrolled: 1-line block ×3, first 2 shown]
	v_add_nc_u32_e32 v29, v29, v8
	v_add_nc_u32_e32 v30, v30, v8
	;; [unrolled: 1-line block ×4, first 2 shown]
	s_mov_b32 s5, 0
	v_add_nc_u32_e32 v33, v33, v8
	v_add_nc_u32_e32 v34, v34, v8
	;; [unrolled: 1-line block ×3, first 2 shown]
	s_waitcnt vmcnt(7) lgkmcnt(7)
	ds_store_b32 v7, v26
	s_waitcnt vmcnt(6) lgkmcnt(7)
	ds_store_b32 v29, v27 offset:1536
	s_waitcnt vmcnt(5) lgkmcnt(7)
	ds_store_b32 v30, v2 offset:3072
	;; [unrolled: 2-line block ×7, first 2 shown]
	s_waitcnt lgkmcnt(0)
	s_barrier
.LBB434_26:
	s_and_not1_b32 vcc_lo, exec_lo, s5
	s_cbranch_vccnz .LBB434_44
; %bb.27:
	s_mov_b32 s5, exec_lo
                                        ; implicit-def: $vgpr2
	v_cmpx_gt_u32_e64 s25, v0
	s_cbranch_execz .LBB434_29
; %bb.28:
	v_lshlrev_b32_e32 v2, 2, v0
	s_delay_alu instid0(VALU_DEP_1) | instskip(NEXT) | instid1(VALU_DEP_1)
	v_add_co_u32 v2, s8, s0, v2
	v_add_co_ci_u32_e64 v3, null, s4, 0, s8
	flat_load_b32 v2, v[2:3]
.LBB434_29:
	s_or_b32 exec_lo, exec_lo, s5
	s_delay_alu instid0(SALU_CYCLE_1)
	s_mov_b32 s5, exec_lo
                                        ; implicit-def: $vgpr3
	v_cmpx_gt_u32_e64 s25, v25
	s_cbranch_execz .LBB434_31
; %bb.30:
	v_lshlrev_b32_e32 v3, 2, v0
	s_delay_alu instid0(VALU_DEP_1) | instskip(NEXT) | instid1(VALU_DEP_1)
	v_add_co_u32 v3, s8, s0, v3
	v_add_co_ci_u32_e64 v4, null, s4, 0, s8
	flat_load_b32 v3, v[3:4] offset:1536
.LBB434_31:
	s_or_b32 exec_lo, exec_lo, s5
	s_delay_alu instid0(SALU_CYCLE_1)
	s_mov_b32 s5, exec_lo
                                        ; implicit-def: $vgpr4
	v_cmpx_gt_u32_e64 s25, v22
	s_cbranch_execz .LBB434_33
; %bb.32:
	v_lshlrev_b32_e32 v4, 2, v0
	s_delay_alu instid0(VALU_DEP_1) | instskip(NEXT) | instid1(VALU_DEP_1)
	v_add_co_u32 v4, s8, s0, v4
	v_add_co_ci_u32_e64 v5, null, s4, 0, s8
	flat_load_b32 v4, v[4:5] offset:3072
.LBB434_33:
	s_or_b32 exec_lo, exec_lo, s5
	s_delay_alu instid0(SALU_CYCLE_1)
	s_mov_b32 s5, exec_lo
                                        ; implicit-def: $vgpr5
	v_cmpx_gt_u32_e64 s25, v21
	s_cbranch_execz .LBB434_35
; %bb.34:
	v_lshlrev_b32_e32 v5, 2, v21
	s_delay_alu instid0(VALU_DEP_1) | instskip(NEXT) | instid1(VALU_DEP_1)
	v_add_co_u32 v5, s8, s0, v5
	v_add_co_ci_u32_e64 v6, null, s4, 0, s8
	flat_load_b32 v5, v[5:6]
.LBB434_35:
	s_or_b32 exec_lo, exec_lo, s5
	s_delay_alu instid0(SALU_CYCLE_1)
	s_mov_b32 s5, exec_lo
                                        ; implicit-def: $vgpr6
	v_cmpx_gt_u32_e64 s25, v23
	s_cbranch_execz .LBB434_37
; %bb.36:
	v_lshlrev_b32_e32 v6, 2, v23
	s_delay_alu instid0(VALU_DEP_1) | instskip(NEXT) | instid1(VALU_DEP_1)
	v_add_co_u32 v6, s8, s0, v6
	v_add_co_ci_u32_e64 v7, null, s4, 0, s8
	flat_load_b32 v6, v[6:7]
.LBB434_37:
	s_or_b32 exec_lo, exec_lo, s5
	s_delay_alu instid0(SALU_CYCLE_1)
	s_mov_b32 s5, exec_lo
                                        ; implicit-def: $vgpr7
	v_cmpx_gt_u32_e64 s25, v18
	s_cbranch_execz .LBB434_39
; %bb.38:
	v_lshlrev_b32_e32 v7, 2, v18
	s_delay_alu instid0(VALU_DEP_1) | instskip(NEXT) | instid1(VALU_DEP_1)
	v_add_co_u32 v7, s8, s0, v7
	v_add_co_ci_u32_e64 v8, null, s4, 0, s8
	flat_load_b32 v7, v[7:8]
.LBB434_39:
	s_or_b32 exec_lo, exec_lo, s5
	s_delay_alu instid0(SALU_CYCLE_1)
	s_mov_b32 s5, exec_lo
                                        ; implicit-def: $vgpr8
	v_cmpx_gt_u32_e64 s25, v17
	s_cbranch_execz .LBB434_41
; %bb.40:
	v_lshlrev_b32_e32 v8, 2, v17
	s_delay_alu instid0(VALU_DEP_1) | instskip(NEXT) | instid1(VALU_DEP_1)
	v_add_co_u32 v26, s8, s0, v8
	v_add_co_ci_u32_e64 v27, null, s4, 0, s8
	flat_load_b32 v8, v[26:27]
.LBB434_41:
	s_or_b32 exec_lo, exec_lo, s5
	s_delay_alu instid0(SALU_CYCLE_1)
	s_mov_b32 s5, exec_lo
                                        ; implicit-def: $vgpr26
	v_cmpx_gt_u32_e64 s25, v24
	s_cbranch_execz .LBB434_43
; %bb.42:
	v_lshlrev_b32_e32 v26, 2, v24
	s_delay_alu instid0(VALU_DEP_1) | instskip(NEXT) | instid1(VALU_DEP_1)
	v_add_co_u32 v26, s0, s0, v26
	v_add_co_ci_u32_e64 v27, null, s4, 0, s0
	flat_load_b32 v26, v[26:27]
.LBB434_43:
	s_or_b32 exec_lo, exec_lo, s5
	v_lshrrev_b32_e32 v25, 3, v25
	v_lshrrev_b32_e32 v22, 3, v22
	;; [unrolled: 1-line block ×4, first 2 shown]
	v_and_b32_e32 v20, 60, v20
	v_lshlrev_b32_e32 v27, 2, v0
	v_lshrrev_b32_e32 v18, 3, v18
	v_lshrrev_b32_e32 v17, 3, v17
	;; [unrolled: 1-line block ×3, first 2 shown]
	v_and_b32_e32 v25, 0x7c, v25
	v_and_b32_e32 v22, 0xfc, v22
	;; [unrolled: 1-line block ×4, first 2 shown]
	v_add_nc_u32_e32 v20, v20, v27
	v_and_b32_e32 v18, 0x1fc, v18
	v_and_b32_e32 v17, 0x1fc, v17
	;; [unrolled: 1-line block ×3, first 2 shown]
	v_add_nc_u32_e32 v25, v25, v27
	v_add_nc_u32_e32 v22, v22, v27
	;; [unrolled: 1-line block ×7, first 2 shown]
	s_waitcnt vmcnt(0) lgkmcnt(0)
	ds_store_b32 v20, v2
	ds_store_b32 v25, v3 offset:1536
	ds_store_b32 v22, v4 offset:3072
	;; [unrolled: 1-line block ×7, first 2 shown]
	s_waitcnt lgkmcnt(0)
	s_barrier
.LBB434_44:
	buffer_gl0_inv
	ds_load_2addr_b32 v[7:8], v1 offset1:1
	ds_load_2addr_b32 v[5:6], v1 offset0:2 offset1:3
	ds_load_2addr_b32 v[3:4], v1 offset0:4 offset1:5
	;; [unrolled: 1-line block ×3, first 2 shown]
	s_cmp_lg_u32 s24, 0
	s_mov_b32 s14, 0
	s_cselect_b32 s9, -1, 0
	s_cmp_lg_u64 s[6:7], 0
	s_waitcnt lgkmcnt(0)
	s_cselect_b32 s0, -1, 0
	s_barrier
	s_or_b32 s0, s0, s9
	buffer_gl0_inv
	s_and_b32 vcc_lo, exec_lo, s0
	s_cbranch_vccz .LBB434_49
; %bb.45:
	v_add_co_u32 v17, s0, -4, s27
	s_delay_alu instid0(VALU_DEP_1)
	v_add_co_ci_u32_e64 v18, null, -1, s1, s0
	v_lshlrev_b32_e32 v21, 2, v0
	s_mov_b32 s1, -1
	s_and_b32 vcc_lo, exec_lo, s23
	flat_load_b32 v20, v[17:18]
	ds_store_b32 v21, v10
	s_cbranch_vccz .LBB434_50
; %bb.46:
	s_waitcnt vmcnt(0) lgkmcnt(1)
	v_mov_b32_e32 v17, v20
	s_waitcnt lgkmcnt(0)
	s_barrier
	buffer_gl0_inv
	s_and_saveexec_b32 s0, s3
	s_cbranch_execz .LBB434_48
; %bb.47:
	v_add_nc_u32_e32 v17, -4, v21
	ds_load_b32 v17, v17
.LBB434_48:
	s_or_b32 exec_lo, exec_lo, s0
	v_cmp_ne_u32_e32 vcc_lo, v9, v10
	s_waitcnt lgkmcnt(0)
	v_cmp_ne_u32_e64 s0, v17, v15
	v_cndmask_b32_e64 v18, 0, 1, vcc_lo
	v_cmp_ne_u32_e32 vcc_lo, v12, v9
	s_delay_alu instid0(VALU_DEP_2) | instskip(SKIP_2) | instid1(VALU_DEP_2)
	v_lshlrev_b16 v18, 8, v18
	v_cndmask_b32_e64 v22, 0, 1, vcc_lo
	v_cmp_ne_u32_e32 vcc_lo, v11, v12
	v_or_b32_e32 v18, v22, v18
	v_cndmask_b32_e64 v23, 0, 1, vcc_lo
	v_cmp_ne_u32_e32 vcc_lo, v13, v14
	s_delay_alu instid0(VALU_DEP_3) | instskip(NEXT) | instid1(VALU_DEP_3)
	v_lshlrev_b32_e32 v18, 16, v18
	v_lshlrev_b16 v23, 8, v23
	v_cndmask_b32_e64 v24, 0, 1, vcc_lo
	v_cmp_ne_u32_e32 vcc_lo, v14, v11
	s_delay_alu instid0(VALU_DEP_2) | instskip(SKIP_2) | instid1(VALU_DEP_2)
	v_lshlrev_b16 v24, 8, v24
	v_cndmask_b32_e64 v25, 0, 1, vcc_lo
	v_cmp_ne_u32_e32 vcc_lo, v16, v13
	v_or_b32_e32 v23, v25, v23
	v_cndmask_b32_e64 v26, 0, 1, vcc_lo
	v_cmp_ne_u32_e32 vcc_lo, v15, v16
	s_delay_alu instid0(VALU_DEP_3) | instskip(NEXT) | instid1(VALU_DEP_3)
	v_and_b32_e32 v23, 0xffff, v23
	v_or_b32_e32 v24, v26, v24
	v_cndmask_b32_e64 v27, 0, 1, vcc_lo
	s_delay_alu instid0(VALU_DEP_3) | instskip(NEXT) | instid1(VALU_DEP_3)
	v_or_b32_e32 v18, v23, v18
	v_lshlrev_b32_e32 v22, 16, v24
	s_delay_alu instid0(VALU_DEP_3) | instskip(NEXT) | instid1(VALU_DEP_1)
	v_lshlrev_b16 v26, 8, v27
	v_and_b32_e32 v24, 0xffff, v26
	s_delay_alu instid0(VALU_DEP_1)
	v_or_b32_e32 v17, v24, v22
	s_branch .LBB434_54
.LBB434_49:
                                        ; implicit-def: $sgpr0
                                        ; implicit-def: $vgpr18
	s_branch .LBB434_55
.LBB434_50:
                                        ; implicit-def: $sgpr0
                                        ; implicit-def: $vgpr18
	s_and_b32 vcc_lo, exec_lo, s1
	s_cbranch_vccz .LBB434_54
; %bb.51:
	s_waitcnt vmcnt(0) lgkmcnt(0)
	s_barrier
	buffer_gl0_inv
	s_and_saveexec_b32 s0, s3
	s_cbranch_execz .LBB434_53
; %bb.52:
	v_add_nc_u32_e32 v17, -4, v21
	ds_load_b32 v20, v17
.LBB434_53:
	s_or_b32 exec_lo, exec_lo, s0
	v_or_b32_e32 v17, 7, v19
	v_or_b32_e32 v18, 6, v19
	v_or_b32_e32 v21, 5, v19
	v_cmp_ne_u32_e32 vcc_lo, v9, v10
	v_cmp_ne_u32_e64 s1, v12, v9
	v_cmp_gt_u32_e64 s0, s25, v17
	v_cmp_gt_u32_e64 s5, s25, v18
	v_cmp_ne_u32_e64 s4, v11, v12
	v_cmp_gt_u32_e64 s6, s25, v21
	v_or_b32_e32 v18, 3, v19
	s_and_b32 s0, s0, vcc_lo
	v_or_b32_e32 v22, 4, v19
	v_cndmask_b32_e64 v17, 0, 1, s0
	s_and_b32 s0, s5, s1
	v_cmp_gt_u32_e32 vcc_lo, s25, v18
	v_cndmask_b32_e64 v21, 0, 1, s0
	s_and_b32 s0, s6, s4
	v_or_b32_e32 v18, 2, v19
	v_cndmask_b32_e64 v23, 0, 1, s0
	v_cmp_ne_u32_e64 s0, v13, v14
	v_cmp_gt_u32_e64 s1, s25, v22
	v_or_b32_e32 v22, 1, v19
	v_cmp_ne_u32_e64 s4, v14, v11
	v_cmp_ne_u32_e64 s6, v15, v16
	s_and_b32 s0, vcc_lo, s0
	v_cmp_gt_u32_e32 vcc_lo, s25, v18
	v_cndmask_b32_e64 v24, 0, 1, s0
	v_cmp_ne_u32_e64 s0, v16, v13
	v_cmp_gt_u32_e64 s5, s25, v22
	s_and_b32 s1, s1, s4
	v_lshlrev_b16 v23, 8, v23
	v_cndmask_b32_e64 v18, 0, 1, s1
	s_and_b32 s0, vcc_lo, s0
	v_lshlrev_b16 v24, 8, v24
	v_cndmask_b32_e64 v22, 0, 1, s0
	s_and_b32 s0, s5, s6
	v_lshlrev_b16 v17, 8, v17
	v_cndmask_b32_e64 v25, 0, 1, s0
	v_or_b32_e32 v18, v18, v23
	v_or_b32_e32 v22, v22, v24
	v_cmp_gt_u32_e32 vcc_lo, s25, v19
	v_or_b32_e32 v17, v21, v17
	v_lshlrev_b16 v24, 8, v25
	v_and_b32_e32 v18, 0xffff, v18
	v_lshlrev_b32_e32 v21, 16, v22
	s_waitcnt lgkmcnt(0)
	v_cmp_ne_u32_e64 s0, v20, v15
	v_lshlrev_b32_e32 v23, 16, v17
	v_and_b32_e32 v22, 0xffff, v24
	s_delay_alu instid0(VALU_DEP_3) | instskip(NEXT) | instid1(VALU_DEP_2)
	s_and_b32 s0, vcc_lo, s0
	v_or_b32_e32 v18, v18, v23
	s_delay_alu instid0(VALU_DEP_2)
	v_or_b32_e32 v17, v22, v21
.LBB434_54:
	s_mov_b32 s14, -1
	s_cbranch_execnz .LBB434_63
.LBB434_55:
	s_waitcnt vmcnt(0) lgkmcnt(1)
	v_lshlrev_b32_e32 v20, 2, v0
	v_cmp_ne_u32_e64 s1, v9, v10
	v_cmp_ne_u32_e64 s4, v12, v9
	;; [unrolled: 1-line block ×7, first 2 shown]
	s_and_b32 vcc_lo, exec_lo, s23
	ds_store_b32 v20, v10
	s_cbranch_vccz .LBB434_59
; %bb.56:
	v_cndmask_b32_e64 v17, 0, 1, s1
	v_cndmask_b32_e64 v21, 0, 1, s5
	;; [unrolled: 1-line block ×7, first 2 shown]
	v_lshlrev_b16 v21, 8, v21
	v_lshlrev_b16 v17, 8, v17
	;; [unrolled: 1-line block ×4, first 2 shown]
	s_waitcnt lgkmcnt(0)
	v_or_b32_e32 v21, v22, v21
	v_or_b32_e32 v17, v18, v17
	;; [unrolled: 1-line block ×4, first 2 shown]
	s_barrier
	v_and_b32_e32 v21, 0xffff, v21
	v_lshlrev_b32_e32 v17, 16, v17
	v_lshlrev_b32_e32 v23, 16, v18
	v_and_b32_e32 v22, 0xffff, v22
	buffer_gl0_inv
                                        ; implicit-def: $sgpr0
	v_or_b32_e32 v18, v21, v17
	v_or_b32_e32 v17, v22, v23
	s_and_saveexec_b32 s1, s3
	s_delay_alu instid0(SALU_CYCLE_1)
	s_xor_b32 s1, exec_lo, s1
	s_cbranch_execz .LBB434_58
; %bb.57:
	v_add_nc_u32_e32 v21, -4, v20
	s_or_b32 s14, s14, exec_lo
	ds_load_b32 v21, v21
	s_waitcnt lgkmcnt(0)
	v_cmp_ne_u32_e32 vcc_lo, v21, v15
	s_and_b32 s0, vcc_lo, exec_lo
.LBB434_58:
	s_or_b32 exec_lo, exec_lo, s1
	s_branch .LBB434_63
.LBB434_59:
                                        ; implicit-def: $sgpr0
                                        ; implicit-def: $vgpr18
	s_cbranch_execz .LBB434_63
; %bb.60:
	v_or_b32_e32 v17, 7, v19
	v_or_b32_e32 v18, 6, v19
	v_cmp_ne_u32_e32 vcc_lo, v9, v10
	v_cmp_ne_u32_e64 s1, v12, v9
	v_or_b32_e32 v21, 5, v19
	v_cmp_gt_u32_e64 s0, s25, v17
	v_cmp_gt_u32_e64 s4, s25, v18
	v_or_b32_e32 v17, 4, v19
	v_or_b32_e32 v22, 3, v19
	v_cmp_gt_u32_e64 s5, s25, v21
	s_and_b32 s0, s0, vcc_lo
	v_cmp_ne_u32_e32 vcc_lo, v11, v12
	v_cndmask_b32_e64 v18, 0, 1, s0
	s_and_b32 s0, s4, s1
	v_cmp_ne_u32_e64 s1, v14, v11
	v_cndmask_b32_e64 v21, 0, 1, s0
	v_cmp_gt_u32_e64 s0, s25, v17
	v_or_b32_e32 v23, 1, v19
	s_and_b32 s4, s5, vcc_lo
	v_cmp_gt_u32_e32 vcc_lo, s25, v22
	v_cndmask_b32_e64 v17, 0, 1, s4
	s_and_b32 s0, s0, s1
	v_or_b32_e32 v25, 2, v19
	v_cndmask_b32_e64 v24, 0, 1, s0
	v_cmp_ne_u32_e64 s0, v13, v14
	v_cmp_gt_u32_e64 s1, s25, v23
	v_cmp_ne_u32_e64 s4, v15, v16
	v_cmp_gt_u32_e64 s5, s25, v25
	v_cmp_ne_u32_e64 s6, v16, v13
	s_and_b32 s0, vcc_lo, s0
	v_lshlrev_b16 v17, 8, v17
	v_cndmask_b32_e64 v22, 0, 1, s0
	s_and_b32 s0, s1, s4
	v_lshlrev_b16 v18, 8, v18
	v_cndmask_b32_e64 v23, 0, 1, s0
	s_and_b32 s0, s5, s6
	v_lshlrev_b16 v22, 8, v22
	v_cndmask_b32_e64 v25, 0, 1, s0
	v_or_b32_e32 v17, v24, v17
	v_lshlrev_b16 v23, 8, v23
	v_or_b32_e32 v18, v21, v18
	s_waitcnt lgkmcnt(0)
	v_or_b32_e32 v21, v25, v22
	v_and_b32_e32 v17, 0xffff, v17
	v_or_b32_e32 v22, 1, v23
	v_lshlrev_b32_e32 v18, 16, v18
	s_barrier
	v_lshlrev_b32_e32 v21, 16, v21
	buffer_gl0_inv
	v_and_b32_e32 v22, 0xffff, v22
	v_or_b32_e32 v18, v17, v18
                                        ; implicit-def: $sgpr0
	s_delay_alu instid0(VALU_DEP_2)
	v_or_b32_e32 v17, v22, v21
	s_and_saveexec_b32 s1, s3
	s_cbranch_execz .LBB434_62
; %bb.61:
	v_add_nc_u32_e32 v20, -4, v20
	v_cmp_gt_u32_e32 vcc_lo, s25, v19
	s_or_b32 s14, s14, exec_lo
	ds_load_b32 v20, v20
	s_waitcnt lgkmcnt(0)
	v_cmp_ne_u32_e64 s0, v20, v15
	s_delay_alu instid0(VALU_DEP_1) | instskip(NEXT) | instid1(SALU_CYCLE_1)
	s_and_b32 s0, vcc_lo, s0
	s_and_b32 s0, s0, exec_lo
.LBB434_62:
	s_or_b32 exec_lo, exec_lo, s1
.LBB434_63:
	s_and_saveexec_b32 s1, s14
	s_cbranch_execz .LBB434_65
; %bb.64:
	s_waitcnt vmcnt(0) lgkmcnt(1)
	v_and_b32_e32 v20, 0xffffff00, v17
	v_cndmask_b32_e64 v21, 0, 1, s0
	s_delay_alu instid0(VALU_DEP_1) | instskip(NEXT) | instid1(VALU_DEP_1)
	v_or_b32_e32 v20, v21, v20
	v_and_b32_e32 v20, 0xffff, v20
	s_delay_alu instid0(VALU_DEP_1)
	v_and_or_b32 v17, 0xffff0000, v17, v20
.LBB434_65:
	s_or_b32 exec_lo, exec_lo, s1
	s_delay_alu instid0(SALU_CYCLE_1)
	s_and_not1_b32 vcc_lo, exec_lo, s26
	s_cbranch_vccnz .LBB434_67
; %bb.66:
	v_cmp_gt_u32_e32 vcc_lo, s25, v19
	v_or_b32_e32 v21, 1, v19
	v_and_b32_e32 v22, 0xffffff00, v18
	v_or_b32_e32 v23, 2, v19
	s_waitcnt vmcnt(0) lgkmcnt(1)
	v_cndmask_b32_e32 v20, 0, v17, vcc_lo
	v_cmp_gt_u32_e32 vcc_lo, s25, v21
	v_or_b32_e32 v21, 4, v19
	v_cmp_gt_u32_e64 s0, s25, v23
	v_or_b32_e32 v23, 3, v19
	v_and_b32_e32 v20, 0xff, v20
	s_delay_alu instid0(VALU_DEP_2) | instskip(NEXT) | instid1(VALU_DEP_2)
	v_cmp_gt_u32_e64 s1, s25, v23
	v_cndmask_b32_e32 v20, v20, v17, vcc_lo
	v_cmp_gt_u32_e32 vcc_lo, s25, v21
	s_delay_alu instid0(VALU_DEP_2) | instskip(SKIP_1) | instid1(VALU_DEP_2)
	v_dual_cndmask_b32 v21, v22, v18 :: v_dual_and_b32 v20, 0xffff, v20
	v_or_b32_e32 v22, 5, v19
	v_cndmask_b32_e64 v20, v20, v17, s0
	s_delay_alu instid0(VALU_DEP_3) | instskip(NEXT) | instid1(VALU_DEP_3)
	v_and_b32_e32 v21, 0xffff00ff, v21
	v_cmp_gt_u32_e64 s0, s25, v22
	v_or_b32_e32 v22, 6, v19
	v_or_b32_e32 v19, 7, v19
	v_and_b32_e32 v20, 0xffffff, v20
	s_delay_alu instid0(VALU_DEP_4) | instskip(NEXT) | instid1(VALU_DEP_2)
	v_cndmask_b32_e64 v21, v21, v18, s0
	v_cndmask_b32_e64 v20, v20, v17, s1
	s_delay_alu instid0(VALU_DEP_2) | instskip(NEXT) | instid1(VALU_DEP_2)
	v_and_b32_e32 v21, 0xff00ffff, v21
	v_cndmask_b32_e32 v20, v20, v17, vcc_lo
	v_cmp_gt_u32_e32 vcc_lo, s25, v22
	s_delay_alu instid0(VALU_DEP_2) | instskip(NEXT) | instid1(VALU_DEP_1)
	v_cndmask_b32_e64 v20, v20, v17, s0
	v_dual_cndmask_b32 v21, v21, v18 :: v_dual_cndmask_b32 v20, v20, v17
	s_delay_alu instid0(VALU_DEP_1) | instskip(SKIP_1) | instid1(VALU_DEP_2)
	v_and_b32_e32 v21, 0xffffff, v21
	v_cmp_gt_u32_e32 vcc_lo, s25, v19
	v_dual_cndmask_b32 v18, v21, v18 :: v_dual_cndmask_b32 v17, v20, v17
.LBB434_67:
	s_delay_alu instid0(VALU_DEP_1) | instskip(NEXT) | instid1(VALU_DEP_2)
	v_and_b32_e32 v28, 0xff, v17
	v_alignbit_b32 v19, v18, v17, 24
	v_bfe_u32 v30, v17, 8, 8
	v_bfe_u32 v32, v17, 16, 8
	v_and_b32_e32 v36, 0xff, v18
	v_bfe_u32 v38, v18, 8, 8
	v_and_b32_e32 v34, 0xff, v19
	v_add_nc_u32_e32 v19, v30, v28
	s_waitcnt vmcnt(0) lgkmcnt(1)
	v_and_b32_e32 v20, 0x1e0, v0
	v_mbcnt_lo_u32_b32 v41, -1, 0
	v_bfe_u32 v40, v18, 16, 8
	v_lshrrev_b32_e32 v39, 24, v18
	v_add3_u32 v19, v19, v32, v34
	v_min_u32_e32 v20, 0x160, v20
	v_and_b32_e32 v21, 15, v41
	v_lshrrev_b32_e32 v42, 5, v0
	s_and_b32 vcc_lo, exec_lo, s9
	v_add3_u32 v19, v19, v36, v38
	v_or_b32_e32 v20, 31, v20
	v_cmp_eq_u32_e64 s3, 0, v21
	v_cmp_lt_u32_e64 s4, 1, v21
	v_cmp_lt_u32_e64 s1, 3, v21
	v_add3_u32 v43, v19, v40, v39
	v_and_b32_e32 v19, 16, v41
	v_cmp_lt_u32_e64 s0, 7, v21
	v_cmp_eq_u32_e64 s5, v20, v0
	s_mov_b32 s7, -1
	s_waitcnt lgkmcnt(0)
	v_cmp_eq_u32_e64 s6, 0, v19
	s_barrier
	buffer_gl0_inv
	s_cbranch_vccz .LBB434_93
; %bb.68:
	v_mov_b32_dpp v19, v43 row_shr:1 row_mask:0xf bank_mask:0xf
	s_delay_alu instid0(VALU_DEP_1) | instskip(NEXT) | instid1(VALU_DEP_1)
	v_cndmask_b32_e64 v19, v19, 0, s3
	v_add_nc_u32_e32 v19, v19, v43
	s_delay_alu instid0(VALU_DEP_1) | instskip(NEXT) | instid1(VALU_DEP_1)
	v_mov_b32_dpp v20, v19 row_shr:2 row_mask:0xf bank_mask:0xf
	v_cndmask_b32_e64 v20, 0, v20, s4
	s_delay_alu instid0(VALU_DEP_1) | instskip(NEXT) | instid1(VALU_DEP_1)
	v_add_nc_u32_e32 v19, v19, v20
	v_mov_b32_dpp v20, v19 row_shr:4 row_mask:0xf bank_mask:0xf
	s_delay_alu instid0(VALU_DEP_1) | instskip(NEXT) | instid1(VALU_DEP_1)
	v_cndmask_b32_e64 v20, 0, v20, s1
	v_add_nc_u32_e32 v19, v19, v20
	s_delay_alu instid0(VALU_DEP_1) | instskip(NEXT) | instid1(VALU_DEP_1)
	v_mov_b32_dpp v20, v19 row_shr:8 row_mask:0xf bank_mask:0xf
	v_cndmask_b32_e64 v20, 0, v20, s0
	s_delay_alu instid0(VALU_DEP_1) | instskip(SKIP_3) | instid1(VALU_DEP_1)
	v_add_nc_u32_e32 v19, v19, v20
	ds_swizzle_b32 v20, v19 offset:swizzle(BROADCAST,32,15)
	s_waitcnt lgkmcnt(0)
	v_cndmask_b32_e64 v20, v20, 0, s6
	v_add_nc_u32_e32 v19, v19, v20
	s_and_saveexec_b32 s7, s5
	s_cbranch_execz .LBB434_70
; %bb.69:
	v_lshlrev_b32_e32 v20, 2, v42
	ds_store_b32 v20, v19
.LBB434_70:
	s_or_b32 exec_lo, exec_lo, s7
	s_delay_alu instid0(SALU_CYCLE_1)
	s_mov_b32 s7, exec_lo
	s_waitcnt lgkmcnt(0)
	s_barrier
	buffer_gl0_inv
	v_cmpx_gt_u32_e32 12, v0
	s_cbranch_execz .LBB434_72
; %bb.71:
	v_lshlrev_b32_e32 v20, 2, v0
	ds_load_b32 v21, v20
	s_waitcnt lgkmcnt(0)
	v_mov_b32_dpp v22, v21 row_shr:1 row_mask:0xf bank_mask:0xf
	s_delay_alu instid0(VALU_DEP_1) | instskip(NEXT) | instid1(VALU_DEP_1)
	v_cndmask_b32_e64 v22, v22, 0, s3
	v_add_nc_u32_e32 v21, v22, v21
	s_delay_alu instid0(VALU_DEP_1) | instskip(NEXT) | instid1(VALU_DEP_1)
	v_mov_b32_dpp v22, v21 row_shr:2 row_mask:0xf bank_mask:0xf
	v_cndmask_b32_e64 v22, 0, v22, s4
	s_delay_alu instid0(VALU_DEP_1) | instskip(NEXT) | instid1(VALU_DEP_1)
	v_add_nc_u32_e32 v21, v21, v22
	v_mov_b32_dpp v22, v21 row_shr:4 row_mask:0xf bank_mask:0xf
	s_delay_alu instid0(VALU_DEP_1) | instskip(NEXT) | instid1(VALU_DEP_1)
	v_cndmask_b32_e64 v22, 0, v22, s1
	v_add_nc_u32_e32 v21, v21, v22
	s_delay_alu instid0(VALU_DEP_1) | instskip(NEXT) | instid1(VALU_DEP_1)
	v_mov_b32_dpp v22, v21 row_shr:8 row_mask:0xf bank_mask:0xf
	v_cndmask_b32_e64 v22, 0, v22, s0
	s_delay_alu instid0(VALU_DEP_1)
	v_add_nc_u32_e32 v21, v21, v22
	ds_store_b32 v20, v21
.LBB434_72:
	s_or_b32 exec_lo, exec_lo, s7
	v_cmp_gt_u32_e32 vcc_lo, 32, v0
	s_mov_b32 s8, exec_lo
	s_waitcnt lgkmcnt(0)
	s_barrier
	buffer_gl0_inv
                                        ; implicit-def: $vgpr27
	v_cmpx_lt_u32_e32 31, v0
	s_cbranch_execz .LBB434_74
; %bb.73:
	v_lshl_add_u32 v20, v42, 2, -4
	ds_load_b32 v27, v20
	s_waitcnt lgkmcnt(0)
	v_add_nc_u32_e32 v19, v27, v19
.LBB434_74:
	s_or_b32 exec_lo, exec_lo, s8
	v_add_nc_u32_e32 v20, -1, v41
	s_delay_alu instid0(VALU_DEP_1) | instskip(NEXT) | instid1(VALU_DEP_1)
	v_cmp_gt_i32_e64 s7, 0, v20
	v_cndmask_b32_e64 v20, v20, v41, s7
	v_cmp_eq_u32_e64 s7, 0, v41
	s_delay_alu instid0(VALU_DEP_2)
	v_lshlrev_b32_e32 v20, 2, v20
	ds_bpermute_b32 v29, v20, v19
	s_and_saveexec_b32 s8, vcc_lo
	s_cbranch_execz .LBB434_92
; %bb.75:
	v_mov_b32_e32 v23, 0
	ds_load_b32 v19, v23 offset:44
	s_and_saveexec_b32 s9, s7
	s_cbranch_execz .LBB434_77
; %bb.76:
	s_add_i32 s14, s24, 32
	s_mov_b32 s15, 0
	v_mov_b32_e32 v20, 1
	s_lshl_b64 s[14:15], s[14:15], 3
	s_delay_alu instid0(SALU_CYCLE_1)
	s_add_u32 s14, s20, s14
	s_addc_u32 s15, s21, s15
	s_waitcnt lgkmcnt(0)
	global_store_b64 v23, v[19:20], s[14:15]
.LBB434_77:
	s_or_b32 exec_lo, exec_lo, s9
	v_xad_u32 v21, v41, -1, s24
	s_mov_b32 s14, 0
	s_mov_b32 s9, exec_lo
	s_delay_alu instid0(VALU_DEP_1) | instskip(NEXT) | instid1(VALU_DEP_1)
	v_add_nc_u32_e32 v22, 32, v21
	v_lshlrev_b64 v[22:23], 3, v[22:23]
	s_delay_alu instid0(VALU_DEP_1) | instskip(NEXT) | instid1(VALU_DEP_2)
	v_add_co_u32 v25, vcc_lo, s20, v22
	v_add_co_ci_u32_e32 v26, vcc_lo, s21, v23, vcc_lo
	global_load_b64 v[23:24], v[25:26], off glc
	s_waitcnt vmcnt(0)
	v_and_b32_e32 v20, 0xff, v24
	s_delay_alu instid0(VALU_DEP_1)
	v_cmpx_eq_u16_e32 0, v20
	s_cbranch_execz .LBB434_80
.LBB434_78:                             ; =>This Inner Loop Header: Depth=1
	global_load_b64 v[23:24], v[25:26], off glc
	s_waitcnt vmcnt(0)
	v_and_b32_e32 v20, 0xff, v24
	s_delay_alu instid0(VALU_DEP_1) | instskip(SKIP_1) | instid1(SALU_CYCLE_1)
	v_cmp_ne_u16_e32 vcc_lo, 0, v20
	s_or_b32 s14, vcc_lo, s14
	s_and_not1_b32 exec_lo, exec_lo, s14
	s_cbranch_execnz .LBB434_78
; %bb.79:
	s_or_b32 exec_lo, exec_lo, s14
.LBB434_80:
	s_delay_alu instid0(SALU_CYCLE_1)
	s_or_b32 exec_lo, exec_lo, s9
	v_cmp_ne_u32_e32 vcc_lo, 31, v41
	v_lshlrev_b32_e64 v33, v41, -1
	v_add_nc_u32_e32 v37, 2, v41
	v_add_nc_u32_e32 v45, 4, v41
	;; [unrolled: 1-line block ×3, first 2 shown]
	v_add_co_ci_u32_e32 v20, vcc_lo, 0, v41, vcc_lo
	v_add_nc_u32_e32 v49, 16, v41
	s_delay_alu instid0(VALU_DEP_2)
	v_lshlrev_b32_e32 v31, 2, v20
	v_and_b32_e32 v20, 0xff, v24
	ds_bpermute_b32 v22, v31, v23
	v_cmp_eq_u16_e32 vcc_lo, 2, v20
	v_and_or_b32 v20, vcc_lo, v33, 0x80000000
	v_cmp_gt_u32_e32 vcc_lo, 30, v41
	s_delay_alu instid0(VALU_DEP_2) | instskip(SKIP_1) | instid1(VALU_DEP_2)
	v_ctz_i32_b32_e32 v20, v20
	v_cndmask_b32_e64 v25, 0, 1, vcc_lo
	v_cmp_lt_u32_e32 vcc_lo, v41, v20
	s_waitcnt lgkmcnt(0)
	s_delay_alu instid0(VALU_DEP_2) | instskip(NEXT) | instid1(VALU_DEP_1)
	v_dual_cndmask_b32 v22, 0, v22 :: v_dual_lshlrev_b32 v25, 1, v25
	v_add_lshl_u32 v35, v25, v41, 2
	v_cmp_gt_u32_e32 vcc_lo, 28, v41
	s_delay_alu instid0(VALU_DEP_3) | instskip(SKIP_4) | instid1(VALU_DEP_1)
	v_add_nc_u32_e32 v22, v22, v23
	v_cndmask_b32_e64 v25, 0, 1, vcc_lo
	v_cmp_le_u32_e32 vcc_lo, v37, v20
	ds_bpermute_b32 v23, v35, v22
	v_lshlrev_b32_e32 v25, 2, v25
	v_add_lshl_u32 v44, v25, v41, 2
	s_waitcnt lgkmcnt(0)
	v_cndmask_b32_e32 v23, 0, v23, vcc_lo
	v_cmp_gt_u32_e32 vcc_lo, 24, v41
	s_delay_alu instid0(VALU_DEP_2) | instskip(SKIP_4) | instid1(VALU_DEP_1)
	v_add_nc_u32_e32 v22, v22, v23
	v_cndmask_b32_e64 v25, 0, 1, vcc_lo
	v_cmp_le_u32_e32 vcc_lo, v45, v20
	ds_bpermute_b32 v23, v44, v22
	v_lshlrev_b32_e32 v25, 3, v25
	v_add_lshl_u32 v46, v25, v41, 2
	s_waitcnt lgkmcnt(0)
	v_cndmask_b32_e32 v23, 0, v23, vcc_lo
	v_cmp_gt_u32_e32 vcc_lo, 16, v41
	s_delay_alu instid0(VALU_DEP_2) | instskip(SKIP_4) | instid1(VALU_DEP_1)
	v_add_nc_u32_e32 v22, v22, v23
	v_cndmask_b32_e64 v25, 0, 1, vcc_lo
	v_cmp_le_u32_e32 vcc_lo, v47, v20
	ds_bpermute_b32 v23, v46, v22
	v_lshlrev_b32_e32 v25, 4, v25
	v_add_lshl_u32 v48, v25, v41, 2
	s_waitcnt lgkmcnt(0)
	v_cndmask_b32_e32 v23, 0, v23, vcc_lo
	v_cmp_le_u32_e32 vcc_lo, v49, v20
	s_delay_alu instid0(VALU_DEP_2) | instskip(SKIP_3) | instid1(VALU_DEP_1)
	v_add_nc_u32_e32 v22, v22, v23
	ds_bpermute_b32 v23, v48, v22
	s_waitcnt lgkmcnt(0)
	v_cndmask_b32_e32 v20, 0, v23, vcc_lo
	v_dual_mov_b32 v22, 0 :: v_dual_add_nc_u32 v23, v22, v20
	s_branch .LBB434_82
.LBB434_81:                             ;   in Loop: Header=BB434_82 Depth=1
	s_or_b32 exec_lo, exec_lo, s9
	ds_bpermute_b32 v26, v31, v23
	v_and_b32_e32 v25, 0xff, v24
	v_subrev_nc_u32_e32 v21, 32, v21
	s_delay_alu instid0(VALU_DEP_2) | instskip(SKIP_1) | instid1(VALU_DEP_1)
	v_cmp_eq_u16_e32 vcc_lo, 2, v25
	v_and_or_b32 v25, vcc_lo, v33, 0x80000000
	v_ctz_i32_b32_e32 v25, v25
	s_delay_alu instid0(VALU_DEP_1) | instskip(SKIP_3) | instid1(VALU_DEP_2)
	v_cmp_lt_u32_e32 vcc_lo, v41, v25
	s_waitcnt lgkmcnt(0)
	v_cndmask_b32_e32 v26, 0, v26, vcc_lo
	v_cmp_le_u32_e32 vcc_lo, v37, v25
	v_add_nc_u32_e32 v23, v26, v23
	ds_bpermute_b32 v26, v35, v23
	s_waitcnt lgkmcnt(0)
	v_cndmask_b32_e32 v26, 0, v26, vcc_lo
	v_cmp_le_u32_e32 vcc_lo, v45, v25
	s_delay_alu instid0(VALU_DEP_2) | instskip(SKIP_4) | instid1(VALU_DEP_2)
	v_add_nc_u32_e32 v23, v23, v26
	ds_bpermute_b32 v26, v44, v23
	s_waitcnt lgkmcnt(0)
	v_cndmask_b32_e32 v26, 0, v26, vcc_lo
	v_cmp_le_u32_e32 vcc_lo, v47, v25
	v_add_nc_u32_e32 v23, v23, v26
	ds_bpermute_b32 v26, v46, v23
	s_waitcnt lgkmcnt(0)
	v_cndmask_b32_e32 v26, 0, v26, vcc_lo
	v_cmp_le_u32_e32 vcc_lo, v49, v25
	s_delay_alu instid0(VALU_DEP_2) | instskip(SKIP_3) | instid1(VALU_DEP_1)
	v_add_nc_u32_e32 v23, v23, v26
	ds_bpermute_b32 v26, v48, v23
	s_waitcnt lgkmcnt(0)
	v_cndmask_b32_e32 v25, 0, v26, vcc_lo
	v_add3_u32 v23, v25, v20, v23
.LBB434_82:                             ; =>This Loop Header: Depth=1
                                        ;     Child Loop BB434_85 Depth 2
	v_and_b32_e32 v20, 0xff, v24
	s_delay_alu instid0(VALU_DEP_1) | instskip(SKIP_2) | instid1(VALU_DEP_1)
	v_cmp_ne_u16_e32 vcc_lo, 2, v20
	v_cndmask_b32_e64 v20, 0, 1, vcc_lo
	;;#ASMSTART
	;;#ASMEND
	v_cmp_ne_u32_e32 vcc_lo, 0, v20
	v_mov_b32_e32 v20, v23
	s_cmp_lg_u32 vcc_lo, exec_lo
	s_cbranch_scc1 .LBB434_87
; %bb.83:                               ;   in Loop: Header=BB434_82 Depth=1
	v_lshlrev_b64 v[23:24], 3, v[21:22]
	s_mov_b32 s9, exec_lo
	s_delay_alu instid0(VALU_DEP_1) | instskip(NEXT) | instid1(VALU_DEP_2)
	v_add_co_u32 v25, vcc_lo, s20, v23
	v_add_co_ci_u32_e32 v26, vcc_lo, s21, v24, vcc_lo
	global_load_b64 v[23:24], v[25:26], off glc
	s_waitcnt vmcnt(0)
	v_and_b32_e32 v50, 0xff, v24
	s_delay_alu instid0(VALU_DEP_1)
	v_cmpx_eq_u16_e32 0, v50
	s_cbranch_execz .LBB434_81
; %bb.84:                               ;   in Loop: Header=BB434_82 Depth=1
	s_mov_b32 s14, 0
.LBB434_85:                             ;   Parent Loop BB434_82 Depth=1
                                        ; =>  This Inner Loop Header: Depth=2
	global_load_b64 v[23:24], v[25:26], off glc
	s_waitcnt vmcnt(0)
	v_and_b32_e32 v50, 0xff, v24
	s_delay_alu instid0(VALU_DEP_1) | instskip(SKIP_1) | instid1(SALU_CYCLE_1)
	v_cmp_ne_u16_e32 vcc_lo, 0, v50
	s_or_b32 s14, vcc_lo, s14
	s_and_not1_b32 exec_lo, exec_lo, s14
	s_cbranch_execnz .LBB434_85
; %bb.86:                               ;   in Loop: Header=BB434_82 Depth=1
	s_or_b32 exec_lo, exec_lo, s14
	s_branch .LBB434_81
.LBB434_87:                             ;   in Loop: Header=BB434_82 Depth=1
                                        ; implicit-def: $vgpr23
                                        ; implicit-def: $vgpr24
	s_cbranch_execz .LBB434_82
; %bb.88:
	s_and_saveexec_b32 s9, s7
	s_cbranch_execz .LBB434_90
; %bb.89:
	s_add_i32 s14, s24, 32
	s_mov_b32 s15, 0
	v_dual_mov_b32 v22, 2 :: v_dual_add_nc_u32 v21, v20, v19
	s_lshl_b64 s[14:15], s[14:15], 3
	v_mov_b32_e32 v23, 0
	s_add_u32 s14, s20, s14
	s_addc_u32 s15, s21, s15
	global_store_b64 v23, v[21:22], s[14:15]
	ds_store_b64 v23, v[19:20] offset:12672
.LBB434_90:
	s_or_b32 exec_lo, exec_lo, s9
	s_delay_alu instid0(SALU_CYCLE_1)
	s_and_b32 exec_lo, exec_lo, s2
	s_cbranch_execz .LBB434_92
; %bb.91:
	v_mov_b32_e32 v19, 0
	ds_store_b32 v19, v20 offset:44
.LBB434_92:
	s_or_b32 exec_lo, exec_lo, s8
	v_mov_b32_e32 v19, 0
	s_waitcnt lgkmcnt(0)
	s_waitcnt_vscnt null, 0x0
	s_barrier
	buffer_gl0_inv
	v_cndmask_b32_e64 v21, v29, v27, s7
	ds_load_b32 v20, v19 offset:44
	s_waitcnt lgkmcnt(0)
	s_barrier
	buffer_gl0_inv
	v_cndmask_b32_e64 v21, v21, 0, s2
	s_delay_alu instid0(VALU_DEP_1) | instskip(SKIP_2) | instid1(VALU_DEP_1)
	v_add_nc_u32_e32 v37, v20, v21
	ds_load_b64 v[19:20], v19 offset:12672
	v_add_nc_u32_e32 v35, v37, v28
	v_add_nc_u32_e32 v33, v35, v30
	s_delay_alu instid0(VALU_DEP_1) | instskip(NEXT) | instid1(VALU_DEP_1)
	v_add_nc_u32_e32 v31, v33, v32
	v_add_nc_u32_e32 v29, v31, v34
	s_delay_alu instid0(VALU_DEP_1) | instskip(NEXT) | instid1(VALU_DEP_1)
	v_add_nc_u32_e32 v27, v29, v36
	v_add_nc_u32_e32 v25, v27, v38
	s_delay_alu instid0(VALU_DEP_1)
	v_add_nc_u32_e32 v23, v25, v40
	v_lshrrev_b64 v[21:22], 24, v[17:18]
	s_branch .LBB434_103
.LBB434_93:
                                        ; implicit-def: $vgpr23
                                        ; implicit-def: $vgpr25
                                        ; implicit-def: $vgpr27
                                        ; implicit-def: $vgpr29
                                        ; implicit-def: $vgpr31
                                        ; implicit-def: $vgpr33
                                        ; implicit-def: $vgpr35
                                        ; implicit-def: $vgpr37
                                        ; implicit-def: $vgpr20
	v_lshrrev_b64 v[21:22], 24, v[17:18]
	s_and_b32 vcc_lo, exec_lo, s7
	s_cbranch_vccz .LBB434_103
; %bb.94:
	s_waitcnt lgkmcnt(0)
	v_mov_b32_dpp v19, v43 row_shr:1 row_mask:0xf bank_mask:0xf
	s_delay_alu instid0(VALU_DEP_1) | instskip(NEXT) | instid1(VALU_DEP_1)
	v_cndmask_b32_e64 v19, v19, 0, s3
	v_add_nc_u32_e32 v19, v19, v43
	s_delay_alu instid0(VALU_DEP_1) | instskip(NEXT) | instid1(VALU_DEP_1)
	v_mov_b32_dpp v20, v19 row_shr:2 row_mask:0xf bank_mask:0xf
	v_cndmask_b32_e64 v20, 0, v20, s4
	s_delay_alu instid0(VALU_DEP_1) | instskip(NEXT) | instid1(VALU_DEP_1)
	v_add_nc_u32_e32 v19, v19, v20
	v_mov_b32_dpp v20, v19 row_shr:4 row_mask:0xf bank_mask:0xf
	s_delay_alu instid0(VALU_DEP_1) | instskip(NEXT) | instid1(VALU_DEP_1)
	v_cndmask_b32_e64 v20, 0, v20, s1
	v_add_nc_u32_e32 v19, v19, v20
	s_delay_alu instid0(VALU_DEP_1) | instskip(NEXT) | instid1(VALU_DEP_1)
	v_mov_b32_dpp v20, v19 row_shr:8 row_mask:0xf bank_mask:0xf
	v_cndmask_b32_e64 v20, 0, v20, s0
	s_delay_alu instid0(VALU_DEP_1) | instskip(SKIP_3) | instid1(VALU_DEP_1)
	v_add_nc_u32_e32 v19, v19, v20
	ds_swizzle_b32 v20, v19 offset:swizzle(BROADCAST,32,15)
	s_waitcnt lgkmcnt(0)
	v_cndmask_b32_e64 v20, v20, 0, s6
	v_add_nc_u32_e32 v19, v19, v20
	s_and_saveexec_b32 s6, s5
	s_cbranch_execz .LBB434_96
; %bb.95:
	v_lshlrev_b32_e32 v20, 2, v42
	ds_store_b32 v20, v19
.LBB434_96:
	s_or_b32 exec_lo, exec_lo, s6
	s_delay_alu instid0(SALU_CYCLE_1)
	s_mov_b32 s5, exec_lo
	s_waitcnt lgkmcnt(0)
	s_barrier
	buffer_gl0_inv
	v_cmpx_gt_u32_e32 12, v0
	s_cbranch_execz .LBB434_98
; %bb.97:
	v_lshlrev_b32_e32 v20, 2, v0
	ds_load_b32 v22, v20
	s_waitcnt lgkmcnt(0)
	v_mov_b32_dpp v23, v22 row_shr:1 row_mask:0xf bank_mask:0xf
	s_delay_alu instid0(VALU_DEP_1) | instskip(NEXT) | instid1(VALU_DEP_1)
	v_cndmask_b32_e64 v23, v23, 0, s3
	v_add_nc_u32_e32 v22, v23, v22
	s_delay_alu instid0(VALU_DEP_1) | instskip(NEXT) | instid1(VALU_DEP_1)
	v_mov_b32_dpp v23, v22 row_shr:2 row_mask:0xf bank_mask:0xf
	v_cndmask_b32_e64 v23, 0, v23, s4
	s_delay_alu instid0(VALU_DEP_1) | instskip(NEXT) | instid1(VALU_DEP_1)
	v_add_nc_u32_e32 v22, v22, v23
	v_mov_b32_dpp v23, v22 row_shr:4 row_mask:0xf bank_mask:0xf
	s_delay_alu instid0(VALU_DEP_1) | instskip(NEXT) | instid1(VALU_DEP_1)
	v_cndmask_b32_e64 v23, 0, v23, s1
	v_add_nc_u32_e32 v22, v22, v23
	s_delay_alu instid0(VALU_DEP_1) | instskip(NEXT) | instid1(VALU_DEP_1)
	v_mov_b32_dpp v23, v22 row_shr:8 row_mask:0xf bank_mask:0xf
	v_cndmask_b32_e64 v23, 0, v23, s0
	s_delay_alu instid0(VALU_DEP_1)
	v_add_nc_u32_e32 v22, v22, v23
	ds_store_b32 v20, v22
.LBB434_98:
	s_or_b32 exec_lo, exec_lo, s5
	v_mov_b32_e32 v20, 0
	v_mov_b32_e32 v22, 0
	s_mov_b32 s0, exec_lo
	s_waitcnt lgkmcnt(0)
	s_barrier
	buffer_gl0_inv
	v_cmpx_lt_u32_e32 31, v0
	s_cbranch_execz .LBB434_100
; %bb.99:
	v_lshl_add_u32 v22, v42, 2, -4
	ds_load_b32 v22, v22
.LBB434_100:
	s_or_b32 exec_lo, exec_lo, s0
	v_add_nc_u32_e32 v23, -1, v41
	s_waitcnt lgkmcnt(0)
	v_add_nc_u32_e32 v19, v22, v19
	s_delay_alu instid0(VALU_DEP_2) | instskip(SKIP_1) | instid1(VALU_DEP_1)
	v_cmp_gt_i32_e32 vcc_lo, 0, v23
	v_cndmask_b32_e32 v23, v23, v41, vcc_lo
	v_lshlrev_b32_e32 v23, 2, v23
	ds_bpermute_b32 v23, v23, v19
	ds_load_b32 v19, v20 offset:44
	s_and_saveexec_b32 s0, s2
	s_cbranch_execz .LBB434_102
; %bb.101:
	v_mov_b32_e32 v24, 0
	v_mov_b32_e32 v20, 2
	s_waitcnt lgkmcnt(0)
	global_store_b64 v24, v[19:20], s[20:21] offset:256
.LBB434_102:
	s_or_b32 exec_lo, exec_lo, s0
	v_cmp_eq_u32_e32 vcc_lo, 0, v41
	s_waitcnt lgkmcnt(0)
	s_waitcnt_vscnt null, 0x0
	s_barrier
	buffer_gl0_inv
	v_cndmask_b32_e32 v20, v23, v22, vcc_lo
	s_delay_alu instid0(VALU_DEP_1) | instskip(NEXT) | instid1(VALU_DEP_1)
	v_cndmask_b32_e64 v37, v20, 0, s2
	v_dual_mov_b32 v20, 0 :: v_dual_add_nc_u32 v35, v37, v28
	s_delay_alu instid0(VALU_DEP_1) | instskip(NEXT) | instid1(VALU_DEP_1)
	v_add_nc_u32_e32 v33, v35, v30
	v_add_nc_u32_e32 v31, v33, v32
	s_delay_alu instid0(VALU_DEP_1) | instskip(NEXT) | instid1(VALU_DEP_1)
	v_add_nc_u32_e32 v29, v31, v34
	v_add_nc_u32_e32 v27, v29, v36
	s_delay_alu instid0(VALU_DEP_1) | instskip(NEXT) | instid1(VALU_DEP_1)
	v_add_nc_u32_e32 v25, v27, v38
	v_add_nc_u32_e32 v23, v25, v40
.LBB434_103:
	s_waitcnt lgkmcnt(0)
	v_add_nc_u32_e32 v43, v20, v19
	v_cmp_gt_u32_e64 s0, 0x181, v19
	v_lshrrev_b32_e32 v42, 8, v17
	v_lshrrev_b32_e32 v41, 16, v17
	;; [unrolled: 1-line block ×4, first 2 shown]
	v_cmp_lt_u32_e64 s1, v37, v43
	s_and_b32 vcc_lo, exec_lo, s0
	s_mov_b32 s3, -1
	s_cbranch_vccz .LBB434_129
; %bb.104:
	s_lshl_b64 s[4:5], s[10:11], 2
	s_delay_alu instid0(SALU_CYCLE_1) | instskip(SKIP_2) | instid1(SALU_CYCLE_1)
	s_add_u32 s3, s16, s4
	s_addc_u32 s4, s17, s5
	s_or_b32 s5, s23, s1
	s_and_saveexec_b32 s1, s5
	s_cbranch_execz .LBB434_107
; %bb.105:
	v_and_b32_e32 v24, 1, v17
	s_delay_alu instid0(VALU_DEP_1)
	v_cmp_eq_u32_e32 vcc_lo, 1, v24
	s_and_b32 exec_lo, exec_lo, vcc_lo
	s_cbranch_execz .LBB434_107
; %bb.106:
	v_mov_b32_e32 v38, 0
	s_delay_alu instid0(VALU_DEP_1) | instskip(NEXT) | instid1(VALU_DEP_1)
	v_lshlrev_b64 v[44:45], 2, v[37:38]
	v_add_co_u32 v44, vcc_lo, s3, v44
	s_delay_alu instid0(VALU_DEP_2)
	v_add_co_ci_u32_e32 v45, vcc_lo, s4, v45, vcc_lo
	global_store_b32 v[44:45], v15, off
.LBB434_107:
	s_or_b32 exec_lo, exec_lo, s1
	v_cmp_lt_u32_e32 vcc_lo, v35, v43
	s_or_b32 s5, s23, vcc_lo
	s_delay_alu instid0(SALU_CYCLE_1)
	s_and_saveexec_b32 s1, s5
	s_cbranch_execz .LBB434_110
; %bb.108:
	v_and_b32_e32 v24, 1, v42
	s_delay_alu instid0(VALU_DEP_1)
	v_cmp_eq_u32_e32 vcc_lo, 1, v24
	s_and_b32 exec_lo, exec_lo, vcc_lo
	s_cbranch_execz .LBB434_110
; %bb.109:
	v_mov_b32_e32 v36, 0
	s_delay_alu instid0(VALU_DEP_1) | instskip(NEXT) | instid1(VALU_DEP_1)
	v_lshlrev_b64 v[44:45], 2, v[35:36]
	v_add_co_u32 v44, vcc_lo, s3, v44
	s_delay_alu instid0(VALU_DEP_2)
	v_add_co_ci_u32_e32 v45, vcc_lo, s4, v45, vcc_lo
	global_store_b32 v[44:45], v16, off
.LBB434_110:
	s_or_b32 exec_lo, exec_lo, s1
	v_cmp_lt_u32_e32 vcc_lo, v33, v43
	s_or_b32 s5, s23, vcc_lo
	s_delay_alu instid0(SALU_CYCLE_1)
	;; [unrolled: 21-line block ×7, first 2 shown]
	s_and_saveexec_b32 s1, s5
	s_cbranch_execz .LBB434_128
; %bb.126:
	v_and_b32_e32 v24, 1, v39
	s_delay_alu instid0(VALU_DEP_1)
	v_cmp_eq_u32_e32 vcc_lo, 1, v24
	s_and_b32 exec_lo, exec_lo, vcc_lo
	s_cbranch_execz .LBB434_128
; %bb.127:
	v_mov_b32_e32 v24, 0
	s_delay_alu instid0(VALU_DEP_1) | instskip(NEXT) | instid1(VALU_DEP_1)
	v_lshlrev_b64 v[44:45], 2, v[23:24]
	v_add_co_u32 v44, vcc_lo, s3, v44
	s_delay_alu instid0(VALU_DEP_2)
	v_add_co_ci_u32_e32 v45, vcc_lo, s4, v45, vcc_lo
	global_store_b32 v[44:45], v10, off
.LBB434_128:
	s_or_b32 exec_lo, exec_lo, s1
	s_mov_b32 s3, 0
.LBB434_129:
	v_and_b32_e32 v17, 1, v17
	s_and_b32 vcc_lo, exec_lo, s3
	s_delay_alu instid0(VALU_DEP_1)
	v_cmp_eq_u32_e64 s1, 1, v17
	s_cbranch_vccz .LBB434_150
; %bb.130:
	s_delay_alu instid0(VALU_DEP_1)
	s_and_saveexec_b32 s3, s1
	s_cbranch_execz .LBB434_132
; %bb.131:
	v_sub_nc_u32_e32 v24, v37, v20
	s_delay_alu instid0(VALU_DEP_1)
	v_lshlrev_b32_e32 v24, 2, v24
	ds_store_b32 v24, v15
.LBB434_132:
	s_or_b32 exec_lo, exec_lo, s3
	v_and_b32_e32 v15, 1, v42
	s_mov_b32 s1, exec_lo
	s_delay_alu instid0(VALU_DEP_1)
	v_cmpx_eq_u32_e32 1, v15
	s_cbranch_execz .LBB434_134
; %bb.133:
	v_sub_nc_u32_e32 v15, v35, v20
	s_delay_alu instid0(VALU_DEP_1)
	v_lshlrev_b32_e32 v15, 2, v15
	ds_store_b32 v15, v16
.LBB434_134:
	s_or_b32 exec_lo, exec_lo, s1
	v_and_b32_e32 v15, 1, v41
	s_mov_b32 s1, exec_lo
	s_delay_alu instid0(VALU_DEP_1)
	v_cmpx_eq_u32_e32 1, v15
	;; [unrolled: 12-line block ×7, first 2 shown]
	s_cbranch_execz .LBB434_146
; %bb.145:
	v_sub_nc_u32_e32 v9, v23, v20
	s_delay_alu instid0(VALU_DEP_1)
	v_lshlrev_b32_e32 v9, 2, v9
	ds_store_b32 v9, v10
.LBB434_146:
	s_or_b32 exec_lo, exec_lo, s1
	s_delay_alu instid0(SALU_CYCLE_1)
	s_mov_b32 s3, exec_lo
	s_waitcnt lgkmcnt(0)
	s_waitcnt_vscnt null, 0x0
	s_barrier
	buffer_gl0_inv
	v_cmpx_lt_u32_e64 v0, v19
	s_cbranch_execz .LBB434_149
; %bb.147:
	v_dual_mov_b32 v10, 0 :: v_dual_mov_b32 v9, v20
	s_lshl_b64 s[4:5], s[10:11], 2
	v_lshlrev_b32_e32 v11, 2, v0
	s_add_u32 s1, s16, s4
	s_addc_u32 s4, s17, s5
	v_lshlrev_b64 v[12:13], 2, v[9:10]
	v_mov_b32_e32 v9, v0
	s_delay_alu instid0(VALU_DEP_2) | instskip(NEXT) | instid1(VALU_DEP_3)
	v_add_co_u32 v12, vcc_lo, s1, v12
	v_add_co_ci_u32_e32 v13, vcc_lo, s4, v13, vcc_lo
	s_mov_b32 s4, 0
	.p2align	6
.LBB434_148:                            ; =>This Inner Loop Header: Depth=1
	ds_load_b32 v16, v11
	v_lshlrev_b64 v[14:15], 2, v[9:10]
	v_add_nc_u32_e32 v9, 0x180, v9
	v_add_nc_u32_e32 v11, 0x600, v11
	s_delay_alu instid0(VALU_DEP_2) | instskip(NEXT) | instid1(VALU_DEP_4)
	v_cmp_ge_u32_e32 vcc_lo, v9, v19
	v_add_co_u32 v14, s1, v12, v14
	s_delay_alu instid0(VALU_DEP_1)
	v_add_co_ci_u32_e64 v15, s1, v13, v15, s1
	s_or_b32 s4, vcc_lo, s4
	s_waitcnt lgkmcnt(0)
	global_store_b32 v[14:15], v16, off
	s_and_not1_b32 exec_lo, exec_lo, s4
	s_cbranch_execnz .LBB434_148
.LBB434_149:
	s_or_b32 exec_lo, exec_lo, s3
.LBB434_150:
	s_delay_alu instid0(SALU_CYCLE_1)
	s_and_b32 vcc_lo, exec_lo, s0
	s_mov_b32 s0, -1
	s_waitcnt_vscnt null, 0x0
	s_barrier
	buffer_gl0_inv
	s_cbranch_vccz .LBB434_178
; %bb.151:
	v_cmp_lt_u32_e32 vcc_lo, v37, v43
	s_lshl_b64 s[0:1], s[10:11], 2
	s_delay_alu instid0(SALU_CYCLE_1) | instskip(SKIP_2) | instid1(SALU_CYCLE_1)
	s_add_u32 s0, s18, s0
	s_addc_u32 s1, s19, s1
	s_or_b32 s4, s23, vcc_lo
	s_and_saveexec_b32 s3, s4
	s_cbranch_execz .LBB434_154
; %bb.152:
	v_cmp_eq_u32_e32 vcc_lo, 1, v17
	s_and_b32 exec_lo, exec_lo, vcc_lo
	s_cbranch_execz .LBB434_154
; %bb.153:
	v_mov_b32_e32 v38, 0
	s_delay_alu instid0(VALU_DEP_1) | instskip(NEXT) | instid1(VALU_DEP_1)
	v_lshlrev_b64 v[9:10], 2, v[37:38]
	v_add_co_u32 v9, vcc_lo, s0, v9
	s_delay_alu instid0(VALU_DEP_2)
	v_add_co_ci_u32_e32 v10, vcc_lo, s1, v10, vcc_lo
	global_store_b32 v[9:10], v7, off
.LBB434_154:
	s_or_b32 exec_lo, exec_lo, s3
	v_cmp_lt_u32_e32 vcc_lo, v35, v43
	s_or_b32 s4, s23, vcc_lo
	s_delay_alu instid0(SALU_CYCLE_1)
	s_and_saveexec_b32 s3, s4
	s_cbranch_execz .LBB434_157
; %bb.155:
	v_and_b32_e32 v9, 1, v42
	s_delay_alu instid0(VALU_DEP_1)
	v_cmp_eq_u32_e32 vcc_lo, 1, v9
	s_and_b32 exec_lo, exec_lo, vcc_lo
	s_cbranch_execz .LBB434_157
; %bb.156:
	v_mov_b32_e32 v36, 0
	s_delay_alu instid0(VALU_DEP_1) | instskip(NEXT) | instid1(VALU_DEP_1)
	v_lshlrev_b64 v[9:10], 2, v[35:36]
	v_add_co_u32 v9, vcc_lo, s0, v9
	s_delay_alu instid0(VALU_DEP_2)
	v_add_co_ci_u32_e32 v10, vcc_lo, s1, v10, vcc_lo
	global_store_b32 v[9:10], v8, off
.LBB434_157:
	s_or_b32 exec_lo, exec_lo, s3
	v_cmp_lt_u32_e32 vcc_lo, v33, v43
	s_or_b32 s4, s23, vcc_lo
	s_delay_alu instid0(SALU_CYCLE_1)
	s_and_saveexec_b32 s3, s4
	s_cbranch_execz .LBB434_160
; %bb.158:
	v_and_b32_e32 v9, 1, v41
	s_delay_alu instid0(VALU_DEP_1)
	v_cmp_eq_u32_e32 vcc_lo, 1, v9
	s_and_b32 exec_lo, exec_lo, vcc_lo
	s_cbranch_execz .LBB434_160
; %bb.159:
	v_mov_b32_e32 v34, 0
	s_delay_alu instid0(VALU_DEP_1) | instskip(NEXT) | instid1(VALU_DEP_1)
	v_lshlrev_b64 v[9:10], 2, v[33:34]
	v_add_co_u32 v9, vcc_lo, s0, v9
	s_delay_alu instid0(VALU_DEP_2)
	v_add_co_ci_u32_e32 v10, vcc_lo, s1, v10, vcc_lo
	global_store_b32 v[9:10], v5, off
.LBB434_160:
	;; [unrolled: 21-line block ×7, first 2 shown]
	s_or_b32 exec_lo, exec_lo, s3
.LBB434_176:
	s_and_b32 s0, s2, s22
	s_delay_alu instid0(SALU_CYCLE_1)
	s_and_saveexec_b32 s1, s0
	s_cbranch_execz .LBB434_199
.LBB434_177:
	v_add_co_u32 v0, s0, s10, v19
	s_delay_alu instid0(VALU_DEP_1) | instskip(SKIP_1) | instid1(VALU_DEP_3)
	v_add_co_ci_u32_e64 v1, null, s11, 0, s0
	v_mov_b32_e32 v2, 0
	v_add_co_u32 v0, vcc_lo, v0, v20
	s_delay_alu instid0(VALU_DEP_3)
	v_add_co_ci_u32_e32 v1, vcc_lo, 0, v1, vcc_lo
	global_store_b64 v2, v[0:1], s[12:13]
	s_nop 0
	s_sendmsg sendmsg(MSG_DEALLOC_VGPRS)
	s_endpgm
.LBB434_178:
	s_and_b32 vcc_lo, exec_lo, s0
	s_cbranch_vccz .LBB434_176
; %bb.179:
	s_mov_b32 s0, exec_lo
	v_cmpx_eq_u32_e32 1, v17
	s_cbranch_execz .LBB434_181
; %bb.180:
	v_sub_nc_u32_e32 v9, v37, v20
	s_delay_alu instid0(VALU_DEP_1)
	v_lshlrev_b32_e32 v9, 2, v9
	ds_store_b32 v9, v7
.LBB434_181:
	s_or_b32 exec_lo, exec_lo, s0
	v_and_b32_e32 v7, 1, v42
	s_mov_b32 s0, exec_lo
	s_delay_alu instid0(VALU_DEP_1)
	v_cmpx_eq_u32_e32 1, v7
	s_cbranch_execz .LBB434_183
; %bb.182:
	v_sub_nc_u32_e32 v7, v35, v20
	s_delay_alu instid0(VALU_DEP_1)
	v_lshlrev_b32_e32 v7, 2, v7
	ds_store_b32 v7, v8
.LBB434_183:
	s_or_b32 exec_lo, exec_lo, s0
	v_and_b32_e32 v7, 1, v41
	s_mov_b32 s0, exec_lo
	s_delay_alu instid0(VALU_DEP_1)
	v_cmpx_eq_u32_e32 1, v7
	s_cbranch_execz .LBB434_185
; %bb.184:
	v_sub_nc_u32_e32 v7, v33, v20
	s_delay_alu instid0(VALU_DEP_1)
	v_lshlrev_b32_e32 v7, 2, v7
	ds_store_b32 v7, v5
.LBB434_185:
	s_or_b32 exec_lo, exec_lo, s0
	v_and_b32_e32 v5, 1, v21
	s_mov_b32 s0, exec_lo
	s_delay_alu instid0(VALU_DEP_1)
	v_cmpx_eq_u32_e32 1, v5
	s_cbranch_execz .LBB434_187
; %bb.186:
	v_sub_nc_u32_e32 v5, v31, v20
	s_delay_alu instid0(VALU_DEP_1)
	v_lshlrev_b32_e32 v5, 2, v5
	ds_store_b32 v5, v6
.LBB434_187:
	s_or_b32 exec_lo, exec_lo, s0
	v_and_b32_e32 v5, 1, v18
	s_mov_b32 s0, exec_lo
	s_delay_alu instid0(VALU_DEP_1)
	v_cmpx_eq_u32_e32 1, v5
	s_cbranch_execz .LBB434_189
; %bb.188:
	v_sub_nc_u32_e32 v5, v29, v20
	s_delay_alu instid0(VALU_DEP_1)
	v_lshlrev_b32_e32 v5, 2, v5
	ds_store_b32 v5, v3
.LBB434_189:
	s_or_b32 exec_lo, exec_lo, s0
	v_and_b32_e32 v3, 1, v40
	s_mov_b32 s0, exec_lo
	s_delay_alu instid0(VALU_DEP_1)
	v_cmpx_eq_u32_e32 1, v3
	s_cbranch_execz .LBB434_191
; %bb.190:
	v_sub_nc_u32_e32 v3, v27, v20
	s_delay_alu instid0(VALU_DEP_1)
	v_lshlrev_b32_e32 v3, 2, v3
	ds_store_b32 v3, v4
.LBB434_191:
	s_or_b32 exec_lo, exec_lo, s0
	v_and_b32_e32 v3, 1, v22
	s_mov_b32 s0, exec_lo
	s_delay_alu instid0(VALU_DEP_1)
	v_cmpx_eq_u32_e32 1, v3
	s_cbranch_execz .LBB434_193
; %bb.192:
	v_sub_nc_u32_e32 v3, v25, v20
	s_delay_alu instid0(VALU_DEP_1)
	v_lshlrev_b32_e32 v3, 2, v3
	ds_store_b32 v3, v1
.LBB434_193:
	s_or_b32 exec_lo, exec_lo, s0
	v_and_b32_e32 v1, 1, v39
	s_mov_b32 s0, exec_lo
	s_delay_alu instid0(VALU_DEP_1)
	v_cmpx_eq_u32_e32 1, v1
	s_cbranch_execz .LBB434_195
; %bb.194:
	v_sub_nc_u32_e32 v1, v23, v20
	s_delay_alu instid0(VALU_DEP_1)
	v_lshlrev_b32_e32 v1, 2, v1
	ds_store_b32 v1, v2
.LBB434_195:
	s_or_b32 exec_lo, exec_lo, s0
	s_delay_alu instid0(SALU_CYCLE_1)
	s_mov_b32 s1, exec_lo
	s_waitcnt lgkmcnt(0)
	s_waitcnt_vscnt null, 0x0
	s_barrier
	buffer_gl0_inv
	v_cmpx_lt_u32_e64 v0, v19
	s_cbranch_execz .LBB434_198
; %bb.196:
	v_dual_mov_b32 v1, 0 :: v_dual_mov_b32 v2, v20
	s_lshl_b64 s[4:5], s[10:11], 2
	v_lshlrev_b32_e32 v4, 2, v0
	s_add_u32 s0, s18, s4
	s_delay_alu instid0(VALU_DEP_2) | instskip(SKIP_1) | instid1(VALU_DEP_1)
	v_mov_b32_e32 v3, v1
	s_addc_u32 s3, s19, s5
	v_lshlrev_b64 v[2:3], 2, v[2:3]
	s_delay_alu instid0(VALU_DEP_1) | instskip(NEXT) | instid1(VALU_DEP_2)
	v_add_co_u32 v2, vcc_lo, s0, v2
	v_add_co_ci_u32_e32 v3, vcc_lo, s3, v3, vcc_lo
	s_mov_b32 s3, 0
	.p2align	6
.LBB434_197:                            ; =>This Inner Loop Header: Depth=1
	ds_load_b32 v7, v4
	v_lshlrev_b64 v[5:6], 2, v[0:1]
	v_add_nc_u32_e32 v0, 0x180, v0
	v_add_nc_u32_e32 v4, 0x600, v4
	s_delay_alu instid0(VALU_DEP_2) | instskip(NEXT) | instid1(VALU_DEP_4)
	v_cmp_ge_u32_e32 vcc_lo, v0, v19
	v_add_co_u32 v5, s0, v2, v5
	s_delay_alu instid0(VALU_DEP_1)
	v_add_co_ci_u32_e64 v6, s0, v3, v6, s0
	s_or_b32 s3, vcc_lo, s3
	s_waitcnt lgkmcnt(0)
	global_store_b32 v[5:6], v7, off
	s_and_not1_b32 exec_lo, exec_lo, s3
	s_cbranch_execnz .LBB434_197
.LBB434_198:
	s_or_b32 exec_lo, exec_lo, s1
	s_and_b32 s0, s2, s22
	s_delay_alu instid0(SALU_CYCLE_1)
	s_and_saveexec_b32 s1, s0
	s_cbranch_execnz .LBB434_177
.LBB434_199:
	s_nop 0
	s_sendmsg sendmsg(MSG_DEALLOC_VGPRS)
	s_endpgm
	.section	.rodata,"a",@progbits
	.p2align	6, 0x0
	.amdhsa_kernel _ZN7rocprim17ROCPRIM_400000_NS6detail17trampoline_kernelINS0_14default_configENS1_25partition_config_selectorILNS1_17partition_subalgoE9EiibEEZZNS1_14partition_implILS5_9ELb0ES3_jN6thrust23THRUST_200600_302600_NS6detail15normal_iteratorINS9_10device_ptrIiEEEESE_PNS0_10empty_typeENS0_5tupleIJSE_SF_EEENSH_IJSE_SG_EEENS0_18inequality_wrapperINS9_8equal_toIiEEEEPmJSF_EEE10hipError_tPvRmT3_T4_T5_T6_T7_T9_mT8_P12ihipStream_tbDpT10_ENKUlT_T0_E_clISt17integral_constantIbLb0EES17_IbLb1EEEEDaS13_S14_EUlS13_E_NS1_11comp_targetILNS1_3genE9ELNS1_11target_archE1100ELNS1_3gpuE3ELNS1_3repE0EEENS1_30default_config_static_selectorELNS0_4arch9wavefront6targetE0EEEvT1_
		.amdhsa_group_segment_fixed_size 12680
		.amdhsa_private_segment_fixed_size 0
		.amdhsa_kernarg_size 128
		.amdhsa_user_sgpr_count 15
		.amdhsa_user_sgpr_dispatch_ptr 0
		.amdhsa_user_sgpr_queue_ptr 0
		.amdhsa_user_sgpr_kernarg_segment_ptr 1
		.amdhsa_user_sgpr_dispatch_id 0
		.amdhsa_user_sgpr_private_segment_size 0
		.amdhsa_wavefront_size32 1
		.amdhsa_uses_dynamic_stack 0
		.amdhsa_enable_private_segment 0
		.amdhsa_system_sgpr_workgroup_id_x 1
		.amdhsa_system_sgpr_workgroup_id_y 0
		.amdhsa_system_sgpr_workgroup_id_z 0
		.amdhsa_system_sgpr_workgroup_info 0
		.amdhsa_system_vgpr_workitem_id 0
		.amdhsa_next_free_vgpr 51
		.amdhsa_next_free_sgpr 29
		.amdhsa_reserve_vcc 1
		.amdhsa_float_round_mode_32 0
		.amdhsa_float_round_mode_16_64 0
		.amdhsa_float_denorm_mode_32 3
		.amdhsa_float_denorm_mode_16_64 3
		.amdhsa_dx10_clamp 1
		.amdhsa_ieee_mode 1
		.amdhsa_fp16_overflow 0
		.amdhsa_workgroup_processor_mode 1
		.amdhsa_memory_ordered 1
		.amdhsa_forward_progress 0
		.amdhsa_shared_vgpr_count 0
		.amdhsa_exception_fp_ieee_invalid_op 0
		.amdhsa_exception_fp_denorm_src 0
		.amdhsa_exception_fp_ieee_div_zero 0
		.amdhsa_exception_fp_ieee_overflow 0
		.amdhsa_exception_fp_ieee_underflow 0
		.amdhsa_exception_fp_ieee_inexact 0
		.amdhsa_exception_int_div_zero 0
	.end_amdhsa_kernel
	.section	.text._ZN7rocprim17ROCPRIM_400000_NS6detail17trampoline_kernelINS0_14default_configENS1_25partition_config_selectorILNS1_17partition_subalgoE9EiibEEZZNS1_14partition_implILS5_9ELb0ES3_jN6thrust23THRUST_200600_302600_NS6detail15normal_iteratorINS9_10device_ptrIiEEEESE_PNS0_10empty_typeENS0_5tupleIJSE_SF_EEENSH_IJSE_SG_EEENS0_18inequality_wrapperINS9_8equal_toIiEEEEPmJSF_EEE10hipError_tPvRmT3_T4_T5_T6_T7_T9_mT8_P12ihipStream_tbDpT10_ENKUlT_T0_E_clISt17integral_constantIbLb0EES17_IbLb1EEEEDaS13_S14_EUlS13_E_NS1_11comp_targetILNS1_3genE9ELNS1_11target_archE1100ELNS1_3gpuE3ELNS1_3repE0EEENS1_30default_config_static_selectorELNS0_4arch9wavefront6targetE0EEEvT1_,"axG",@progbits,_ZN7rocprim17ROCPRIM_400000_NS6detail17trampoline_kernelINS0_14default_configENS1_25partition_config_selectorILNS1_17partition_subalgoE9EiibEEZZNS1_14partition_implILS5_9ELb0ES3_jN6thrust23THRUST_200600_302600_NS6detail15normal_iteratorINS9_10device_ptrIiEEEESE_PNS0_10empty_typeENS0_5tupleIJSE_SF_EEENSH_IJSE_SG_EEENS0_18inequality_wrapperINS9_8equal_toIiEEEEPmJSF_EEE10hipError_tPvRmT3_T4_T5_T6_T7_T9_mT8_P12ihipStream_tbDpT10_ENKUlT_T0_E_clISt17integral_constantIbLb0EES17_IbLb1EEEEDaS13_S14_EUlS13_E_NS1_11comp_targetILNS1_3genE9ELNS1_11target_archE1100ELNS1_3gpuE3ELNS1_3repE0EEENS1_30default_config_static_selectorELNS0_4arch9wavefront6targetE0EEEvT1_,comdat
.Lfunc_end434:
	.size	_ZN7rocprim17ROCPRIM_400000_NS6detail17trampoline_kernelINS0_14default_configENS1_25partition_config_selectorILNS1_17partition_subalgoE9EiibEEZZNS1_14partition_implILS5_9ELb0ES3_jN6thrust23THRUST_200600_302600_NS6detail15normal_iteratorINS9_10device_ptrIiEEEESE_PNS0_10empty_typeENS0_5tupleIJSE_SF_EEENSH_IJSE_SG_EEENS0_18inequality_wrapperINS9_8equal_toIiEEEEPmJSF_EEE10hipError_tPvRmT3_T4_T5_T6_T7_T9_mT8_P12ihipStream_tbDpT10_ENKUlT_T0_E_clISt17integral_constantIbLb0EES17_IbLb1EEEEDaS13_S14_EUlS13_E_NS1_11comp_targetILNS1_3genE9ELNS1_11target_archE1100ELNS1_3gpuE3ELNS1_3repE0EEENS1_30default_config_static_selectorELNS0_4arch9wavefront6targetE0EEEvT1_, .Lfunc_end434-_ZN7rocprim17ROCPRIM_400000_NS6detail17trampoline_kernelINS0_14default_configENS1_25partition_config_selectorILNS1_17partition_subalgoE9EiibEEZZNS1_14partition_implILS5_9ELb0ES3_jN6thrust23THRUST_200600_302600_NS6detail15normal_iteratorINS9_10device_ptrIiEEEESE_PNS0_10empty_typeENS0_5tupleIJSE_SF_EEENSH_IJSE_SG_EEENS0_18inequality_wrapperINS9_8equal_toIiEEEEPmJSF_EEE10hipError_tPvRmT3_T4_T5_T6_T7_T9_mT8_P12ihipStream_tbDpT10_ENKUlT_T0_E_clISt17integral_constantIbLb0EES17_IbLb1EEEEDaS13_S14_EUlS13_E_NS1_11comp_targetILNS1_3genE9ELNS1_11target_archE1100ELNS1_3gpuE3ELNS1_3repE0EEENS1_30default_config_static_selectorELNS0_4arch9wavefront6targetE0EEEvT1_
                                        ; -- End function
	.section	.AMDGPU.csdata,"",@progbits
; Kernel info:
; codeLenInByte = 9360
; NumSgprs: 31
; NumVgprs: 51
; ScratchSize: 0
; MemoryBound: 0
; FloatMode: 240
; IeeeMode: 1
; LDSByteSize: 12680 bytes/workgroup (compile time only)
; SGPRBlocks: 3
; VGPRBlocks: 6
; NumSGPRsForWavesPerEU: 31
; NumVGPRsForWavesPerEU: 51
; Occupancy: 15
; WaveLimiterHint : 1
; COMPUTE_PGM_RSRC2:SCRATCH_EN: 0
; COMPUTE_PGM_RSRC2:USER_SGPR: 15
; COMPUTE_PGM_RSRC2:TRAP_HANDLER: 0
; COMPUTE_PGM_RSRC2:TGID_X_EN: 1
; COMPUTE_PGM_RSRC2:TGID_Y_EN: 0
; COMPUTE_PGM_RSRC2:TGID_Z_EN: 0
; COMPUTE_PGM_RSRC2:TIDIG_COMP_CNT: 0
	.section	.text._ZN7rocprim17ROCPRIM_400000_NS6detail17trampoline_kernelINS0_14default_configENS1_25partition_config_selectorILNS1_17partition_subalgoE9EiibEEZZNS1_14partition_implILS5_9ELb0ES3_jN6thrust23THRUST_200600_302600_NS6detail15normal_iteratorINS9_10device_ptrIiEEEESE_PNS0_10empty_typeENS0_5tupleIJSE_SF_EEENSH_IJSE_SG_EEENS0_18inequality_wrapperINS9_8equal_toIiEEEEPmJSF_EEE10hipError_tPvRmT3_T4_T5_T6_T7_T9_mT8_P12ihipStream_tbDpT10_ENKUlT_T0_E_clISt17integral_constantIbLb0EES17_IbLb1EEEEDaS13_S14_EUlS13_E_NS1_11comp_targetILNS1_3genE8ELNS1_11target_archE1030ELNS1_3gpuE2ELNS1_3repE0EEENS1_30default_config_static_selectorELNS0_4arch9wavefront6targetE0EEEvT1_,"axG",@progbits,_ZN7rocprim17ROCPRIM_400000_NS6detail17trampoline_kernelINS0_14default_configENS1_25partition_config_selectorILNS1_17partition_subalgoE9EiibEEZZNS1_14partition_implILS5_9ELb0ES3_jN6thrust23THRUST_200600_302600_NS6detail15normal_iteratorINS9_10device_ptrIiEEEESE_PNS0_10empty_typeENS0_5tupleIJSE_SF_EEENSH_IJSE_SG_EEENS0_18inequality_wrapperINS9_8equal_toIiEEEEPmJSF_EEE10hipError_tPvRmT3_T4_T5_T6_T7_T9_mT8_P12ihipStream_tbDpT10_ENKUlT_T0_E_clISt17integral_constantIbLb0EES17_IbLb1EEEEDaS13_S14_EUlS13_E_NS1_11comp_targetILNS1_3genE8ELNS1_11target_archE1030ELNS1_3gpuE2ELNS1_3repE0EEENS1_30default_config_static_selectorELNS0_4arch9wavefront6targetE0EEEvT1_,comdat
	.protected	_ZN7rocprim17ROCPRIM_400000_NS6detail17trampoline_kernelINS0_14default_configENS1_25partition_config_selectorILNS1_17partition_subalgoE9EiibEEZZNS1_14partition_implILS5_9ELb0ES3_jN6thrust23THRUST_200600_302600_NS6detail15normal_iteratorINS9_10device_ptrIiEEEESE_PNS0_10empty_typeENS0_5tupleIJSE_SF_EEENSH_IJSE_SG_EEENS0_18inequality_wrapperINS9_8equal_toIiEEEEPmJSF_EEE10hipError_tPvRmT3_T4_T5_T6_T7_T9_mT8_P12ihipStream_tbDpT10_ENKUlT_T0_E_clISt17integral_constantIbLb0EES17_IbLb1EEEEDaS13_S14_EUlS13_E_NS1_11comp_targetILNS1_3genE8ELNS1_11target_archE1030ELNS1_3gpuE2ELNS1_3repE0EEENS1_30default_config_static_selectorELNS0_4arch9wavefront6targetE0EEEvT1_ ; -- Begin function _ZN7rocprim17ROCPRIM_400000_NS6detail17trampoline_kernelINS0_14default_configENS1_25partition_config_selectorILNS1_17partition_subalgoE9EiibEEZZNS1_14partition_implILS5_9ELb0ES3_jN6thrust23THRUST_200600_302600_NS6detail15normal_iteratorINS9_10device_ptrIiEEEESE_PNS0_10empty_typeENS0_5tupleIJSE_SF_EEENSH_IJSE_SG_EEENS0_18inequality_wrapperINS9_8equal_toIiEEEEPmJSF_EEE10hipError_tPvRmT3_T4_T5_T6_T7_T9_mT8_P12ihipStream_tbDpT10_ENKUlT_T0_E_clISt17integral_constantIbLb0EES17_IbLb1EEEEDaS13_S14_EUlS13_E_NS1_11comp_targetILNS1_3genE8ELNS1_11target_archE1030ELNS1_3gpuE2ELNS1_3repE0EEENS1_30default_config_static_selectorELNS0_4arch9wavefront6targetE0EEEvT1_
	.globl	_ZN7rocprim17ROCPRIM_400000_NS6detail17trampoline_kernelINS0_14default_configENS1_25partition_config_selectorILNS1_17partition_subalgoE9EiibEEZZNS1_14partition_implILS5_9ELb0ES3_jN6thrust23THRUST_200600_302600_NS6detail15normal_iteratorINS9_10device_ptrIiEEEESE_PNS0_10empty_typeENS0_5tupleIJSE_SF_EEENSH_IJSE_SG_EEENS0_18inequality_wrapperINS9_8equal_toIiEEEEPmJSF_EEE10hipError_tPvRmT3_T4_T5_T6_T7_T9_mT8_P12ihipStream_tbDpT10_ENKUlT_T0_E_clISt17integral_constantIbLb0EES17_IbLb1EEEEDaS13_S14_EUlS13_E_NS1_11comp_targetILNS1_3genE8ELNS1_11target_archE1030ELNS1_3gpuE2ELNS1_3repE0EEENS1_30default_config_static_selectorELNS0_4arch9wavefront6targetE0EEEvT1_
	.p2align	8
	.type	_ZN7rocprim17ROCPRIM_400000_NS6detail17trampoline_kernelINS0_14default_configENS1_25partition_config_selectorILNS1_17partition_subalgoE9EiibEEZZNS1_14partition_implILS5_9ELb0ES3_jN6thrust23THRUST_200600_302600_NS6detail15normal_iteratorINS9_10device_ptrIiEEEESE_PNS0_10empty_typeENS0_5tupleIJSE_SF_EEENSH_IJSE_SG_EEENS0_18inequality_wrapperINS9_8equal_toIiEEEEPmJSF_EEE10hipError_tPvRmT3_T4_T5_T6_T7_T9_mT8_P12ihipStream_tbDpT10_ENKUlT_T0_E_clISt17integral_constantIbLb0EES17_IbLb1EEEEDaS13_S14_EUlS13_E_NS1_11comp_targetILNS1_3genE8ELNS1_11target_archE1030ELNS1_3gpuE2ELNS1_3repE0EEENS1_30default_config_static_selectorELNS0_4arch9wavefront6targetE0EEEvT1_,@function
_ZN7rocprim17ROCPRIM_400000_NS6detail17trampoline_kernelINS0_14default_configENS1_25partition_config_selectorILNS1_17partition_subalgoE9EiibEEZZNS1_14partition_implILS5_9ELb0ES3_jN6thrust23THRUST_200600_302600_NS6detail15normal_iteratorINS9_10device_ptrIiEEEESE_PNS0_10empty_typeENS0_5tupleIJSE_SF_EEENSH_IJSE_SG_EEENS0_18inequality_wrapperINS9_8equal_toIiEEEEPmJSF_EEE10hipError_tPvRmT3_T4_T5_T6_T7_T9_mT8_P12ihipStream_tbDpT10_ENKUlT_T0_E_clISt17integral_constantIbLb0EES17_IbLb1EEEEDaS13_S14_EUlS13_E_NS1_11comp_targetILNS1_3genE8ELNS1_11target_archE1030ELNS1_3gpuE2ELNS1_3repE0EEENS1_30default_config_static_selectorELNS0_4arch9wavefront6targetE0EEEvT1_: ; @_ZN7rocprim17ROCPRIM_400000_NS6detail17trampoline_kernelINS0_14default_configENS1_25partition_config_selectorILNS1_17partition_subalgoE9EiibEEZZNS1_14partition_implILS5_9ELb0ES3_jN6thrust23THRUST_200600_302600_NS6detail15normal_iteratorINS9_10device_ptrIiEEEESE_PNS0_10empty_typeENS0_5tupleIJSE_SF_EEENSH_IJSE_SG_EEENS0_18inequality_wrapperINS9_8equal_toIiEEEEPmJSF_EEE10hipError_tPvRmT3_T4_T5_T6_T7_T9_mT8_P12ihipStream_tbDpT10_ENKUlT_T0_E_clISt17integral_constantIbLb0EES17_IbLb1EEEEDaS13_S14_EUlS13_E_NS1_11comp_targetILNS1_3genE8ELNS1_11target_archE1030ELNS1_3gpuE2ELNS1_3repE0EEENS1_30default_config_static_selectorELNS0_4arch9wavefront6targetE0EEEvT1_
; %bb.0:
	.section	.rodata,"a",@progbits
	.p2align	6, 0x0
	.amdhsa_kernel _ZN7rocprim17ROCPRIM_400000_NS6detail17trampoline_kernelINS0_14default_configENS1_25partition_config_selectorILNS1_17partition_subalgoE9EiibEEZZNS1_14partition_implILS5_9ELb0ES3_jN6thrust23THRUST_200600_302600_NS6detail15normal_iteratorINS9_10device_ptrIiEEEESE_PNS0_10empty_typeENS0_5tupleIJSE_SF_EEENSH_IJSE_SG_EEENS0_18inequality_wrapperINS9_8equal_toIiEEEEPmJSF_EEE10hipError_tPvRmT3_T4_T5_T6_T7_T9_mT8_P12ihipStream_tbDpT10_ENKUlT_T0_E_clISt17integral_constantIbLb0EES17_IbLb1EEEEDaS13_S14_EUlS13_E_NS1_11comp_targetILNS1_3genE8ELNS1_11target_archE1030ELNS1_3gpuE2ELNS1_3repE0EEENS1_30default_config_static_selectorELNS0_4arch9wavefront6targetE0EEEvT1_
		.amdhsa_group_segment_fixed_size 0
		.amdhsa_private_segment_fixed_size 0
		.amdhsa_kernarg_size 128
		.amdhsa_user_sgpr_count 15
		.amdhsa_user_sgpr_dispatch_ptr 0
		.amdhsa_user_sgpr_queue_ptr 0
		.amdhsa_user_sgpr_kernarg_segment_ptr 1
		.amdhsa_user_sgpr_dispatch_id 0
		.amdhsa_user_sgpr_private_segment_size 0
		.amdhsa_wavefront_size32 1
		.amdhsa_uses_dynamic_stack 0
		.amdhsa_enable_private_segment 0
		.amdhsa_system_sgpr_workgroup_id_x 1
		.amdhsa_system_sgpr_workgroup_id_y 0
		.amdhsa_system_sgpr_workgroup_id_z 0
		.amdhsa_system_sgpr_workgroup_info 0
		.amdhsa_system_vgpr_workitem_id 0
		.amdhsa_next_free_vgpr 1
		.amdhsa_next_free_sgpr 1
		.amdhsa_reserve_vcc 0
		.amdhsa_float_round_mode_32 0
		.amdhsa_float_round_mode_16_64 0
		.amdhsa_float_denorm_mode_32 3
		.amdhsa_float_denorm_mode_16_64 3
		.amdhsa_dx10_clamp 1
		.amdhsa_ieee_mode 1
		.amdhsa_fp16_overflow 0
		.amdhsa_workgroup_processor_mode 1
		.amdhsa_memory_ordered 1
		.amdhsa_forward_progress 0
		.amdhsa_shared_vgpr_count 0
		.amdhsa_exception_fp_ieee_invalid_op 0
		.amdhsa_exception_fp_denorm_src 0
		.amdhsa_exception_fp_ieee_div_zero 0
		.amdhsa_exception_fp_ieee_overflow 0
		.amdhsa_exception_fp_ieee_underflow 0
		.amdhsa_exception_fp_ieee_inexact 0
		.amdhsa_exception_int_div_zero 0
	.end_amdhsa_kernel
	.section	.text._ZN7rocprim17ROCPRIM_400000_NS6detail17trampoline_kernelINS0_14default_configENS1_25partition_config_selectorILNS1_17partition_subalgoE9EiibEEZZNS1_14partition_implILS5_9ELb0ES3_jN6thrust23THRUST_200600_302600_NS6detail15normal_iteratorINS9_10device_ptrIiEEEESE_PNS0_10empty_typeENS0_5tupleIJSE_SF_EEENSH_IJSE_SG_EEENS0_18inequality_wrapperINS9_8equal_toIiEEEEPmJSF_EEE10hipError_tPvRmT3_T4_T5_T6_T7_T9_mT8_P12ihipStream_tbDpT10_ENKUlT_T0_E_clISt17integral_constantIbLb0EES17_IbLb1EEEEDaS13_S14_EUlS13_E_NS1_11comp_targetILNS1_3genE8ELNS1_11target_archE1030ELNS1_3gpuE2ELNS1_3repE0EEENS1_30default_config_static_selectorELNS0_4arch9wavefront6targetE0EEEvT1_,"axG",@progbits,_ZN7rocprim17ROCPRIM_400000_NS6detail17trampoline_kernelINS0_14default_configENS1_25partition_config_selectorILNS1_17partition_subalgoE9EiibEEZZNS1_14partition_implILS5_9ELb0ES3_jN6thrust23THRUST_200600_302600_NS6detail15normal_iteratorINS9_10device_ptrIiEEEESE_PNS0_10empty_typeENS0_5tupleIJSE_SF_EEENSH_IJSE_SG_EEENS0_18inequality_wrapperINS9_8equal_toIiEEEEPmJSF_EEE10hipError_tPvRmT3_T4_T5_T6_T7_T9_mT8_P12ihipStream_tbDpT10_ENKUlT_T0_E_clISt17integral_constantIbLb0EES17_IbLb1EEEEDaS13_S14_EUlS13_E_NS1_11comp_targetILNS1_3genE8ELNS1_11target_archE1030ELNS1_3gpuE2ELNS1_3repE0EEENS1_30default_config_static_selectorELNS0_4arch9wavefront6targetE0EEEvT1_,comdat
.Lfunc_end435:
	.size	_ZN7rocprim17ROCPRIM_400000_NS6detail17trampoline_kernelINS0_14default_configENS1_25partition_config_selectorILNS1_17partition_subalgoE9EiibEEZZNS1_14partition_implILS5_9ELb0ES3_jN6thrust23THRUST_200600_302600_NS6detail15normal_iteratorINS9_10device_ptrIiEEEESE_PNS0_10empty_typeENS0_5tupleIJSE_SF_EEENSH_IJSE_SG_EEENS0_18inequality_wrapperINS9_8equal_toIiEEEEPmJSF_EEE10hipError_tPvRmT3_T4_T5_T6_T7_T9_mT8_P12ihipStream_tbDpT10_ENKUlT_T0_E_clISt17integral_constantIbLb0EES17_IbLb1EEEEDaS13_S14_EUlS13_E_NS1_11comp_targetILNS1_3genE8ELNS1_11target_archE1030ELNS1_3gpuE2ELNS1_3repE0EEENS1_30default_config_static_selectorELNS0_4arch9wavefront6targetE0EEEvT1_, .Lfunc_end435-_ZN7rocprim17ROCPRIM_400000_NS6detail17trampoline_kernelINS0_14default_configENS1_25partition_config_selectorILNS1_17partition_subalgoE9EiibEEZZNS1_14partition_implILS5_9ELb0ES3_jN6thrust23THRUST_200600_302600_NS6detail15normal_iteratorINS9_10device_ptrIiEEEESE_PNS0_10empty_typeENS0_5tupleIJSE_SF_EEENSH_IJSE_SG_EEENS0_18inequality_wrapperINS9_8equal_toIiEEEEPmJSF_EEE10hipError_tPvRmT3_T4_T5_T6_T7_T9_mT8_P12ihipStream_tbDpT10_ENKUlT_T0_E_clISt17integral_constantIbLb0EES17_IbLb1EEEEDaS13_S14_EUlS13_E_NS1_11comp_targetILNS1_3genE8ELNS1_11target_archE1030ELNS1_3gpuE2ELNS1_3repE0EEENS1_30default_config_static_selectorELNS0_4arch9wavefront6targetE0EEEvT1_
                                        ; -- End function
	.section	.AMDGPU.csdata,"",@progbits
; Kernel info:
; codeLenInByte = 0
; NumSgprs: 0
; NumVgprs: 0
; ScratchSize: 0
; MemoryBound: 0
; FloatMode: 240
; IeeeMode: 1
; LDSByteSize: 0 bytes/workgroup (compile time only)
; SGPRBlocks: 0
; VGPRBlocks: 0
; NumSGPRsForWavesPerEU: 1
; NumVGPRsForWavesPerEU: 1
; Occupancy: 16
; WaveLimiterHint : 0
; COMPUTE_PGM_RSRC2:SCRATCH_EN: 0
; COMPUTE_PGM_RSRC2:USER_SGPR: 15
; COMPUTE_PGM_RSRC2:TRAP_HANDLER: 0
; COMPUTE_PGM_RSRC2:TGID_X_EN: 1
; COMPUTE_PGM_RSRC2:TGID_Y_EN: 0
; COMPUTE_PGM_RSRC2:TGID_Z_EN: 0
; COMPUTE_PGM_RSRC2:TIDIG_COMP_CNT: 0
	.section	.text._ZN7rocprim17ROCPRIM_400000_NS6detail17trampoline_kernelINS0_14default_configENS1_25partition_config_selectorILNS1_17partition_subalgoE9EiibEEZZNS1_14partition_implILS5_9ELb0ES3_jN6thrust23THRUST_200600_302600_NS6detail15normal_iteratorINS9_10device_ptrIiEEEESE_PNS0_10empty_typeENS0_5tupleIJSE_SF_EEENSH_IJSE_SG_EEENS0_18inequality_wrapperI22is_equal_div_10_uniqueIiEEEPmJSF_EEE10hipError_tPvRmT3_T4_T5_T6_T7_T9_mT8_P12ihipStream_tbDpT10_ENKUlT_T0_E_clISt17integral_constantIbLb0EES18_EEDaS13_S14_EUlS13_E_NS1_11comp_targetILNS1_3genE0ELNS1_11target_archE4294967295ELNS1_3gpuE0ELNS1_3repE0EEENS1_30default_config_static_selectorELNS0_4arch9wavefront6targetE0EEEvT1_,"axG",@progbits,_ZN7rocprim17ROCPRIM_400000_NS6detail17trampoline_kernelINS0_14default_configENS1_25partition_config_selectorILNS1_17partition_subalgoE9EiibEEZZNS1_14partition_implILS5_9ELb0ES3_jN6thrust23THRUST_200600_302600_NS6detail15normal_iteratorINS9_10device_ptrIiEEEESE_PNS0_10empty_typeENS0_5tupleIJSE_SF_EEENSH_IJSE_SG_EEENS0_18inequality_wrapperI22is_equal_div_10_uniqueIiEEEPmJSF_EEE10hipError_tPvRmT3_T4_T5_T6_T7_T9_mT8_P12ihipStream_tbDpT10_ENKUlT_T0_E_clISt17integral_constantIbLb0EES18_EEDaS13_S14_EUlS13_E_NS1_11comp_targetILNS1_3genE0ELNS1_11target_archE4294967295ELNS1_3gpuE0ELNS1_3repE0EEENS1_30default_config_static_selectorELNS0_4arch9wavefront6targetE0EEEvT1_,comdat
	.protected	_ZN7rocprim17ROCPRIM_400000_NS6detail17trampoline_kernelINS0_14default_configENS1_25partition_config_selectorILNS1_17partition_subalgoE9EiibEEZZNS1_14partition_implILS5_9ELb0ES3_jN6thrust23THRUST_200600_302600_NS6detail15normal_iteratorINS9_10device_ptrIiEEEESE_PNS0_10empty_typeENS0_5tupleIJSE_SF_EEENSH_IJSE_SG_EEENS0_18inequality_wrapperI22is_equal_div_10_uniqueIiEEEPmJSF_EEE10hipError_tPvRmT3_T4_T5_T6_T7_T9_mT8_P12ihipStream_tbDpT10_ENKUlT_T0_E_clISt17integral_constantIbLb0EES18_EEDaS13_S14_EUlS13_E_NS1_11comp_targetILNS1_3genE0ELNS1_11target_archE4294967295ELNS1_3gpuE0ELNS1_3repE0EEENS1_30default_config_static_selectorELNS0_4arch9wavefront6targetE0EEEvT1_ ; -- Begin function _ZN7rocprim17ROCPRIM_400000_NS6detail17trampoline_kernelINS0_14default_configENS1_25partition_config_selectorILNS1_17partition_subalgoE9EiibEEZZNS1_14partition_implILS5_9ELb0ES3_jN6thrust23THRUST_200600_302600_NS6detail15normal_iteratorINS9_10device_ptrIiEEEESE_PNS0_10empty_typeENS0_5tupleIJSE_SF_EEENSH_IJSE_SG_EEENS0_18inequality_wrapperI22is_equal_div_10_uniqueIiEEEPmJSF_EEE10hipError_tPvRmT3_T4_T5_T6_T7_T9_mT8_P12ihipStream_tbDpT10_ENKUlT_T0_E_clISt17integral_constantIbLb0EES18_EEDaS13_S14_EUlS13_E_NS1_11comp_targetILNS1_3genE0ELNS1_11target_archE4294967295ELNS1_3gpuE0ELNS1_3repE0EEENS1_30default_config_static_selectorELNS0_4arch9wavefront6targetE0EEEvT1_
	.globl	_ZN7rocprim17ROCPRIM_400000_NS6detail17trampoline_kernelINS0_14default_configENS1_25partition_config_selectorILNS1_17partition_subalgoE9EiibEEZZNS1_14partition_implILS5_9ELb0ES3_jN6thrust23THRUST_200600_302600_NS6detail15normal_iteratorINS9_10device_ptrIiEEEESE_PNS0_10empty_typeENS0_5tupleIJSE_SF_EEENSH_IJSE_SG_EEENS0_18inequality_wrapperI22is_equal_div_10_uniqueIiEEEPmJSF_EEE10hipError_tPvRmT3_T4_T5_T6_T7_T9_mT8_P12ihipStream_tbDpT10_ENKUlT_T0_E_clISt17integral_constantIbLb0EES18_EEDaS13_S14_EUlS13_E_NS1_11comp_targetILNS1_3genE0ELNS1_11target_archE4294967295ELNS1_3gpuE0ELNS1_3repE0EEENS1_30default_config_static_selectorELNS0_4arch9wavefront6targetE0EEEvT1_
	.p2align	8
	.type	_ZN7rocprim17ROCPRIM_400000_NS6detail17trampoline_kernelINS0_14default_configENS1_25partition_config_selectorILNS1_17partition_subalgoE9EiibEEZZNS1_14partition_implILS5_9ELb0ES3_jN6thrust23THRUST_200600_302600_NS6detail15normal_iteratorINS9_10device_ptrIiEEEESE_PNS0_10empty_typeENS0_5tupleIJSE_SF_EEENSH_IJSE_SG_EEENS0_18inequality_wrapperI22is_equal_div_10_uniqueIiEEEPmJSF_EEE10hipError_tPvRmT3_T4_T5_T6_T7_T9_mT8_P12ihipStream_tbDpT10_ENKUlT_T0_E_clISt17integral_constantIbLb0EES18_EEDaS13_S14_EUlS13_E_NS1_11comp_targetILNS1_3genE0ELNS1_11target_archE4294967295ELNS1_3gpuE0ELNS1_3repE0EEENS1_30default_config_static_selectorELNS0_4arch9wavefront6targetE0EEEvT1_,@function
_ZN7rocprim17ROCPRIM_400000_NS6detail17trampoline_kernelINS0_14default_configENS1_25partition_config_selectorILNS1_17partition_subalgoE9EiibEEZZNS1_14partition_implILS5_9ELb0ES3_jN6thrust23THRUST_200600_302600_NS6detail15normal_iteratorINS9_10device_ptrIiEEEESE_PNS0_10empty_typeENS0_5tupleIJSE_SF_EEENSH_IJSE_SG_EEENS0_18inequality_wrapperI22is_equal_div_10_uniqueIiEEEPmJSF_EEE10hipError_tPvRmT3_T4_T5_T6_T7_T9_mT8_P12ihipStream_tbDpT10_ENKUlT_T0_E_clISt17integral_constantIbLb0EES18_EEDaS13_S14_EUlS13_E_NS1_11comp_targetILNS1_3genE0ELNS1_11target_archE4294967295ELNS1_3gpuE0ELNS1_3repE0EEENS1_30default_config_static_selectorELNS0_4arch9wavefront6targetE0EEEvT1_: ; @_ZN7rocprim17ROCPRIM_400000_NS6detail17trampoline_kernelINS0_14default_configENS1_25partition_config_selectorILNS1_17partition_subalgoE9EiibEEZZNS1_14partition_implILS5_9ELb0ES3_jN6thrust23THRUST_200600_302600_NS6detail15normal_iteratorINS9_10device_ptrIiEEEESE_PNS0_10empty_typeENS0_5tupleIJSE_SF_EEENSH_IJSE_SG_EEENS0_18inequality_wrapperI22is_equal_div_10_uniqueIiEEEPmJSF_EEE10hipError_tPvRmT3_T4_T5_T6_T7_T9_mT8_P12ihipStream_tbDpT10_ENKUlT_T0_E_clISt17integral_constantIbLb0EES18_EEDaS13_S14_EUlS13_E_NS1_11comp_targetILNS1_3genE0ELNS1_11target_archE4294967295ELNS1_3gpuE0ELNS1_3repE0EEENS1_30default_config_static_selectorELNS0_4arch9wavefront6targetE0EEEvT1_
; %bb.0:
	.section	.rodata,"a",@progbits
	.p2align	6, 0x0
	.amdhsa_kernel _ZN7rocprim17ROCPRIM_400000_NS6detail17trampoline_kernelINS0_14default_configENS1_25partition_config_selectorILNS1_17partition_subalgoE9EiibEEZZNS1_14partition_implILS5_9ELb0ES3_jN6thrust23THRUST_200600_302600_NS6detail15normal_iteratorINS9_10device_ptrIiEEEESE_PNS0_10empty_typeENS0_5tupleIJSE_SF_EEENSH_IJSE_SG_EEENS0_18inequality_wrapperI22is_equal_div_10_uniqueIiEEEPmJSF_EEE10hipError_tPvRmT3_T4_T5_T6_T7_T9_mT8_P12ihipStream_tbDpT10_ENKUlT_T0_E_clISt17integral_constantIbLb0EES18_EEDaS13_S14_EUlS13_E_NS1_11comp_targetILNS1_3genE0ELNS1_11target_archE4294967295ELNS1_3gpuE0ELNS1_3repE0EEENS1_30default_config_static_selectorELNS0_4arch9wavefront6targetE0EEEvT1_
		.amdhsa_group_segment_fixed_size 0
		.amdhsa_private_segment_fixed_size 0
		.amdhsa_kernarg_size 112
		.amdhsa_user_sgpr_count 15
		.amdhsa_user_sgpr_dispatch_ptr 0
		.amdhsa_user_sgpr_queue_ptr 0
		.amdhsa_user_sgpr_kernarg_segment_ptr 1
		.amdhsa_user_sgpr_dispatch_id 0
		.amdhsa_user_sgpr_private_segment_size 0
		.amdhsa_wavefront_size32 1
		.amdhsa_uses_dynamic_stack 0
		.amdhsa_enable_private_segment 0
		.amdhsa_system_sgpr_workgroup_id_x 1
		.amdhsa_system_sgpr_workgroup_id_y 0
		.amdhsa_system_sgpr_workgroup_id_z 0
		.amdhsa_system_sgpr_workgroup_info 0
		.amdhsa_system_vgpr_workitem_id 0
		.amdhsa_next_free_vgpr 1
		.amdhsa_next_free_sgpr 1
		.amdhsa_reserve_vcc 0
		.amdhsa_float_round_mode_32 0
		.amdhsa_float_round_mode_16_64 0
		.amdhsa_float_denorm_mode_32 3
		.amdhsa_float_denorm_mode_16_64 3
		.amdhsa_dx10_clamp 1
		.amdhsa_ieee_mode 1
		.amdhsa_fp16_overflow 0
		.amdhsa_workgroup_processor_mode 1
		.amdhsa_memory_ordered 1
		.amdhsa_forward_progress 0
		.amdhsa_shared_vgpr_count 0
		.amdhsa_exception_fp_ieee_invalid_op 0
		.amdhsa_exception_fp_denorm_src 0
		.amdhsa_exception_fp_ieee_div_zero 0
		.amdhsa_exception_fp_ieee_overflow 0
		.amdhsa_exception_fp_ieee_underflow 0
		.amdhsa_exception_fp_ieee_inexact 0
		.amdhsa_exception_int_div_zero 0
	.end_amdhsa_kernel
	.section	.text._ZN7rocprim17ROCPRIM_400000_NS6detail17trampoline_kernelINS0_14default_configENS1_25partition_config_selectorILNS1_17partition_subalgoE9EiibEEZZNS1_14partition_implILS5_9ELb0ES3_jN6thrust23THRUST_200600_302600_NS6detail15normal_iteratorINS9_10device_ptrIiEEEESE_PNS0_10empty_typeENS0_5tupleIJSE_SF_EEENSH_IJSE_SG_EEENS0_18inequality_wrapperI22is_equal_div_10_uniqueIiEEEPmJSF_EEE10hipError_tPvRmT3_T4_T5_T6_T7_T9_mT8_P12ihipStream_tbDpT10_ENKUlT_T0_E_clISt17integral_constantIbLb0EES18_EEDaS13_S14_EUlS13_E_NS1_11comp_targetILNS1_3genE0ELNS1_11target_archE4294967295ELNS1_3gpuE0ELNS1_3repE0EEENS1_30default_config_static_selectorELNS0_4arch9wavefront6targetE0EEEvT1_,"axG",@progbits,_ZN7rocprim17ROCPRIM_400000_NS6detail17trampoline_kernelINS0_14default_configENS1_25partition_config_selectorILNS1_17partition_subalgoE9EiibEEZZNS1_14partition_implILS5_9ELb0ES3_jN6thrust23THRUST_200600_302600_NS6detail15normal_iteratorINS9_10device_ptrIiEEEESE_PNS0_10empty_typeENS0_5tupleIJSE_SF_EEENSH_IJSE_SG_EEENS0_18inequality_wrapperI22is_equal_div_10_uniqueIiEEEPmJSF_EEE10hipError_tPvRmT3_T4_T5_T6_T7_T9_mT8_P12ihipStream_tbDpT10_ENKUlT_T0_E_clISt17integral_constantIbLb0EES18_EEDaS13_S14_EUlS13_E_NS1_11comp_targetILNS1_3genE0ELNS1_11target_archE4294967295ELNS1_3gpuE0ELNS1_3repE0EEENS1_30default_config_static_selectorELNS0_4arch9wavefront6targetE0EEEvT1_,comdat
.Lfunc_end436:
	.size	_ZN7rocprim17ROCPRIM_400000_NS6detail17trampoline_kernelINS0_14default_configENS1_25partition_config_selectorILNS1_17partition_subalgoE9EiibEEZZNS1_14partition_implILS5_9ELb0ES3_jN6thrust23THRUST_200600_302600_NS6detail15normal_iteratorINS9_10device_ptrIiEEEESE_PNS0_10empty_typeENS0_5tupleIJSE_SF_EEENSH_IJSE_SG_EEENS0_18inequality_wrapperI22is_equal_div_10_uniqueIiEEEPmJSF_EEE10hipError_tPvRmT3_T4_T5_T6_T7_T9_mT8_P12ihipStream_tbDpT10_ENKUlT_T0_E_clISt17integral_constantIbLb0EES18_EEDaS13_S14_EUlS13_E_NS1_11comp_targetILNS1_3genE0ELNS1_11target_archE4294967295ELNS1_3gpuE0ELNS1_3repE0EEENS1_30default_config_static_selectorELNS0_4arch9wavefront6targetE0EEEvT1_, .Lfunc_end436-_ZN7rocprim17ROCPRIM_400000_NS6detail17trampoline_kernelINS0_14default_configENS1_25partition_config_selectorILNS1_17partition_subalgoE9EiibEEZZNS1_14partition_implILS5_9ELb0ES3_jN6thrust23THRUST_200600_302600_NS6detail15normal_iteratorINS9_10device_ptrIiEEEESE_PNS0_10empty_typeENS0_5tupleIJSE_SF_EEENSH_IJSE_SG_EEENS0_18inequality_wrapperI22is_equal_div_10_uniqueIiEEEPmJSF_EEE10hipError_tPvRmT3_T4_T5_T6_T7_T9_mT8_P12ihipStream_tbDpT10_ENKUlT_T0_E_clISt17integral_constantIbLb0EES18_EEDaS13_S14_EUlS13_E_NS1_11comp_targetILNS1_3genE0ELNS1_11target_archE4294967295ELNS1_3gpuE0ELNS1_3repE0EEENS1_30default_config_static_selectorELNS0_4arch9wavefront6targetE0EEEvT1_
                                        ; -- End function
	.section	.AMDGPU.csdata,"",@progbits
; Kernel info:
; codeLenInByte = 0
; NumSgprs: 0
; NumVgprs: 0
; ScratchSize: 0
; MemoryBound: 0
; FloatMode: 240
; IeeeMode: 1
; LDSByteSize: 0 bytes/workgroup (compile time only)
; SGPRBlocks: 0
; VGPRBlocks: 0
; NumSGPRsForWavesPerEU: 1
; NumVGPRsForWavesPerEU: 1
; Occupancy: 16
; WaveLimiterHint : 0
; COMPUTE_PGM_RSRC2:SCRATCH_EN: 0
; COMPUTE_PGM_RSRC2:USER_SGPR: 15
; COMPUTE_PGM_RSRC2:TRAP_HANDLER: 0
; COMPUTE_PGM_RSRC2:TGID_X_EN: 1
; COMPUTE_PGM_RSRC2:TGID_Y_EN: 0
; COMPUTE_PGM_RSRC2:TGID_Z_EN: 0
; COMPUTE_PGM_RSRC2:TIDIG_COMP_CNT: 0
	.section	.text._ZN7rocprim17ROCPRIM_400000_NS6detail17trampoline_kernelINS0_14default_configENS1_25partition_config_selectorILNS1_17partition_subalgoE9EiibEEZZNS1_14partition_implILS5_9ELb0ES3_jN6thrust23THRUST_200600_302600_NS6detail15normal_iteratorINS9_10device_ptrIiEEEESE_PNS0_10empty_typeENS0_5tupleIJSE_SF_EEENSH_IJSE_SG_EEENS0_18inequality_wrapperI22is_equal_div_10_uniqueIiEEEPmJSF_EEE10hipError_tPvRmT3_T4_T5_T6_T7_T9_mT8_P12ihipStream_tbDpT10_ENKUlT_T0_E_clISt17integral_constantIbLb0EES18_EEDaS13_S14_EUlS13_E_NS1_11comp_targetILNS1_3genE5ELNS1_11target_archE942ELNS1_3gpuE9ELNS1_3repE0EEENS1_30default_config_static_selectorELNS0_4arch9wavefront6targetE0EEEvT1_,"axG",@progbits,_ZN7rocprim17ROCPRIM_400000_NS6detail17trampoline_kernelINS0_14default_configENS1_25partition_config_selectorILNS1_17partition_subalgoE9EiibEEZZNS1_14partition_implILS5_9ELb0ES3_jN6thrust23THRUST_200600_302600_NS6detail15normal_iteratorINS9_10device_ptrIiEEEESE_PNS0_10empty_typeENS0_5tupleIJSE_SF_EEENSH_IJSE_SG_EEENS0_18inequality_wrapperI22is_equal_div_10_uniqueIiEEEPmJSF_EEE10hipError_tPvRmT3_T4_T5_T6_T7_T9_mT8_P12ihipStream_tbDpT10_ENKUlT_T0_E_clISt17integral_constantIbLb0EES18_EEDaS13_S14_EUlS13_E_NS1_11comp_targetILNS1_3genE5ELNS1_11target_archE942ELNS1_3gpuE9ELNS1_3repE0EEENS1_30default_config_static_selectorELNS0_4arch9wavefront6targetE0EEEvT1_,comdat
	.protected	_ZN7rocprim17ROCPRIM_400000_NS6detail17trampoline_kernelINS0_14default_configENS1_25partition_config_selectorILNS1_17partition_subalgoE9EiibEEZZNS1_14partition_implILS5_9ELb0ES3_jN6thrust23THRUST_200600_302600_NS6detail15normal_iteratorINS9_10device_ptrIiEEEESE_PNS0_10empty_typeENS0_5tupleIJSE_SF_EEENSH_IJSE_SG_EEENS0_18inequality_wrapperI22is_equal_div_10_uniqueIiEEEPmJSF_EEE10hipError_tPvRmT3_T4_T5_T6_T7_T9_mT8_P12ihipStream_tbDpT10_ENKUlT_T0_E_clISt17integral_constantIbLb0EES18_EEDaS13_S14_EUlS13_E_NS1_11comp_targetILNS1_3genE5ELNS1_11target_archE942ELNS1_3gpuE9ELNS1_3repE0EEENS1_30default_config_static_selectorELNS0_4arch9wavefront6targetE0EEEvT1_ ; -- Begin function _ZN7rocprim17ROCPRIM_400000_NS6detail17trampoline_kernelINS0_14default_configENS1_25partition_config_selectorILNS1_17partition_subalgoE9EiibEEZZNS1_14partition_implILS5_9ELb0ES3_jN6thrust23THRUST_200600_302600_NS6detail15normal_iteratorINS9_10device_ptrIiEEEESE_PNS0_10empty_typeENS0_5tupleIJSE_SF_EEENSH_IJSE_SG_EEENS0_18inequality_wrapperI22is_equal_div_10_uniqueIiEEEPmJSF_EEE10hipError_tPvRmT3_T4_T5_T6_T7_T9_mT8_P12ihipStream_tbDpT10_ENKUlT_T0_E_clISt17integral_constantIbLb0EES18_EEDaS13_S14_EUlS13_E_NS1_11comp_targetILNS1_3genE5ELNS1_11target_archE942ELNS1_3gpuE9ELNS1_3repE0EEENS1_30default_config_static_selectorELNS0_4arch9wavefront6targetE0EEEvT1_
	.globl	_ZN7rocprim17ROCPRIM_400000_NS6detail17trampoline_kernelINS0_14default_configENS1_25partition_config_selectorILNS1_17partition_subalgoE9EiibEEZZNS1_14partition_implILS5_9ELb0ES3_jN6thrust23THRUST_200600_302600_NS6detail15normal_iteratorINS9_10device_ptrIiEEEESE_PNS0_10empty_typeENS0_5tupleIJSE_SF_EEENSH_IJSE_SG_EEENS0_18inequality_wrapperI22is_equal_div_10_uniqueIiEEEPmJSF_EEE10hipError_tPvRmT3_T4_T5_T6_T7_T9_mT8_P12ihipStream_tbDpT10_ENKUlT_T0_E_clISt17integral_constantIbLb0EES18_EEDaS13_S14_EUlS13_E_NS1_11comp_targetILNS1_3genE5ELNS1_11target_archE942ELNS1_3gpuE9ELNS1_3repE0EEENS1_30default_config_static_selectorELNS0_4arch9wavefront6targetE0EEEvT1_
	.p2align	8
	.type	_ZN7rocprim17ROCPRIM_400000_NS6detail17trampoline_kernelINS0_14default_configENS1_25partition_config_selectorILNS1_17partition_subalgoE9EiibEEZZNS1_14partition_implILS5_9ELb0ES3_jN6thrust23THRUST_200600_302600_NS6detail15normal_iteratorINS9_10device_ptrIiEEEESE_PNS0_10empty_typeENS0_5tupleIJSE_SF_EEENSH_IJSE_SG_EEENS0_18inequality_wrapperI22is_equal_div_10_uniqueIiEEEPmJSF_EEE10hipError_tPvRmT3_T4_T5_T6_T7_T9_mT8_P12ihipStream_tbDpT10_ENKUlT_T0_E_clISt17integral_constantIbLb0EES18_EEDaS13_S14_EUlS13_E_NS1_11comp_targetILNS1_3genE5ELNS1_11target_archE942ELNS1_3gpuE9ELNS1_3repE0EEENS1_30default_config_static_selectorELNS0_4arch9wavefront6targetE0EEEvT1_,@function
_ZN7rocprim17ROCPRIM_400000_NS6detail17trampoline_kernelINS0_14default_configENS1_25partition_config_selectorILNS1_17partition_subalgoE9EiibEEZZNS1_14partition_implILS5_9ELb0ES3_jN6thrust23THRUST_200600_302600_NS6detail15normal_iteratorINS9_10device_ptrIiEEEESE_PNS0_10empty_typeENS0_5tupleIJSE_SF_EEENSH_IJSE_SG_EEENS0_18inequality_wrapperI22is_equal_div_10_uniqueIiEEEPmJSF_EEE10hipError_tPvRmT3_T4_T5_T6_T7_T9_mT8_P12ihipStream_tbDpT10_ENKUlT_T0_E_clISt17integral_constantIbLb0EES18_EEDaS13_S14_EUlS13_E_NS1_11comp_targetILNS1_3genE5ELNS1_11target_archE942ELNS1_3gpuE9ELNS1_3repE0EEENS1_30default_config_static_selectorELNS0_4arch9wavefront6targetE0EEEvT1_: ; @_ZN7rocprim17ROCPRIM_400000_NS6detail17trampoline_kernelINS0_14default_configENS1_25partition_config_selectorILNS1_17partition_subalgoE9EiibEEZZNS1_14partition_implILS5_9ELb0ES3_jN6thrust23THRUST_200600_302600_NS6detail15normal_iteratorINS9_10device_ptrIiEEEESE_PNS0_10empty_typeENS0_5tupleIJSE_SF_EEENSH_IJSE_SG_EEENS0_18inequality_wrapperI22is_equal_div_10_uniqueIiEEEPmJSF_EEE10hipError_tPvRmT3_T4_T5_T6_T7_T9_mT8_P12ihipStream_tbDpT10_ENKUlT_T0_E_clISt17integral_constantIbLb0EES18_EEDaS13_S14_EUlS13_E_NS1_11comp_targetILNS1_3genE5ELNS1_11target_archE942ELNS1_3gpuE9ELNS1_3repE0EEENS1_30default_config_static_selectorELNS0_4arch9wavefront6targetE0EEEvT1_
; %bb.0:
	.section	.rodata,"a",@progbits
	.p2align	6, 0x0
	.amdhsa_kernel _ZN7rocprim17ROCPRIM_400000_NS6detail17trampoline_kernelINS0_14default_configENS1_25partition_config_selectorILNS1_17partition_subalgoE9EiibEEZZNS1_14partition_implILS5_9ELb0ES3_jN6thrust23THRUST_200600_302600_NS6detail15normal_iteratorINS9_10device_ptrIiEEEESE_PNS0_10empty_typeENS0_5tupleIJSE_SF_EEENSH_IJSE_SG_EEENS0_18inequality_wrapperI22is_equal_div_10_uniqueIiEEEPmJSF_EEE10hipError_tPvRmT3_T4_T5_T6_T7_T9_mT8_P12ihipStream_tbDpT10_ENKUlT_T0_E_clISt17integral_constantIbLb0EES18_EEDaS13_S14_EUlS13_E_NS1_11comp_targetILNS1_3genE5ELNS1_11target_archE942ELNS1_3gpuE9ELNS1_3repE0EEENS1_30default_config_static_selectorELNS0_4arch9wavefront6targetE0EEEvT1_
		.amdhsa_group_segment_fixed_size 0
		.amdhsa_private_segment_fixed_size 0
		.amdhsa_kernarg_size 112
		.amdhsa_user_sgpr_count 15
		.amdhsa_user_sgpr_dispatch_ptr 0
		.amdhsa_user_sgpr_queue_ptr 0
		.amdhsa_user_sgpr_kernarg_segment_ptr 1
		.amdhsa_user_sgpr_dispatch_id 0
		.amdhsa_user_sgpr_private_segment_size 0
		.amdhsa_wavefront_size32 1
		.amdhsa_uses_dynamic_stack 0
		.amdhsa_enable_private_segment 0
		.amdhsa_system_sgpr_workgroup_id_x 1
		.amdhsa_system_sgpr_workgroup_id_y 0
		.amdhsa_system_sgpr_workgroup_id_z 0
		.amdhsa_system_sgpr_workgroup_info 0
		.amdhsa_system_vgpr_workitem_id 0
		.amdhsa_next_free_vgpr 1
		.amdhsa_next_free_sgpr 1
		.amdhsa_reserve_vcc 0
		.amdhsa_float_round_mode_32 0
		.amdhsa_float_round_mode_16_64 0
		.amdhsa_float_denorm_mode_32 3
		.amdhsa_float_denorm_mode_16_64 3
		.amdhsa_dx10_clamp 1
		.amdhsa_ieee_mode 1
		.amdhsa_fp16_overflow 0
		.amdhsa_workgroup_processor_mode 1
		.amdhsa_memory_ordered 1
		.amdhsa_forward_progress 0
		.amdhsa_shared_vgpr_count 0
		.amdhsa_exception_fp_ieee_invalid_op 0
		.amdhsa_exception_fp_denorm_src 0
		.amdhsa_exception_fp_ieee_div_zero 0
		.amdhsa_exception_fp_ieee_overflow 0
		.amdhsa_exception_fp_ieee_underflow 0
		.amdhsa_exception_fp_ieee_inexact 0
		.amdhsa_exception_int_div_zero 0
	.end_amdhsa_kernel
	.section	.text._ZN7rocprim17ROCPRIM_400000_NS6detail17trampoline_kernelINS0_14default_configENS1_25partition_config_selectorILNS1_17partition_subalgoE9EiibEEZZNS1_14partition_implILS5_9ELb0ES3_jN6thrust23THRUST_200600_302600_NS6detail15normal_iteratorINS9_10device_ptrIiEEEESE_PNS0_10empty_typeENS0_5tupleIJSE_SF_EEENSH_IJSE_SG_EEENS0_18inequality_wrapperI22is_equal_div_10_uniqueIiEEEPmJSF_EEE10hipError_tPvRmT3_T4_T5_T6_T7_T9_mT8_P12ihipStream_tbDpT10_ENKUlT_T0_E_clISt17integral_constantIbLb0EES18_EEDaS13_S14_EUlS13_E_NS1_11comp_targetILNS1_3genE5ELNS1_11target_archE942ELNS1_3gpuE9ELNS1_3repE0EEENS1_30default_config_static_selectorELNS0_4arch9wavefront6targetE0EEEvT1_,"axG",@progbits,_ZN7rocprim17ROCPRIM_400000_NS6detail17trampoline_kernelINS0_14default_configENS1_25partition_config_selectorILNS1_17partition_subalgoE9EiibEEZZNS1_14partition_implILS5_9ELb0ES3_jN6thrust23THRUST_200600_302600_NS6detail15normal_iteratorINS9_10device_ptrIiEEEESE_PNS0_10empty_typeENS0_5tupleIJSE_SF_EEENSH_IJSE_SG_EEENS0_18inequality_wrapperI22is_equal_div_10_uniqueIiEEEPmJSF_EEE10hipError_tPvRmT3_T4_T5_T6_T7_T9_mT8_P12ihipStream_tbDpT10_ENKUlT_T0_E_clISt17integral_constantIbLb0EES18_EEDaS13_S14_EUlS13_E_NS1_11comp_targetILNS1_3genE5ELNS1_11target_archE942ELNS1_3gpuE9ELNS1_3repE0EEENS1_30default_config_static_selectorELNS0_4arch9wavefront6targetE0EEEvT1_,comdat
.Lfunc_end437:
	.size	_ZN7rocprim17ROCPRIM_400000_NS6detail17trampoline_kernelINS0_14default_configENS1_25partition_config_selectorILNS1_17partition_subalgoE9EiibEEZZNS1_14partition_implILS5_9ELb0ES3_jN6thrust23THRUST_200600_302600_NS6detail15normal_iteratorINS9_10device_ptrIiEEEESE_PNS0_10empty_typeENS0_5tupleIJSE_SF_EEENSH_IJSE_SG_EEENS0_18inequality_wrapperI22is_equal_div_10_uniqueIiEEEPmJSF_EEE10hipError_tPvRmT3_T4_T5_T6_T7_T9_mT8_P12ihipStream_tbDpT10_ENKUlT_T0_E_clISt17integral_constantIbLb0EES18_EEDaS13_S14_EUlS13_E_NS1_11comp_targetILNS1_3genE5ELNS1_11target_archE942ELNS1_3gpuE9ELNS1_3repE0EEENS1_30default_config_static_selectorELNS0_4arch9wavefront6targetE0EEEvT1_, .Lfunc_end437-_ZN7rocprim17ROCPRIM_400000_NS6detail17trampoline_kernelINS0_14default_configENS1_25partition_config_selectorILNS1_17partition_subalgoE9EiibEEZZNS1_14partition_implILS5_9ELb0ES3_jN6thrust23THRUST_200600_302600_NS6detail15normal_iteratorINS9_10device_ptrIiEEEESE_PNS0_10empty_typeENS0_5tupleIJSE_SF_EEENSH_IJSE_SG_EEENS0_18inequality_wrapperI22is_equal_div_10_uniqueIiEEEPmJSF_EEE10hipError_tPvRmT3_T4_T5_T6_T7_T9_mT8_P12ihipStream_tbDpT10_ENKUlT_T0_E_clISt17integral_constantIbLb0EES18_EEDaS13_S14_EUlS13_E_NS1_11comp_targetILNS1_3genE5ELNS1_11target_archE942ELNS1_3gpuE9ELNS1_3repE0EEENS1_30default_config_static_selectorELNS0_4arch9wavefront6targetE0EEEvT1_
                                        ; -- End function
	.section	.AMDGPU.csdata,"",@progbits
; Kernel info:
; codeLenInByte = 0
; NumSgprs: 0
; NumVgprs: 0
; ScratchSize: 0
; MemoryBound: 0
; FloatMode: 240
; IeeeMode: 1
; LDSByteSize: 0 bytes/workgroup (compile time only)
; SGPRBlocks: 0
; VGPRBlocks: 0
; NumSGPRsForWavesPerEU: 1
; NumVGPRsForWavesPerEU: 1
; Occupancy: 16
; WaveLimiterHint : 0
; COMPUTE_PGM_RSRC2:SCRATCH_EN: 0
; COMPUTE_PGM_RSRC2:USER_SGPR: 15
; COMPUTE_PGM_RSRC2:TRAP_HANDLER: 0
; COMPUTE_PGM_RSRC2:TGID_X_EN: 1
; COMPUTE_PGM_RSRC2:TGID_Y_EN: 0
; COMPUTE_PGM_RSRC2:TGID_Z_EN: 0
; COMPUTE_PGM_RSRC2:TIDIG_COMP_CNT: 0
	.section	.text._ZN7rocprim17ROCPRIM_400000_NS6detail17trampoline_kernelINS0_14default_configENS1_25partition_config_selectorILNS1_17partition_subalgoE9EiibEEZZNS1_14partition_implILS5_9ELb0ES3_jN6thrust23THRUST_200600_302600_NS6detail15normal_iteratorINS9_10device_ptrIiEEEESE_PNS0_10empty_typeENS0_5tupleIJSE_SF_EEENSH_IJSE_SG_EEENS0_18inequality_wrapperI22is_equal_div_10_uniqueIiEEEPmJSF_EEE10hipError_tPvRmT3_T4_T5_T6_T7_T9_mT8_P12ihipStream_tbDpT10_ENKUlT_T0_E_clISt17integral_constantIbLb0EES18_EEDaS13_S14_EUlS13_E_NS1_11comp_targetILNS1_3genE4ELNS1_11target_archE910ELNS1_3gpuE8ELNS1_3repE0EEENS1_30default_config_static_selectorELNS0_4arch9wavefront6targetE0EEEvT1_,"axG",@progbits,_ZN7rocprim17ROCPRIM_400000_NS6detail17trampoline_kernelINS0_14default_configENS1_25partition_config_selectorILNS1_17partition_subalgoE9EiibEEZZNS1_14partition_implILS5_9ELb0ES3_jN6thrust23THRUST_200600_302600_NS6detail15normal_iteratorINS9_10device_ptrIiEEEESE_PNS0_10empty_typeENS0_5tupleIJSE_SF_EEENSH_IJSE_SG_EEENS0_18inequality_wrapperI22is_equal_div_10_uniqueIiEEEPmJSF_EEE10hipError_tPvRmT3_T4_T5_T6_T7_T9_mT8_P12ihipStream_tbDpT10_ENKUlT_T0_E_clISt17integral_constantIbLb0EES18_EEDaS13_S14_EUlS13_E_NS1_11comp_targetILNS1_3genE4ELNS1_11target_archE910ELNS1_3gpuE8ELNS1_3repE0EEENS1_30default_config_static_selectorELNS0_4arch9wavefront6targetE0EEEvT1_,comdat
	.protected	_ZN7rocprim17ROCPRIM_400000_NS6detail17trampoline_kernelINS0_14default_configENS1_25partition_config_selectorILNS1_17partition_subalgoE9EiibEEZZNS1_14partition_implILS5_9ELb0ES3_jN6thrust23THRUST_200600_302600_NS6detail15normal_iteratorINS9_10device_ptrIiEEEESE_PNS0_10empty_typeENS0_5tupleIJSE_SF_EEENSH_IJSE_SG_EEENS0_18inequality_wrapperI22is_equal_div_10_uniqueIiEEEPmJSF_EEE10hipError_tPvRmT3_T4_T5_T6_T7_T9_mT8_P12ihipStream_tbDpT10_ENKUlT_T0_E_clISt17integral_constantIbLb0EES18_EEDaS13_S14_EUlS13_E_NS1_11comp_targetILNS1_3genE4ELNS1_11target_archE910ELNS1_3gpuE8ELNS1_3repE0EEENS1_30default_config_static_selectorELNS0_4arch9wavefront6targetE0EEEvT1_ ; -- Begin function _ZN7rocprim17ROCPRIM_400000_NS6detail17trampoline_kernelINS0_14default_configENS1_25partition_config_selectorILNS1_17partition_subalgoE9EiibEEZZNS1_14partition_implILS5_9ELb0ES3_jN6thrust23THRUST_200600_302600_NS6detail15normal_iteratorINS9_10device_ptrIiEEEESE_PNS0_10empty_typeENS0_5tupleIJSE_SF_EEENSH_IJSE_SG_EEENS0_18inequality_wrapperI22is_equal_div_10_uniqueIiEEEPmJSF_EEE10hipError_tPvRmT3_T4_T5_T6_T7_T9_mT8_P12ihipStream_tbDpT10_ENKUlT_T0_E_clISt17integral_constantIbLb0EES18_EEDaS13_S14_EUlS13_E_NS1_11comp_targetILNS1_3genE4ELNS1_11target_archE910ELNS1_3gpuE8ELNS1_3repE0EEENS1_30default_config_static_selectorELNS0_4arch9wavefront6targetE0EEEvT1_
	.globl	_ZN7rocprim17ROCPRIM_400000_NS6detail17trampoline_kernelINS0_14default_configENS1_25partition_config_selectorILNS1_17partition_subalgoE9EiibEEZZNS1_14partition_implILS5_9ELb0ES3_jN6thrust23THRUST_200600_302600_NS6detail15normal_iteratorINS9_10device_ptrIiEEEESE_PNS0_10empty_typeENS0_5tupleIJSE_SF_EEENSH_IJSE_SG_EEENS0_18inequality_wrapperI22is_equal_div_10_uniqueIiEEEPmJSF_EEE10hipError_tPvRmT3_T4_T5_T6_T7_T9_mT8_P12ihipStream_tbDpT10_ENKUlT_T0_E_clISt17integral_constantIbLb0EES18_EEDaS13_S14_EUlS13_E_NS1_11comp_targetILNS1_3genE4ELNS1_11target_archE910ELNS1_3gpuE8ELNS1_3repE0EEENS1_30default_config_static_selectorELNS0_4arch9wavefront6targetE0EEEvT1_
	.p2align	8
	.type	_ZN7rocprim17ROCPRIM_400000_NS6detail17trampoline_kernelINS0_14default_configENS1_25partition_config_selectorILNS1_17partition_subalgoE9EiibEEZZNS1_14partition_implILS5_9ELb0ES3_jN6thrust23THRUST_200600_302600_NS6detail15normal_iteratorINS9_10device_ptrIiEEEESE_PNS0_10empty_typeENS0_5tupleIJSE_SF_EEENSH_IJSE_SG_EEENS0_18inequality_wrapperI22is_equal_div_10_uniqueIiEEEPmJSF_EEE10hipError_tPvRmT3_T4_T5_T6_T7_T9_mT8_P12ihipStream_tbDpT10_ENKUlT_T0_E_clISt17integral_constantIbLb0EES18_EEDaS13_S14_EUlS13_E_NS1_11comp_targetILNS1_3genE4ELNS1_11target_archE910ELNS1_3gpuE8ELNS1_3repE0EEENS1_30default_config_static_selectorELNS0_4arch9wavefront6targetE0EEEvT1_,@function
_ZN7rocprim17ROCPRIM_400000_NS6detail17trampoline_kernelINS0_14default_configENS1_25partition_config_selectorILNS1_17partition_subalgoE9EiibEEZZNS1_14partition_implILS5_9ELb0ES3_jN6thrust23THRUST_200600_302600_NS6detail15normal_iteratorINS9_10device_ptrIiEEEESE_PNS0_10empty_typeENS0_5tupleIJSE_SF_EEENSH_IJSE_SG_EEENS0_18inequality_wrapperI22is_equal_div_10_uniqueIiEEEPmJSF_EEE10hipError_tPvRmT3_T4_T5_T6_T7_T9_mT8_P12ihipStream_tbDpT10_ENKUlT_T0_E_clISt17integral_constantIbLb0EES18_EEDaS13_S14_EUlS13_E_NS1_11comp_targetILNS1_3genE4ELNS1_11target_archE910ELNS1_3gpuE8ELNS1_3repE0EEENS1_30default_config_static_selectorELNS0_4arch9wavefront6targetE0EEEvT1_: ; @_ZN7rocprim17ROCPRIM_400000_NS6detail17trampoline_kernelINS0_14default_configENS1_25partition_config_selectorILNS1_17partition_subalgoE9EiibEEZZNS1_14partition_implILS5_9ELb0ES3_jN6thrust23THRUST_200600_302600_NS6detail15normal_iteratorINS9_10device_ptrIiEEEESE_PNS0_10empty_typeENS0_5tupleIJSE_SF_EEENSH_IJSE_SG_EEENS0_18inequality_wrapperI22is_equal_div_10_uniqueIiEEEPmJSF_EEE10hipError_tPvRmT3_T4_T5_T6_T7_T9_mT8_P12ihipStream_tbDpT10_ENKUlT_T0_E_clISt17integral_constantIbLb0EES18_EEDaS13_S14_EUlS13_E_NS1_11comp_targetILNS1_3genE4ELNS1_11target_archE910ELNS1_3gpuE8ELNS1_3repE0EEENS1_30default_config_static_selectorELNS0_4arch9wavefront6targetE0EEEvT1_
; %bb.0:
	.section	.rodata,"a",@progbits
	.p2align	6, 0x0
	.amdhsa_kernel _ZN7rocprim17ROCPRIM_400000_NS6detail17trampoline_kernelINS0_14default_configENS1_25partition_config_selectorILNS1_17partition_subalgoE9EiibEEZZNS1_14partition_implILS5_9ELb0ES3_jN6thrust23THRUST_200600_302600_NS6detail15normal_iteratorINS9_10device_ptrIiEEEESE_PNS0_10empty_typeENS0_5tupleIJSE_SF_EEENSH_IJSE_SG_EEENS0_18inequality_wrapperI22is_equal_div_10_uniqueIiEEEPmJSF_EEE10hipError_tPvRmT3_T4_T5_T6_T7_T9_mT8_P12ihipStream_tbDpT10_ENKUlT_T0_E_clISt17integral_constantIbLb0EES18_EEDaS13_S14_EUlS13_E_NS1_11comp_targetILNS1_3genE4ELNS1_11target_archE910ELNS1_3gpuE8ELNS1_3repE0EEENS1_30default_config_static_selectorELNS0_4arch9wavefront6targetE0EEEvT1_
		.amdhsa_group_segment_fixed_size 0
		.amdhsa_private_segment_fixed_size 0
		.amdhsa_kernarg_size 112
		.amdhsa_user_sgpr_count 15
		.amdhsa_user_sgpr_dispatch_ptr 0
		.amdhsa_user_sgpr_queue_ptr 0
		.amdhsa_user_sgpr_kernarg_segment_ptr 1
		.amdhsa_user_sgpr_dispatch_id 0
		.amdhsa_user_sgpr_private_segment_size 0
		.amdhsa_wavefront_size32 1
		.amdhsa_uses_dynamic_stack 0
		.amdhsa_enable_private_segment 0
		.amdhsa_system_sgpr_workgroup_id_x 1
		.amdhsa_system_sgpr_workgroup_id_y 0
		.amdhsa_system_sgpr_workgroup_id_z 0
		.amdhsa_system_sgpr_workgroup_info 0
		.amdhsa_system_vgpr_workitem_id 0
		.amdhsa_next_free_vgpr 1
		.amdhsa_next_free_sgpr 1
		.amdhsa_reserve_vcc 0
		.amdhsa_float_round_mode_32 0
		.amdhsa_float_round_mode_16_64 0
		.amdhsa_float_denorm_mode_32 3
		.amdhsa_float_denorm_mode_16_64 3
		.amdhsa_dx10_clamp 1
		.amdhsa_ieee_mode 1
		.amdhsa_fp16_overflow 0
		.amdhsa_workgroup_processor_mode 1
		.amdhsa_memory_ordered 1
		.amdhsa_forward_progress 0
		.amdhsa_shared_vgpr_count 0
		.amdhsa_exception_fp_ieee_invalid_op 0
		.amdhsa_exception_fp_denorm_src 0
		.amdhsa_exception_fp_ieee_div_zero 0
		.amdhsa_exception_fp_ieee_overflow 0
		.amdhsa_exception_fp_ieee_underflow 0
		.amdhsa_exception_fp_ieee_inexact 0
		.amdhsa_exception_int_div_zero 0
	.end_amdhsa_kernel
	.section	.text._ZN7rocprim17ROCPRIM_400000_NS6detail17trampoline_kernelINS0_14default_configENS1_25partition_config_selectorILNS1_17partition_subalgoE9EiibEEZZNS1_14partition_implILS5_9ELb0ES3_jN6thrust23THRUST_200600_302600_NS6detail15normal_iteratorINS9_10device_ptrIiEEEESE_PNS0_10empty_typeENS0_5tupleIJSE_SF_EEENSH_IJSE_SG_EEENS0_18inequality_wrapperI22is_equal_div_10_uniqueIiEEEPmJSF_EEE10hipError_tPvRmT3_T4_T5_T6_T7_T9_mT8_P12ihipStream_tbDpT10_ENKUlT_T0_E_clISt17integral_constantIbLb0EES18_EEDaS13_S14_EUlS13_E_NS1_11comp_targetILNS1_3genE4ELNS1_11target_archE910ELNS1_3gpuE8ELNS1_3repE0EEENS1_30default_config_static_selectorELNS0_4arch9wavefront6targetE0EEEvT1_,"axG",@progbits,_ZN7rocprim17ROCPRIM_400000_NS6detail17trampoline_kernelINS0_14default_configENS1_25partition_config_selectorILNS1_17partition_subalgoE9EiibEEZZNS1_14partition_implILS5_9ELb0ES3_jN6thrust23THRUST_200600_302600_NS6detail15normal_iteratorINS9_10device_ptrIiEEEESE_PNS0_10empty_typeENS0_5tupleIJSE_SF_EEENSH_IJSE_SG_EEENS0_18inequality_wrapperI22is_equal_div_10_uniqueIiEEEPmJSF_EEE10hipError_tPvRmT3_T4_T5_T6_T7_T9_mT8_P12ihipStream_tbDpT10_ENKUlT_T0_E_clISt17integral_constantIbLb0EES18_EEDaS13_S14_EUlS13_E_NS1_11comp_targetILNS1_3genE4ELNS1_11target_archE910ELNS1_3gpuE8ELNS1_3repE0EEENS1_30default_config_static_selectorELNS0_4arch9wavefront6targetE0EEEvT1_,comdat
.Lfunc_end438:
	.size	_ZN7rocprim17ROCPRIM_400000_NS6detail17trampoline_kernelINS0_14default_configENS1_25partition_config_selectorILNS1_17partition_subalgoE9EiibEEZZNS1_14partition_implILS5_9ELb0ES3_jN6thrust23THRUST_200600_302600_NS6detail15normal_iteratorINS9_10device_ptrIiEEEESE_PNS0_10empty_typeENS0_5tupleIJSE_SF_EEENSH_IJSE_SG_EEENS0_18inequality_wrapperI22is_equal_div_10_uniqueIiEEEPmJSF_EEE10hipError_tPvRmT3_T4_T5_T6_T7_T9_mT8_P12ihipStream_tbDpT10_ENKUlT_T0_E_clISt17integral_constantIbLb0EES18_EEDaS13_S14_EUlS13_E_NS1_11comp_targetILNS1_3genE4ELNS1_11target_archE910ELNS1_3gpuE8ELNS1_3repE0EEENS1_30default_config_static_selectorELNS0_4arch9wavefront6targetE0EEEvT1_, .Lfunc_end438-_ZN7rocprim17ROCPRIM_400000_NS6detail17trampoline_kernelINS0_14default_configENS1_25partition_config_selectorILNS1_17partition_subalgoE9EiibEEZZNS1_14partition_implILS5_9ELb0ES3_jN6thrust23THRUST_200600_302600_NS6detail15normal_iteratorINS9_10device_ptrIiEEEESE_PNS0_10empty_typeENS0_5tupleIJSE_SF_EEENSH_IJSE_SG_EEENS0_18inequality_wrapperI22is_equal_div_10_uniqueIiEEEPmJSF_EEE10hipError_tPvRmT3_T4_T5_T6_T7_T9_mT8_P12ihipStream_tbDpT10_ENKUlT_T0_E_clISt17integral_constantIbLb0EES18_EEDaS13_S14_EUlS13_E_NS1_11comp_targetILNS1_3genE4ELNS1_11target_archE910ELNS1_3gpuE8ELNS1_3repE0EEENS1_30default_config_static_selectorELNS0_4arch9wavefront6targetE0EEEvT1_
                                        ; -- End function
	.section	.AMDGPU.csdata,"",@progbits
; Kernel info:
; codeLenInByte = 0
; NumSgprs: 0
; NumVgprs: 0
; ScratchSize: 0
; MemoryBound: 0
; FloatMode: 240
; IeeeMode: 1
; LDSByteSize: 0 bytes/workgroup (compile time only)
; SGPRBlocks: 0
; VGPRBlocks: 0
; NumSGPRsForWavesPerEU: 1
; NumVGPRsForWavesPerEU: 1
; Occupancy: 15
; WaveLimiterHint : 0
; COMPUTE_PGM_RSRC2:SCRATCH_EN: 0
; COMPUTE_PGM_RSRC2:USER_SGPR: 15
; COMPUTE_PGM_RSRC2:TRAP_HANDLER: 0
; COMPUTE_PGM_RSRC2:TGID_X_EN: 1
; COMPUTE_PGM_RSRC2:TGID_Y_EN: 0
; COMPUTE_PGM_RSRC2:TGID_Z_EN: 0
; COMPUTE_PGM_RSRC2:TIDIG_COMP_CNT: 0
	.section	.text._ZN7rocprim17ROCPRIM_400000_NS6detail17trampoline_kernelINS0_14default_configENS1_25partition_config_selectorILNS1_17partition_subalgoE9EiibEEZZNS1_14partition_implILS5_9ELb0ES3_jN6thrust23THRUST_200600_302600_NS6detail15normal_iteratorINS9_10device_ptrIiEEEESE_PNS0_10empty_typeENS0_5tupleIJSE_SF_EEENSH_IJSE_SG_EEENS0_18inequality_wrapperI22is_equal_div_10_uniqueIiEEEPmJSF_EEE10hipError_tPvRmT3_T4_T5_T6_T7_T9_mT8_P12ihipStream_tbDpT10_ENKUlT_T0_E_clISt17integral_constantIbLb0EES18_EEDaS13_S14_EUlS13_E_NS1_11comp_targetILNS1_3genE3ELNS1_11target_archE908ELNS1_3gpuE7ELNS1_3repE0EEENS1_30default_config_static_selectorELNS0_4arch9wavefront6targetE0EEEvT1_,"axG",@progbits,_ZN7rocprim17ROCPRIM_400000_NS6detail17trampoline_kernelINS0_14default_configENS1_25partition_config_selectorILNS1_17partition_subalgoE9EiibEEZZNS1_14partition_implILS5_9ELb0ES3_jN6thrust23THRUST_200600_302600_NS6detail15normal_iteratorINS9_10device_ptrIiEEEESE_PNS0_10empty_typeENS0_5tupleIJSE_SF_EEENSH_IJSE_SG_EEENS0_18inequality_wrapperI22is_equal_div_10_uniqueIiEEEPmJSF_EEE10hipError_tPvRmT3_T4_T5_T6_T7_T9_mT8_P12ihipStream_tbDpT10_ENKUlT_T0_E_clISt17integral_constantIbLb0EES18_EEDaS13_S14_EUlS13_E_NS1_11comp_targetILNS1_3genE3ELNS1_11target_archE908ELNS1_3gpuE7ELNS1_3repE0EEENS1_30default_config_static_selectorELNS0_4arch9wavefront6targetE0EEEvT1_,comdat
	.protected	_ZN7rocprim17ROCPRIM_400000_NS6detail17trampoline_kernelINS0_14default_configENS1_25partition_config_selectorILNS1_17partition_subalgoE9EiibEEZZNS1_14partition_implILS5_9ELb0ES3_jN6thrust23THRUST_200600_302600_NS6detail15normal_iteratorINS9_10device_ptrIiEEEESE_PNS0_10empty_typeENS0_5tupleIJSE_SF_EEENSH_IJSE_SG_EEENS0_18inequality_wrapperI22is_equal_div_10_uniqueIiEEEPmJSF_EEE10hipError_tPvRmT3_T4_T5_T6_T7_T9_mT8_P12ihipStream_tbDpT10_ENKUlT_T0_E_clISt17integral_constantIbLb0EES18_EEDaS13_S14_EUlS13_E_NS1_11comp_targetILNS1_3genE3ELNS1_11target_archE908ELNS1_3gpuE7ELNS1_3repE0EEENS1_30default_config_static_selectorELNS0_4arch9wavefront6targetE0EEEvT1_ ; -- Begin function _ZN7rocprim17ROCPRIM_400000_NS6detail17trampoline_kernelINS0_14default_configENS1_25partition_config_selectorILNS1_17partition_subalgoE9EiibEEZZNS1_14partition_implILS5_9ELb0ES3_jN6thrust23THRUST_200600_302600_NS6detail15normal_iteratorINS9_10device_ptrIiEEEESE_PNS0_10empty_typeENS0_5tupleIJSE_SF_EEENSH_IJSE_SG_EEENS0_18inequality_wrapperI22is_equal_div_10_uniqueIiEEEPmJSF_EEE10hipError_tPvRmT3_T4_T5_T6_T7_T9_mT8_P12ihipStream_tbDpT10_ENKUlT_T0_E_clISt17integral_constantIbLb0EES18_EEDaS13_S14_EUlS13_E_NS1_11comp_targetILNS1_3genE3ELNS1_11target_archE908ELNS1_3gpuE7ELNS1_3repE0EEENS1_30default_config_static_selectorELNS0_4arch9wavefront6targetE0EEEvT1_
	.globl	_ZN7rocprim17ROCPRIM_400000_NS6detail17trampoline_kernelINS0_14default_configENS1_25partition_config_selectorILNS1_17partition_subalgoE9EiibEEZZNS1_14partition_implILS5_9ELb0ES3_jN6thrust23THRUST_200600_302600_NS6detail15normal_iteratorINS9_10device_ptrIiEEEESE_PNS0_10empty_typeENS0_5tupleIJSE_SF_EEENSH_IJSE_SG_EEENS0_18inequality_wrapperI22is_equal_div_10_uniqueIiEEEPmJSF_EEE10hipError_tPvRmT3_T4_T5_T6_T7_T9_mT8_P12ihipStream_tbDpT10_ENKUlT_T0_E_clISt17integral_constantIbLb0EES18_EEDaS13_S14_EUlS13_E_NS1_11comp_targetILNS1_3genE3ELNS1_11target_archE908ELNS1_3gpuE7ELNS1_3repE0EEENS1_30default_config_static_selectorELNS0_4arch9wavefront6targetE0EEEvT1_
	.p2align	8
	.type	_ZN7rocprim17ROCPRIM_400000_NS6detail17trampoline_kernelINS0_14default_configENS1_25partition_config_selectorILNS1_17partition_subalgoE9EiibEEZZNS1_14partition_implILS5_9ELb0ES3_jN6thrust23THRUST_200600_302600_NS6detail15normal_iteratorINS9_10device_ptrIiEEEESE_PNS0_10empty_typeENS0_5tupleIJSE_SF_EEENSH_IJSE_SG_EEENS0_18inequality_wrapperI22is_equal_div_10_uniqueIiEEEPmJSF_EEE10hipError_tPvRmT3_T4_T5_T6_T7_T9_mT8_P12ihipStream_tbDpT10_ENKUlT_T0_E_clISt17integral_constantIbLb0EES18_EEDaS13_S14_EUlS13_E_NS1_11comp_targetILNS1_3genE3ELNS1_11target_archE908ELNS1_3gpuE7ELNS1_3repE0EEENS1_30default_config_static_selectorELNS0_4arch9wavefront6targetE0EEEvT1_,@function
_ZN7rocprim17ROCPRIM_400000_NS6detail17trampoline_kernelINS0_14default_configENS1_25partition_config_selectorILNS1_17partition_subalgoE9EiibEEZZNS1_14partition_implILS5_9ELb0ES3_jN6thrust23THRUST_200600_302600_NS6detail15normal_iteratorINS9_10device_ptrIiEEEESE_PNS0_10empty_typeENS0_5tupleIJSE_SF_EEENSH_IJSE_SG_EEENS0_18inequality_wrapperI22is_equal_div_10_uniqueIiEEEPmJSF_EEE10hipError_tPvRmT3_T4_T5_T6_T7_T9_mT8_P12ihipStream_tbDpT10_ENKUlT_T0_E_clISt17integral_constantIbLb0EES18_EEDaS13_S14_EUlS13_E_NS1_11comp_targetILNS1_3genE3ELNS1_11target_archE908ELNS1_3gpuE7ELNS1_3repE0EEENS1_30default_config_static_selectorELNS0_4arch9wavefront6targetE0EEEvT1_: ; @_ZN7rocprim17ROCPRIM_400000_NS6detail17trampoline_kernelINS0_14default_configENS1_25partition_config_selectorILNS1_17partition_subalgoE9EiibEEZZNS1_14partition_implILS5_9ELb0ES3_jN6thrust23THRUST_200600_302600_NS6detail15normal_iteratorINS9_10device_ptrIiEEEESE_PNS0_10empty_typeENS0_5tupleIJSE_SF_EEENSH_IJSE_SG_EEENS0_18inequality_wrapperI22is_equal_div_10_uniqueIiEEEPmJSF_EEE10hipError_tPvRmT3_T4_T5_T6_T7_T9_mT8_P12ihipStream_tbDpT10_ENKUlT_T0_E_clISt17integral_constantIbLb0EES18_EEDaS13_S14_EUlS13_E_NS1_11comp_targetILNS1_3genE3ELNS1_11target_archE908ELNS1_3gpuE7ELNS1_3repE0EEENS1_30default_config_static_selectorELNS0_4arch9wavefront6targetE0EEEvT1_
; %bb.0:
	.section	.rodata,"a",@progbits
	.p2align	6, 0x0
	.amdhsa_kernel _ZN7rocprim17ROCPRIM_400000_NS6detail17trampoline_kernelINS0_14default_configENS1_25partition_config_selectorILNS1_17partition_subalgoE9EiibEEZZNS1_14partition_implILS5_9ELb0ES3_jN6thrust23THRUST_200600_302600_NS6detail15normal_iteratorINS9_10device_ptrIiEEEESE_PNS0_10empty_typeENS0_5tupleIJSE_SF_EEENSH_IJSE_SG_EEENS0_18inequality_wrapperI22is_equal_div_10_uniqueIiEEEPmJSF_EEE10hipError_tPvRmT3_T4_T5_T6_T7_T9_mT8_P12ihipStream_tbDpT10_ENKUlT_T0_E_clISt17integral_constantIbLb0EES18_EEDaS13_S14_EUlS13_E_NS1_11comp_targetILNS1_3genE3ELNS1_11target_archE908ELNS1_3gpuE7ELNS1_3repE0EEENS1_30default_config_static_selectorELNS0_4arch9wavefront6targetE0EEEvT1_
		.amdhsa_group_segment_fixed_size 0
		.amdhsa_private_segment_fixed_size 0
		.amdhsa_kernarg_size 112
		.amdhsa_user_sgpr_count 15
		.amdhsa_user_sgpr_dispatch_ptr 0
		.amdhsa_user_sgpr_queue_ptr 0
		.amdhsa_user_sgpr_kernarg_segment_ptr 1
		.amdhsa_user_sgpr_dispatch_id 0
		.amdhsa_user_sgpr_private_segment_size 0
		.amdhsa_wavefront_size32 1
		.amdhsa_uses_dynamic_stack 0
		.amdhsa_enable_private_segment 0
		.amdhsa_system_sgpr_workgroup_id_x 1
		.amdhsa_system_sgpr_workgroup_id_y 0
		.amdhsa_system_sgpr_workgroup_id_z 0
		.amdhsa_system_sgpr_workgroup_info 0
		.amdhsa_system_vgpr_workitem_id 0
		.amdhsa_next_free_vgpr 1
		.amdhsa_next_free_sgpr 1
		.amdhsa_reserve_vcc 0
		.amdhsa_float_round_mode_32 0
		.amdhsa_float_round_mode_16_64 0
		.amdhsa_float_denorm_mode_32 3
		.amdhsa_float_denorm_mode_16_64 3
		.amdhsa_dx10_clamp 1
		.amdhsa_ieee_mode 1
		.amdhsa_fp16_overflow 0
		.amdhsa_workgroup_processor_mode 1
		.amdhsa_memory_ordered 1
		.amdhsa_forward_progress 0
		.amdhsa_shared_vgpr_count 0
		.amdhsa_exception_fp_ieee_invalid_op 0
		.amdhsa_exception_fp_denorm_src 0
		.amdhsa_exception_fp_ieee_div_zero 0
		.amdhsa_exception_fp_ieee_overflow 0
		.amdhsa_exception_fp_ieee_underflow 0
		.amdhsa_exception_fp_ieee_inexact 0
		.amdhsa_exception_int_div_zero 0
	.end_amdhsa_kernel
	.section	.text._ZN7rocprim17ROCPRIM_400000_NS6detail17trampoline_kernelINS0_14default_configENS1_25partition_config_selectorILNS1_17partition_subalgoE9EiibEEZZNS1_14partition_implILS5_9ELb0ES3_jN6thrust23THRUST_200600_302600_NS6detail15normal_iteratorINS9_10device_ptrIiEEEESE_PNS0_10empty_typeENS0_5tupleIJSE_SF_EEENSH_IJSE_SG_EEENS0_18inequality_wrapperI22is_equal_div_10_uniqueIiEEEPmJSF_EEE10hipError_tPvRmT3_T4_T5_T6_T7_T9_mT8_P12ihipStream_tbDpT10_ENKUlT_T0_E_clISt17integral_constantIbLb0EES18_EEDaS13_S14_EUlS13_E_NS1_11comp_targetILNS1_3genE3ELNS1_11target_archE908ELNS1_3gpuE7ELNS1_3repE0EEENS1_30default_config_static_selectorELNS0_4arch9wavefront6targetE0EEEvT1_,"axG",@progbits,_ZN7rocprim17ROCPRIM_400000_NS6detail17trampoline_kernelINS0_14default_configENS1_25partition_config_selectorILNS1_17partition_subalgoE9EiibEEZZNS1_14partition_implILS5_9ELb0ES3_jN6thrust23THRUST_200600_302600_NS6detail15normal_iteratorINS9_10device_ptrIiEEEESE_PNS0_10empty_typeENS0_5tupleIJSE_SF_EEENSH_IJSE_SG_EEENS0_18inequality_wrapperI22is_equal_div_10_uniqueIiEEEPmJSF_EEE10hipError_tPvRmT3_T4_T5_T6_T7_T9_mT8_P12ihipStream_tbDpT10_ENKUlT_T0_E_clISt17integral_constantIbLb0EES18_EEDaS13_S14_EUlS13_E_NS1_11comp_targetILNS1_3genE3ELNS1_11target_archE908ELNS1_3gpuE7ELNS1_3repE0EEENS1_30default_config_static_selectorELNS0_4arch9wavefront6targetE0EEEvT1_,comdat
.Lfunc_end439:
	.size	_ZN7rocprim17ROCPRIM_400000_NS6detail17trampoline_kernelINS0_14default_configENS1_25partition_config_selectorILNS1_17partition_subalgoE9EiibEEZZNS1_14partition_implILS5_9ELb0ES3_jN6thrust23THRUST_200600_302600_NS6detail15normal_iteratorINS9_10device_ptrIiEEEESE_PNS0_10empty_typeENS0_5tupleIJSE_SF_EEENSH_IJSE_SG_EEENS0_18inequality_wrapperI22is_equal_div_10_uniqueIiEEEPmJSF_EEE10hipError_tPvRmT3_T4_T5_T6_T7_T9_mT8_P12ihipStream_tbDpT10_ENKUlT_T0_E_clISt17integral_constantIbLb0EES18_EEDaS13_S14_EUlS13_E_NS1_11comp_targetILNS1_3genE3ELNS1_11target_archE908ELNS1_3gpuE7ELNS1_3repE0EEENS1_30default_config_static_selectorELNS0_4arch9wavefront6targetE0EEEvT1_, .Lfunc_end439-_ZN7rocprim17ROCPRIM_400000_NS6detail17trampoline_kernelINS0_14default_configENS1_25partition_config_selectorILNS1_17partition_subalgoE9EiibEEZZNS1_14partition_implILS5_9ELb0ES3_jN6thrust23THRUST_200600_302600_NS6detail15normal_iteratorINS9_10device_ptrIiEEEESE_PNS0_10empty_typeENS0_5tupleIJSE_SF_EEENSH_IJSE_SG_EEENS0_18inequality_wrapperI22is_equal_div_10_uniqueIiEEEPmJSF_EEE10hipError_tPvRmT3_T4_T5_T6_T7_T9_mT8_P12ihipStream_tbDpT10_ENKUlT_T0_E_clISt17integral_constantIbLb0EES18_EEDaS13_S14_EUlS13_E_NS1_11comp_targetILNS1_3genE3ELNS1_11target_archE908ELNS1_3gpuE7ELNS1_3repE0EEENS1_30default_config_static_selectorELNS0_4arch9wavefront6targetE0EEEvT1_
                                        ; -- End function
	.section	.AMDGPU.csdata,"",@progbits
; Kernel info:
; codeLenInByte = 0
; NumSgprs: 0
; NumVgprs: 0
; ScratchSize: 0
; MemoryBound: 0
; FloatMode: 240
; IeeeMode: 1
; LDSByteSize: 0 bytes/workgroup (compile time only)
; SGPRBlocks: 0
; VGPRBlocks: 0
; NumSGPRsForWavesPerEU: 1
; NumVGPRsForWavesPerEU: 1
; Occupancy: 16
; WaveLimiterHint : 0
; COMPUTE_PGM_RSRC2:SCRATCH_EN: 0
; COMPUTE_PGM_RSRC2:USER_SGPR: 15
; COMPUTE_PGM_RSRC2:TRAP_HANDLER: 0
; COMPUTE_PGM_RSRC2:TGID_X_EN: 1
; COMPUTE_PGM_RSRC2:TGID_Y_EN: 0
; COMPUTE_PGM_RSRC2:TGID_Z_EN: 0
; COMPUTE_PGM_RSRC2:TIDIG_COMP_CNT: 0
	.section	.text._ZN7rocprim17ROCPRIM_400000_NS6detail17trampoline_kernelINS0_14default_configENS1_25partition_config_selectorILNS1_17partition_subalgoE9EiibEEZZNS1_14partition_implILS5_9ELb0ES3_jN6thrust23THRUST_200600_302600_NS6detail15normal_iteratorINS9_10device_ptrIiEEEESE_PNS0_10empty_typeENS0_5tupleIJSE_SF_EEENSH_IJSE_SG_EEENS0_18inequality_wrapperI22is_equal_div_10_uniqueIiEEEPmJSF_EEE10hipError_tPvRmT3_T4_T5_T6_T7_T9_mT8_P12ihipStream_tbDpT10_ENKUlT_T0_E_clISt17integral_constantIbLb0EES18_EEDaS13_S14_EUlS13_E_NS1_11comp_targetILNS1_3genE2ELNS1_11target_archE906ELNS1_3gpuE6ELNS1_3repE0EEENS1_30default_config_static_selectorELNS0_4arch9wavefront6targetE0EEEvT1_,"axG",@progbits,_ZN7rocprim17ROCPRIM_400000_NS6detail17trampoline_kernelINS0_14default_configENS1_25partition_config_selectorILNS1_17partition_subalgoE9EiibEEZZNS1_14partition_implILS5_9ELb0ES3_jN6thrust23THRUST_200600_302600_NS6detail15normal_iteratorINS9_10device_ptrIiEEEESE_PNS0_10empty_typeENS0_5tupleIJSE_SF_EEENSH_IJSE_SG_EEENS0_18inequality_wrapperI22is_equal_div_10_uniqueIiEEEPmJSF_EEE10hipError_tPvRmT3_T4_T5_T6_T7_T9_mT8_P12ihipStream_tbDpT10_ENKUlT_T0_E_clISt17integral_constantIbLb0EES18_EEDaS13_S14_EUlS13_E_NS1_11comp_targetILNS1_3genE2ELNS1_11target_archE906ELNS1_3gpuE6ELNS1_3repE0EEENS1_30default_config_static_selectorELNS0_4arch9wavefront6targetE0EEEvT1_,comdat
	.protected	_ZN7rocprim17ROCPRIM_400000_NS6detail17trampoline_kernelINS0_14default_configENS1_25partition_config_selectorILNS1_17partition_subalgoE9EiibEEZZNS1_14partition_implILS5_9ELb0ES3_jN6thrust23THRUST_200600_302600_NS6detail15normal_iteratorINS9_10device_ptrIiEEEESE_PNS0_10empty_typeENS0_5tupleIJSE_SF_EEENSH_IJSE_SG_EEENS0_18inequality_wrapperI22is_equal_div_10_uniqueIiEEEPmJSF_EEE10hipError_tPvRmT3_T4_T5_T6_T7_T9_mT8_P12ihipStream_tbDpT10_ENKUlT_T0_E_clISt17integral_constantIbLb0EES18_EEDaS13_S14_EUlS13_E_NS1_11comp_targetILNS1_3genE2ELNS1_11target_archE906ELNS1_3gpuE6ELNS1_3repE0EEENS1_30default_config_static_selectorELNS0_4arch9wavefront6targetE0EEEvT1_ ; -- Begin function _ZN7rocprim17ROCPRIM_400000_NS6detail17trampoline_kernelINS0_14default_configENS1_25partition_config_selectorILNS1_17partition_subalgoE9EiibEEZZNS1_14partition_implILS5_9ELb0ES3_jN6thrust23THRUST_200600_302600_NS6detail15normal_iteratorINS9_10device_ptrIiEEEESE_PNS0_10empty_typeENS0_5tupleIJSE_SF_EEENSH_IJSE_SG_EEENS0_18inequality_wrapperI22is_equal_div_10_uniqueIiEEEPmJSF_EEE10hipError_tPvRmT3_T4_T5_T6_T7_T9_mT8_P12ihipStream_tbDpT10_ENKUlT_T0_E_clISt17integral_constantIbLb0EES18_EEDaS13_S14_EUlS13_E_NS1_11comp_targetILNS1_3genE2ELNS1_11target_archE906ELNS1_3gpuE6ELNS1_3repE0EEENS1_30default_config_static_selectorELNS0_4arch9wavefront6targetE0EEEvT1_
	.globl	_ZN7rocprim17ROCPRIM_400000_NS6detail17trampoline_kernelINS0_14default_configENS1_25partition_config_selectorILNS1_17partition_subalgoE9EiibEEZZNS1_14partition_implILS5_9ELb0ES3_jN6thrust23THRUST_200600_302600_NS6detail15normal_iteratorINS9_10device_ptrIiEEEESE_PNS0_10empty_typeENS0_5tupleIJSE_SF_EEENSH_IJSE_SG_EEENS0_18inequality_wrapperI22is_equal_div_10_uniqueIiEEEPmJSF_EEE10hipError_tPvRmT3_T4_T5_T6_T7_T9_mT8_P12ihipStream_tbDpT10_ENKUlT_T0_E_clISt17integral_constantIbLb0EES18_EEDaS13_S14_EUlS13_E_NS1_11comp_targetILNS1_3genE2ELNS1_11target_archE906ELNS1_3gpuE6ELNS1_3repE0EEENS1_30default_config_static_selectorELNS0_4arch9wavefront6targetE0EEEvT1_
	.p2align	8
	.type	_ZN7rocprim17ROCPRIM_400000_NS6detail17trampoline_kernelINS0_14default_configENS1_25partition_config_selectorILNS1_17partition_subalgoE9EiibEEZZNS1_14partition_implILS5_9ELb0ES3_jN6thrust23THRUST_200600_302600_NS6detail15normal_iteratorINS9_10device_ptrIiEEEESE_PNS0_10empty_typeENS0_5tupleIJSE_SF_EEENSH_IJSE_SG_EEENS0_18inequality_wrapperI22is_equal_div_10_uniqueIiEEEPmJSF_EEE10hipError_tPvRmT3_T4_T5_T6_T7_T9_mT8_P12ihipStream_tbDpT10_ENKUlT_T0_E_clISt17integral_constantIbLb0EES18_EEDaS13_S14_EUlS13_E_NS1_11comp_targetILNS1_3genE2ELNS1_11target_archE906ELNS1_3gpuE6ELNS1_3repE0EEENS1_30default_config_static_selectorELNS0_4arch9wavefront6targetE0EEEvT1_,@function
_ZN7rocprim17ROCPRIM_400000_NS6detail17trampoline_kernelINS0_14default_configENS1_25partition_config_selectorILNS1_17partition_subalgoE9EiibEEZZNS1_14partition_implILS5_9ELb0ES3_jN6thrust23THRUST_200600_302600_NS6detail15normal_iteratorINS9_10device_ptrIiEEEESE_PNS0_10empty_typeENS0_5tupleIJSE_SF_EEENSH_IJSE_SG_EEENS0_18inequality_wrapperI22is_equal_div_10_uniqueIiEEEPmJSF_EEE10hipError_tPvRmT3_T4_T5_T6_T7_T9_mT8_P12ihipStream_tbDpT10_ENKUlT_T0_E_clISt17integral_constantIbLb0EES18_EEDaS13_S14_EUlS13_E_NS1_11comp_targetILNS1_3genE2ELNS1_11target_archE906ELNS1_3gpuE6ELNS1_3repE0EEENS1_30default_config_static_selectorELNS0_4arch9wavefront6targetE0EEEvT1_: ; @_ZN7rocprim17ROCPRIM_400000_NS6detail17trampoline_kernelINS0_14default_configENS1_25partition_config_selectorILNS1_17partition_subalgoE9EiibEEZZNS1_14partition_implILS5_9ELb0ES3_jN6thrust23THRUST_200600_302600_NS6detail15normal_iteratorINS9_10device_ptrIiEEEESE_PNS0_10empty_typeENS0_5tupleIJSE_SF_EEENSH_IJSE_SG_EEENS0_18inequality_wrapperI22is_equal_div_10_uniqueIiEEEPmJSF_EEE10hipError_tPvRmT3_T4_T5_T6_T7_T9_mT8_P12ihipStream_tbDpT10_ENKUlT_T0_E_clISt17integral_constantIbLb0EES18_EEDaS13_S14_EUlS13_E_NS1_11comp_targetILNS1_3genE2ELNS1_11target_archE906ELNS1_3gpuE6ELNS1_3repE0EEENS1_30default_config_static_selectorELNS0_4arch9wavefront6targetE0EEEvT1_
; %bb.0:
	.section	.rodata,"a",@progbits
	.p2align	6, 0x0
	.amdhsa_kernel _ZN7rocprim17ROCPRIM_400000_NS6detail17trampoline_kernelINS0_14default_configENS1_25partition_config_selectorILNS1_17partition_subalgoE9EiibEEZZNS1_14partition_implILS5_9ELb0ES3_jN6thrust23THRUST_200600_302600_NS6detail15normal_iteratorINS9_10device_ptrIiEEEESE_PNS0_10empty_typeENS0_5tupleIJSE_SF_EEENSH_IJSE_SG_EEENS0_18inequality_wrapperI22is_equal_div_10_uniqueIiEEEPmJSF_EEE10hipError_tPvRmT3_T4_T5_T6_T7_T9_mT8_P12ihipStream_tbDpT10_ENKUlT_T0_E_clISt17integral_constantIbLb0EES18_EEDaS13_S14_EUlS13_E_NS1_11comp_targetILNS1_3genE2ELNS1_11target_archE906ELNS1_3gpuE6ELNS1_3repE0EEENS1_30default_config_static_selectorELNS0_4arch9wavefront6targetE0EEEvT1_
		.amdhsa_group_segment_fixed_size 0
		.amdhsa_private_segment_fixed_size 0
		.amdhsa_kernarg_size 112
		.amdhsa_user_sgpr_count 15
		.amdhsa_user_sgpr_dispatch_ptr 0
		.amdhsa_user_sgpr_queue_ptr 0
		.amdhsa_user_sgpr_kernarg_segment_ptr 1
		.amdhsa_user_sgpr_dispatch_id 0
		.amdhsa_user_sgpr_private_segment_size 0
		.amdhsa_wavefront_size32 1
		.amdhsa_uses_dynamic_stack 0
		.amdhsa_enable_private_segment 0
		.amdhsa_system_sgpr_workgroup_id_x 1
		.amdhsa_system_sgpr_workgroup_id_y 0
		.amdhsa_system_sgpr_workgroup_id_z 0
		.amdhsa_system_sgpr_workgroup_info 0
		.amdhsa_system_vgpr_workitem_id 0
		.amdhsa_next_free_vgpr 1
		.amdhsa_next_free_sgpr 1
		.amdhsa_reserve_vcc 0
		.amdhsa_float_round_mode_32 0
		.amdhsa_float_round_mode_16_64 0
		.amdhsa_float_denorm_mode_32 3
		.amdhsa_float_denorm_mode_16_64 3
		.amdhsa_dx10_clamp 1
		.amdhsa_ieee_mode 1
		.amdhsa_fp16_overflow 0
		.amdhsa_workgroup_processor_mode 1
		.amdhsa_memory_ordered 1
		.amdhsa_forward_progress 0
		.amdhsa_shared_vgpr_count 0
		.amdhsa_exception_fp_ieee_invalid_op 0
		.amdhsa_exception_fp_denorm_src 0
		.amdhsa_exception_fp_ieee_div_zero 0
		.amdhsa_exception_fp_ieee_overflow 0
		.amdhsa_exception_fp_ieee_underflow 0
		.amdhsa_exception_fp_ieee_inexact 0
		.amdhsa_exception_int_div_zero 0
	.end_amdhsa_kernel
	.section	.text._ZN7rocprim17ROCPRIM_400000_NS6detail17trampoline_kernelINS0_14default_configENS1_25partition_config_selectorILNS1_17partition_subalgoE9EiibEEZZNS1_14partition_implILS5_9ELb0ES3_jN6thrust23THRUST_200600_302600_NS6detail15normal_iteratorINS9_10device_ptrIiEEEESE_PNS0_10empty_typeENS0_5tupleIJSE_SF_EEENSH_IJSE_SG_EEENS0_18inequality_wrapperI22is_equal_div_10_uniqueIiEEEPmJSF_EEE10hipError_tPvRmT3_T4_T5_T6_T7_T9_mT8_P12ihipStream_tbDpT10_ENKUlT_T0_E_clISt17integral_constantIbLb0EES18_EEDaS13_S14_EUlS13_E_NS1_11comp_targetILNS1_3genE2ELNS1_11target_archE906ELNS1_3gpuE6ELNS1_3repE0EEENS1_30default_config_static_selectorELNS0_4arch9wavefront6targetE0EEEvT1_,"axG",@progbits,_ZN7rocprim17ROCPRIM_400000_NS6detail17trampoline_kernelINS0_14default_configENS1_25partition_config_selectorILNS1_17partition_subalgoE9EiibEEZZNS1_14partition_implILS5_9ELb0ES3_jN6thrust23THRUST_200600_302600_NS6detail15normal_iteratorINS9_10device_ptrIiEEEESE_PNS0_10empty_typeENS0_5tupleIJSE_SF_EEENSH_IJSE_SG_EEENS0_18inequality_wrapperI22is_equal_div_10_uniqueIiEEEPmJSF_EEE10hipError_tPvRmT3_T4_T5_T6_T7_T9_mT8_P12ihipStream_tbDpT10_ENKUlT_T0_E_clISt17integral_constantIbLb0EES18_EEDaS13_S14_EUlS13_E_NS1_11comp_targetILNS1_3genE2ELNS1_11target_archE906ELNS1_3gpuE6ELNS1_3repE0EEENS1_30default_config_static_selectorELNS0_4arch9wavefront6targetE0EEEvT1_,comdat
.Lfunc_end440:
	.size	_ZN7rocprim17ROCPRIM_400000_NS6detail17trampoline_kernelINS0_14default_configENS1_25partition_config_selectorILNS1_17partition_subalgoE9EiibEEZZNS1_14partition_implILS5_9ELb0ES3_jN6thrust23THRUST_200600_302600_NS6detail15normal_iteratorINS9_10device_ptrIiEEEESE_PNS0_10empty_typeENS0_5tupleIJSE_SF_EEENSH_IJSE_SG_EEENS0_18inequality_wrapperI22is_equal_div_10_uniqueIiEEEPmJSF_EEE10hipError_tPvRmT3_T4_T5_T6_T7_T9_mT8_P12ihipStream_tbDpT10_ENKUlT_T0_E_clISt17integral_constantIbLb0EES18_EEDaS13_S14_EUlS13_E_NS1_11comp_targetILNS1_3genE2ELNS1_11target_archE906ELNS1_3gpuE6ELNS1_3repE0EEENS1_30default_config_static_selectorELNS0_4arch9wavefront6targetE0EEEvT1_, .Lfunc_end440-_ZN7rocprim17ROCPRIM_400000_NS6detail17trampoline_kernelINS0_14default_configENS1_25partition_config_selectorILNS1_17partition_subalgoE9EiibEEZZNS1_14partition_implILS5_9ELb0ES3_jN6thrust23THRUST_200600_302600_NS6detail15normal_iteratorINS9_10device_ptrIiEEEESE_PNS0_10empty_typeENS0_5tupleIJSE_SF_EEENSH_IJSE_SG_EEENS0_18inequality_wrapperI22is_equal_div_10_uniqueIiEEEPmJSF_EEE10hipError_tPvRmT3_T4_T5_T6_T7_T9_mT8_P12ihipStream_tbDpT10_ENKUlT_T0_E_clISt17integral_constantIbLb0EES18_EEDaS13_S14_EUlS13_E_NS1_11comp_targetILNS1_3genE2ELNS1_11target_archE906ELNS1_3gpuE6ELNS1_3repE0EEENS1_30default_config_static_selectorELNS0_4arch9wavefront6targetE0EEEvT1_
                                        ; -- End function
	.section	.AMDGPU.csdata,"",@progbits
; Kernel info:
; codeLenInByte = 0
; NumSgprs: 0
; NumVgprs: 0
; ScratchSize: 0
; MemoryBound: 0
; FloatMode: 240
; IeeeMode: 1
; LDSByteSize: 0 bytes/workgroup (compile time only)
; SGPRBlocks: 0
; VGPRBlocks: 0
; NumSGPRsForWavesPerEU: 1
; NumVGPRsForWavesPerEU: 1
; Occupancy: 16
; WaveLimiterHint : 0
; COMPUTE_PGM_RSRC2:SCRATCH_EN: 0
; COMPUTE_PGM_RSRC2:USER_SGPR: 15
; COMPUTE_PGM_RSRC2:TRAP_HANDLER: 0
; COMPUTE_PGM_RSRC2:TGID_X_EN: 1
; COMPUTE_PGM_RSRC2:TGID_Y_EN: 0
; COMPUTE_PGM_RSRC2:TGID_Z_EN: 0
; COMPUTE_PGM_RSRC2:TIDIG_COMP_CNT: 0
	.section	.text._ZN7rocprim17ROCPRIM_400000_NS6detail17trampoline_kernelINS0_14default_configENS1_25partition_config_selectorILNS1_17partition_subalgoE9EiibEEZZNS1_14partition_implILS5_9ELb0ES3_jN6thrust23THRUST_200600_302600_NS6detail15normal_iteratorINS9_10device_ptrIiEEEESE_PNS0_10empty_typeENS0_5tupleIJSE_SF_EEENSH_IJSE_SG_EEENS0_18inequality_wrapperI22is_equal_div_10_uniqueIiEEEPmJSF_EEE10hipError_tPvRmT3_T4_T5_T6_T7_T9_mT8_P12ihipStream_tbDpT10_ENKUlT_T0_E_clISt17integral_constantIbLb0EES18_EEDaS13_S14_EUlS13_E_NS1_11comp_targetILNS1_3genE10ELNS1_11target_archE1200ELNS1_3gpuE4ELNS1_3repE0EEENS1_30default_config_static_selectorELNS0_4arch9wavefront6targetE0EEEvT1_,"axG",@progbits,_ZN7rocprim17ROCPRIM_400000_NS6detail17trampoline_kernelINS0_14default_configENS1_25partition_config_selectorILNS1_17partition_subalgoE9EiibEEZZNS1_14partition_implILS5_9ELb0ES3_jN6thrust23THRUST_200600_302600_NS6detail15normal_iteratorINS9_10device_ptrIiEEEESE_PNS0_10empty_typeENS0_5tupleIJSE_SF_EEENSH_IJSE_SG_EEENS0_18inequality_wrapperI22is_equal_div_10_uniqueIiEEEPmJSF_EEE10hipError_tPvRmT3_T4_T5_T6_T7_T9_mT8_P12ihipStream_tbDpT10_ENKUlT_T0_E_clISt17integral_constantIbLb0EES18_EEDaS13_S14_EUlS13_E_NS1_11comp_targetILNS1_3genE10ELNS1_11target_archE1200ELNS1_3gpuE4ELNS1_3repE0EEENS1_30default_config_static_selectorELNS0_4arch9wavefront6targetE0EEEvT1_,comdat
	.protected	_ZN7rocprim17ROCPRIM_400000_NS6detail17trampoline_kernelINS0_14default_configENS1_25partition_config_selectorILNS1_17partition_subalgoE9EiibEEZZNS1_14partition_implILS5_9ELb0ES3_jN6thrust23THRUST_200600_302600_NS6detail15normal_iteratorINS9_10device_ptrIiEEEESE_PNS0_10empty_typeENS0_5tupleIJSE_SF_EEENSH_IJSE_SG_EEENS0_18inequality_wrapperI22is_equal_div_10_uniqueIiEEEPmJSF_EEE10hipError_tPvRmT3_T4_T5_T6_T7_T9_mT8_P12ihipStream_tbDpT10_ENKUlT_T0_E_clISt17integral_constantIbLb0EES18_EEDaS13_S14_EUlS13_E_NS1_11comp_targetILNS1_3genE10ELNS1_11target_archE1200ELNS1_3gpuE4ELNS1_3repE0EEENS1_30default_config_static_selectorELNS0_4arch9wavefront6targetE0EEEvT1_ ; -- Begin function _ZN7rocprim17ROCPRIM_400000_NS6detail17trampoline_kernelINS0_14default_configENS1_25partition_config_selectorILNS1_17partition_subalgoE9EiibEEZZNS1_14partition_implILS5_9ELb0ES3_jN6thrust23THRUST_200600_302600_NS6detail15normal_iteratorINS9_10device_ptrIiEEEESE_PNS0_10empty_typeENS0_5tupleIJSE_SF_EEENSH_IJSE_SG_EEENS0_18inequality_wrapperI22is_equal_div_10_uniqueIiEEEPmJSF_EEE10hipError_tPvRmT3_T4_T5_T6_T7_T9_mT8_P12ihipStream_tbDpT10_ENKUlT_T0_E_clISt17integral_constantIbLb0EES18_EEDaS13_S14_EUlS13_E_NS1_11comp_targetILNS1_3genE10ELNS1_11target_archE1200ELNS1_3gpuE4ELNS1_3repE0EEENS1_30default_config_static_selectorELNS0_4arch9wavefront6targetE0EEEvT1_
	.globl	_ZN7rocprim17ROCPRIM_400000_NS6detail17trampoline_kernelINS0_14default_configENS1_25partition_config_selectorILNS1_17partition_subalgoE9EiibEEZZNS1_14partition_implILS5_9ELb0ES3_jN6thrust23THRUST_200600_302600_NS6detail15normal_iteratorINS9_10device_ptrIiEEEESE_PNS0_10empty_typeENS0_5tupleIJSE_SF_EEENSH_IJSE_SG_EEENS0_18inequality_wrapperI22is_equal_div_10_uniqueIiEEEPmJSF_EEE10hipError_tPvRmT3_T4_T5_T6_T7_T9_mT8_P12ihipStream_tbDpT10_ENKUlT_T0_E_clISt17integral_constantIbLb0EES18_EEDaS13_S14_EUlS13_E_NS1_11comp_targetILNS1_3genE10ELNS1_11target_archE1200ELNS1_3gpuE4ELNS1_3repE0EEENS1_30default_config_static_selectorELNS0_4arch9wavefront6targetE0EEEvT1_
	.p2align	8
	.type	_ZN7rocprim17ROCPRIM_400000_NS6detail17trampoline_kernelINS0_14default_configENS1_25partition_config_selectorILNS1_17partition_subalgoE9EiibEEZZNS1_14partition_implILS5_9ELb0ES3_jN6thrust23THRUST_200600_302600_NS6detail15normal_iteratorINS9_10device_ptrIiEEEESE_PNS0_10empty_typeENS0_5tupleIJSE_SF_EEENSH_IJSE_SG_EEENS0_18inequality_wrapperI22is_equal_div_10_uniqueIiEEEPmJSF_EEE10hipError_tPvRmT3_T4_T5_T6_T7_T9_mT8_P12ihipStream_tbDpT10_ENKUlT_T0_E_clISt17integral_constantIbLb0EES18_EEDaS13_S14_EUlS13_E_NS1_11comp_targetILNS1_3genE10ELNS1_11target_archE1200ELNS1_3gpuE4ELNS1_3repE0EEENS1_30default_config_static_selectorELNS0_4arch9wavefront6targetE0EEEvT1_,@function
_ZN7rocprim17ROCPRIM_400000_NS6detail17trampoline_kernelINS0_14default_configENS1_25partition_config_selectorILNS1_17partition_subalgoE9EiibEEZZNS1_14partition_implILS5_9ELb0ES3_jN6thrust23THRUST_200600_302600_NS6detail15normal_iteratorINS9_10device_ptrIiEEEESE_PNS0_10empty_typeENS0_5tupleIJSE_SF_EEENSH_IJSE_SG_EEENS0_18inequality_wrapperI22is_equal_div_10_uniqueIiEEEPmJSF_EEE10hipError_tPvRmT3_T4_T5_T6_T7_T9_mT8_P12ihipStream_tbDpT10_ENKUlT_T0_E_clISt17integral_constantIbLb0EES18_EEDaS13_S14_EUlS13_E_NS1_11comp_targetILNS1_3genE10ELNS1_11target_archE1200ELNS1_3gpuE4ELNS1_3repE0EEENS1_30default_config_static_selectorELNS0_4arch9wavefront6targetE0EEEvT1_: ; @_ZN7rocprim17ROCPRIM_400000_NS6detail17trampoline_kernelINS0_14default_configENS1_25partition_config_selectorILNS1_17partition_subalgoE9EiibEEZZNS1_14partition_implILS5_9ELb0ES3_jN6thrust23THRUST_200600_302600_NS6detail15normal_iteratorINS9_10device_ptrIiEEEESE_PNS0_10empty_typeENS0_5tupleIJSE_SF_EEENSH_IJSE_SG_EEENS0_18inequality_wrapperI22is_equal_div_10_uniqueIiEEEPmJSF_EEE10hipError_tPvRmT3_T4_T5_T6_T7_T9_mT8_P12ihipStream_tbDpT10_ENKUlT_T0_E_clISt17integral_constantIbLb0EES18_EEDaS13_S14_EUlS13_E_NS1_11comp_targetILNS1_3genE10ELNS1_11target_archE1200ELNS1_3gpuE4ELNS1_3repE0EEENS1_30default_config_static_selectorELNS0_4arch9wavefront6targetE0EEEvT1_
; %bb.0:
	.section	.rodata,"a",@progbits
	.p2align	6, 0x0
	.amdhsa_kernel _ZN7rocprim17ROCPRIM_400000_NS6detail17trampoline_kernelINS0_14default_configENS1_25partition_config_selectorILNS1_17partition_subalgoE9EiibEEZZNS1_14partition_implILS5_9ELb0ES3_jN6thrust23THRUST_200600_302600_NS6detail15normal_iteratorINS9_10device_ptrIiEEEESE_PNS0_10empty_typeENS0_5tupleIJSE_SF_EEENSH_IJSE_SG_EEENS0_18inequality_wrapperI22is_equal_div_10_uniqueIiEEEPmJSF_EEE10hipError_tPvRmT3_T4_T5_T6_T7_T9_mT8_P12ihipStream_tbDpT10_ENKUlT_T0_E_clISt17integral_constantIbLb0EES18_EEDaS13_S14_EUlS13_E_NS1_11comp_targetILNS1_3genE10ELNS1_11target_archE1200ELNS1_3gpuE4ELNS1_3repE0EEENS1_30default_config_static_selectorELNS0_4arch9wavefront6targetE0EEEvT1_
		.amdhsa_group_segment_fixed_size 0
		.amdhsa_private_segment_fixed_size 0
		.amdhsa_kernarg_size 112
		.amdhsa_user_sgpr_count 15
		.amdhsa_user_sgpr_dispatch_ptr 0
		.amdhsa_user_sgpr_queue_ptr 0
		.amdhsa_user_sgpr_kernarg_segment_ptr 1
		.amdhsa_user_sgpr_dispatch_id 0
		.amdhsa_user_sgpr_private_segment_size 0
		.amdhsa_wavefront_size32 1
		.amdhsa_uses_dynamic_stack 0
		.amdhsa_enable_private_segment 0
		.amdhsa_system_sgpr_workgroup_id_x 1
		.amdhsa_system_sgpr_workgroup_id_y 0
		.amdhsa_system_sgpr_workgroup_id_z 0
		.amdhsa_system_sgpr_workgroup_info 0
		.amdhsa_system_vgpr_workitem_id 0
		.amdhsa_next_free_vgpr 1
		.amdhsa_next_free_sgpr 1
		.amdhsa_reserve_vcc 0
		.amdhsa_float_round_mode_32 0
		.amdhsa_float_round_mode_16_64 0
		.amdhsa_float_denorm_mode_32 3
		.amdhsa_float_denorm_mode_16_64 3
		.amdhsa_dx10_clamp 1
		.amdhsa_ieee_mode 1
		.amdhsa_fp16_overflow 0
		.amdhsa_workgroup_processor_mode 1
		.amdhsa_memory_ordered 1
		.amdhsa_forward_progress 0
		.amdhsa_shared_vgpr_count 0
		.amdhsa_exception_fp_ieee_invalid_op 0
		.amdhsa_exception_fp_denorm_src 0
		.amdhsa_exception_fp_ieee_div_zero 0
		.amdhsa_exception_fp_ieee_overflow 0
		.amdhsa_exception_fp_ieee_underflow 0
		.amdhsa_exception_fp_ieee_inexact 0
		.amdhsa_exception_int_div_zero 0
	.end_amdhsa_kernel
	.section	.text._ZN7rocprim17ROCPRIM_400000_NS6detail17trampoline_kernelINS0_14default_configENS1_25partition_config_selectorILNS1_17partition_subalgoE9EiibEEZZNS1_14partition_implILS5_9ELb0ES3_jN6thrust23THRUST_200600_302600_NS6detail15normal_iteratorINS9_10device_ptrIiEEEESE_PNS0_10empty_typeENS0_5tupleIJSE_SF_EEENSH_IJSE_SG_EEENS0_18inequality_wrapperI22is_equal_div_10_uniqueIiEEEPmJSF_EEE10hipError_tPvRmT3_T4_T5_T6_T7_T9_mT8_P12ihipStream_tbDpT10_ENKUlT_T0_E_clISt17integral_constantIbLb0EES18_EEDaS13_S14_EUlS13_E_NS1_11comp_targetILNS1_3genE10ELNS1_11target_archE1200ELNS1_3gpuE4ELNS1_3repE0EEENS1_30default_config_static_selectorELNS0_4arch9wavefront6targetE0EEEvT1_,"axG",@progbits,_ZN7rocprim17ROCPRIM_400000_NS6detail17trampoline_kernelINS0_14default_configENS1_25partition_config_selectorILNS1_17partition_subalgoE9EiibEEZZNS1_14partition_implILS5_9ELb0ES3_jN6thrust23THRUST_200600_302600_NS6detail15normal_iteratorINS9_10device_ptrIiEEEESE_PNS0_10empty_typeENS0_5tupleIJSE_SF_EEENSH_IJSE_SG_EEENS0_18inequality_wrapperI22is_equal_div_10_uniqueIiEEEPmJSF_EEE10hipError_tPvRmT3_T4_T5_T6_T7_T9_mT8_P12ihipStream_tbDpT10_ENKUlT_T0_E_clISt17integral_constantIbLb0EES18_EEDaS13_S14_EUlS13_E_NS1_11comp_targetILNS1_3genE10ELNS1_11target_archE1200ELNS1_3gpuE4ELNS1_3repE0EEENS1_30default_config_static_selectorELNS0_4arch9wavefront6targetE0EEEvT1_,comdat
.Lfunc_end441:
	.size	_ZN7rocprim17ROCPRIM_400000_NS6detail17trampoline_kernelINS0_14default_configENS1_25partition_config_selectorILNS1_17partition_subalgoE9EiibEEZZNS1_14partition_implILS5_9ELb0ES3_jN6thrust23THRUST_200600_302600_NS6detail15normal_iteratorINS9_10device_ptrIiEEEESE_PNS0_10empty_typeENS0_5tupleIJSE_SF_EEENSH_IJSE_SG_EEENS0_18inequality_wrapperI22is_equal_div_10_uniqueIiEEEPmJSF_EEE10hipError_tPvRmT3_T4_T5_T6_T7_T9_mT8_P12ihipStream_tbDpT10_ENKUlT_T0_E_clISt17integral_constantIbLb0EES18_EEDaS13_S14_EUlS13_E_NS1_11comp_targetILNS1_3genE10ELNS1_11target_archE1200ELNS1_3gpuE4ELNS1_3repE0EEENS1_30default_config_static_selectorELNS0_4arch9wavefront6targetE0EEEvT1_, .Lfunc_end441-_ZN7rocprim17ROCPRIM_400000_NS6detail17trampoline_kernelINS0_14default_configENS1_25partition_config_selectorILNS1_17partition_subalgoE9EiibEEZZNS1_14partition_implILS5_9ELb0ES3_jN6thrust23THRUST_200600_302600_NS6detail15normal_iteratorINS9_10device_ptrIiEEEESE_PNS0_10empty_typeENS0_5tupleIJSE_SF_EEENSH_IJSE_SG_EEENS0_18inequality_wrapperI22is_equal_div_10_uniqueIiEEEPmJSF_EEE10hipError_tPvRmT3_T4_T5_T6_T7_T9_mT8_P12ihipStream_tbDpT10_ENKUlT_T0_E_clISt17integral_constantIbLb0EES18_EEDaS13_S14_EUlS13_E_NS1_11comp_targetILNS1_3genE10ELNS1_11target_archE1200ELNS1_3gpuE4ELNS1_3repE0EEENS1_30default_config_static_selectorELNS0_4arch9wavefront6targetE0EEEvT1_
                                        ; -- End function
	.section	.AMDGPU.csdata,"",@progbits
; Kernel info:
; codeLenInByte = 0
; NumSgprs: 0
; NumVgprs: 0
; ScratchSize: 0
; MemoryBound: 0
; FloatMode: 240
; IeeeMode: 1
; LDSByteSize: 0 bytes/workgroup (compile time only)
; SGPRBlocks: 0
; VGPRBlocks: 0
; NumSGPRsForWavesPerEU: 1
; NumVGPRsForWavesPerEU: 1
; Occupancy: 15
; WaveLimiterHint : 0
; COMPUTE_PGM_RSRC2:SCRATCH_EN: 0
; COMPUTE_PGM_RSRC2:USER_SGPR: 15
; COMPUTE_PGM_RSRC2:TRAP_HANDLER: 0
; COMPUTE_PGM_RSRC2:TGID_X_EN: 1
; COMPUTE_PGM_RSRC2:TGID_Y_EN: 0
; COMPUTE_PGM_RSRC2:TGID_Z_EN: 0
; COMPUTE_PGM_RSRC2:TIDIG_COMP_CNT: 0
	.section	.text._ZN7rocprim17ROCPRIM_400000_NS6detail17trampoline_kernelINS0_14default_configENS1_25partition_config_selectorILNS1_17partition_subalgoE9EiibEEZZNS1_14partition_implILS5_9ELb0ES3_jN6thrust23THRUST_200600_302600_NS6detail15normal_iteratorINS9_10device_ptrIiEEEESE_PNS0_10empty_typeENS0_5tupleIJSE_SF_EEENSH_IJSE_SG_EEENS0_18inequality_wrapperI22is_equal_div_10_uniqueIiEEEPmJSF_EEE10hipError_tPvRmT3_T4_T5_T6_T7_T9_mT8_P12ihipStream_tbDpT10_ENKUlT_T0_E_clISt17integral_constantIbLb0EES18_EEDaS13_S14_EUlS13_E_NS1_11comp_targetILNS1_3genE9ELNS1_11target_archE1100ELNS1_3gpuE3ELNS1_3repE0EEENS1_30default_config_static_selectorELNS0_4arch9wavefront6targetE0EEEvT1_,"axG",@progbits,_ZN7rocprim17ROCPRIM_400000_NS6detail17trampoline_kernelINS0_14default_configENS1_25partition_config_selectorILNS1_17partition_subalgoE9EiibEEZZNS1_14partition_implILS5_9ELb0ES3_jN6thrust23THRUST_200600_302600_NS6detail15normal_iteratorINS9_10device_ptrIiEEEESE_PNS0_10empty_typeENS0_5tupleIJSE_SF_EEENSH_IJSE_SG_EEENS0_18inequality_wrapperI22is_equal_div_10_uniqueIiEEEPmJSF_EEE10hipError_tPvRmT3_T4_T5_T6_T7_T9_mT8_P12ihipStream_tbDpT10_ENKUlT_T0_E_clISt17integral_constantIbLb0EES18_EEDaS13_S14_EUlS13_E_NS1_11comp_targetILNS1_3genE9ELNS1_11target_archE1100ELNS1_3gpuE3ELNS1_3repE0EEENS1_30default_config_static_selectorELNS0_4arch9wavefront6targetE0EEEvT1_,comdat
	.protected	_ZN7rocprim17ROCPRIM_400000_NS6detail17trampoline_kernelINS0_14default_configENS1_25partition_config_selectorILNS1_17partition_subalgoE9EiibEEZZNS1_14partition_implILS5_9ELb0ES3_jN6thrust23THRUST_200600_302600_NS6detail15normal_iteratorINS9_10device_ptrIiEEEESE_PNS0_10empty_typeENS0_5tupleIJSE_SF_EEENSH_IJSE_SG_EEENS0_18inequality_wrapperI22is_equal_div_10_uniqueIiEEEPmJSF_EEE10hipError_tPvRmT3_T4_T5_T6_T7_T9_mT8_P12ihipStream_tbDpT10_ENKUlT_T0_E_clISt17integral_constantIbLb0EES18_EEDaS13_S14_EUlS13_E_NS1_11comp_targetILNS1_3genE9ELNS1_11target_archE1100ELNS1_3gpuE3ELNS1_3repE0EEENS1_30default_config_static_selectorELNS0_4arch9wavefront6targetE0EEEvT1_ ; -- Begin function _ZN7rocprim17ROCPRIM_400000_NS6detail17trampoline_kernelINS0_14default_configENS1_25partition_config_selectorILNS1_17partition_subalgoE9EiibEEZZNS1_14partition_implILS5_9ELb0ES3_jN6thrust23THRUST_200600_302600_NS6detail15normal_iteratorINS9_10device_ptrIiEEEESE_PNS0_10empty_typeENS0_5tupleIJSE_SF_EEENSH_IJSE_SG_EEENS0_18inequality_wrapperI22is_equal_div_10_uniqueIiEEEPmJSF_EEE10hipError_tPvRmT3_T4_T5_T6_T7_T9_mT8_P12ihipStream_tbDpT10_ENKUlT_T0_E_clISt17integral_constantIbLb0EES18_EEDaS13_S14_EUlS13_E_NS1_11comp_targetILNS1_3genE9ELNS1_11target_archE1100ELNS1_3gpuE3ELNS1_3repE0EEENS1_30default_config_static_selectorELNS0_4arch9wavefront6targetE0EEEvT1_
	.globl	_ZN7rocprim17ROCPRIM_400000_NS6detail17trampoline_kernelINS0_14default_configENS1_25partition_config_selectorILNS1_17partition_subalgoE9EiibEEZZNS1_14partition_implILS5_9ELb0ES3_jN6thrust23THRUST_200600_302600_NS6detail15normal_iteratorINS9_10device_ptrIiEEEESE_PNS0_10empty_typeENS0_5tupleIJSE_SF_EEENSH_IJSE_SG_EEENS0_18inequality_wrapperI22is_equal_div_10_uniqueIiEEEPmJSF_EEE10hipError_tPvRmT3_T4_T5_T6_T7_T9_mT8_P12ihipStream_tbDpT10_ENKUlT_T0_E_clISt17integral_constantIbLb0EES18_EEDaS13_S14_EUlS13_E_NS1_11comp_targetILNS1_3genE9ELNS1_11target_archE1100ELNS1_3gpuE3ELNS1_3repE0EEENS1_30default_config_static_selectorELNS0_4arch9wavefront6targetE0EEEvT1_
	.p2align	8
	.type	_ZN7rocprim17ROCPRIM_400000_NS6detail17trampoline_kernelINS0_14default_configENS1_25partition_config_selectorILNS1_17partition_subalgoE9EiibEEZZNS1_14partition_implILS5_9ELb0ES3_jN6thrust23THRUST_200600_302600_NS6detail15normal_iteratorINS9_10device_ptrIiEEEESE_PNS0_10empty_typeENS0_5tupleIJSE_SF_EEENSH_IJSE_SG_EEENS0_18inequality_wrapperI22is_equal_div_10_uniqueIiEEEPmJSF_EEE10hipError_tPvRmT3_T4_T5_T6_T7_T9_mT8_P12ihipStream_tbDpT10_ENKUlT_T0_E_clISt17integral_constantIbLb0EES18_EEDaS13_S14_EUlS13_E_NS1_11comp_targetILNS1_3genE9ELNS1_11target_archE1100ELNS1_3gpuE3ELNS1_3repE0EEENS1_30default_config_static_selectorELNS0_4arch9wavefront6targetE0EEEvT1_,@function
_ZN7rocprim17ROCPRIM_400000_NS6detail17trampoline_kernelINS0_14default_configENS1_25partition_config_selectorILNS1_17partition_subalgoE9EiibEEZZNS1_14partition_implILS5_9ELb0ES3_jN6thrust23THRUST_200600_302600_NS6detail15normal_iteratorINS9_10device_ptrIiEEEESE_PNS0_10empty_typeENS0_5tupleIJSE_SF_EEENSH_IJSE_SG_EEENS0_18inequality_wrapperI22is_equal_div_10_uniqueIiEEEPmJSF_EEE10hipError_tPvRmT3_T4_T5_T6_T7_T9_mT8_P12ihipStream_tbDpT10_ENKUlT_T0_E_clISt17integral_constantIbLb0EES18_EEDaS13_S14_EUlS13_E_NS1_11comp_targetILNS1_3genE9ELNS1_11target_archE1100ELNS1_3gpuE3ELNS1_3repE0EEENS1_30default_config_static_selectorELNS0_4arch9wavefront6targetE0EEEvT1_: ; @_ZN7rocprim17ROCPRIM_400000_NS6detail17trampoline_kernelINS0_14default_configENS1_25partition_config_selectorILNS1_17partition_subalgoE9EiibEEZZNS1_14partition_implILS5_9ELb0ES3_jN6thrust23THRUST_200600_302600_NS6detail15normal_iteratorINS9_10device_ptrIiEEEESE_PNS0_10empty_typeENS0_5tupleIJSE_SF_EEENSH_IJSE_SG_EEENS0_18inequality_wrapperI22is_equal_div_10_uniqueIiEEEPmJSF_EEE10hipError_tPvRmT3_T4_T5_T6_T7_T9_mT8_P12ihipStream_tbDpT10_ENKUlT_T0_E_clISt17integral_constantIbLb0EES18_EEDaS13_S14_EUlS13_E_NS1_11comp_targetILNS1_3genE9ELNS1_11target_archE1100ELNS1_3gpuE3ELNS1_3repE0EEENS1_30default_config_static_selectorELNS0_4arch9wavefront6targetE0EEEvT1_
; %bb.0:
	s_clause 0x4
	s_load_b128 s[4:7], s[0:1], 0x8
	s_load_b32 s14, s[0:1], 0x68
	s_load_b128 s[16:19], s[0:1], 0x40
	s_load_b64 s[2:3], s[0:1], 0x50
	s_load_b64 s[8:9], s[0:1], 0x18
	s_mov_b32 s21, 0
	s_mul_i32 s20, s15, 0xc00
	v_lshrrev_b32_e32 v18, 3, v0
	v_add_nc_u32_e32 v23, 0x180, v0
	v_add_nc_u32_e32 v22, 0x300, v0
	;; [unrolled: 1-line block ×3, first 2 shown]
	v_or_b32_e32 v24, 0x600, v0
	v_add_nc_u32_e32 v20, 0x780, v0
	v_add_nc_u32_e32 v17, 0x900, v0
	;; [unrolled: 1-line block ×3, first 2 shown]
	s_waitcnt lgkmcnt(0)
	s_lshl_b64 s[12:13], s[6:7], 2
	s_mul_i32 s22, s14, 0xc00
	s_add_u32 s23, s4, s12
	s_addc_u32 s24, s5, s13
	s_add_i32 s4, s22, s6
	s_load_b64 s[10:11], s[18:19], 0x0
	s_sub_i32 s19, s2, s4
	s_add_i32 s14, s14, -1
	s_addk_i32 s19, 0xc00
	s_add_u32 s4, s6, s22
	s_addc_u32 s5, s7, 0
	s_cmp_eq_u32 s15, s14
	v_cmp_ge_u64_e64 s2, s[4:5], s[2:3]
	s_cselect_b32 s14, -1, 0
	s_lshl_b64 s[4:5], s[20:21], 2
	s_mov_b32 s22, -1
	s_delay_alu instid0(VALU_DEP_1) | instskip(NEXT) | instid1(SALU_CYCLE_1)
	s_and_b32 s3, s14, s2
	s_xor_b32 s18, s3, -1
	s_add_u32 s21, s23, s4
	s_addc_u32 s20, s24, s5
	s_and_b32 vcc_lo, exec_lo, s18
	s_cbranch_vccz .LBB442_2
; %bb.1:
	v_lshlrev_b32_e32 v7, 2, v0
	v_lshrrev_b32_e32 v11, 3, v23
	v_lshrrev_b32_e32 v12, 3, v22
	;; [unrolled: 1-line block ×4, first 2 shown]
	v_add_co_u32 v1, s2, s21, v7
	s_delay_alu instid0(VALU_DEP_1) | instskip(SKIP_1) | instid1(VALU_DEP_3)
	v_add_co_ci_u32_e64 v2, null, s20, 0, s2
	v_lshrrev_b32_e32 v15, 3, v20
	v_add_co_u32 v3, vcc_lo, 0x1000, v1
	s_delay_alu instid0(VALU_DEP_3)
	v_add_co_ci_u32_e32 v4, vcc_lo, 0, v2, vcc_lo
	v_add_co_u32 v5, vcc_lo, 0x2000, v1
	v_add_co_ci_u32_e32 v6, vcc_lo, 0, v2, vcc_lo
	s_clause 0x7
	flat_load_b32 v8, v[1:2]
	flat_load_b32 v9, v[1:2] offset:1536
	flat_load_b32 v1, v[1:2] offset:3072
	;; [unrolled: 1-line block ×7, first 2 shown]
	v_and_b32_e32 v6, 60, v18
	v_lshrrev_b32_e32 v16, 3, v17
	v_lshrrev_b32_e32 v19, 3, v21
	v_and_b32_e32 v11, 0x7c, v11
	v_and_b32_e32 v12, 0xfc, v12
	;; [unrolled: 1-line block ×4, first 2 shown]
	v_add_nc_u32_e32 v6, v6, v7
	v_and_b32_e32 v15, 0x1fc, v15
	v_and_b32_e32 v16, 0x17c, v16
	;; [unrolled: 1-line block ×3, first 2 shown]
	v_add_nc_u32_e32 v11, v11, v7
	v_add_nc_u32_e32 v12, v12, v7
	;; [unrolled: 1-line block ×4, first 2 shown]
	s_mov_b32 s22, 0
	v_add_nc_u32_e32 v15, v15, v7
	v_add_nc_u32_e32 v16, v16, v7
	;; [unrolled: 1-line block ×3, first 2 shown]
	s_waitcnt vmcnt(7) lgkmcnt(0)
	ds_store_b32 v6, v8
	s_waitcnt vmcnt(6)
	ds_store_b32 v11, v9 offset:1536
	s_waitcnt vmcnt(5)
	ds_store_b32 v12, v1 offset:3072
	;; [unrolled: 2-line block ×7, first 2 shown]
	s_waitcnt lgkmcnt(0)
	s_barrier
.LBB442_2:
	v_cmp_gt_u32_e64 s2, s19, v0
	s_and_not1_b32 vcc_lo, exec_lo, s22
	s_cbranch_vccnz .LBB442_20
; %bb.3:
                                        ; implicit-def: $vgpr1_vgpr2_vgpr3_vgpr4_vgpr5_vgpr6_vgpr7_vgpr8
	s_delay_alu instid0(VALU_DEP_1)
	s_and_saveexec_b32 s22, s2
	s_cbranch_execz .LBB442_11
; %bb.4:
	v_lshlrev_b32_e32 v1, 2, v0
	s_delay_alu instid0(VALU_DEP_1) | instskip(NEXT) | instid1(VALU_DEP_1)
	v_add_co_u32 v1, s2, s21, v1
	v_add_co_ci_u32_e64 v2, null, s20, 0, s2
	flat_load_b32 v1, v[1:2]
	s_or_b32 exec_lo, exec_lo, s22
	s_delay_alu instid0(SALU_CYCLE_1)
	s_mov_b32 s2, exec_lo
	v_cmpx_gt_u32_e64 s19, v23
	s_cbranch_execnz .LBB442_12
.LBB442_5:
	s_or_b32 exec_lo, exec_lo, s2
	s_delay_alu instid0(SALU_CYCLE_1)
	s_mov_b32 s2, exec_lo
	v_cmpx_gt_u32_e64 s19, v22
	s_cbranch_execz .LBB442_13
.LBB442_6:
	v_lshlrev_b32_e32 v3, 2, v0
	s_delay_alu instid0(VALU_DEP_1) | instskip(NEXT) | instid1(VALU_DEP_1)
	v_add_co_u32 v9, s22, s21, v3
	v_add_co_ci_u32_e64 v10, null, s20, 0, s22
	flat_load_b32 v3, v[9:10] offset:3072
	s_or_b32 exec_lo, exec_lo, s2
	s_delay_alu instid0(SALU_CYCLE_1)
	s_mov_b32 s2, exec_lo
	v_cmpx_gt_u32_e64 s19, v25
	s_cbranch_execnz .LBB442_14
.LBB442_7:
	s_or_b32 exec_lo, exec_lo, s2
	s_delay_alu instid0(SALU_CYCLE_1)
	s_mov_b32 s2, exec_lo
	v_cmpx_gt_u32_e64 s19, v24
	s_cbranch_execz .LBB442_15
.LBB442_8:
	v_lshlrev_b32_e32 v5, 2, v24
	s_delay_alu instid0(VALU_DEP_1) | instskip(NEXT) | instid1(VALU_DEP_1)
	v_add_co_u32 v9, s22, s21, v5
	v_add_co_ci_u32_e64 v10, null, s20, 0, s22
	flat_load_b32 v5, v[9:10]
	s_or_b32 exec_lo, exec_lo, s2
	s_delay_alu instid0(SALU_CYCLE_1)
	s_mov_b32 s2, exec_lo
	v_cmpx_gt_u32_e64 s19, v20
	s_cbranch_execnz .LBB442_16
.LBB442_9:
	s_or_b32 exec_lo, exec_lo, s2
	s_delay_alu instid0(SALU_CYCLE_1)
	s_mov_b32 s2, exec_lo
	v_cmpx_gt_u32_e64 s19, v17
	s_cbranch_execz .LBB442_17
.LBB442_10:
	v_lshlrev_b32_e32 v7, 2, v17
	s_delay_alu instid0(VALU_DEP_1) | instskip(NEXT) | instid1(VALU_DEP_1)
	v_add_co_u32 v9, s22, s21, v7
	v_add_co_ci_u32_e64 v10, null, s20, 0, s22
	flat_load_b32 v7, v[9:10]
	s_or_b32 exec_lo, exec_lo, s2
	s_delay_alu instid0(SALU_CYCLE_1)
	s_mov_b32 s2, exec_lo
	v_cmpx_gt_u32_e64 s19, v21
	s_cbranch_execnz .LBB442_18
	s_branch .LBB442_19
.LBB442_11:
	s_or_b32 exec_lo, exec_lo, s22
	s_delay_alu instid0(SALU_CYCLE_1)
	s_mov_b32 s2, exec_lo
	v_cmpx_gt_u32_e64 s19, v23
	s_cbranch_execz .LBB442_5
.LBB442_12:
	v_lshlrev_b32_e32 v2, 2, v0
	s_delay_alu instid0(VALU_DEP_1) | instskip(NEXT) | instid1(VALU_DEP_1)
	v_add_co_u32 v9, s22, s21, v2
	v_add_co_ci_u32_e64 v10, null, s20, 0, s22
	flat_load_b32 v2, v[9:10] offset:1536
	s_or_b32 exec_lo, exec_lo, s2
	s_delay_alu instid0(SALU_CYCLE_1)
	s_mov_b32 s2, exec_lo
	v_cmpx_gt_u32_e64 s19, v22
	s_cbranch_execnz .LBB442_6
.LBB442_13:
	s_or_b32 exec_lo, exec_lo, s2
	s_delay_alu instid0(SALU_CYCLE_1)
	s_mov_b32 s2, exec_lo
	v_cmpx_gt_u32_e64 s19, v25
	s_cbranch_execz .LBB442_7
.LBB442_14:
	v_lshlrev_b32_e32 v4, 2, v25
	s_delay_alu instid0(VALU_DEP_1) | instskip(NEXT) | instid1(VALU_DEP_1)
	v_add_co_u32 v9, s22, s21, v4
	v_add_co_ci_u32_e64 v10, null, s20, 0, s22
	flat_load_b32 v4, v[9:10]
	s_or_b32 exec_lo, exec_lo, s2
	s_delay_alu instid0(SALU_CYCLE_1)
	s_mov_b32 s2, exec_lo
	v_cmpx_gt_u32_e64 s19, v24
	s_cbranch_execnz .LBB442_8
.LBB442_15:
	s_or_b32 exec_lo, exec_lo, s2
	s_delay_alu instid0(SALU_CYCLE_1)
	s_mov_b32 s2, exec_lo
	v_cmpx_gt_u32_e64 s19, v20
	s_cbranch_execz .LBB442_9
.LBB442_16:
	v_lshlrev_b32_e32 v6, 2, v20
	s_delay_alu instid0(VALU_DEP_1) | instskip(NEXT) | instid1(VALU_DEP_1)
	v_add_co_u32 v9, s22, s21, v6
	v_add_co_ci_u32_e64 v10, null, s20, 0, s22
	flat_load_b32 v6, v[9:10]
	s_or_b32 exec_lo, exec_lo, s2
	s_delay_alu instid0(SALU_CYCLE_1)
	s_mov_b32 s2, exec_lo
	v_cmpx_gt_u32_e64 s19, v17
	s_cbranch_execnz .LBB442_10
.LBB442_17:
	s_or_b32 exec_lo, exec_lo, s2
	s_delay_alu instid0(SALU_CYCLE_1)
	s_mov_b32 s2, exec_lo
	v_cmpx_gt_u32_e64 s19, v21
	s_cbranch_execz .LBB442_19
.LBB442_18:
	v_lshlrev_b32_e32 v8, 2, v21
	s_delay_alu instid0(VALU_DEP_1) | instskip(NEXT) | instid1(VALU_DEP_1)
	v_add_co_u32 v8, s22, s21, v8
	v_add_co_ci_u32_e64 v9, null, s20, 0, s22
	flat_load_b32 v8, v[8:9]
.LBB442_19:
	s_or_b32 exec_lo, exec_lo, s2
	v_lshrrev_b32_e32 v9, 3, v23
	v_lshrrev_b32_e32 v10, 3, v22
	;; [unrolled: 1-line block ×4, first 2 shown]
	v_and_b32_e32 v11, 60, v18
	v_lshlrev_b32_e32 v12, 2, v0
	v_lshrrev_b32_e32 v15, 3, v20
	v_lshrrev_b32_e32 v16, 3, v17
	;; [unrolled: 1-line block ×3, first 2 shown]
	v_and_b32_e32 v9, 0x7c, v9
	v_and_b32_e32 v10, 0xfc, v10
	;; [unrolled: 1-line block ×4, first 2 shown]
	v_add_nc_u32_e32 v11, v11, v12
	v_and_b32_e32 v15, 0x1fc, v15
	v_and_b32_e32 v16, 0x1fc, v16
	;; [unrolled: 1-line block ×3, first 2 shown]
	v_add_nc_u32_e32 v9, v9, v12
	v_add_nc_u32_e32 v10, v10, v12
	;; [unrolled: 1-line block ×7, first 2 shown]
	s_waitcnt vmcnt(0) lgkmcnt(0)
	ds_store_b32 v11, v1
	ds_store_b32 v9, v2 offset:1536
	ds_store_b32 v10, v3 offset:3072
	;; [unrolled: 1-line block ×7, first 2 shown]
	s_waitcnt lgkmcnt(0)
	s_barrier
.LBB442_20:
	v_lshlrev_b32_e32 v19, 3, v0
	v_lshrrev_b32_e32 v1, 2, v0
	s_waitcnt lgkmcnt(0)
	buffer_gl0_inv
	s_add_u32 s2, s8, s12
	s_addc_u32 s8, s9, s13
	s_add_u32 s2, s2, s4
	v_add_lshl_u32 v1, v1, v19, 2
	s_addc_u32 s4, s8, s5
	s_and_b32 vcc_lo, exec_lo, s18
	s_mov_b32 s5, -1
	ds_load_2addr_b32 v[15:16], v1 offset1:1
	ds_load_2addr_b32 v[13:14], v1 offset0:2 offset1:3
	ds_load_2addr_b32 v[11:12], v1 offset0:4 offset1:5
	;; [unrolled: 1-line block ×3, first 2 shown]
	s_waitcnt lgkmcnt(0)
	s_barrier
	buffer_gl0_inv
	s_cbranch_vccz .LBB442_22
; %bb.21:
	v_lshlrev_b32_e32 v8, 2, v0
	v_lshrrev_b32_e32 v29, 3, v23
	v_lshrrev_b32_e32 v30, 3, v22
	v_lshrrev_b32_e32 v31, 3, v25
	v_lshrrev_b32_e32 v32, 3, v24
	v_add_co_u32 v2, s5, s2, v8
	s_delay_alu instid0(VALU_DEP_1) | instskip(SKIP_1) | instid1(VALU_DEP_3)
	v_add_co_ci_u32_e64 v3, null, s4, 0, s5
	v_lshrrev_b32_e32 v33, 3, v20
	v_add_co_u32 v4, vcc_lo, 0x1000, v2
	s_delay_alu instid0(VALU_DEP_3)
	v_add_co_ci_u32_e32 v5, vcc_lo, 0, v3, vcc_lo
	v_add_co_u32 v6, vcc_lo, 0x2000, v2
	v_add_co_ci_u32_e32 v7, vcc_lo, 0, v3, vcc_lo
	s_clause 0x7
	flat_load_b32 v26, v[2:3]
	flat_load_b32 v27, v[2:3] offset:1536
	flat_load_b32 v2, v[2:3] offset:3072
	;; [unrolled: 1-line block ×7, first 2 shown]
	v_and_b32_e32 v7, 60, v18
	v_lshrrev_b32_e32 v34, 3, v17
	v_lshrrev_b32_e32 v35, 3, v21
	v_and_b32_e32 v29, 0x7c, v29
	v_and_b32_e32 v30, 0xfc, v30
	;; [unrolled: 1-line block ×4, first 2 shown]
	v_add_nc_u32_e32 v7, v7, v8
	v_and_b32_e32 v33, 0x1fc, v33
	v_and_b32_e32 v34, 0x17c, v34
	;; [unrolled: 1-line block ×3, first 2 shown]
	v_add_nc_u32_e32 v29, v29, v8
	v_add_nc_u32_e32 v30, v30, v8
	;; [unrolled: 1-line block ×4, first 2 shown]
	s_mov_b32 s5, 0
	v_add_nc_u32_e32 v33, v33, v8
	v_add_nc_u32_e32 v34, v34, v8
	;; [unrolled: 1-line block ×3, first 2 shown]
	s_waitcnt vmcnt(7) lgkmcnt(7)
	ds_store_b32 v7, v26
	s_waitcnt vmcnt(6) lgkmcnt(7)
	ds_store_b32 v29, v27 offset:1536
	s_waitcnt vmcnt(5) lgkmcnt(7)
	ds_store_b32 v30, v2 offset:3072
	;; [unrolled: 2-line block ×7, first 2 shown]
	s_waitcnt lgkmcnt(0)
	s_barrier
.LBB442_22:
	s_and_not1_b32 vcc_lo, exec_lo, s5
	s_cbranch_vccnz .LBB442_40
; %bb.23:
	s_mov_b32 s5, exec_lo
                                        ; implicit-def: $vgpr2
	v_cmpx_gt_u32_e64 s19, v0
	s_cbranch_execz .LBB442_25
; %bb.24:
	v_lshlrev_b32_e32 v2, 2, v0
	s_delay_alu instid0(VALU_DEP_1) | instskip(NEXT) | instid1(VALU_DEP_1)
	v_add_co_u32 v2, s8, s2, v2
	v_add_co_ci_u32_e64 v3, null, s4, 0, s8
	flat_load_b32 v2, v[2:3]
.LBB442_25:
	s_or_b32 exec_lo, exec_lo, s5
	s_delay_alu instid0(SALU_CYCLE_1)
	s_mov_b32 s5, exec_lo
                                        ; implicit-def: $vgpr3
	v_cmpx_gt_u32_e64 s19, v23
	s_cbranch_execz .LBB442_27
; %bb.26:
	v_lshlrev_b32_e32 v3, 2, v0
	s_delay_alu instid0(VALU_DEP_1) | instskip(NEXT) | instid1(VALU_DEP_1)
	v_add_co_u32 v3, s8, s2, v3
	v_add_co_ci_u32_e64 v4, null, s4, 0, s8
	flat_load_b32 v3, v[3:4] offset:1536
.LBB442_27:
	s_or_b32 exec_lo, exec_lo, s5
	s_delay_alu instid0(SALU_CYCLE_1)
	s_mov_b32 s5, exec_lo
                                        ; implicit-def: $vgpr4
	v_cmpx_gt_u32_e64 s19, v22
	s_cbranch_execz .LBB442_29
; %bb.28:
	v_lshlrev_b32_e32 v4, 2, v0
	s_delay_alu instid0(VALU_DEP_1) | instskip(NEXT) | instid1(VALU_DEP_1)
	v_add_co_u32 v4, s8, s2, v4
	v_add_co_ci_u32_e64 v5, null, s4, 0, s8
	flat_load_b32 v4, v[4:5] offset:3072
.LBB442_29:
	s_or_b32 exec_lo, exec_lo, s5
	s_delay_alu instid0(SALU_CYCLE_1)
	s_mov_b32 s5, exec_lo
                                        ; implicit-def: $vgpr5
	v_cmpx_gt_u32_e64 s19, v25
	s_cbranch_execz .LBB442_31
; %bb.30:
	v_lshlrev_b32_e32 v5, 2, v25
	s_delay_alu instid0(VALU_DEP_1) | instskip(NEXT) | instid1(VALU_DEP_1)
	v_add_co_u32 v5, s8, s2, v5
	v_add_co_ci_u32_e64 v6, null, s4, 0, s8
	flat_load_b32 v5, v[5:6]
.LBB442_31:
	s_or_b32 exec_lo, exec_lo, s5
	s_delay_alu instid0(SALU_CYCLE_1)
	s_mov_b32 s5, exec_lo
                                        ; implicit-def: $vgpr6
	v_cmpx_gt_u32_e64 s19, v24
	s_cbranch_execz .LBB442_33
; %bb.32:
	v_lshlrev_b32_e32 v6, 2, v24
	s_delay_alu instid0(VALU_DEP_1) | instskip(NEXT) | instid1(VALU_DEP_1)
	v_add_co_u32 v6, s8, s2, v6
	v_add_co_ci_u32_e64 v7, null, s4, 0, s8
	flat_load_b32 v6, v[6:7]
.LBB442_33:
	s_or_b32 exec_lo, exec_lo, s5
	s_delay_alu instid0(SALU_CYCLE_1)
	s_mov_b32 s5, exec_lo
                                        ; implicit-def: $vgpr7
	v_cmpx_gt_u32_e64 s19, v20
	s_cbranch_execz .LBB442_35
; %bb.34:
	v_lshlrev_b32_e32 v7, 2, v20
	s_delay_alu instid0(VALU_DEP_1) | instskip(NEXT) | instid1(VALU_DEP_1)
	v_add_co_u32 v7, s8, s2, v7
	v_add_co_ci_u32_e64 v8, null, s4, 0, s8
	flat_load_b32 v7, v[7:8]
.LBB442_35:
	s_or_b32 exec_lo, exec_lo, s5
	s_delay_alu instid0(SALU_CYCLE_1)
	s_mov_b32 s5, exec_lo
                                        ; implicit-def: $vgpr8
	v_cmpx_gt_u32_e64 s19, v17
	s_cbranch_execz .LBB442_37
; %bb.36:
	v_lshlrev_b32_e32 v8, 2, v17
	s_delay_alu instid0(VALU_DEP_1) | instskip(NEXT) | instid1(VALU_DEP_1)
	v_add_co_u32 v26, s8, s2, v8
	v_add_co_ci_u32_e64 v27, null, s4, 0, s8
	flat_load_b32 v8, v[26:27]
.LBB442_37:
	s_or_b32 exec_lo, exec_lo, s5
	s_delay_alu instid0(SALU_CYCLE_1)
	s_mov_b32 s5, exec_lo
                                        ; implicit-def: $vgpr26
	v_cmpx_gt_u32_e64 s19, v21
	s_cbranch_execz .LBB442_39
; %bb.38:
	v_lshlrev_b32_e32 v26, 2, v21
	s_delay_alu instid0(VALU_DEP_1) | instskip(NEXT) | instid1(VALU_DEP_1)
	v_add_co_u32 v26, s2, s2, v26
	v_add_co_ci_u32_e64 v27, null, s4, 0, s2
	flat_load_b32 v26, v[26:27]
.LBB442_39:
	s_or_b32 exec_lo, exec_lo, s5
	v_lshrrev_b32_e32 v23, 3, v23
	v_lshrrev_b32_e32 v22, 3, v22
	;; [unrolled: 1-line block ×4, first 2 shown]
	v_and_b32_e32 v18, 60, v18
	v_lshlrev_b32_e32 v27, 2, v0
	v_lshrrev_b32_e32 v20, 3, v20
	v_lshrrev_b32_e32 v17, 3, v17
	v_lshrrev_b32_e32 v21, 3, v21
	v_and_b32_e32 v23, 0x7c, v23
	v_and_b32_e32 v22, 0xfc, v22
	;; [unrolled: 1-line block ×4, first 2 shown]
	v_add_nc_u32_e32 v18, v18, v27
	v_and_b32_e32 v20, 0x1fc, v20
	v_and_b32_e32 v17, 0x1fc, v17
	;; [unrolled: 1-line block ×3, first 2 shown]
	v_add_nc_u32_e32 v23, v23, v27
	v_add_nc_u32_e32 v22, v22, v27
	;; [unrolled: 1-line block ×7, first 2 shown]
	s_waitcnt vmcnt(0) lgkmcnt(0)
	ds_store_b32 v18, v2
	ds_store_b32 v23, v3 offset:1536
	ds_store_b32 v22, v4 offset:3072
	;; [unrolled: 1-line block ×7, first 2 shown]
	s_waitcnt lgkmcnt(0)
	s_barrier
.LBB442_40:
	buffer_gl0_inv
	ds_load_2addr_b32 v[7:8], v1 offset1:1
	ds_load_2addr_b32 v[5:6], v1 offset0:2 offset1:3
	ds_load_2addr_b32 v[3:4], v1 offset0:4 offset1:5
	;; [unrolled: 1-line block ×3, first 2 shown]
	s_cmp_lg_u32 s15, 0
	s_waitcnt lgkmcnt(0)
	s_cselect_b32 s8, -1, 0
	s_cmp_lg_u64 s[6:7], 0
	s_barrier
	s_cselect_b32 s2, -1, 0
	buffer_gl0_inv
	s_or_b32 s2, s8, s2
	s_delay_alu instid0(SALU_CYCLE_1)
	s_and_b32 vcc_lo, exec_lo, s2
	s_mov_b32 s2, 0
	s_cbranch_vccz .LBB442_45
; %bb.41:
	v_add_co_u32 v17, s2, -4, s21
	s_delay_alu instid0(VALU_DEP_1)
	v_add_co_ci_u32_e64 v18, null, -1, s20, s2
	v_lshlrev_b32_e32 v21, 2, v0
	s_mov_b32 s2, -1
	s_and_b32 vcc_lo, exec_lo, s18
	flat_load_b32 v20, v[17:18]
	ds_store_b32 v21, v10
	s_cbranch_vccz .LBB442_46
; %bb.42:
	s_waitcnt vmcnt(0) lgkmcnt(1)
	v_mov_b32_e32 v17, v20
	s_mov_b32 s2, 0
	s_mov_b32 s4, exec_lo
	s_waitcnt lgkmcnt(0)
	s_barrier
	buffer_gl0_inv
	v_cmpx_ne_u32_e32 0, v0
	s_cbranch_execz .LBB442_44
; %bb.43:
	v_add_nc_u32_e32 v17, -4, v21
	ds_load_b32 v17, v17
.LBB442_44:
	s_or_b32 exec_lo, exec_lo, s4
	v_mul_hi_i32 v18, 0x66666667, v9
	v_mul_hi_i32 v22, 0x66666667, v10
	;; [unrolled: 1-line block ×5, first 2 shown]
	s_waitcnt lgkmcnt(0)
	v_mul_hi_i32 v17, 0x66666667, v17
	v_lshrrev_b32_e32 v26, 31, v18
	v_ashrrev_i32_e32 v18, 2, v18
	v_lshrrev_b32_e32 v27, 31, v22
	v_ashrrev_i32_e32 v22, 2, v22
	;; [unrolled: 2-line block ×3, first 2 shown]
	v_add_nc_u32_e32 v18, v18, v26
	v_lshrrev_b32_e32 v29, 31, v24
	v_add_nc_u32_e32 v22, v22, v27
	v_ashrrev_i32_e32 v24, 2, v24
	v_add_nc_u32_e32 v23, v23, v28
	v_mul_hi_i32 v27, 0x66666667, v13
	v_lshrrev_b32_e32 v26, 31, v25
	v_cmp_ne_u32_e32 vcc_lo, v18, v22
	v_add_nc_u32_e32 v24, v24, v29
	v_ashrrev_i32_e32 v25, 2, v25
	v_mul_hi_i32 v28, 0x66666667, v16
	v_mul_hi_i32 v29, 0x66666667, v15
	v_cndmask_b32_e64 v22, 0, 1, vcc_lo
	v_cmp_ne_u32_e32 vcc_lo, v23, v18
	v_add_nc_u32_e32 v25, v25, v26
	v_lshrrev_b32_e32 v26, 31, v27
	v_ashrrev_i32_e32 v27, 2, v27
	v_lshlrev_b16 v22, 8, v22
	v_cndmask_b32_e64 v18, 0, 1, vcc_lo
	v_cmp_ne_u32_e32 vcc_lo, v24, v23
	v_lshrrev_b32_e32 v30, 31, v28
	v_ashrrev_i32_e32 v28, 2, v28
	v_add_nc_u32_e32 v26, v27, v26
	v_lshrrev_b32_e32 v31, 31, v29
	v_cndmask_b32_e64 v23, 0, 1, vcc_lo
	v_cmp_ne_u32_e32 vcc_lo, v25, v24
	v_ashrrev_i32_e32 v29, 2, v29
	v_add_nc_u32_e32 v27, v28, v30
	v_or_b32_e32 v18, v18, v22
	v_lshlrev_b16 v23, 8, v23
	v_cndmask_b32_e64 v24, 0, 1, vcc_lo
	v_cmp_ne_u32_e32 vcc_lo, v26, v25
	v_add_nc_u32_e32 v28, v29, v31
	v_lshrrev_b32_e32 v29, 31, v17
	v_ashrrev_i32_e32 v17, 2, v17
	v_or_b32_e32 v23, v24, v23
	v_cndmask_b32_e64 v25, 0, 1, vcc_lo
	v_cmp_ne_u32_e32 vcc_lo, v27, v26
	v_lshlrev_b32_e32 v18, 16, v18
	v_add_nc_u32_e32 v17, v17, v29
	v_and_b32_e32 v23, 0xffff, v23
	v_lshlrev_b16 v25, 8, v25
	v_cndmask_b32_e64 v26, 0, 1, vcc_lo
	v_cmp_ne_u32_e32 vcc_lo, v28, v27
	v_cmp_ne_u32_e64 s4, v17, v28
	v_or_b32_e32 v18, v23, v18
	s_delay_alu instid0(VALU_DEP_4) | instskip(SKIP_1) | instid1(VALU_DEP_2)
	v_or_b32_e32 v25, v26, v25
	v_cndmask_b32_e64 v27, 0, 1, vcc_lo
	v_lshlrev_b32_e32 v22, 16, v25
	s_delay_alu instid0(VALU_DEP_2) | instskip(NEXT) | instid1(VALU_DEP_1)
	v_lshlrev_b16 v26, 8, v27
	v_and_b32_e32 v24, 0xffff, v26
	s_delay_alu instid0(VALU_DEP_1)
	v_or_b32_e32 v17, v24, v22
	s_and_b32 vcc_lo, exec_lo, s2
	s_cbranch_vccnz .LBB442_47
	s_branch .LBB442_66
.LBB442_45:
                                        ; implicit-def: $sgpr4
                                        ; implicit-def: $vgpr18
	s_branch .LBB442_67
.LBB442_46:
                                        ; implicit-def: $sgpr4
                                        ; implicit-def: $vgpr18
	s_and_b32 vcc_lo, exec_lo, s2
	s_cbranch_vccz .LBB442_66
.LBB442_47:
	v_or_b32_e32 v17, 7, v19
	s_mov_b32 s2, 0
	s_mov_b32 s4, 0
	s_mov_b32 s5, exec_lo
	s_delay_alu instid0(VALU_DEP_1)
	v_cmpx_gt_u32_e64 s19, v17
; %bb.48:
	v_mul_hi_i32 v17, 0x66666667, v9
	v_mul_hi_i32 v18, 0x66666667, v10
	s_delay_alu instid0(VALU_DEP_2) | instskip(SKIP_1) | instid1(VALU_DEP_3)
	v_lshrrev_b32_e32 v22, 31, v17
	v_ashrrev_i32_e32 v17, 2, v17
	v_lshrrev_b32_e32 v23, 31, v18
	v_ashrrev_i32_e32 v18, 2, v18
	s_delay_alu instid0(VALU_DEP_3) | instskip(NEXT) | instid1(VALU_DEP_2)
	v_add_nc_u32_e32 v17, v17, v22
	v_add_nc_u32_e32 v18, v18, v23
	s_delay_alu instid0(VALU_DEP_1)
	v_cmp_ne_u32_e32 vcc_lo, v17, v18
	s_and_b32 s4, vcc_lo, exec_lo
; %bb.49:
	s_or_b32 exec_lo, exec_lo, s5
	v_or_b32_e32 v17, 6, v19
	s_mov_b32 s5, exec_lo
	s_delay_alu instid0(VALU_DEP_1)
	v_cmpx_gt_u32_e64 s19, v17
; %bb.50:
	v_mul_hi_i32 v17, 0x66666667, v12
	v_mul_hi_i32 v18, 0x66666667, v9
	s_delay_alu instid0(VALU_DEP_2) | instskip(SKIP_1) | instid1(VALU_DEP_3)
	v_lshrrev_b32_e32 v22, 31, v17
	v_ashrrev_i32_e32 v17, 2, v17
	v_lshrrev_b32_e32 v23, 31, v18
	v_ashrrev_i32_e32 v18, 2, v18
	s_delay_alu instid0(VALU_DEP_3) | instskip(NEXT) | instid1(VALU_DEP_2)
	v_add_nc_u32_e32 v17, v17, v22
	v_add_nc_u32_e32 v18, v18, v23
	s_delay_alu instid0(VALU_DEP_1)
	v_cmp_ne_u32_e32 vcc_lo, v17, v18
	s_and_b32 s2, vcc_lo, exec_lo
; %bb.51:
	s_or_b32 exec_lo, exec_lo, s5
	v_or_b32_e32 v17, 5, v19
	s_mov_b32 s6, 0
	s_mov_b32 s5, 0
	s_mov_b32 s7, exec_lo
	s_delay_alu instid0(VALU_DEP_1)
	v_cmpx_gt_u32_e64 s19, v17
; %bb.52:
	v_mul_hi_i32 v17, 0x66666667, v11
	v_mul_hi_i32 v18, 0x66666667, v12
	s_delay_alu instid0(VALU_DEP_2) | instskip(SKIP_1) | instid1(VALU_DEP_3)
	v_lshrrev_b32_e32 v22, 31, v17
	v_ashrrev_i32_e32 v17, 2, v17
	v_lshrrev_b32_e32 v23, 31, v18
	v_ashrrev_i32_e32 v18, 2, v18
	s_delay_alu instid0(VALU_DEP_3) | instskip(NEXT) | instid1(VALU_DEP_2)
	v_add_nc_u32_e32 v17, v17, v22
	v_add_nc_u32_e32 v18, v18, v23
	s_delay_alu instid0(VALU_DEP_1)
	v_cmp_ne_u32_e32 vcc_lo, v17, v18
	s_and_b32 s5, vcc_lo, exec_lo
; %bb.53:
	s_or_b32 exec_lo, exec_lo, s7
	v_or_b32_e32 v17, 4, v19
	s_mov_b32 s7, exec_lo
	s_delay_alu instid0(VALU_DEP_1)
	v_cmpx_gt_u32_e64 s19, v17
; %bb.54:
	v_mul_hi_i32 v17, 0x66666667, v14
	v_mul_hi_i32 v18, 0x66666667, v11
	s_delay_alu instid0(VALU_DEP_2) | instskip(SKIP_1) | instid1(VALU_DEP_3)
	v_lshrrev_b32_e32 v22, 31, v17
	v_ashrrev_i32_e32 v17, 2, v17
	v_lshrrev_b32_e32 v23, 31, v18
	v_ashrrev_i32_e32 v18, 2, v18
	s_delay_alu instid0(VALU_DEP_3) | instskip(NEXT) | instid1(VALU_DEP_2)
	v_add_nc_u32_e32 v17, v17, v22
	v_add_nc_u32_e32 v18, v18, v23
	s_delay_alu instid0(VALU_DEP_1)
	v_cmp_ne_u32_e32 vcc_lo, v17, v18
	s_and_b32 s6, vcc_lo, exec_lo
; %bb.55:
	s_or_b32 exec_lo, exec_lo, s7
	;; [unrolled: 42-line block ×3, first 2 shown]
	v_or_b32_e32 v17, 1, v19
	s_mov_b32 s12, 0
	s_mov_b32 s13, exec_lo
	s_delay_alu instid0(VALU_DEP_1)
	v_cmpx_gt_u32_e64 s19, v17
; %bb.60:
	v_mul_hi_i32 v17, 0x66666667, v15
	v_mul_hi_i32 v18, 0x66666667, v16
	s_delay_alu instid0(VALU_DEP_2) | instskip(SKIP_1) | instid1(VALU_DEP_3)
	v_lshrrev_b32_e32 v22, 31, v17
	v_ashrrev_i32_e32 v17, 2, v17
	v_lshrrev_b32_e32 v23, 31, v18
	v_ashrrev_i32_e32 v18, 2, v18
	s_delay_alu instid0(VALU_DEP_3) | instskip(NEXT) | instid1(VALU_DEP_2)
	v_add_nc_u32_e32 v17, v17, v22
	v_add_nc_u32_e32 v18, v18, v23
	s_delay_alu instid0(VALU_DEP_1)
	v_cmp_ne_u32_e32 vcc_lo, v17, v18
	s_and_b32 s12, vcc_lo, exec_lo
; %bb.61:
	s_or_b32 exec_lo, exec_lo, s13
	s_delay_alu instid0(SALU_CYCLE_1)
	s_mov_b32 s13, exec_lo
	s_waitcnt vmcnt(0) lgkmcnt(0)
	s_barrier
	buffer_gl0_inv
	v_cmpx_ne_u32_e32 0, v0
	s_cbranch_execz .LBB442_63
; %bb.62:
	v_add_nc_u32_e32 v17, -4, v21
	ds_load_b32 v20, v17
.LBB442_63:
	s_or_b32 exec_lo, exec_lo, s13
	v_cndmask_b32_e64 v18, 0, 1, s7
	v_cndmask_b32_e64 v22, 0, 1, s5
	;; [unrolled: 1-line block ×7, first 2 shown]
	v_lshlrev_b16 v18, 8, v18
	v_lshlrev_b16 v22, 8, v22
	;; [unrolled: 1-line block ×3, first 2 shown]
	s_mov_b32 s4, 0
	v_lshlrev_b16 v25, 8, v25
	v_or_b32_e32 v18, v17, v18
	v_or_b32_e32 v21, v21, v22
	;; [unrolled: 1-line block ×3, first 2 shown]
	s_mov_b32 s2, exec_lo
	v_and_b32_e32 v17, 0xffff, v25
	v_lshlrev_b32_e32 v18, 16, v18
	v_and_b32_e32 v21, 0xffff, v21
	v_lshlrev_b32_e32 v22, 16, v22
	v_cmpx_gt_u32_e64 s19, v19
	s_cbranch_execz .LBB442_65
; %bb.64:
	s_waitcnt lgkmcnt(0)
	v_mul_hi_i32 v20, 0x66666667, v20
	v_mul_hi_i32 v23, 0x66666667, v15
	s_delay_alu instid0(VALU_DEP_2) | instskip(SKIP_1) | instid1(VALU_DEP_3)
	v_lshrrev_b32_e32 v24, 31, v20
	v_ashrrev_i32_e32 v20, 2, v20
	v_lshrrev_b32_e32 v25, 31, v23
	v_ashrrev_i32_e32 v23, 2, v23
	s_delay_alu instid0(VALU_DEP_3) | instskip(NEXT) | instid1(VALU_DEP_2)
	v_add_nc_u32_e32 v20, v20, v24
	v_add_nc_u32_e32 v23, v23, v25
	s_delay_alu instid0(VALU_DEP_1)
	v_cmp_ne_u32_e32 vcc_lo, v20, v23
	s_and_b32 s4, vcc_lo, exec_lo
.LBB442_65:
	s_or_b32 exec_lo, exec_lo, s2
	v_or_b32_e32 v17, v17, v18
	v_or_b32_e32 v18, v21, v22
.LBB442_66:
	s_mov_b32 s2, -1
	s_cbranch_execnz .LBB442_91
.LBB442_67:
	v_mul_hi_i32 v26, 0x66666667, v9
	v_mul_hi_i32 v25, 0x66666667, v12
	v_mul_hi_i32 v24, 0x66666667, v11
	v_mul_hi_i32 v23, 0x66666667, v14
	v_mul_hi_i32 v22, 0x66666667, v13
	v_mul_hi_i32 v21, 0x66666667, v16
	s_waitcnt vmcnt(0) lgkmcnt(0)
	v_lshlrev_b32_e32 v20, 2, v0
	s_and_b32 vcc_lo, exec_lo, s18
	ds_store_b32 v20, v10
	s_cbranch_vccz .LBB442_71
; %bb.68:
	v_mul_hi_i32 v17, 0x66666667, v10
	v_lshrrev_b32_e32 v18, 31, v26
	v_ashrrev_i32_e32 v27, 2, v26
	v_lshrrev_b32_e32 v28, 31, v25
	v_ashrrev_i32_e32 v29, 2, v25
	;; [unrolled: 2-line block ×3, first 2 shown]
	v_add_nc_u32_e32 v18, v27, v18
	v_lshrrev_b32_e32 v31, 31, v17
	v_ashrrev_i32_e32 v17, 2, v17
	v_add_nc_u32_e32 v27, v29, v28
	v_lshrrev_b32_e32 v28, 31, v23
	v_ashrrev_i32_e32 v29, 2, v23
	v_ashrrev_i32_e32 v34, 2, v21
	v_add_nc_u32_e32 v17, v17, v31
	v_cmp_ne_u32_e32 vcc_lo, v27, v18
	v_mul_hi_i32 v31, 0x66666667, v15
	v_add_nc_u32_e32 v28, v29, v28
	v_lshrrev_b32_e32 v29, 31, v22
	s_mov_b32 s5, 0
	v_cndmask_b32_e64 v33, 0, 1, vcc_lo
	v_cmp_ne_u32_e32 vcc_lo, v18, v17
	v_add_nc_u32_e32 v18, v32, v30
	v_ashrrev_i32_e32 v30, 2, v22
	v_lshrrev_b32_e32 v32, 31, v21
	v_lshrrev_b32_e32 v35, 31, v31
	v_cndmask_b32_e64 v17, 0, 1, vcc_lo
	v_cmp_ne_u32_e32 vcc_lo, v18, v27
	v_ashrrev_i32_e32 v31, 2, v31
	v_add_nc_u32_e32 v29, v30, v29
	v_add_nc_u32_e32 v30, v34, v32
	v_lshlrev_b16 v17, 8, v17
	v_cndmask_b32_e64 v36, 0, 1, vcc_lo
	v_cmp_ne_u32_e32 vcc_lo, v28, v18
	v_add_nc_u32_e32 v27, v31, v35
	s_mov_b32 s6, exec_lo
	v_or_b32_e32 v17, v33, v17
	s_waitcnt lgkmcnt(0)
	v_cndmask_b32_e64 v18, 0, 1, vcc_lo
	v_cmp_ne_u32_e32 vcc_lo, v29, v28
	s_barrier
	v_lshlrev_b32_e32 v17, 16, v17
	buffer_gl0_inv
                                        ; implicit-def: $sgpr4
	v_cndmask_b32_e64 v28, 0, 1, vcc_lo
	v_cmp_ne_u32_e32 vcc_lo, v27, v30
	s_delay_alu instid0(VALU_DEP_2) | instskip(SKIP_3) | instid1(VALU_DEP_3)
	v_lshlrev_b16 v28, 8, v28
	v_cndmask_b32_e64 v31, 0, 1, vcc_lo
	v_cmp_ne_u32_e32 vcc_lo, v30, v29
	v_lshlrev_b16 v30, 8, v36
	v_lshlrev_b16 v31, 8, v31
	v_cndmask_b32_e64 v29, 0, 1, vcc_lo
	s_delay_alu instid0(VALU_DEP_3) | instskip(NEXT) | instid1(VALU_DEP_2)
	v_or_b32_e32 v18, v18, v30
	v_or_b32_e32 v28, v29, v28
	s_delay_alu instid0(VALU_DEP_4) | instskip(NEXT) | instid1(VALU_DEP_3)
	v_or_b32_e32 v29, 1, v31
	v_and_b32_e32 v18, 0xffff, v18
	s_delay_alu instid0(VALU_DEP_3) | instskip(NEXT) | instid1(VALU_DEP_3)
	v_lshlrev_b32_e32 v28, 16, v28
	v_and_b32_e32 v29, 0xffff, v29
	s_delay_alu instid0(VALU_DEP_3) | instskip(NEXT) | instid1(VALU_DEP_2)
	v_or_b32_e32 v18, v18, v17
	v_or_b32_e32 v17, v29, v28
	v_cmpx_ne_u32_e32 0, v0
	s_xor_b32 s6, exec_lo, s6
	s_cbranch_execz .LBB442_70
; %bb.69:
	v_add_nc_u32_e32 v28, -4, v20
	s_or_b32 s2, s2, exec_lo
	ds_load_b32 v28, v28
	s_waitcnt lgkmcnt(0)
	v_mul_hi_i32 v28, 0x66666667, v28
	s_delay_alu instid0(VALU_DEP_1) | instskip(SKIP_1) | instid1(VALU_DEP_1)
	v_lshrrev_b32_e32 v29, 31, v28
	v_ashrrev_i32_e32 v28, 2, v28
	v_add_nc_u32_e32 v28, v28, v29
	s_delay_alu instid0(VALU_DEP_1)
	v_cmp_ne_u32_e32 vcc_lo, v28, v27
	s_and_b32 s4, vcc_lo, exec_lo
.LBB442_70:
	s_or_b32 exec_lo, exec_lo, s6
	s_delay_alu instid0(SALU_CYCLE_1)
	s_and_b32 vcc_lo, exec_lo, s5
	s_cbranch_vccnz .LBB442_72
	s_branch .LBB442_91
.LBB442_71:
                                        ; implicit-def: $sgpr4
                                        ; implicit-def: $vgpr18
	s_cbranch_execz .LBB442_91
.LBB442_72:
	v_or_b32_e32 v17, 7, v19
	s_mov_b32 s4, 0
	s_mov_b32 s5, 0
	s_mov_b32 s6, exec_lo
	s_delay_alu instid0(VALU_DEP_1)
	v_cmpx_gt_u32_e64 s19, v17
; %bb.73:
	v_mul_hi_i32 v17, 0x66666667, v10
	v_lshrrev_b32_e32 v18, 31, v26
	v_ashrrev_i32_e32 v27, 2, v26
	s_delay_alu instid0(VALU_DEP_1) | instskip(NEXT) | instid1(VALU_DEP_4)
	v_add_nc_u32_e32 v18, v27, v18
	v_lshrrev_b32_e32 v28, 31, v17
	v_ashrrev_i32_e32 v17, 2, v17
	s_delay_alu instid0(VALU_DEP_1) | instskip(NEXT) | instid1(VALU_DEP_1)
	v_add_nc_u32_e32 v17, v17, v28
	v_cmp_ne_u32_e32 vcc_lo, v18, v17
	s_and_b32 s5, vcc_lo, exec_lo
; %bb.74:
	s_or_b32 exec_lo, exec_lo, s6
	v_or_b32_e32 v17, 6, v19
	s_mov_b32 s6, exec_lo
	s_delay_alu instid0(VALU_DEP_1)
	v_cmpx_gt_u32_e64 s19, v17
; %bb.75:
	v_lshrrev_b32_e32 v17, 31, v25
	v_ashrrev_i32_e32 v18, 2, v25
	v_lshrrev_b32_e32 v27, 31, v26
	v_ashrrev_i32_e32 v26, 2, v26
	s_delay_alu instid0(VALU_DEP_3) | instskip(NEXT) | instid1(VALU_DEP_2)
	v_add_nc_u32_e32 v17, v18, v17
	v_add_nc_u32_e32 v18, v26, v27
	s_delay_alu instid0(VALU_DEP_1)
	v_cmp_ne_u32_e32 vcc_lo, v17, v18
	s_and_b32 s4, vcc_lo, exec_lo
; %bb.76:
	s_or_b32 exec_lo, exec_lo, s6
	v_or_b32_e32 v17, 5, v19
	s_mov_b32 s6, 0
	s_mov_b32 s7, 0
	s_mov_b32 s9, exec_lo
	s_delay_alu instid0(VALU_DEP_1)
	v_cmpx_gt_u32_e64 s19, v17
; %bb.77:
	v_lshrrev_b32_e32 v17, 31, v24
	v_ashrrev_i32_e32 v18, 2, v24
	v_lshrrev_b32_e32 v26, 31, v25
	v_ashrrev_i32_e32 v25, 2, v25
	s_delay_alu instid0(VALU_DEP_3) | instskip(NEXT) | instid1(VALU_DEP_2)
	v_add_nc_u32_e32 v17, v18, v17
	v_add_nc_u32_e32 v18, v25, v26
	s_delay_alu instid0(VALU_DEP_1)
	v_cmp_ne_u32_e32 vcc_lo, v17, v18
	s_and_b32 s7, vcc_lo, exec_lo
; %bb.78:
	s_or_b32 exec_lo, exec_lo, s9
	v_or_b32_e32 v17, 4, v19
	s_mov_b32 s9, exec_lo
	s_delay_alu instid0(VALU_DEP_1)
	v_cmpx_gt_u32_e64 s19, v17
; %bb.79:
	v_lshrrev_b32_e32 v17, 31, v23
	v_ashrrev_i32_e32 v18, 2, v23
	v_lshrrev_b32_e32 v25, 31, v24
	v_ashrrev_i32_e32 v24, 2, v24
	s_delay_alu instid0(VALU_DEP_3) | instskip(NEXT) | instid1(VALU_DEP_2)
	v_add_nc_u32_e32 v17, v18, v17
	v_add_nc_u32_e32 v18, v24, v25
	s_delay_alu instid0(VALU_DEP_1)
	v_cmp_ne_u32_e32 vcc_lo, v17, v18
	s_and_b32 s6, vcc_lo, exec_lo
; %bb.80:
	s_or_b32 exec_lo, exec_lo, s9
	v_or_b32_e32 v17, 3, v19
	s_mov_b32 s12, 0
	s_mov_b32 s9, 0
	s_mov_b32 s13, exec_lo
	s_delay_alu instid0(VALU_DEP_1)
	v_cmpx_gt_u32_e64 s19, v17
; %bb.81:
	v_lshrrev_b32_e32 v17, 31, v22
	v_ashrrev_i32_e32 v18, 2, v22
	v_lshrrev_b32_e32 v24, 31, v23
	v_ashrrev_i32_e32 v23, 2, v23
	s_delay_alu instid0(VALU_DEP_3) | instskip(NEXT) | instid1(VALU_DEP_2)
	v_add_nc_u32_e32 v17, v18, v17
	v_add_nc_u32_e32 v18, v23, v24
	s_delay_alu instid0(VALU_DEP_1)
	v_cmp_ne_u32_e32 vcc_lo, v17, v18
	s_and_b32 s9, vcc_lo, exec_lo
; %bb.82:
	s_or_b32 exec_lo, exec_lo, s13
	v_or_b32_e32 v17, 2, v19
	s_mov_b32 s13, exec_lo
	s_delay_alu instid0(VALU_DEP_1)
	v_cmpx_gt_u32_e64 s19, v17
; %bb.83:
	v_lshrrev_b32_e32 v17, 31, v21
	v_ashrrev_i32_e32 v18, 2, v21
	v_lshrrev_b32_e32 v23, 31, v22
	v_ashrrev_i32_e32 v22, 2, v22
	s_delay_alu instid0(VALU_DEP_3) | instskip(NEXT) | instid1(VALU_DEP_2)
	v_add_nc_u32_e32 v17, v18, v17
	v_add_nc_u32_e32 v18, v22, v23
	s_delay_alu instid0(VALU_DEP_1)
	v_cmp_ne_u32_e32 vcc_lo, v17, v18
	s_and_b32 s12, vcc_lo, exec_lo
; %bb.84:
	s_or_b32 exec_lo, exec_lo, s13
	v_or_b32_e32 v17, 1, v19
	s_mov_b32 s20, 0
	s_mov_b32 s13, exec_lo
	s_delay_alu instid0(VALU_DEP_1)
	v_cmpx_gt_u32_e64 s19, v17
; %bb.85:
	v_mul_hi_i32 v17, 0x66666667, v15
	v_lshrrev_b32_e32 v18, 31, v21
	v_ashrrev_i32_e32 v21, 2, v21
	s_delay_alu instid0(VALU_DEP_1) | instskip(NEXT) | instid1(VALU_DEP_4)
	v_add_nc_u32_e32 v18, v21, v18
	v_lshrrev_b32_e32 v22, 31, v17
	v_ashrrev_i32_e32 v17, 2, v17
	s_delay_alu instid0(VALU_DEP_1) | instskip(NEXT) | instid1(VALU_DEP_1)
	v_add_nc_u32_e32 v17, v17, v22
	v_cmp_ne_u32_e32 vcc_lo, v17, v18
	s_and_b32 s20, vcc_lo, exec_lo
; %bb.86:
	s_or_b32 exec_lo, exec_lo, s13
	v_cndmask_b32_e64 v18, 0, 1, s9
	v_cndmask_b32_e64 v21, 0, 1, s7
	;; [unrolled: 1-line block ×7, first 2 shown]
	v_lshlrev_b16 v21, 8, v21
	v_lshlrev_b16 v22, 8, v22
	;; [unrolled: 1-line block ×4, first 2 shown]
	s_mov_b32 s5, exec_lo
	v_or_b32_e32 v21, v24, v21
	v_or_b32_e32 v22, v25, v22
	;; [unrolled: 1-line block ×4, first 2 shown]
	s_waitcnt lgkmcnt(0)
	v_and_b32_e32 v18, 0xffff, v21
	v_lshlrev_b32_e32 v21, 16, v22
	v_and_b32_e32 v22, 0xffff, v23
	v_lshlrev_b32_e32 v17, 16, v17
	s_barrier
	buffer_gl0_inv
	v_or_b32_e32 v18, v18, v21
                                        ; implicit-def: $sgpr4
	v_or_b32_e32 v17, v22, v17
	v_cmpx_ne_u32_e32 0, v0
	s_cbranch_execz .LBB442_90
; %bb.87:
	s_mov_b32 s6, 0
	s_mov_b32 s4, exec_lo
	v_cmpx_gt_u32_e64 s19, v19
	s_cbranch_execz .LBB442_89
; %bb.88:
	v_add_nc_u32_e32 v20, -4, v20
	v_mul_hi_i32 v21, 0x66666667, v15
	ds_load_b32 v20, v20
	v_lshrrev_b32_e32 v22, 31, v21
	v_ashrrev_i32_e32 v21, 2, v21
	s_delay_alu instid0(VALU_DEP_1) | instskip(SKIP_2) | instid1(VALU_DEP_1)
	v_add_nc_u32_e32 v21, v21, v22
	s_waitcnt lgkmcnt(0)
	v_mul_hi_i32 v20, 0x66666667, v20
	v_lshrrev_b32_e32 v23, 31, v20
	v_ashrrev_i32_e32 v20, 2, v20
	s_delay_alu instid0(VALU_DEP_1) | instskip(NEXT) | instid1(VALU_DEP_1)
	v_add_nc_u32_e32 v20, v20, v23
	v_cmp_ne_u32_e32 vcc_lo, v20, v21
	s_and_b32 s6, vcc_lo, exec_lo
.LBB442_89:
	s_or_b32 exec_lo, exec_lo, s4
	s_delay_alu instid0(SALU_CYCLE_1)
	s_and_b32 s4, s6, exec_lo
	s_or_b32 s2, s2, exec_lo
.LBB442_90:
	s_or_b32 exec_lo, exec_lo, s5
.LBB442_91:
	s_and_saveexec_b32 s5, s2
	s_cbranch_execz .LBB442_93
; %bb.92:
	s_waitcnt vmcnt(0) lgkmcnt(0)
	v_and_b32_e32 v20, 0xffffff00, v17
	v_cndmask_b32_e64 v21, 0, 1, s4
	s_delay_alu instid0(VALU_DEP_1) | instskip(NEXT) | instid1(VALU_DEP_1)
	v_or_b32_e32 v20, v21, v20
	v_and_b32_e32 v20, 0xffff, v20
	s_delay_alu instid0(VALU_DEP_1)
	v_and_or_b32 v17, 0xffff0000, v17, v20
.LBB442_93:
	s_or_b32 exec_lo, exec_lo, s5
	s_load_b64 s[12:13], s[0:1], 0x60
	s_and_not1_b32 vcc_lo, exec_lo, s3
	s_cbranch_vccnz .LBB442_95
; %bb.94:
	v_cmp_gt_u32_e32 vcc_lo, s19, v19
	v_or_b32_e32 v21, 1, v19
	v_and_b32_e32 v22, 0xffffff00, v18
	v_or_b32_e32 v23, 2, v19
	s_waitcnt vmcnt(0) lgkmcnt(0)
	v_cndmask_b32_e32 v20, 0, v17, vcc_lo
	v_cmp_gt_u32_e32 vcc_lo, s19, v21
	v_or_b32_e32 v21, 4, v19
	v_cmp_gt_u32_e64 s2, s19, v23
	v_or_b32_e32 v23, 3, v19
	v_and_b32_e32 v20, 0xff, v20
	s_delay_alu instid0(VALU_DEP_2) | instskip(NEXT) | instid1(VALU_DEP_2)
	v_cmp_gt_u32_e64 s3, s19, v23
	v_cndmask_b32_e32 v20, v20, v17, vcc_lo
	v_cmp_gt_u32_e32 vcc_lo, s19, v21
	s_delay_alu instid0(VALU_DEP_2) | instskip(SKIP_1) | instid1(VALU_DEP_2)
	v_dual_cndmask_b32 v21, v22, v18 :: v_dual_and_b32 v20, 0xffff, v20
	v_or_b32_e32 v22, 5, v19
	v_cndmask_b32_e64 v20, v20, v17, s2
	s_delay_alu instid0(VALU_DEP_3) | instskip(NEXT) | instid1(VALU_DEP_3)
	v_and_b32_e32 v21, 0xffff00ff, v21
	v_cmp_gt_u32_e64 s2, s19, v22
	v_or_b32_e32 v22, 6, v19
	v_or_b32_e32 v19, 7, v19
	v_and_b32_e32 v20, 0xffffff, v20
	s_delay_alu instid0(VALU_DEP_4) | instskip(NEXT) | instid1(VALU_DEP_2)
	v_cndmask_b32_e64 v21, v21, v18, s2
	v_cndmask_b32_e64 v20, v20, v17, s3
	s_delay_alu instid0(VALU_DEP_2) | instskip(NEXT) | instid1(VALU_DEP_2)
	v_and_b32_e32 v21, 0xff00ffff, v21
	v_cndmask_b32_e32 v20, v20, v17, vcc_lo
	v_cmp_gt_u32_e32 vcc_lo, s19, v22
	s_delay_alu instid0(VALU_DEP_2) | instskip(NEXT) | instid1(VALU_DEP_1)
	v_cndmask_b32_e64 v20, v20, v17, s2
	v_dual_cndmask_b32 v21, v21, v18 :: v_dual_cndmask_b32 v20, v20, v17
	s_delay_alu instid0(VALU_DEP_1) | instskip(SKIP_1) | instid1(VALU_DEP_2)
	v_and_b32_e32 v21, 0xffffff, v21
	v_cmp_gt_u32_e32 vcc_lo, s19, v19
	v_dual_cndmask_b32 v18, v21, v18 :: v_dual_cndmask_b32 v17, v20, v17
.LBB442_95:
	s_delay_alu instid0(VALU_DEP_1) | instskip(NEXT) | instid1(VALU_DEP_2)
	v_and_b32_e32 v28, 0xff, v17
	v_alignbit_b32 v19, v18, v17, 24
	v_bfe_u32 v30, v17, 8, 8
	v_bfe_u32 v32, v17, 16, 8
	v_and_b32_e32 v36, 0xff, v18
	v_bfe_u32 v38, v18, 8, 8
	v_and_b32_e32 v34, 0xff, v19
	v_add_nc_u32_e32 v19, v30, v28
	s_waitcnt vmcnt(0) lgkmcnt(0)
	v_and_b32_e32 v20, 0x1e0, v0
	v_mbcnt_lo_u32_b32 v41, -1, 0
	v_bfe_u32 v40, v18, 16, 8
	v_lshrrev_b32_e32 v39, 24, v18
	v_add3_u32 v19, v19, v32, v34
	v_min_u32_e32 v20, 0x160, v20
	v_and_b32_e32 v21, 15, v41
	v_lshrrev_b32_e32 v42, 5, v0
	s_and_b32 vcc_lo, exec_lo, s8
	v_add3_u32 v19, v19, v36, v38
	v_or_b32_e32 v20, 31, v20
	v_cmp_eq_u32_e64 s4, 0, v21
	v_cmp_lt_u32_e64 s5, 1, v21
	v_cmp_lt_u32_e64 s3, 3, v21
	v_add3_u32 v43, v19, v40, v39
	v_and_b32_e32 v19, 16, v41
	v_cmp_lt_u32_e64 s2, 7, v21
	v_cmp_eq_u32_e64 s6, v20, v0
	s_mov_b32 s8, -1
	s_delay_alu instid0(VALU_DEP_3)
	v_cmp_eq_u32_e64 s7, 0, v19
	s_barrier
	buffer_gl0_inv
	s_cbranch_vccz .LBB442_121
; %bb.96:
	v_mov_b32_dpp v19, v43 row_shr:1 row_mask:0xf bank_mask:0xf
	s_delay_alu instid0(VALU_DEP_1) | instskip(NEXT) | instid1(VALU_DEP_1)
	v_cndmask_b32_e64 v19, v19, 0, s4
	v_add_nc_u32_e32 v19, v19, v43
	s_delay_alu instid0(VALU_DEP_1) | instskip(NEXT) | instid1(VALU_DEP_1)
	v_mov_b32_dpp v20, v19 row_shr:2 row_mask:0xf bank_mask:0xf
	v_cndmask_b32_e64 v20, 0, v20, s5
	s_delay_alu instid0(VALU_DEP_1) | instskip(NEXT) | instid1(VALU_DEP_1)
	v_add_nc_u32_e32 v19, v19, v20
	v_mov_b32_dpp v20, v19 row_shr:4 row_mask:0xf bank_mask:0xf
	s_delay_alu instid0(VALU_DEP_1) | instskip(NEXT) | instid1(VALU_DEP_1)
	v_cndmask_b32_e64 v20, 0, v20, s3
	v_add_nc_u32_e32 v19, v19, v20
	s_delay_alu instid0(VALU_DEP_1) | instskip(NEXT) | instid1(VALU_DEP_1)
	v_mov_b32_dpp v20, v19 row_shr:8 row_mask:0xf bank_mask:0xf
	v_cndmask_b32_e64 v20, 0, v20, s2
	s_delay_alu instid0(VALU_DEP_1) | instskip(SKIP_3) | instid1(VALU_DEP_1)
	v_add_nc_u32_e32 v19, v19, v20
	ds_swizzle_b32 v20, v19 offset:swizzle(BROADCAST,32,15)
	s_waitcnt lgkmcnt(0)
	v_cndmask_b32_e64 v20, v20, 0, s7
	v_add_nc_u32_e32 v19, v19, v20
	s_and_saveexec_b32 s8, s6
	s_cbranch_execz .LBB442_98
; %bb.97:
	v_lshlrev_b32_e32 v20, 2, v42
	ds_store_b32 v20, v19
.LBB442_98:
	s_or_b32 exec_lo, exec_lo, s8
	s_delay_alu instid0(SALU_CYCLE_1)
	s_mov_b32 s8, exec_lo
	s_waitcnt lgkmcnt(0)
	s_barrier
	buffer_gl0_inv
	v_cmpx_gt_u32_e32 12, v0
	s_cbranch_execz .LBB442_100
; %bb.99:
	v_lshlrev_b32_e32 v20, 2, v0
	ds_load_b32 v21, v20
	s_waitcnt lgkmcnt(0)
	v_mov_b32_dpp v22, v21 row_shr:1 row_mask:0xf bank_mask:0xf
	s_delay_alu instid0(VALU_DEP_1) | instskip(NEXT) | instid1(VALU_DEP_1)
	v_cndmask_b32_e64 v22, v22, 0, s4
	v_add_nc_u32_e32 v21, v22, v21
	s_delay_alu instid0(VALU_DEP_1) | instskip(NEXT) | instid1(VALU_DEP_1)
	v_mov_b32_dpp v22, v21 row_shr:2 row_mask:0xf bank_mask:0xf
	v_cndmask_b32_e64 v22, 0, v22, s5
	s_delay_alu instid0(VALU_DEP_1) | instskip(NEXT) | instid1(VALU_DEP_1)
	v_add_nc_u32_e32 v21, v21, v22
	v_mov_b32_dpp v22, v21 row_shr:4 row_mask:0xf bank_mask:0xf
	s_delay_alu instid0(VALU_DEP_1) | instskip(NEXT) | instid1(VALU_DEP_1)
	v_cndmask_b32_e64 v22, 0, v22, s3
	v_add_nc_u32_e32 v21, v21, v22
	s_delay_alu instid0(VALU_DEP_1) | instskip(NEXT) | instid1(VALU_DEP_1)
	v_mov_b32_dpp v22, v21 row_shr:8 row_mask:0xf bank_mask:0xf
	v_cndmask_b32_e64 v22, 0, v22, s2
	s_delay_alu instid0(VALU_DEP_1)
	v_add_nc_u32_e32 v21, v21, v22
	ds_store_b32 v20, v21
.LBB442_100:
	s_or_b32 exec_lo, exec_lo, s8
	v_cmp_gt_u32_e32 vcc_lo, 32, v0
	s_mov_b32 s9, exec_lo
	s_waitcnt lgkmcnt(0)
	s_barrier
	buffer_gl0_inv
                                        ; implicit-def: $vgpr27
	v_cmpx_lt_u32_e32 31, v0
	s_cbranch_execz .LBB442_102
; %bb.101:
	v_lshl_add_u32 v20, v42, 2, -4
	ds_load_b32 v27, v20
	s_waitcnt lgkmcnt(0)
	v_add_nc_u32_e32 v19, v27, v19
.LBB442_102:
	s_or_b32 exec_lo, exec_lo, s9
	v_add_nc_u32_e32 v20, -1, v41
	s_delay_alu instid0(VALU_DEP_1) | instskip(NEXT) | instid1(VALU_DEP_1)
	v_cmp_gt_i32_e64 s8, 0, v20
	v_cndmask_b32_e64 v20, v20, v41, s8
	v_cmp_eq_u32_e64 s8, 0, v41
	s_delay_alu instid0(VALU_DEP_2)
	v_lshlrev_b32_e32 v20, 2, v20
	ds_bpermute_b32 v29, v20, v19
	s_and_saveexec_b32 s9, vcc_lo
	s_cbranch_execz .LBB442_120
; %bb.103:
	v_mov_b32_e32 v23, 0
	ds_load_b32 v19, v23 offset:44
	s_and_saveexec_b32 s19, s8
	s_cbranch_execz .LBB442_105
; %bb.104:
	s_add_i32 s20, s15, 32
	s_mov_b32 s21, 0
	v_mov_b32_e32 v20, 1
	s_lshl_b64 s[20:21], s[20:21], 3
	s_delay_alu instid0(SALU_CYCLE_1)
	s_add_u32 s20, s12, s20
	s_addc_u32 s21, s13, s21
	s_waitcnt lgkmcnt(0)
	global_store_b64 v23, v[19:20], s[20:21]
.LBB442_105:
	s_or_b32 exec_lo, exec_lo, s19
	v_xad_u32 v21, v41, -1, s15
	s_mov_b32 s20, 0
	s_mov_b32 s19, exec_lo
	s_delay_alu instid0(VALU_DEP_1) | instskip(NEXT) | instid1(VALU_DEP_1)
	v_add_nc_u32_e32 v22, 32, v21
	v_lshlrev_b64 v[22:23], 3, v[22:23]
	s_delay_alu instid0(VALU_DEP_1) | instskip(NEXT) | instid1(VALU_DEP_2)
	v_add_co_u32 v25, vcc_lo, s12, v22
	v_add_co_ci_u32_e32 v26, vcc_lo, s13, v23, vcc_lo
	global_load_b64 v[23:24], v[25:26], off glc
	s_waitcnt vmcnt(0)
	v_and_b32_e32 v20, 0xff, v24
	s_delay_alu instid0(VALU_DEP_1)
	v_cmpx_eq_u16_e32 0, v20
	s_cbranch_execz .LBB442_108
.LBB442_106:                            ; =>This Inner Loop Header: Depth=1
	global_load_b64 v[23:24], v[25:26], off glc
	s_waitcnt vmcnt(0)
	v_and_b32_e32 v20, 0xff, v24
	s_delay_alu instid0(VALU_DEP_1) | instskip(SKIP_1) | instid1(SALU_CYCLE_1)
	v_cmp_ne_u16_e32 vcc_lo, 0, v20
	s_or_b32 s20, vcc_lo, s20
	s_and_not1_b32 exec_lo, exec_lo, s20
	s_cbranch_execnz .LBB442_106
; %bb.107:
	s_or_b32 exec_lo, exec_lo, s20
.LBB442_108:
	s_delay_alu instid0(SALU_CYCLE_1)
	s_or_b32 exec_lo, exec_lo, s19
	v_cmp_ne_u32_e32 vcc_lo, 31, v41
	v_lshlrev_b32_e64 v33, v41, -1
	v_add_nc_u32_e32 v37, 2, v41
	v_add_nc_u32_e32 v45, 4, v41
	;; [unrolled: 1-line block ×3, first 2 shown]
	v_add_co_ci_u32_e32 v20, vcc_lo, 0, v41, vcc_lo
	v_add_nc_u32_e32 v49, 16, v41
	s_delay_alu instid0(VALU_DEP_2)
	v_lshlrev_b32_e32 v31, 2, v20
	v_and_b32_e32 v20, 0xff, v24
	ds_bpermute_b32 v22, v31, v23
	v_cmp_eq_u16_e32 vcc_lo, 2, v20
	v_and_or_b32 v20, vcc_lo, v33, 0x80000000
	v_cmp_gt_u32_e32 vcc_lo, 30, v41
	s_delay_alu instid0(VALU_DEP_2) | instskip(SKIP_1) | instid1(VALU_DEP_2)
	v_ctz_i32_b32_e32 v20, v20
	v_cndmask_b32_e64 v25, 0, 1, vcc_lo
	v_cmp_lt_u32_e32 vcc_lo, v41, v20
	s_waitcnt lgkmcnt(0)
	s_delay_alu instid0(VALU_DEP_2) | instskip(NEXT) | instid1(VALU_DEP_1)
	v_dual_cndmask_b32 v22, 0, v22 :: v_dual_lshlrev_b32 v25, 1, v25
	v_add_lshl_u32 v35, v25, v41, 2
	v_cmp_gt_u32_e32 vcc_lo, 28, v41
	s_delay_alu instid0(VALU_DEP_3) | instskip(SKIP_4) | instid1(VALU_DEP_1)
	v_add_nc_u32_e32 v22, v22, v23
	v_cndmask_b32_e64 v25, 0, 1, vcc_lo
	v_cmp_le_u32_e32 vcc_lo, v37, v20
	ds_bpermute_b32 v23, v35, v22
	v_lshlrev_b32_e32 v25, 2, v25
	v_add_lshl_u32 v44, v25, v41, 2
	s_waitcnt lgkmcnt(0)
	v_cndmask_b32_e32 v23, 0, v23, vcc_lo
	v_cmp_gt_u32_e32 vcc_lo, 24, v41
	s_delay_alu instid0(VALU_DEP_2) | instskip(SKIP_4) | instid1(VALU_DEP_1)
	v_add_nc_u32_e32 v22, v22, v23
	v_cndmask_b32_e64 v25, 0, 1, vcc_lo
	v_cmp_le_u32_e32 vcc_lo, v45, v20
	ds_bpermute_b32 v23, v44, v22
	v_lshlrev_b32_e32 v25, 3, v25
	v_add_lshl_u32 v46, v25, v41, 2
	s_waitcnt lgkmcnt(0)
	v_cndmask_b32_e32 v23, 0, v23, vcc_lo
	v_cmp_gt_u32_e32 vcc_lo, 16, v41
	s_delay_alu instid0(VALU_DEP_2) | instskip(SKIP_4) | instid1(VALU_DEP_1)
	v_add_nc_u32_e32 v22, v22, v23
	v_cndmask_b32_e64 v25, 0, 1, vcc_lo
	v_cmp_le_u32_e32 vcc_lo, v47, v20
	ds_bpermute_b32 v23, v46, v22
	v_lshlrev_b32_e32 v25, 4, v25
	v_add_lshl_u32 v48, v25, v41, 2
	s_waitcnt lgkmcnt(0)
	v_cndmask_b32_e32 v23, 0, v23, vcc_lo
	v_cmp_le_u32_e32 vcc_lo, v49, v20
	s_delay_alu instid0(VALU_DEP_2) | instskip(SKIP_3) | instid1(VALU_DEP_1)
	v_add_nc_u32_e32 v22, v22, v23
	ds_bpermute_b32 v23, v48, v22
	s_waitcnt lgkmcnt(0)
	v_cndmask_b32_e32 v20, 0, v23, vcc_lo
	v_dual_mov_b32 v22, 0 :: v_dual_add_nc_u32 v23, v22, v20
	s_branch .LBB442_110
.LBB442_109:                            ;   in Loop: Header=BB442_110 Depth=1
	s_or_b32 exec_lo, exec_lo, s19
	ds_bpermute_b32 v26, v31, v23
	v_and_b32_e32 v25, 0xff, v24
	v_subrev_nc_u32_e32 v21, 32, v21
	s_delay_alu instid0(VALU_DEP_2) | instskip(SKIP_1) | instid1(VALU_DEP_1)
	v_cmp_eq_u16_e32 vcc_lo, 2, v25
	v_and_or_b32 v25, vcc_lo, v33, 0x80000000
	v_ctz_i32_b32_e32 v25, v25
	s_delay_alu instid0(VALU_DEP_1) | instskip(SKIP_3) | instid1(VALU_DEP_2)
	v_cmp_lt_u32_e32 vcc_lo, v41, v25
	s_waitcnt lgkmcnt(0)
	v_cndmask_b32_e32 v26, 0, v26, vcc_lo
	v_cmp_le_u32_e32 vcc_lo, v37, v25
	v_add_nc_u32_e32 v23, v26, v23
	ds_bpermute_b32 v26, v35, v23
	s_waitcnt lgkmcnt(0)
	v_cndmask_b32_e32 v26, 0, v26, vcc_lo
	v_cmp_le_u32_e32 vcc_lo, v45, v25
	s_delay_alu instid0(VALU_DEP_2) | instskip(SKIP_4) | instid1(VALU_DEP_2)
	v_add_nc_u32_e32 v23, v23, v26
	ds_bpermute_b32 v26, v44, v23
	s_waitcnt lgkmcnt(0)
	v_cndmask_b32_e32 v26, 0, v26, vcc_lo
	v_cmp_le_u32_e32 vcc_lo, v47, v25
	v_add_nc_u32_e32 v23, v23, v26
	ds_bpermute_b32 v26, v46, v23
	s_waitcnt lgkmcnt(0)
	v_cndmask_b32_e32 v26, 0, v26, vcc_lo
	v_cmp_le_u32_e32 vcc_lo, v49, v25
	s_delay_alu instid0(VALU_DEP_2) | instskip(SKIP_3) | instid1(VALU_DEP_1)
	v_add_nc_u32_e32 v23, v23, v26
	ds_bpermute_b32 v26, v48, v23
	s_waitcnt lgkmcnt(0)
	v_cndmask_b32_e32 v25, 0, v26, vcc_lo
	v_add3_u32 v23, v25, v20, v23
.LBB442_110:                            ; =>This Loop Header: Depth=1
                                        ;     Child Loop BB442_113 Depth 2
	v_and_b32_e32 v20, 0xff, v24
	s_delay_alu instid0(VALU_DEP_1) | instskip(SKIP_2) | instid1(VALU_DEP_1)
	v_cmp_ne_u16_e32 vcc_lo, 2, v20
	v_cndmask_b32_e64 v20, 0, 1, vcc_lo
	;;#ASMSTART
	;;#ASMEND
	v_cmp_ne_u32_e32 vcc_lo, 0, v20
	v_mov_b32_e32 v20, v23
	s_cmp_lg_u32 vcc_lo, exec_lo
	s_cbranch_scc1 .LBB442_115
; %bb.111:                              ;   in Loop: Header=BB442_110 Depth=1
	v_lshlrev_b64 v[23:24], 3, v[21:22]
	s_mov_b32 s19, exec_lo
	s_delay_alu instid0(VALU_DEP_1) | instskip(NEXT) | instid1(VALU_DEP_2)
	v_add_co_u32 v25, vcc_lo, s12, v23
	v_add_co_ci_u32_e32 v26, vcc_lo, s13, v24, vcc_lo
	global_load_b64 v[23:24], v[25:26], off glc
	s_waitcnt vmcnt(0)
	v_and_b32_e32 v50, 0xff, v24
	s_delay_alu instid0(VALU_DEP_1)
	v_cmpx_eq_u16_e32 0, v50
	s_cbranch_execz .LBB442_109
; %bb.112:                              ;   in Loop: Header=BB442_110 Depth=1
	s_mov_b32 s20, 0
.LBB442_113:                            ;   Parent Loop BB442_110 Depth=1
                                        ; =>  This Inner Loop Header: Depth=2
	global_load_b64 v[23:24], v[25:26], off glc
	s_waitcnt vmcnt(0)
	v_and_b32_e32 v50, 0xff, v24
	s_delay_alu instid0(VALU_DEP_1) | instskip(SKIP_1) | instid1(SALU_CYCLE_1)
	v_cmp_ne_u16_e32 vcc_lo, 0, v50
	s_or_b32 s20, vcc_lo, s20
	s_and_not1_b32 exec_lo, exec_lo, s20
	s_cbranch_execnz .LBB442_113
; %bb.114:                              ;   in Loop: Header=BB442_110 Depth=1
	s_or_b32 exec_lo, exec_lo, s20
	s_branch .LBB442_109
.LBB442_115:                            ;   in Loop: Header=BB442_110 Depth=1
                                        ; implicit-def: $vgpr23
                                        ; implicit-def: $vgpr24
	s_cbranch_execz .LBB442_110
; %bb.116:
	s_and_saveexec_b32 s19, s8
	s_cbranch_execz .LBB442_118
; %bb.117:
	s_add_i32 s20, s15, 32
	s_mov_b32 s21, 0
	v_dual_mov_b32 v22, 2 :: v_dual_add_nc_u32 v21, v20, v19
	s_lshl_b64 s[20:21], s[20:21], 3
	v_mov_b32_e32 v23, 0
	s_add_u32 s20, s12, s20
	s_addc_u32 s21, s13, s21
	global_store_b64 v23, v[21:22], s[20:21]
	ds_store_b64 v23, v[19:20] offset:12672
.LBB442_118:
	s_or_b32 exec_lo, exec_lo, s19
	v_cmp_eq_u32_e32 vcc_lo, 0, v0
	s_and_b32 exec_lo, exec_lo, vcc_lo
	s_cbranch_execz .LBB442_120
; %bb.119:
	v_mov_b32_e32 v19, 0
	ds_store_b32 v19, v20 offset:44
.LBB442_120:
	s_or_b32 exec_lo, exec_lo, s9
	v_mov_b32_e32 v19, 0
	s_waitcnt lgkmcnt(0)
	s_waitcnt_vscnt null, 0x0
	s_barrier
	buffer_gl0_inv
	v_cndmask_b32_e64 v21, v29, v27, s8
	ds_load_b32 v20, v19 offset:44
	v_cmp_ne_u32_e32 vcc_lo, 0, v0
	s_waitcnt lgkmcnt(0)
	s_barrier
	buffer_gl0_inv
	v_cndmask_b32_e32 v21, 0, v21, vcc_lo
	s_delay_alu instid0(VALU_DEP_1) | instskip(SKIP_2) | instid1(VALU_DEP_1)
	v_add_nc_u32_e32 v37, v20, v21
	ds_load_b64 v[19:20], v19 offset:12672
	v_add_nc_u32_e32 v35, v37, v28
	v_add_nc_u32_e32 v33, v35, v30
	s_delay_alu instid0(VALU_DEP_1) | instskip(NEXT) | instid1(VALU_DEP_1)
	v_add_nc_u32_e32 v31, v33, v32
	v_add_nc_u32_e32 v29, v31, v34
	s_delay_alu instid0(VALU_DEP_1) | instskip(NEXT) | instid1(VALU_DEP_1)
	v_add_nc_u32_e32 v27, v29, v36
	v_add_nc_u32_e32 v25, v27, v38
	s_delay_alu instid0(VALU_DEP_1)
	v_add_nc_u32_e32 v23, v25, v40
	v_lshrrev_b64 v[21:22], 24, v[17:18]
	s_branch .LBB442_131
.LBB442_121:
                                        ; implicit-def: $vgpr23
                                        ; implicit-def: $vgpr25
                                        ; implicit-def: $vgpr27
                                        ; implicit-def: $vgpr29
                                        ; implicit-def: $vgpr31
                                        ; implicit-def: $vgpr33
                                        ; implicit-def: $vgpr35
                                        ; implicit-def: $vgpr37
                                        ; implicit-def: $vgpr20
	v_lshrrev_b64 v[21:22], 24, v[17:18]
	s_and_b32 vcc_lo, exec_lo, s8
	s_cbranch_vccz .LBB442_131
; %bb.122:
	s_waitcnt lgkmcnt(0)
	v_mov_b32_dpp v19, v43 row_shr:1 row_mask:0xf bank_mask:0xf
	s_delay_alu instid0(VALU_DEP_1) | instskip(NEXT) | instid1(VALU_DEP_1)
	v_cndmask_b32_e64 v19, v19, 0, s4
	v_add_nc_u32_e32 v19, v19, v43
	s_delay_alu instid0(VALU_DEP_1) | instskip(NEXT) | instid1(VALU_DEP_1)
	v_mov_b32_dpp v20, v19 row_shr:2 row_mask:0xf bank_mask:0xf
	v_cndmask_b32_e64 v20, 0, v20, s5
	s_delay_alu instid0(VALU_DEP_1) | instskip(NEXT) | instid1(VALU_DEP_1)
	v_add_nc_u32_e32 v19, v19, v20
	v_mov_b32_dpp v20, v19 row_shr:4 row_mask:0xf bank_mask:0xf
	s_delay_alu instid0(VALU_DEP_1) | instskip(NEXT) | instid1(VALU_DEP_1)
	v_cndmask_b32_e64 v20, 0, v20, s3
	v_add_nc_u32_e32 v19, v19, v20
	s_delay_alu instid0(VALU_DEP_1) | instskip(NEXT) | instid1(VALU_DEP_1)
	v_mov_b32_dpp v20, v19 row_shr:8 row_mask:0xf bank_mask:0xf
	v_cndmask_b32_e64 v20, 0, v20, s2
	s_delay_alu instid0(VALU_DEP_1) | instskip(SKIP_3) | instid1(VALU_DEP_1)
	v_add_nc_u32_e32 v19, v19, v20
	ds_swizzle_b32 v20, v19 offset:swizzle(BROADCAST,32,15)
	s_waitcnt lgkmcnt(0)
	v_cndmask_b32_e64 v20, v20, 0, s7
	v_add_nc_u32_e32 v19, v19, v20
	s_and_saveexec_b32 s7, s6
	s_cbranch_execz .LBB442_124
; %bb.123:
	v_lshlrev_b32_e32 v20, 2, v42
	ds_store_b32 v20, v19
.LBB442_124:
	s_or_b32 exec_lo, exec_lo, s7
	s_delay_alu instid0(SALU_CYCLE_1)
	s_mov_b32 s6, exec_lo
	s_waitcnt lgkmcnt(0)
	s_barrier
	buffer_gl0_inv
	v_cmpx_gt_u32_e32 12, v0
	s_cbranch_execz .LBB442_126
; %bb.125:
	v_lshlrev_b32_e32 v20, 2, v0
	ds_load_b32 v22, v20
	s_waitcnt lgkmcnt(0)
	v_mov_b32_dpp v23, v22 row_shr:1 row_mask:0xf bank_mask:0xf
	s_delay_alu instid0(VALU_DEP_1) | instskip(NEXT) | instid1(VALU_DEP_1)
	v_cndmask_b32_e64 v23, v23, 0, s4
	v_add_nc_u32_e32 v22, v23, v22
	s_delay_alu instid0(VALU_DEP_1) | instskip(NEXT) | instid1(VALU_DEP_1)
	v_mov_b32_dpp v23, v22 row_shr:2 row_mask:0xf bank_mask:0xf
	v_cndmask_b32_e64 v23, 0, v23, s5
	s_delay_alu instid0(VALU_DEP_1) | instskip(NEXT) | instid1(VALU_DEP_1)
	v_add_nc_u32_e32 v22, v22, v23
	v_mov_b32_dpp v23, v22 row_shr:4 row_mask:0xf bank_mask:0xf
	s_delay_alu instid0(VALU_DEP_1) | instskip(NEXT) | instid1(VALU_DEP_1)
	v_cndmask_b32_e64 v23, 0, v23, s3
	v_add_nc_u32_e32 v22, v22, v23
	s_delay_alu instid0(VALU_DEP_1) | instskip(NEXT) | instid1(VALU_DEP_1)
	v_mov_b32_dpp v23, v22 row_shr:8 row_mask:0xf bank_mask:0xf
	v_cndmask_b32_e64 v23, 0, v23, s2
	s_delay_alu instid0(VALU_DEP_1)
	v_add_nc_u32_e32 v22, v22, v23
	ds_store_b32 v20, v22
.LBB442_126:
	s_or_b32 exec_lo, exec_lo, s6
	v_mov_b32_e32 v20, 0
	v_mov_b32_e32 v22, 0
	s_mov_b32 s2, exec_lo
	s_waitcnt lgkmcnt(0)
	s_barrier
	buffer_gl0_inv
	v_cmpx_lt_u32_e32 31, v0
	s_cbranch_execz .LBB442_128
; %bb.127:
	v_lshl_add_u32 v22, v42, 2, -4
	ds_load_b32 v22, v22
.LBB442_128:
	s_or_b32 exec_lo, exec_lo, s2
	v_add_nc_u32_e32 v23, -1, v41
	s_waitcnt lgkmcnt(0)
	v_add_nc_u32_e32 v19, v22, v19
	s_delay_alu instid0(VALU_DEP_2) | instskip(SKIP_2) | instid1(VALU_DEP_2)
	v_cmp_gt_i32_e32 vcc_lo, 0, v23
	v_cndmask_b32_e32 v23, v23, v41, vcc_lo
	v_cmp_eq_u32_e32 vcc_lo, 0, v0
	v_lshlrev_b32_e32 v23, 2, v23
	ds_bpermute_b32 v23, v23, v19
	ds_load_b32 v19, v20 offset:44
	s_and_saveexec_b32 s2, vcc_lo
	s_cbranch_execz .LBB442_130
; %bb.129:
	v_mov_b32_e32 v24, 0
	v_mov_b32_e32 v20, 2
	s_waitcnt lgkmcnt(0)
	global_store_b64 v24, v[19:20], s[12:13] offset:256
.LBB442_130:
	s_or_b32 exec_lo, exec_lo, s2
	v_cmp_eq_u32_e64 s2, 0, v41
	s_waitcnt lgkmcnt(0)
	s_waitcnt_vscnt null, 0x0
	s_barrier
	buffer_gl0_inv
	v_cndmask_b32_e64 v20, v23, v22, s2
	s_delay_alu instid0(VALU_DEP_1) | instskip(NEXT) | instid1(VALU_DEP_1)
	v_cndmask_b32_e64 v37, v20, 0, vcc_lo
	v_dual_mov_b32 v20, 0 :: v_dual_add_nc_u32 v35, v37, v28
	s_delay_alu instid0(VALU_DEP_1) | instskip(NEXT) | instid1(VALU_DEP_1)
	v_add_nc_u32_e32 v33, v35, v30
	v_add_nc_u32_e32 v31, v33, v32
	s_delay_alu instid0(VALU_DEP_1) | instskip(NEXT) | instid1(VALU_DEP_1)
	v_add_nc_u32_e32 v29, v31, v34
	v_add_nc_u32_e32 v27, v29, v36
	;; [unrolled: 3-line block ×3, first 2 shown]
.LBB442_131:
	s_load_b128 s[4:7], s[0:1], 0x28
	s_waitcnt lgkmcnt(0)
	v_add_nc_u32_e32 v43, v20, v19
	v_cmp_gt_u32_e64 s0, 0x181, v19
	v_lshrrev_b32_e32 v42, 8, v17
	v_lshrrev_b32_e32 v41, 16, v17
	v_lshrrev_b32_e32 v40, 8, v18
	v_lshrrev_b32_e32 v22, 16, v18
	v_cmp_lt_u32_e64 s1, v37, v43
	s_and_b32 vcc_lo, exec_lo, s0
	s_mov_b32 s2, -1
	s_cbranch_vccz .LBB442_157
; %bb.132:
	s_lshl_b64 s[2:3], s[10:11], 2
	s_delay_alu instid0(SALU_CYCLE_1) | instskip(SKIP_2) | instid1(SALU_CYCLE_1)
	s_add_u32 s2, s4, s2
	s_addc_u32 s3, s5, s3
	s_or_b32 s8, s18, s1
	s_and_saveexec_b32 s1, s8
	s_cbranch_execz .LBB442_135
; %bb.133:
	v_and_b32_e32 v24, 1, v17
	s_delay_alu instid0(VALU_DEP_1)
	v_cmp_eq_u32_e32 vcc_lo, 1, v24
	s_and_b32 exec_lo, exec_lo, vcc_lo
	s_cbranch_execz .LBB442_135
; %bb.134:
	v_mov_b32_e32 v38, 0
	s_delay_alu instid0(VALU_DEP_1) | instskip(NEXT) | instid1(VALU_DEP_1)
	v_lshlrev_b64 v[44:45], 2, v[37:38]
	v_add_co_u32 v44, vcc_lo, s2, v44
	s_delay_alu instid0(VALU_DEP_2)
	v_add_co_ci_u32_e32 v45, vcc_lo, s3, v45, vcc_lo
	global_store_b32 v[44:45], v15, off
.LBB442_135:
	s_or_b32 exec_lo, exec_lo, s1
	v_cmp_lt_u32_e32 vcc_lo, v35, v43
	s_or_b32 s8, s18, vcc_lo
	s_delay_alu instid0(SALU_CYCLE_1)
	s_and_saveexec_b32 s1, s8
	s_cbranch_execz .LBB442_138
; %bb.136:
	v_and_b32_e32 v24, 1, v42
	s_delay_alu instid0(VALU_DEP_1)
	v_cmp_eq_u32_e32 vcc_lo, 1, v24
	s_and_b32 exec_lo, exec_lo, vcc_lo
	s_cbranch_execz .LBB442_138
; %bb.137:
	v_mov_b32_e32 v36, 0
	s_delay_alu instid0(VALU_DEP_1) | instskip(NEXT) | instid1(VALU_DEP_1)
	v_lshlrev_b64 v[44:45], 2, v[35:36]
	v_add_co_u32 v44, vcc_lo, s2, v44
	s_delay_alu instid0(VALU_DEP_2)
	v_add_co_ci_u32_e32 v45, vcc_lo, s3, v45, vcc_lo
	global_store_b32 v[44:45], v16, off
.LBB442_138:
	s_or_b32 exec_lo, exec_lo, s1
	v_cmp_lt_u32_e32 vcc_lo, v33, v43
	s_or_b32 s8, s18, vcc_lo
	s_delay_alu instid0(SALU_CYCLE_1)
	;; [unrolled: 21-line block ×7, first 2 shown]
	s_and_saveexec_b32 s1, s8
	s_cbranch_execz .LBB442_156
; %bb.154:
	v_and_b32_e32 v24, 1, v39
	s_delay_alu instid0(VALU_DEP_1)
	v_cmp_eq_u32_e32 vcc_lo, 1, v24
	s_and_b32 exec_lo, exec_lo, vcc_lo
	s_cbranch_execz .LBB442_156
; %bb.155:
	v_mov_b32_e32 v24, 0
	s_delay_alu instid0(VALU_DEP_1) | instskip(NEXT) | instid1(VALU_DEP_1)
	v_lshlrev_b64 v[44:45], 2, v[23:24]
	v_add_co_u32 v44, vcc_lo, s2, v44
	s_delay_alu instid0(VALU_DEP_2)
	v_add_co_ci_u32_e32 v45, vcc_lo, s3, v45, vcc_lo
	global_store_b32 v[44:45], v10, off
.LBB442_156:
	s_or_b32 exec_lo, exec_lo, s1
	s_mov_b32 s2, 0
.LBB442_157:
	v_and_b32_e32 v17, 1, v17
	s_and_b32 vcc_lo, exec_lo, s2
	s_delay_alu instid0(VALU_DEP_1)
	v_cmp_eq_u32_e64 s1, 1, v17
	s_cbranch_vccz .LBB442_178
; %bb.158:
	s_delay_alu instid0(VALU_DEP_1)
	s_and_saveexec_b32 s2, s1
	s_cbranch_execz .LBB442_160
; %bb.159:
	v_sub_nc_u32_e32 v24, v37, v20
	s_delay_alu instid0(VALU_DEP_1)
	v_lshlrev_b32_e32 v24, 2, v24
	ds_store_b32 v24, v15
.LBB442_160:
	s_or_b32 exec_lo, exec_lo, s2
	v_and_b32_e32 v15, 1, v42
	s_mov_b32 s1, exec_lo
	s_delay_alu instid0(VALU_DEP_1)
	v_cmpx_eq_u32_e32 1, v15
	s_cbranch_execz .LBB442_162
; %bb.161:
	v_sub_nc_u32_e32 v15, v35, v20
	s_delay_alu instid0(VALU_DEP_1)
	v_lshlrev_b32_e32 v15, 2, v15
	ds_store_b32 v15, v16
.LBB442_162:
	s_or_b32 exec_lo, exec_lo, s1
	v_and_b32_e32 v15, 1, v41
	s_mov_b32 s1, exec_lo
	s_delay_alu instid0(VALU_DEP_1)
	v_cmpx_eq_u32_e32 1, v15
	;; [unrolled: 12-line block ×7, first 2 shown]
	s_cbranch_execz .LBB442_174
; %bb.173:
	v_sub_nc_u32_e32 v9, v23, v20
	s_delay_alu instid0(VALU_DEP_1)
	v_lshlrev_b32_e32 v9, 2, v9
	ds_store_b32 v9, v10
.LBB442_174:
	s_or_b32 exec_lo, exec_lo, s1
	s_delay_alu instid0(SALU_CYCLE_1)
	s_mov_b32 s2, exec_lo
	s_waitcnt lgkmcnt(0)
	s_waitcnt_vscnt null, 0x0
	s_barrier
	buffer_gl0_inv
	v_cmpx_lt_u32_e64 v0, v19
	s_cbranch_execz .LBB442_177
; %bb.175:
	v_dual_mov_b32 v10, 0 :: v_dual_mov_b32 v9, v20
	s_lshl_b64 s[8:9], s[10:11], 2
	v_lshlrev_b32_e32 v11, 2, v0
	s_add_u32 s1, s4, s8
	s_addc_u32 s3, s5, s9
	v_lshlrev_b64 v[12:13], 2, v[9:10]
	v_mov_b32_e32 v9, v0
	s_delay_alu instid0(VALU_DEP_2) | instskip(NEXT) | instid1(VALU_DEP_3)
	v_add_co_u32 v12, vcc_lo, s1, v12
	v_add_co_ci_u32_e32 v13, vcc_lo, s3, v13, vcc_lo
	s_mov_b32 s3, 0
	.p2align	6
.LBB442_176:                            ; =>This Inner Loop Header: Depth=1
	ds_load_b32 v16, v11
	v_lshlrev_b64 v[14:15], 2, v[9:10]
	v_add_nc_u32_e32 v9, 0x180, v9
	v_add_nc_u32_e32 v11, 0x600, v11
	s_delay_alu instid0(VALU_DEP_2) | instskip(NEXT) | instid1(VALU_DEP_4)
	v_cmp_ge_u32_e32 vcc_lo, v9, v19
	v_add_co_u32 v14, s1, v12, v14
	s_delay_alu instid0(VALU_DEP_1)
	v_add_co_ci_u32_e64 v15, s1, v13, v15, s1
	s_or_b32 s3, vcc_lo, s3
	s_waitcnt lgkmcnt(0)
	global_store_b32 v[14:15], v16, off
	s_and_not1_b32 exec_lo, exec_lo, s3
	s_cbranch_execnz .LBB442_176
.LBB442_177:
	s_or_b32 exec_lo, exec_lo, s2
.LBB442_178:
	s_delay_alu instid0(SALU_CYCLE_1)
	s_and_b32 vcc_lo, exec_lo, s0
	s_mov_b32 s0, -1
	s_waitcnt_vscnt null, 0x0
	s_barrier
	buffer_gl0_inv
	s_cbranch_vccz .LBB442_206
; %bb.179:
	v_cmp_lt_u32_e32 vcc_lo, v37, v43
	s_lshl_b64 s[0:1], s[10:11], 2
	s_delay_alu instid0(SALU_CYCLE_1) | instskip(SKIP_2) | instid1(SALU_CYCLE_1)
	s_add_u32 s0, s6, s0
	s_addc_u32 s1, s7, s1
	s_or_b32 s3, s18, vcc_lo
	s_and_saveexec_b32 s2, s3
	s_cbranch_execz .LBB442_182
; %bb.180:
	v_cmp_eq_u32_e32 vcc_lo, 1, v17
	s_and_b32 exec_lo, exec_lo, vcc_lo
	s_cbranch_execz .LBB442_182
; %bb.181:
	v_mov_b32_e32 v38, 0
	s_delay_alu instid0(VALU_DEP_1) | instskip(NEXT) | instid1(VALU_DEP_1)
	v_lshlrev_b64 v[9:10], 2, v[37:38]
	v_add_co_u32 v9, vcc_lo, s0, v9
	s_delay_alu instid0(VALU_DEP_2)
	v_add_co_ci_u32_e32 v10, vcc_lo, s1, v10, vcc_lo
	global_store_b32 v[9:10], v7, off
.LBB442_182:
	s_or_b32 exec_lo, exec_lo, s2
	v_cmp_lt_u32_e32 vcc_lo, v35, v43
	s_or_b32 s3, s18, vcc_lo
	s_delay_alu instid0(SALU_CYCLE_1)
	s_and_saveexec_b32 s2, s3
	s_cbranch_execz .LBB442_185
; %bb.183:
	v_and_b32_e32 v9, 1, v42
	s_delay_alu instid0(VALU_DEP_1)
	v_cmp_eq_u32_e32 vcc_lo, 1, v9
	s_and_b32 exec_lo, exec_lo, vcc_lo
	s_cbranch_execz .LBB442_185
; %bb.184:
	v_mov_b32_e32 v36, 0
	s_delay_alu instid0(VALU_DEP_1) | instskip(NEXT) | instid1(VALU_DEP_1)
	v_lshlrev_b64 v[9:10], 2, v[35:36]
	v_add_co_u32 v9, vcc_lo, s0, v9
	s_delay_alu instid0(VALU_DEP_2)
	v_add_co_ci_u32_e32 v10, vcc_lo, s1, v10, vcc_lo
	global_store_b32 v[9:10], v8, off
.LBB442_185:
	s_or_b32 exec_lo, exec_lo, s2
	v_cmp_lt_u32_e32 vcc_lo, v33, v43
	s_or_b32 s3, s18, vcc_lo
	s_delay_alu instid0(SALU_CYCLE_1)
	s_and_saveexec_b32 s2, s3
	s_cbranch_execz .LBB442_188
; %bb.186:
	v_and_b32_e32 v9, 1, v41
	s_delay_alu instid0(VALU_DEP_1)
	v_cmp_eq_u32_e32 vcc_lo, 1, v9
	s_and_b32 exec_lo, exec_lo, vcc_lo
	s_cbranch_execz .LBB442_188
; %bb.187:
	v_mov_b32_e32 v34, 0
	s_delay_alu instid0(VALU_DEP_1) | instskip(NEXT) | instid1(VALU_DEP_1)
	v_lshlrev_b64 v[9:10], 2, v[33:34]
	v_add_co_u32 v9, vcc_lo, s0, v9
	s_delay_alu instid0(VALU_DEP_2)
	v_add_co_ci_u32_e32 v10, vcc_lo, s1, v10, vcc_lo
	global_store_b32 v[9:10], v5, off
.LBB442_188:
	;; [unrolled: 21-line block ×7, first 2 shown]
	s_or_b32 exec_lo, exec_lo, s2
.LBB442_204:
	v_cmp_eq_u32_e32 vcc_lo, 0, v0
	s_and_b32 s0, vcc_lo, s14
	s_delay_alu instid0(SALU_CYCLE_1)
	s_and_saveexec_b32 s1, s0
	s_cbranch_execz .LBB442_227
.LBB442_205:
	v_add_co_u32 v0, s0, s10, v19
	s_delay_alu instid0(VALU_DEP_1) | instskip(SKIP_1) | instid1(VALU_DEP_3)
	v_add_co_ci_u32_e64 v1, null, s11, 0, s0
	v_mov_b32_e32 v2, 0
	v_add_co_u32 v0, vcc_lo, v0, v20
	s_delay_alu instid0(VALU_DEP_3)
	v_add_co_ci_u32_e32 v1, vcc_lo, 0, v1, vcc_lo
	global_store_b64 v2, v[0:1], s[16:17]
	s_nop 0
	s_sendmsg sendmsg(MSG_DEALLOC_VGPRS)
	s_endpgm
.LBB442_206:
	s_and_b32 vcc_lo, exec_lo, s0
	s_cbranch_vccz .LBB442_204
; %bb.207:
	s_mov_b32 s0, exec_lo
	v_cmpx_eq_u32_e32 1, v17
	s_cbranch_execz .LBB442_209
; %bb.208:
	v_sub_nc_u32_e32 v9, v37, v20
	s_delay_alu instid0(VALU_DEP_1)
	v_lshlrev_b32_e32 v9, 2, v9
	ds_store_b32 v9, v7
.LBB442_209:
	s_or_b32 exec_lo, exec_lo, s0
	v_and_b32_e32 v7, 1, v42
	s_mov_b32 s0, exec_lo
	s_delay_alu instid0(VALU_DEP_1)
	v_cmpx_eq_u32_e32 1, v7
	s_cbranch_execz .LBB442_211
; %bb.210:
	v_sub_nc_u32_e32 v7, v35, v20
	s_delay_alu instid0(VALU_DEP_1)
	v_lshlrev_b32_e32 v7, 2, v7
	ds_store_b32 v7, v8
.LBB442_211:
	s_or_b32 exec_lo, exec_lo, s0
	v_and_b32_e32 v7, 1, v41
	s_mov_b32 s0, exec_lo
	s_delay_alu instid0(VALU_DEP_1)
	;; [unrolled: 12-line block ×7, first 2 shown]
	v_cmpx_eq_u32_e32 1, v1
	s_cbranch_execz .LBB442_223
; %bb.222:
	v_sub_nc_u32_e32 v1, v23, v20
	s_delay_alu instid0(VALU_DEP_1)
	v_lshlrev_b32_e32 v1, 2, v1
	ds_store_b32 v1, v2
.LBB442_223:
	s_or_b32 exec_lo, exec_lo, s0
	s_delay_alu instid0(SALU_CYCLE_1)
	s_mov_b32 s1, exec_lo
	s_waitcnt lgkmcnt(0)
	s_waitcnt_vscnt null, 0x0
	s_barrier
	buffer_gl0_inv
	v_cmpx_lt_u32_e64 v0, v19
	s_cbranch_execz .LBB442_226
; %bb.224:
	v_dual_mov_b32 v2, 0 :: v_dual_mov_b32 v1, v20
	s_lshl_b64 s[2:3], s[10:11], 2
	v_lshlrev_b32_e32 v3, 2, v0
	s_add_u32 s0, s6, s2
	s_addc_u32 s2, s7, s3
	v_lshlrev_b64 v[4:5], 2, v[1:2]
	v_mov_b32_e32 v1, v0
	s_delay_alu instid0(VALU_DEP_2) | instskip(NEXT) | instid1(VALU_DEP_3)
	v_add_co_u32 v4, vcc_lo, s0, v4
	v_add_co_ci_u32_e32 v5, vcc_lo, s2, v5, vcc_lo
	s_mov_b32 s2, 0
	.p2align	6
.LBB442_225:                            ; =>This Inner Loop Header: Depth=1
	ds_load_b32 v8, v3
	v_lshlrev_b64 v[6:7], 2, v[1:2]
	v_add_nc_u32_e32 v1, 0x180, v1
	v_add_nc_u32_e32 v3, 0x600, v3
	s_delay_alu instid0(VALU_DEP_2) | instskip(NEXT) | instid1(VALU_DEP_4)
	v_cmp_ge_u32_e32 vcc_lo, v1, v19
	v_add_co_u32 v6, s0, v4, v6
	s_delay_alu instid0(VALU_DEP_1)
	v_add_co_ci_u32_e64 v7, s0, v5, v7, s0
	s_or_b32 s2, vcc_lo, s2
	s_waitcnt lgkmcnt(0)
	global_store_b32 v[6:7], v8, off
	s_and_not1_b32 exec_lo, exec_lo, s2
	s_cbranch_execnz .LBB442_225
.LBB442_226:
	s_or_b32 exec_lo, exec_lo, s1
	v_cmp_eq_u32_e32 vcc_lo, 0, v0
	s_and_b32 s0, vcc_lo, s14
	s_delay_alu instid0(SALU_CYCLE_1)
	s_and_saveexec_b32 s1, s0
	s_cbranch_execnz .LBB442_205
.LBB442_227:
	s_nop 0
	s_sendmsg sendmsg(MSG_DEALLOC_VGPRS)
	s_endpgm
	.section	.rodata,"a",@progbits
	.p2align	6, 0x0
	.amdhsa_kernel _ZN7rocprim17ROCPRIM_400000_NS6detail17trampoline_kernelINS0_14default_configENS1_25partition_config_selectorILNS1_17partition_subalgoE9EiibEEZZNS1_14partition_implILS5_9ELb0ES3_jN6thrust23THRUST_200600_302600_NS6detail15normal_iteratorINS9_10device_ptrIiEEEESE_PNS0_10empty_typeENS0_5tupleIJSE_SF_EEENSH_IJSE_SG_EEENS0_18inequality_wrapperI22is_equal_div_10_uniqueIiEEEPmJSF_EEE10hipError_tPvRmT3_T4_T5_T6_T7_T9_mT8_P12ihipStream_tbDpT10_ENKUlT_T0_E_clISt17integral_constantIbLb0EES18_EEDaS13_S14_EUlS13_E_NS1_11comp_targetILNS1_3genE9ELNS1_11target_archE1100ELNS1_3gpuE3ELNS1_3repE0EEENS1_30default_config_static_selectorELNS0_4arch9wavefront6targetE0EEEvT1_
		.amdhsa_group_segment_fixed_size 12680
		.amdhsa_private_segment_fixed_size 0
		.amdhsa_kernarg_size 112
		.amdhsa_user_sgpr_count 15
		.amdhsa_user_sgpr_dispatch_ptr 0
		.amdhsa_user_sgpr_queue_ptr 0
		.amdhsa_user_sgpr_kernarg_segment_ptr 1
		.amdhsa_user_sgpr_dispatch_id 0
		.amdhsa_user_sgpr_private_segment_size 0
		.amdhsa_wavefront_size32 1
		.amdhsa_uses_dynamic_stack 0
		.amdhsa_enable_private_segment 0
		.amdhsa_system_sgpr_workgroup_id_x 1
		.amdhsa_system_sgpr_workgroup_id_y 0
		.amdhsa_system_sgpr_workgroup_id_z 0
		.amdhsa_system_sgpr_workgroup_info 0
		.amdhsa_system_vgpr_workitem_id 0
		.amdhsa_next_free_vgpr 51
		.amdhsa_next_free_sgpr 25
		.amdhsa_reserve_vcc 1
		.amdhsa_float_round_mode_32 0
		.amdhsa_float_round_mode_16_64 0
		.amdhsa_float_denorm_mode_32 3
		.amdhsa_float_denorm_mode_16_64 3
		.amdhsa_dx10_clamp 1
		.amdhsa_ieee_mode 1
		.amdhsa_fp16_overflow 0
		.amdhsa_workgroup_processor_mode 1
		.amdhsa_memory_ordered 1
		.amdhsa_forward_progress 0
		.amdhsa_shared_vgpr_count 0
		.amdhsa_exception_fp_ieee_invalid_op 0
		.amdhsa_exception_fp_denorm_src 0
		.amdhsa_exception_fp_ieee_div_zero 0
		.amdhsa_exception_fp_ieee_overflow 0
		.amdhsa_exception_fp_ieee_underflow 0
		.amdhsa_exception_fp_ieee_inexact 0
		.amdhsa_exception_int_div_zero 0
	.end_amdhsa_kernel
	.section	.text._ZN7rocprim17ROCPRIM_400000_NS6detail17trampoline_kernelINS0_14default_configENS1_25partition_config_selectorILNS1_17partition_subalgoE9EiibEEZZNS1_14partition_implILS5_9ELb0ES3_jN6thrust23THRUST_200600_302600_NS6detail15normal_iteratorINS9_10device_ptrIiEEEESE_PNS0_10empty_typeENS0_5tupleIJSE_SF_EEENSH_IJSE_SG_EEENS0_18inequality_wrapperI22is_equal_div_10_uniqueIiEEEPmJSF_EEE10hipError_tPvRmT3_T4_T5_T6_T7_T9_mT8_P12ihipStream_tbDpT10_ENKUlT_T0_E_clISt17integral_constantIbLb0EES18_EEDaS13_S14_EUlS13_E_NS1_11comp_targetILNS1_3genE9ELNS1_11target_archE1100ELNS1_3gpuE3ELNS1_3repE0EEENS1_30default_config_static_selectorELNS0_4arch9wavefront6targetE0EEEvT1_,"axG",@progbits,_ZN7rocprim17ROCPRIM_400000_NS6detail17trampoline_kernelINS0_14default_configENS1_25partition_config_selectorILNS1_17partition_subalgoE9EiibEEZZNS1_14partition_implILS5_9ELb0ES3_jN6thrust23THRUST_200600_302600_NS6detail15normal_iteratorINS9_10device_ptrIiEEEESE_PNS0_10empty_typeENS0_5tupleIJSE_SF_EEENSH_IJSE_SG_EEENS0_18inequality_wrapperI22is_equal_div_10_uniqueIiEEEPmJSF_EEE10hipError_tPvRmT3_T4_T5_T6_T7_T9_mT8_P12ihipStream_tbDpT10_ENKUlT_T0_E_clISt17integral_constantIbLb0EES18_EEDaS13_S14_EUlS13_E_NS1_11comp_targetILNS1_3genE9ELNS1_11target_archE1100ELNS1_3gpuE3ELNS1_3repE0EEENS1_30default_config_static_selectorELNS0_4arch9wavefront6targetE0EEEvT1_,comdat
.Lfunc_end442:
	.size	_ZN7rocprim17ROCPRIM_400000_NS6detail17trampoline_kernelINS0_14default_configENS1_25partition_config_selectorILNS1_17partition_subalgoE9EiibEEZZNS1_14partition_implILS5_9ELb0ES3_jN6thrust23THRUST_200600_302600_NS6detail15normal_iteratorINS9_10device_ptrIiEEEESE_PNS0_10empty_typeENS0_5tupleIJSE_SF_EEENSH_IJSE_SG_EEENS0_18inequality_wrapperI22is_equal_div_10_uniqueIiEEEPmJSF_EEE10hipError_tPvRmT3_T4_T5_T6_T7_T9_mT8_P12ihipStream_tbDpT10_ENKUlT_T0_E_clISt17integral_constantIbLb0EES18_EEDaS13_S14_EUlS13_E_NS1_11comp_targetILNS1_3genE9ELNS1_11target_archE1100ELNS1_3gpuE3ELNS1_3repE0EEENS1_30default_config_static_selectorELNS0_4arch9wavefront6targetE0EEEvT1_, .Lfunc_end442-_ZN7rocprim17ROCPRIM_400000_NS6detail17trampoline_kernelINS0_14default_configENS1_25partition_config_selectorILNS1_17partition_subalgoE9EiibEEZZNS1_14partition_implILS5_9ELb0ES3_jN6thrust23THRUST_200600_302600_NS6detail15normal_iteratorINS9_10device_ptrIiEEEESE_PNS0_10empty_typeENS0_5tupleIJSE_SF_EEENSH_IJSE_SG_EEENS0_18inequality_wrapperI22is_equal_div_10_uniqueIiEEEPmJSF_EEE10hipError_tPvRmT3_T4_T5_T6_T7_T9_mT8_P12ihipStream_tbDpT10_ENKUlT_T0_E_clISt17integral_constantIbLb0EES18_EEDaS13_S14_EUlS13_E_NS1_11comp_targetILNS1_3genE9ELNS1_11target_archE1100ELNS1_3gpuE3ELNS1_3repE0EEENS1_30default_config_static_selectorELNS0_4arch9wavefront6targetE0EEEvT1_
                                        ; -- End function
	.section	.AMDGPU.csdata,"",@progbits
; Kernel info:
; codeLenInByte = 10644
; NumSgprs: 27
; NumVgprs: 51
; ScratchSize: 0
; MemoryBound: 0
; FloatMode: 240
; IeeeMode: 1
; LDSByteSize: 12680 bytes/workgroup (compile time only)
; SGPRBlocks: 3
; VGPRBlocks: 6
; NumSGPRsForWavesPerEU: 27
; NumVGPRsForWavesPerEU: 51
; Occupancy: 15
; WaveLimiterHint : 1
; COMPUTE_PGM_RSRC2:SCRATCH_EN: 0
; COMPUTE_PGM_RSRC2:USER_SGPR: 15
; COMPUTE_PGM_RSRC2:TRAP_HANDLER: 0
; COMPUTE_PGM_RSRC2:TGID_X_EN: 1
; COMPUTE_PGM_RSRC2:TGID_Y_EN: 0
; COMPUTE_PGM_RSRC2:TGID_Z_EN: 0
; COMPUTE_PGM_RSRC2:TIDIG_COMP_CNT: 0
	.section	.text._ZN7rocprim17ROCPRIM_400000_NS6detail17trampoline_kernelINS0_14default_configENS1_25partition_config_selectorILNS1_17partition_subalgoE9EiibEEZZNS1_14partition_implILS5_9ELb0ES3_jN6thrust23THRUST_200600_302600_NS6detail15normal_iteratorINS9_10device_ptrIiEEEESE_PNS0_10empty_typeENS0_5tupleIJSE_SF_EEENSH_IJSE_SG_EEENS0_18inequality_wrapperI22is_equal_div_10_uniqueIiEEEPmJSF_EEE10hipError_tPvRmT3_T4_T5_T6_T7_T9_mT8_P12ihipStream_tbDpT10_ENKUlT_T0_E_clISt17integral_constantIbLb0EES18_EEDaS13_S14_EUlS13_E_NS1_11comp_targetILNS1_3genE8ELNS1_11target_archE1030ELNS1_3gpuE2ELNS1_3repE0EEENS1_30default_config_static_selectorELNS0_4arch9wavefront6targetE0EEEvT1_,"axG",@progbits,_ZN7rocprim17ROCPRIM_400000_NS6detail17trampoline_kernelINS0_14default_configENS1_25partition_config_selectorILNS1_17partition_subalgoE9EiibEEZZNS1_14partition_implILS5_9ELb0ES3_jN6thrust23THRUST_200600_302600_NS6detail15normal_iteratorINS9_10device_ptrIiEEEESE_PNS0_10empty_typeENS0_5tupleIJSE_SF_EEENSH_IJSE_SG_EEENS0_18inequality_wrapperI22is_equal_div_10_uniqueIiEEEPmJSF_EEE10hipError_tPvRmT3_T4_T5_T6_T7_T9_mT8_P12ihipStream_tbDpT10_ENKUlT_T0_E_clISt17integral_constantIbLb0EES18_EEDaS13_S14_EUlS13_E_NS1_11comp_targetILNS1_3genE8ELNS1_11target_archE1030ELNS1_3gpuE2ELNS1_3repE0EEENS1_30default_config_static_selectorELNS0_4arch9wavefront6targetE0EEEvT1_,comdat
	.protected	_ZN7rocprim17ROCPRIM_400000_NS6detail17trampoline_kernelINS0_14default_configENS1_25partition_config_selectorILNS1_17partition_subalgoE9EiibEEZZNS1_14partition_implILS5_9ELb0ES3_jN6thrust23THRUST_200600_302600_NS6detail15normal_iteratorINS9_10device_ptrIiEEEESE_PNS0_10empty_typeENS0_5tupleIJSE_SF_EEENSH_IJSE_SG_EEENS0_18inequality_wrapperI22is_equal_div_10_uniqueIiEEEPmJSF_EEE10hipError_tPvRmT3_T4_T5_T6_T7_T9_mT8_P12ihipStream_tbDpT10_ENKUlT_T0_E_clISt17integral_constantIbLb0EES18_EEDaS13_S14_EUlS13_E_NS1_11comp_targetILNS1_3genE8ELNS1_11target_archE1030ELNS1_3gpuE2ELNS1_3repE0EEENS1_30default_config_static_selectorELNS0_4arch9wavefront6targetE0EEEvT1_ ; -- Begin function _ZN7rocprim17ROCPRIM_400000_NS6detail17trampoline_kernelINS0_14default_configENS1_25partition_config_selectorILNS1_17partition_subalgoE9EiibEEZZNS1_14partition_implILS5_9ELb0ES3_jN6thrust23THRUST_200600_302600_NS6detail15normal_iteratorINS9_10device_ptrIiEEEESE_PNS0_10empty_typeENS0_5tupleIJSE_SF_EEENSH_IJSE_SG_EEENS0_18inequality_wrapperI22is_equal_div_10_uniqueIiEEEPmJSF_EEE10hipError_tPvRmT3_T4_T5_T6_T7_T9_mT8_P12ihipStream_tbDpT10_ENKUlT_T0_E_clISt17integral_constantIbLb0EES18_EEDaS13_S14_EUlS13_E_NS1_11comp_targetILNS1_3genE8ELNS1_11target_archE1030ELNS1_3gpuE2ELNS1_3repE0EEENS1_30default_config_static_selectorELNS0_4arch9wavefront6targetE0EEEvT1_
	.globl	_ZN7rocprim17ROCPRIM_400000_NS6detail17trampoline_kernelINS0_14default_configENS1_25partition_config_selectorILNS1_17partition_subalgoE9EiibEEZZNS1_14partition_implILS5_9ELb0ES3_jN6thrust23THRUST_200600_302600_NS6detail15normal_iteratorINS9_10device_ptrIiEEEESE_PNS0_10empty_typeENS0_5tupleIJSE_SF_EEENSH_IJSE_SG_EEENS0_18inequality_wrapperI22is_equal_div_10_uniqueIiEEEPmJSF_EEE10hipError_tPvRmT3_T4_T5_T6_T7_T9_mT8_P12ihipStream_tbDpT10_ENKUlT_T0_E_clISt17integral_constantIbLb0EES18_EEDaS13_S14_EUlS13_E_NS1_11comp_targetILNS1_3genE8ELNS1_11target_archE1030ELNS1_3gpuE2ELNS1_3repE0EEENS1_30default_config_static_selectorELNS0_4arch9wavefront6targetE0EEEvT1_
	.p2align	8
	.type	_ZN7rocprim17ROCPRIM_400000_NS6detail17trampoline_kernelINS0_14default_configENS1_25partition_config_selectorILNS1_17partition_subalgoE9EiibEEZZNS1_14partition_implILS5_9ELb0ES3_jN6thrust23THRUST_200600_302600_NS6detail15normal_iteratorINS9_10device_ptrIiEEEESE_PNS0_10empty_typeENS0_5tupleIJSE_SF_EEENSH_IJSE_SG_EEENS0_18inequality_wrapperI22is_equal_div_10_uniqueIiEEEPmJSF_EEE10hipError_tPvRmT3_T4_T5_T6_T7_T9_mT8_P12ihipStream_tbDpT10_ENKUlT_T0_E_clISt17integral_constantIbLb0EES18_EEDaS13_S14_EUlS13_E_NS1_11comp_targetILNS1_3genE8ELNS1_11target_archE1030ELNS1_3gpuE2ELNS1_3repE0EEENS1_30default_config_static_selectorELNS0_4arch9wavefront6targetE0EEEvT1_,@function
_ZN7rocprim17ROCPRIM_400000_NS6detail17trampoline_kernelINS0_14default_configENS1_25partition_config_selectorILNS1_17partition_subalgoE9EiibEEZZNS1_14partition_implILS5_9ELb0ES3_jN6thrust23THRUST_200600_302600_NS6detail15normal_iteratorINS9_10device_ptrIiEEEESE_PNS0_10empty_typeENS0_5tupleIJSE_SF_EEENSH_IJSE_SG_EEENS0_18inequality_wrapperI22is_equal_div_10_uniqueIiEEEPmJSF_EEE10hipError_tPvRmT3_T4_T5_T6_T7_T9_mT8_P12ihipStream_tbDpT10_ENKUlT_T0_E_clISt17integral_constantIbLb0EES18_EEDaS13_S14_EUlS13_E_NS1_11comp_targetILNS1_3genE8ELNS1_11target_archE1030ELNS1_3gpuE2ELNS1_3repE0EEENS1_30default_config_static_selectorELNS0_4arch9wavefront6targetE0EEEvT1_: ; @_ZN7rocprim17ROCPRIM_400000_NS6detail17trampoline_kernelINS0_14default_configENS1_25partition_config_selectorILNS1_17partition_subalgoE9EiibEEZZNS1_14partition_implILS5_9ELb0ES3_jN6thrust23THRUST_200600_302600_NS6detail15normal_iteratorINS9_10device_ptrIiEEEESE_PNS0_10empty_typeENS0_5tupleIJSE_SF_EEENSH_IJSE_SG_EEENS0_18inequality_wrapperI22is_equal_div_10_uniqueIiEEEPmJSF_EEE10hipError_tPvRmT3_T4_T5_T6_T7_T9_mT8_P12ihipStream_tbDpT10_ENKUlT_T0_E_clISt17integral_constantIbLb0EES18_EEDaS13_S14_EUlS13_E_NS1_11comp_targetILNS1_3genE8ELNS1_11target_archE1030ELNS1_3gpuE2ELNS1_3repE0EEENS1_30default_config_static_selectorELNS0_4arch9wavefront6targetE0EEEvT1_
; %bb.0:
	.section	.rodata,"a",@progbits
	.p2align	6, 0x0
	.amdhsa_kernel _ZN7rocprim17ROCPRIM_400000_NS6detail17trampoline_kernelINS0_14default_configENS1_25partition_config_selectorILNS1_17partition_subalgoE9EiibEEZZNS1_14partition_implILS5_9ELb0ES3_jN6thrust23THRUST_200600_302600_NS6detail15normal_iteratorINS9_10device_ptrIiEEEESE_PNS0_10empty_typeENS0_5tupleIJSE_SF_EEENSH_IJSE_SG_EEENS0_18inequality_wrapperI22is_equal_div_10_uniqueIiEEEPmJSF_EEE10hipError_tPvRmT3_T4_T5_T6_T7_T9_mT8_P12ihipStream_tbDpT10_ENKUlT_T0_E_clISt17integral_constantIbLb0EES18_EEDaS13_S14_EUlS13_E_NS1_11comp_targetILNS1_3genE8ELNS1_11target_archE1030ELNS1_3gpuE2ELNS1_3repE0EEENS1_30default_config_static_selectorELNS0_4arch9wavefront6targetE0EEEvT1_
		.amdhsa_group_segment_fixed_size 0
		.amdhsa_private_segment_fixed_size 0
		.amdhsa_kernarg_size 112
		.amdhsa_user_sgpr_count 15
		.amdhsa_user_sgpr_dispatch_ptr 0
		.amdhsa_user_sgpr_queue_ptr 0
		.amdhsa_user_sgpr_kernarg_segment_ptr 1
		.amdhsa_user_sgpr_dispatch_id 0
		.amdhsa_user_sgpr_private_segment_size 0
		.amdhsa_wavefront_size32 1
		.amdhsa_uses_dynamic_stack 0
		.amdhsa_enable_private_segment 0
		.amdhsa_system_sgpr_workgroup_id_x 1
		.amdhsa_system_sgpr_workgroup_id_y 0
		.amdhsa_system_sgpr_workgroup_id_z 0
		.amdhsa_system_sgpr_workgroup_info 0
		.amdhsa_system_vgpr_workitem_id 0
		.amdhsa_next_free_vgpr 1
		.amdhsa_next_free_sgpr 1
		.amdhsa_reserve_vcc 0
		.amdhsa_float_round_mode_32 0
		.amdhsa_float_round_mode_16_64 0
		.amdhsa_float_denorm_mode_32 3
		.amdhsa_float_denorm_mode_16_64 3
		.amdhsa_dx10_clamp 1
		.amdhsa_ieee_mode 1
		.amdhsa_fp16_overflow 0
		.amdhsa_workgroup_processor_mode 1
		.amdhsa_memory_ordered 1
		.amdhsa_forward_progress 0
		.amdhsa_shared_vgpr_count 0
		.amdhsa_exception_fp_ieee_invalid_op 0
		.amdhsa_exception_fp_denorm_src 0
		.amdhsa_exception_fp_ieee_div_zero 0
		.amdhsa_exception_fp_ieee_overflow 0
		.amdhsa_exception_fp_ieee_underflow 0
		.amdhsa_exception_fp_ieee_inexact 0
		.amdhsa_exception_int_div_zero 0
	.end_amdhsa_kernel
	.section	.text._ZN7rocprim17ROCPRIM_400000_NS6detail17trampoline_kernelINS0_14default_configENS1_25partition_config_selectorILNS1_17partition_subalgoE9EiibEEZZNS1_14partition_implILS5_9ELb0ES3_jN6thrust23THRUST_200600_302600_NS6detail15normal_iteratorINS9_10device_ptrIiEEEESE_PNS0_10empty_typeENS0_5tupleIJSE_SF_EEENSH_IJSE_SG_EEENS0_18inequality_wrapperI22is_equal_div_10_uniqueIiEEEPmJSF_EEE10hipError_tPvRmT3_T4_T5_T6_T7_T9_mT8_P12ihipStream_tbDpT10_ENKUlT_T0_E_clISt17integral_constantIbLb0EES18_EEDaS13_S14_EUlS13_E_NS1_11comp_targetILNS1_3genE8ELNS1_11target_archE1030ELNS1_3gpuE2ELNS1_3repE0EEENS1_30default_config_static_selectorELNS0_4arch9wavefront6targetE0EEEvT1_,"axG",@progbits,_ZN7rocprim17ROCPRIM_400000_NS6detail17trampoline_kernelINS0_14default_configENS1_25partition_config_selectorILNS1_17partition_subalgoE9EiibEEZZNS1_14partition_implILS5_9ELb0ES3_jN6thrust23THRUST_200600_302600_NS6detail15normal_iteratorINS9_10device_ptrIiEEEESE_PNS0_10empty_typeENS0_5tupleIJSE_SF_EEENSH_IJSE_SG_EEENS0_18inequality_wrapperI22is_equal_div_10_uniqueIiEEEPmJSF_EEE10hipError_tPvRmT3_T4_T5_T6_T7_T9_mT8_P12ihipStream_tbDpT10_ENKUlT_T0_E_clISt17integral_constantIbLb0EES18_EEDaS13_S14_EUlS13_E_NS1_11comp_targetILNS1_3genE8ELNS1_11target_archE1030ELNS1_3gpuE2ELNS1_3repE0EEENS1_30default_config_static_selectorELNS0_4arch9wavefront6targetE0EEEvT1_,comdat
.Lfunc_end443:
	.size	_ZN7rocprim17ROCPRIM_400000_NS6detail17trampoline_kernelINS0_14default_configENS1_25partition_config_selectorILNS1_17partition_subalgoE9EiibEEZZNS1_14partition_implILS5_9ELb0ES3_jN6thrust23THRUST_200600_302600_NS6detail15normal_iteratorINS9_10device_ptrIiEEEESE_PNS0_10empty_typeENS0_5tupleIJSE_SF_EEENSH_IJSE_SG_EEENS0_18inequality_wrapperI22is_equal_div_10_uniqueIiEEEPmJSF_EEE10hipError_tPvRmT3_T4_T5_T6_T7_T9_mT8_P12ihipStream_tbDpT10_ENKUlT_T0_E_clISt17integral_constantIbLb0EES18_EEDaS13_S14_EUlS13_E_NS1_11comp_targetILNS1_3genE8ELNS1_11target_archE1030ELNS1_3gpuE2ELNS1_3repE0EEENS1_30default_config_static_selectorELNS0_4arch9wavefront6targetE0EEEvT1_, .Lfunc_end443-_ZN7rocprim17ROCPRIM_400000_NS6detail17trampoline_kernelINS0_14default_configENS1_25partition_config_selectorILNS1_17partition_subalgoE9EiibEEZZNS1_14partition_implILS5_9ELb0ES3_jN6thrust23THRUST_200600_302600_NS6detail15normal_iteratorINS9_10device_ptrIiEEEESE_PNS0_10empty_typeENS0_5tupleIJSE_SF_EEENSH_IJSE_SG_EEENS0_18inequality_wrapperI22is_equal_div_10_uniqueIiEEEPmJSF_EEE10hipError_tPvRmT3_T4_T5_T6_T7_T9_mT8_P12ihipStream_tbDpT10_ENKUlT_T0_E_clISt17integral_constantIbLb0EES18_EEDaS13_S14_EUlS13_E_NS1_11comp_targetILNS1_3genE8ELNS1_11target_archE1030ELNS1_3gpuE2ELNS1_3repE0EEENS1_30default_config_static_selectorELNS0_4arch9wavefront6targetE0EEEvT1_
                                        ; -- End function
	.section	.AMDGPU.csdata,"",@progbits
; Kernel info:
; codeLenInByte = 0
; NumSgprs: 0
; NumVgprs: 0
; ScratchSize: 0
; MemoryBound: 0
; FloatMode: 240
; IeeeMode: 1
; LDSByteSize: 0 bytes/workgroup (compile time only)
; SGPRBlocks: 0
; VGPRBlocks: 0
; NumSGPRsForWavesPerEU: 1
; NumVGPRsForWavesPerEU: 1
; Occupancy: 16
; WaveLimiterHint : 0
; COMPUTE_PGM_RSRC2:SCRATCH_EN: 0
; COMPUTE_PGM_RSRC2:USER_SGPR: 15
; COMPUTE_PGM_RSRC2:TRAP_HANDLER: 0
; COMPUTE_PGM_RSRC2:TGID_X_EN: 1
; COMPUTE_PGM_RSRC2:TGID_Y_EN: 0
; COMPUTE_PGM_RSRC2:TGID_Z_EN: 0
; COMPUTE_PGM_RSRC2:TIDIG_COMP_CNT: 0
	.section	.text._ZN7rocprim17ROCPRIM_400000_NS6detail17trampoline_kernelINS0_14default_configENS1_25partition_config_selectorILNS1_17partition_subalgoE9EiibEEZZNS1_14partition_implILS5_9ELb0ES3_jN6thrust23THRUST_200600_302600_NS6detail15normal_iteratorINS9_10device_ptrIiEEEESE_PNS0_10empty_typeENS0_5tupleIJSE_SF_EEENSH_IJSE_SG_EEENS0_18inequality_wrapperI22is_equal_div_10_uniqueIiEEEPmJSF_EEE10hipError_tPvRmT3_T4_T5_T6_T7_T9_mT8_P12ihipStream_tbDpT10_ENKUlT_T0_E_clISt17integral_constantIbLb1EES18_EEDaS13_S14_EUlS13_E_NS1_11comp_targetILNS1_3genE0ELNS1_11target_archE4294967295ELNS1_3gpuE0ELNS1_3repE0EEENS1_30default_config_static_selectorELNS0_4arch9wavefront6targetE0EEEvT1_,"axG",@progbits,_ZN7rocprim17ROCPRIM_400000_NS6detail17trampoline_kernelINS0_14default_configENS1_25partition_config_selectorILNS1_17partition_subalgoE9EiibEEZZNS1_14partition_implILS5_9ELb0ES3_jN6thrust23THRUST_200600_302600_NS6detail15normal_iteratorINS9_10device_ptrIiEEEESE_PNS0_10empty_typeENS0_5tupleIJSE_SF_EEENSH_IJSE_SG_EEENS0_18inequality_wrapperI22is_equal_div_10_uniqueIiEEEPmJSF_EEE10hipError_tPvRmT3_T4_T5_T6_T7_T9_mT8_P12ihipStream_tbDpT10_ENKUlT_T0_E_clISt17integral_constantIbLb1EES18_EEDaS13_S14_EUlS13_E_NS1_11comp_targetILNS1_3genE0ELNS1_11target_archE4294967295ELNS1_3gpuE0ELNS1_3repE0EEENS1_30default_config_static_selectorELNS0_4arch9wavefront6targetE0EEEvT1_,comdat
	.protected	_ZN7rocprim17ROCPRIM_400000_NS6detail17trampoline_kernelINS0_14default_configENS1_25partition_config_selectorILNS1_17partition_subalgoE9EiibEEZZNS1_14partition_implILS5_9ELb0ES3_jN6thrust23THRUST_200600_302600_NS6detail15normal_iteratorINS9_10device_ptrIiEEEESE_PNS0_10empty_typeENS0_5tupleIJSE_SF_EEENSH_IJSE_SG_EEENS0_18inequality_wrapperI22is_equal_div_10_uniqueIiEEEPmJSF_EEE10hipError_tPvRmT3_T4_T5_T6_T7_T9_mT8_P12ihipStream_tbDpT10_ENKUlT_T0_E_clISt17integral_constantIbLb1EES18_EEDaS13_S14_EUlS13_E_NS1_11comp_targetILNS1_3genE0ELNS1_11target_archE4294967295ELNS1_3gpuE0ELNS1_3repE0EEENS1_30default_config_static_selectorELNS0_4arch9wavefront6targetE0EEEvT1_ ; -- Begin function _ZN7rocprim17ROCPRIM_400000_NS6detail17trampoline_kernelINS0_14default_configENS1_25partition_config_selectorILNS1_17partition_subalgoE9EiibEEZZNS1_14partition_implILS5_9ELb0ES3_jN6thrust23THRUST_200600_302600_NS6detail15normal_iteratorINS9_10device_ptrIiEEEESE_PNS0_10empty_typeENS0_5tupleIJSE_SF_EEENSH_IJSE_SG_EEENS0_18inequality_wrapperI22is_equal_div_10_uniqueIiEEEPmJSF_EEE10hipError_tPvRmT3_T4_T5_T6_T7_T9_mT8_P12ihipStream_tbDpT10_ENKUlT_T0_E_clISt17integral_constantIbLb1EES18_EEDaS13_S14_EUlS13_E_NS1_11comp_targetILNS1_3genE0ELNS1_11target_archE4294967295ELNS1_3gpuE0ELNS1_3repE0EEENS1_30default_config_static_selectorELNS0_4arch9wavefront6targetE0EEEvT1_
	.globl	_ZN7rocprim17ROCPRIM_400000_NS6detail17trampoline_kernelINS0_14default_configENS1_25partition_config_selectorILNS1_17partition_subalgoE9EiibEEZZNS1_14partition_implILS5_9ELb0ES3_jN6thrust23THRUST_200600_302600_NS6detail15normal_iteratorINS9_10device_ptrIiEEEESE_PNS0_10empty_typeENS0_5tupleIJSE_SF_EEENSH_IJSE_SG_EEENS0_18inequality_wrapperI22is_equal_div_10_uniqueIiEEEPmJSF_EEE10hipError_tPvRmT3_T4_T5_T6_T7_T9_mT8_P12ihipStream_tbDpT10_ENKUlT_T0_E_clISt17integral_constantIbLb1EES18_EEDaS13_S14_EUlS13_E_NS1_11comp_targetILNS1_3genE0ELNS1_11target_archE4294967295ELNS1_3gpuE0ELNS1_3repE0EEENS1_30default_config_static_selectorELNS0_4arch9wavefront6targetE0EEEvT1_
	.p2align	8
	.type	_ZN7rocprim17ROCPRIM_400000_NS6detail17trampoline_kernelINS0_14default_configENS1_25partition_config_selectorILNS1_17partition_subalgoE9EiibEEZZNS1_14partition_implILS5_9ELb0ES3_jN6thrust23THRUST_200600_302600_NS6detail15normal_iteratorINS9_10device_ptrIiEEEESE_PNS0_10empty_typeENS0_5tupleIJSE_SF_EEENSH_IJSE_SG_EEENS0_18inequality_wrapperI22is_equal_div_10_uniqueIiEEEPmJSF_EEE10hipError_tPvRmT3_T4_T5_T6_T7_T9_mT8_P12ihipStream_tbDpT10_ENKUlT_T0_E_clISt17integral_constantIbLb1EES18_EEDaS13_S14_EUlS13_E_NS1_11comp_targetILNS1_3genE0ELNS1_11target_archE4294967295ELNS1_3gpuE0ELNS1_3repE0EEENS1_30default_config_static_selectorELNS0_4arch9wavefront6targetE0EEEvT1_,@function
_ZN7rocprim17ROCPRIM_400000_NS6detail17trampoline_kernelINS0_14default_configENS1_25partition_config_selectorILNS1_17partition_subalgoE9EiibEEZZNS1_14partition_implILS5_9ELb0ES3_jN6thrust23THRUST_200600_302600_NS6detail15normal_iteratorINS9_10device_ptrIiEEEESE_PNS0_10empty_typeENS0_5tupleIJSE_SF_EEENSH_IJSE_SG_EEENS0_18inequality_wrapperI22is_equal_div_10_uniqueIiEEEPmJSF_EEE10hipError_tPvRmT3_T4_T5_T6_T7_T9_mT8_P12ihipStream_tbDpT10_ENKUlT_T0_E_clISt17integral_constantIbLb1EES18_EEDaS13_S14_EUlS13_E_NS1_11comp_targetILNS1_3genE0ELNS1_11target_archE4294967295ELNS1_3gpuE0ELNS1_3repE0EEENS1_30default_config_static_selectorELNS0_4arch9wavefront6targetE0EEEvT1_: ; @_ZN7rocprim17ROCPRIM_400000_NS6detail17trampoline_kernelINS0_14default_configENS1_25partition_config_selectorILNS1_17partition_subalgoE9EiibEEZZNS1_14partition_implILS5_9ELb0ES3_jN6thrust23THRUST_200600_302600_NS6detail15normal_iteratorINS9_10device_ptrIiEEEESE_PNS0_10empty_typeENS0_5tupleIJSE_SF_EEENSH_IJSE_SG_EEENS0_18inequality_wrapperI22is_equal_div_10_uniqueIiEEEPmJSF_EEE10hipError_tPvRmT3_T4_T5_T6_T7_T9_mT8_P12ihipStream_tbDpT10_ENKUlT_T0_E_clISt17integral_constantIbLb1EES18_EEDaS13_S14_EUlS13_E_NS1_11comp_targetILNS1_3genE0ELNS1_11target_archE4294967295ELNS1_3gpuE0ELNS1_3repE0EEENS1_30default_config_static_selectorELNS0_4arch9wavefront6targetE0EEEvT1_
; %bb.0:
	.section	.rodata,"a",@progbits
	.p2align	6, 0x0
	.amdhsa_kernel _ZN7rocprim17ROCPRIM_400000_NS6detail17trampoline_kernelINS0_14default_configENS1_25partition_config_selectorILNS1_17partition_subalgoE9EiibEEZZNS1_14partition_implILS5_9ELb0ES3_jN6thrust23THRUST_200600_302600_NS6detail15normal_iteratorINS9_10device_ptrIiEEEESE_PNS0_10empty_typeENS0_5tupleIJSE_SF_EEENSH_IJSE_SG_EEENS0_18inequality_wrapperI22is_equal_div_10_uniqueIiEEEPmJSF_EEE10hipError_tPvRmT3_T4_T5_T6_T7_T9_mT8_P12ihipStream_tbDpT10_ENKUlT_T0_E_clISt17integral_constantIbLb1EES18_EEDaS13_S14_EUlS13_E_NS1_11comp_targetILNS1_3genE0ELNS1_11target_archE4294967295ELNS1_3gpuE0ELNS1_3repE0EEENS1_30default_config_static_selectorELNS0_4arch9wavefront6targetE0EEEvT1_
		.amdhsa_group_segment_fixed_size 0
		.amdhsa_private_segment_fixed_size 0
		.amdhsa_kernarg_size 128
		.amdhsa_user_sgpr_count 15
		.amdhsa_user_sgpr_dispatch_ptr 0
		.amdhsa_user_sgpr_queue_ptr 0
		.amdhsa_user_sgpr_kernarg_segment_ptr 1
		.amdhsa_user_sgpr_dispatch_id 0
		.amdhsa_user_sgpr_private_segment_size 0
		.amdhsa_wavefront_size32 1
		.amdhsa_uses_dynamic_stack 0
		.amdhsa_enable_private_segment 0
		.amdhsa_system_sgpr_workgroup_id_x 1
		.amdhsa_system_sgpr_workgroup_id_y 0
		.amdhsa_system_sgpr_workgroup_id_z 0
		.amdhsa_system_sgpr_workgroup_info 0
		.amdhsa_system_vgpr_workitem_id 0
		.amdhsa_next_free_vgpr 1
		.amdhsa_next_free_sgpr 1
		.amdhsa_reserve_vcc 0
		.amdhsa_float_round_mode_32 0
		.amdhsa_float_round_mode_16_64 0
		.amdhsa_float_denorm_mode_32 3
		.amdhsa_float_denorm_mode_16_64 3
		.amdhsa_dx10_clamp 1
		.amdhsa_ieee_mode 1
		.amdhsa_fp16_overflow 0
		.amdhsa_workgroup_processor_mode 1
		.amdhsa_memory_ordered 1
		.amdhsa_forward_progress 0
		.amdhsa_shared_vgpr_count 0
		.amdhsa_exception_fp_ieee_invalid_op 0
		.amdhsa_exception_fp_denorm_src 0
		.amdhsa_exception_fp_ieee_div_zero 0
		.amdhsa_exception_fp_ieee_overflow 0
		.amdhsa_exception_fp_ieee_underflow 0
		.amdhsa_exception_fp_ieee_inexact 0
		.amdhsa_exception_int_div_zero 0
	.end_amdhsa_kernel
	.section	.text._ZN7rocprim17ROCPRIM_400000_NS6detail17trampoline_kernelINS0_14default_configENS1_25partition_config_selectorILNS1_17partition_subalgoE9EiibEEZZNS1_14partition_implILS5_9ELb0ES3_jN6thrust23THRUST_200600_302600_NS6detail15normal_iteratorINS9_10device_ptrIiEEEESE_PNS0_10empty_typeENS0_5tupleIJSE_SF_EEENSH_IJSE_SG_EEENS0_18inequality_wrapperI22is_equal_div_10_uniqueIiEEEPmJSF_EEE10hipError_tPvRmT3_T4_T5_T6_T7_T9_mT8_P12ihipStream_tbDpT10_ENKUlT_T0_E_clISt17integral_constantIbLb1EES18_EEDaS13_S14_EUlS13_E_NS1_11comp_targetILNS1_3genE0ELNS1_11target_archE4294967295ELNS1_3gpuE0ELNS1_3repE0EEENS1_30default_config_static_selectorELNS0_4arch9wavefront6targetE0EEEvT1_,"axG",@progbits,_ZN7rocprim17ROCPRIM_400000_NS6detail17trampoline_kernelINS0_14default_configENS1_25partition_config_selectorILNS1_17partition_subalgoE9EiibEEZZNS1_14partition_implILS5_9ELb0ES3_jN6thrust23THRUST_200600_302600_NS6detail15normal_iteratorINS9_10device_ptrIiEEEESE_PNS0_10empty_typeENS0_5tupleIJSE_SF_EEENSH_IJSE_SG_EEENS0_18inequality_wrapperI22is_equal_div_10_uniqueIiEEEPmJSF_EEE10hipError_tPvRmT3_T4_T5_T6_T7_T9_mT8_P12ihipStream_tbDpT10_ENKUlT_T0_E_clISt17integral_constantIbLb1EES18_EEDaS13_S14_EUlS13_E_NS1_11comp_targetILNS1_3genE0ELNS1_11target_archE4294967295ELNS1_3gpuE0ELNS1_3repE0EEENS1_30default_config_static_selectorELNS0_4arch9wavefront6targetE0EEEvT1_,comdat
.Lfunc_end444:
	.size	_ZN7rocprim17ROCPRIM_400000_NS6detail17trampoline_kernelINS0_14default_configENS1_25partition_config_selectorILNS1_17partition_subalgoE9EiibEEZZNS1_14partition_implILS5_9ELb0ES3_jN6thrust23THRUST_200600_302600_NS6detail15normal_iteratorINS9_10device_ptrIiEEEESE_PNS0_10empty_typeENS0_5tupleIJSE_SF_EEENSH_IJSE_SG_EEENS0_18inequality_wrapperI22is_equal_div_10_uniqueIiEEEPmJSF_EEE10hipError_tPvRmT3_T4_T5_T6_T7_T9_mT8_P12ihipStream_tbDpT10_ENKUlT_T0_E_clISt17integral_constantIbLb1EES18_EEDaS13_S14_EUlS13_E_NS1_11comp_targetILNS1_3genE0ELNS1_11target_archE4294967295ELNS1_3gpuE0ELNS1_3repE0EEENS1_30default_config_static_selectorELNS0_4arch9wavefront6targetE0EEEvT1_, .Lfunc_end444-_ZN7rocprim17ROCPRIM_400000_NS6detail17trampoline_kernelINS0_14default_configENS1_25partition_config_selectorILNS1_17partition_subalgoE9EiibEEZZNS1_14partition_implILS5_9ELb0ES3_jN6thrust23THRUST_200600_302600_NS6detail15normal_iteratorINS9_10device_ptrIiEEEESE_PNS0_10empty_typeENS0_5tupleIJSE_SF_EEENSH_IJSE_SG_EEENS0_18inequality_wrapperI22is_equal_div_10_uniqueIiEEEPmJSF_EEE10hipError_tPvRmT3_T4_T5_T6_T7_T9_mT8_P12ihipStream_tbDpT10_ENKUlT_T0_E_clISt17integral_constantIbLb1EES18_EEDaS13_S14_EUlS13_E_NS1_11comp_targetILNS1_3genE0ELNS1_11target_archE4294967295ELNS1_3gpuE0ELNS1_3repE0EEENS1_30default_config_static_selectorELNS0_4arch9wavefront6targetE0EEEvT1_
                                        ; -- End function
	.section	.AMDGPU.csdata,"",@progbits
; Kernel info:
; codeLenInByte = 0
; NumSgprs: 0
; NumVgprs: 0
; ScratchSize: 0
; MemoryBound: 0
; FloatMode: 240
; IeeeMode: 1
; LDSByteSize: 0 bytes/workgroup (compile time only)
; SGPRBlocks: 0
; VGPRBlocks: 0
; NumSGPRsForWavesPerEU: 1
; NumVGPRsForWavesPerEU: 1
; Occupancy: 16
; WaveLimiterHint : 0
; COMPUTE_PGM_RSRC2:SCRATCH_EN: 0
; COMPUTE_PGM_RSRC2:USER_SGPR: 15
; COMPUTE_PGM_RSRC2:TRAP_HANDLER: 0
; COMPUTE_PGM_RSRC2:TGID_X_EN: 1
; COMPUTE_PGM_RSRC2:TGID_Y_EN: 0
; COMPUTE_PGM_RSRC2:TGID_Z_EN: 0
; COMPUTE_PGM_RSRC2:TIDIG_COMP_CNT: 0
	.section	.text._ZN7rocprim17ROCPRIM_400000_NS6detail17trampoline_kernelINS0_14default_configENS1_25partition_config_selectorILNS1_17partition_subalgoE9EiibEEZZNS1_14partition_implILS5_9ELb0ES3_jN6thrust23THRUST_200600_302600_NS6detail15normal_iteratorINS9_10device_ptrIiEEEESE_PNS0_10empty_typeENS0_5tupleIJSE_SF_EEENSH_IJSE_SG_EEENS0_18inequality_wrapperI22is_equal_div_10_uniqueIiEEEPmJSF_EEE10hipError_tPvRmT3_T4_T5_T6_T7_T9_mT8_P12ihipStream_tbDpT10_ENKUlT_T0_E_clISt17integral_constantIbLb1EES18_EEDaS13_S14_EUlS13_E_NS1_11comp_targetILNS1_3genE5ELNS1_11target_archE942ELNS1_3gpuE9ELNS1_3repE0EEENS1_30default_config_static_selectorELNS0_4arch9wavefront6targetE0EEEvT1_,"axG",@progbits,_ZN7rocprim17ROCPRIM_400000_NS6detail17trampoline_kernelINS0_14default_configENS1_25partition_config_selectorILNS1_17partition_subalgoE9EiibEEZZNS1_14partition_implILS5_9ELb0ES3_jN6thrust23THRUST_200600_302600_NS6detail15normal_iteratorINS9_10device_ptrIiEEEESE_PNS0_10empty_typeENS0_5tupleIJSE_SF_EEENSH_IJSE_SG_EEENS0_18inequality_wrapperI22is_equal_div_10_uniqueIiEEEPmJSF_EEE10hipError_tPvRmT3_T4_T5_T6_T7_T9_mT8_P12ihipStream_tbDpT10_ENKUlT_T0_E_clISt17integral_constantIbLb1EES18_EEDaS13_S14_EUlS13_E_NS1_11comp_targetILNS1_3genE5ELNS1_11target_archE942ELNS1_3gpuE9ELNS1_3repE0EEENS1_30default_config_static_selectorELNS0_4arch9wavefront6targetE0EEEvT1_,comdat
	.protected	_ZN7rocprim17ROCPRIM_400000_NS6detail17trampoline_kernelINS0_14default_configENS1_25partition_config_selectorILNS1_17partition_subalgoE9EiibEEZZNS1_14partition_implILS5_9ELb0ES3_jN6thrust23THRUST_200600_302600_NS6detail15normal_iteratorINS9_10device_ptrIiEEEESE_PNS0_10empty_typeENS0_5tupleIJSE_SF_EEENSH_IJSE_SG_EEENS0_18inequality_wrapperI22is_equal_div_10_uniqueIiEEEPmJSF_EEE10hipError_tPvRmT3_T4_T5_T6_T7_T9_mT8_P12ihipStream_tbDpT10_ENKUlT_T0_E_clISt17integral_constantIbLb1EES18_EEDaS13_S14_EUlS13_E_NS1_11comp_targetILNS1_3genE5ELNS1_11target_archE942ELNS1_3gpuE9ELNS1_3repE0EEENS1_30default_config_static_selectorELNS0_4arch9wavefront6targetE0EEEvT1_ ; -- Begin function _ZN7rocprim17ROCPRIM_400000_NS6detail17trampoline_kernelINS0_14default_configENS1_25partition_config_selectorILNS1_17partition_subalgoE9EiibEEZZNS1_14partition_implILS5_9ELb0ES3_jN6thrust23THRUST_200600_302600_NS6detail15normal_iteratorINS9_10device_ptrIiEEEESE_PNS0_10empty_typeENS0_5tupleIJSE_SF_EEENSH_IJSE_SG_EEENS0_18inequality_wrapperI22is_equal_div_10_uniqueIiEEEPmJSF_EEE10hipError_tPvRmT3_T4_T5_T6_T7_T9_mT8_P12ihipStream_tbDpT10_ENKUlT_T0_E_clISt17integral_constantIbLb1EES18_EEDaS13_S14_EUlS13_E_NS1_11comp_targetILNS1_3genE5ELNS1_11target_archE942ELNS1_3gpuE9ELNS1_3repE0EEENS1_30default_config_static_selectorELNS0_4arch9wavefront6targetE0EEEvT1_
	.globl	_ZN7rocprim17ROCPRIM_400000_NS6detail17trampoline_kernelINS0_14default_configENS1_25partition_config_selectorILNS1_17partition_subalgoE9EiibEEZZNS1_14partition_implILS5_9ELb0ES3_jN6thrust23THRUST_200600_302600_NS6detail15normal_iteratorINS9_10device_ptrIiEEEESE_PNS0_10empty_typeENS0_5tupleIJSE_SF_EEENSH_IJSE_SG_EEENS0_18inequality_wrapperI22is_equal_div_10_uniqueIiEEEPmJSF_EEE10hipError_tPvRmT3_T4_T5_T6_T7_T9_mT8_P12ihipStream_tbDpT10_ENKUlT_T0_E_clISt17integral_constantIbLb1EES18_EEDaS13_S14_EUlS13_E_NS1_11comp_targetILNS1_3genE5ELNS1_11target_archE942ELNS1_3gpuE9ELNS1_3repE0EEENS1_30default_config_static_selectorELNS0_4arch9wavefront6targetE0EEEvT1_
	.p2align	8
	.type	_ZN7rocprim17ROCPRIM_400000_NS6detail17trampoline_kernelINS0_14default_configENS1_25partition_config_selectorILNS1_17partition_subalgoE9EiibEEZZNS1_14partition_implILS5_9ELb0ES3_jN6thrust23THRUST_200600_302600_NS6detail15normal_iteratorINS9_10device_ptrIiEEEESE_PNS0_10empty_typeENS0_5tupleIJSE_SF_EEENSH_IJSE_SG_EEENS0_18inequality_wrapperI22is_equal_div_10_uniqueIiEEEPmJSF_EEE10hipError_tPvRmT3_T4_T5_T6_T7_T9_mT8_P12ihipStream_tbDpT10_ENKUlT_T0_E_clISt17integral_constantIbLb1EES18_EEDaS13_S14_EUlS13_E_NS1_11comp_targetILNS1_3genE5ELNS1_11target_archE942ELNS1_3gpuE9ELNS1_3repE0EEENS1_30default_config_static_selectorELNS0_4arch9wavefront6targetE0EEEvT1_,@function
_ZN7rocprim17ROCPRIM_400000_NS6detail17trampoline_kernelINS0_14default_configENS1_25partition_config_selectorILNS1_17partition_subalgoE9EiibEEZZNS1_14partition_implILS5_9ELb0ES3_jN6thrust23THRUST_200600_302600_NS6detail15normal_iteratorINS9_10device_ptrIiEEEESE_PNS0_10empty_typeENS0_5tupleIJSE_SF_EEENSH_IJSE_SG_EEENS0_18inequality_wrapperI22is_equal_div_10_uniqueIiEEEPmJSF_EEE10hipError_tPvRmT3_T4_T5_T6_T7_T9_mT8_P12ihipStream_tbDpT10_ENKUlT_T0_E_clISt17integral_constantIbLb1EES18_EEDaS13_S14_EUlS13_E_NS1_11comp_targetILNS1_3genE5ELNS1_11target_archE942ELNS1_3gpuE9ELNS1_3repE0EEENS1_30default_config_static_selectorELNS0_4arch9wavefront6targetE0EEEvT1_: ; @_ZN7rocprim17ROCPRIM_400000_NS6detail17trampoline_kernelINS0_14default_configENS1_25partition_config_selectorILNS1_17partition_subalgoE9EiibEEZZNS1_14partition_implILS5_9ELb0ES3_jN6thrust23THRUST_200600_302600_NS6detail15normal_iteratorINS9_10device_ptrIiEEEESE_PNS0_10empty_typeENS0_5tupleIJSE_SF_EEENSH_IJSE_SG_EEENS0_18inequality_wrapperI22is_equal_div_10_uniqueIiEEEPmJSF_EEE10hipError_tPvRmT3_T4_T5_T6_T7_T9_mT8_P12ihipStream_tbDpT10_ENKUlT_T0_E_clISt17integral_constantIbLb1EES18_EEDaS13_S14_EUlS13_E_NS1_11comp_targetILNS1_3genE5ELNS1_11target_archE942ELNS1_3gpuE9ELNS1_3repE0EEENS1_30default_config_static_selectorELNS0_4arch9wavefront6targetE0EEEvT1_
; %bb.0:
	.section	.rodata,"a",@progbits
	.p2align	6, 0x0
	.amdhsa_kernel _ZN7rocprim17ROCPRIM_400000_NS6detail17trampoline_kernelINS0_14default_configENS1_25partition_config_selectorILNS1_17partition_subalgoE9EiibEEZZNS1_14partition_implILS5_9ELb0ES3_jN6thrust23THRUST_200600_302600_NS6detail15normal_iteratorINS9_10device_ptrIiEEEESE_PNS0_10empty_typeENS0_5tupleIJSE_SF_EEENSH_IJSE_SG_EEENS0_18inequality_wrapperI22is_equal_div_10_uniqueIiEEEPmJSF_EEE10hipError_tPvRmT3_T4_T5_T6_T7_T9_mT8_P12ihipStream_tbDpT10_ENKUlT_T0_E_clISt17integral_constantIbLb1EES18_EEDaS13_S14_EUlS13_E_NS1_11comp_targetILNS1_3genE5ELNS1_11target_archE942ELNS1_3gpuE9ELNS1_3repE0EEENS1_30default_config_static_selectorELNS0_4arch9wavefront6targetE0EEEvT1_
		.amdhsa_group_segment_fixed_size 0
		.amdhsa_private_segment_fixed_size 0
		.amdhsa_kernarg_size 128
		.amdhsa_user_sgpr_count 15
		.amdhsa_user_sgpr_dispatch_ptr 0
		.amdhsa_user_sgpr_queue_ptr 0
		.amdhsa_user_sgpr_kernarg_segment_ptr 1
		.amdhsa_user_sgpr_dispatch_id 0
		.amdhsa_user_sgpr_private_segment_size 0
		.amdhsa_wavefront_size32 1
		.amdhsa_uses_dynamic_stack 0
		.amdhsa_enable_private_segment 0
		.amdhsa_system_sgpr_workgroup_id_x 1
		.amdhsa_system_sgpr_workgroup_id_y 0
		.amdhsa_system_sgpr_workgroup_id_z 0
		.amdhsa_system_sgpr_workgroup_info 0
		.amdhsa_system_vgpr_workitem_id 0
		.amdhsa_next_free_vgpr 1
		.amdhsa_next_free_sgpr 1
		.amdhsa_reserve_vcc 0
		.amdhsa_float_round_mode_32 0
		.amdhsa_float_round_mode_16_64 0
		.amdhsa_float_denorm_mode_32 3
		.amdhsa_float_denorm_mode_16_64 3
		.amdhsa_dx10_clamp 1
		.amdhsa_ieee_mode 1
		.amdhsa_fp16_overflow 0
		.amdhsa_workgroup_processor_mode 1
		.amdhsa_memory_ordered 1
		.amdhsa_forward_progress 0
		.amdhsa_shared_vgpr_count 0
		.amdhsa_exception_fp_ieee_invalid_op 0
		.amdhsa_exception_fp_denorm_src 0
		.amdhsa_exception_fp_ieee_div_zero 0
		.amdhsa_exception_fp_ieee_overflow 0
		.amdhsa_exception_fp_ieee_underflow 0
		.amdhsa_exception_fp_ieee_inexact 0
		.amdhsa_exception_int_div_zero 0
	.end_amdhsa_kernel
	.section	.text._ZN7rocprim17ROCPRIM_400000_NS6detail17trampoline_kernelINS0_14default_configENS1_25partition_config_selectorILNS1_17partition_subalgoE9EiibEEZZNS1_14partition_implILS5_9ELb0ES3_jN6thrust23THRUST_200600_302600_NS6detail15normal_iteratorINS9_10device_ptrIiEEEESE_PNS0_10empty_typeENS0_5tupleIJSE_SF_EEENSH_IJSE_SG_EEENS0_18inequality_wrapperI22is_equal_div_10_uniqueIiEEEPmJSF_EEE10hipError_tPvRmT3_T4_T5_T6_T7_T9_mT8_P12ihipStream_tbDpT10_ENKUlT_T0_E_clISt17integral_constantIbLb1EES18_EEDaS13_S14_EUlS13_E_NS1_11comp_targetILNS1_3genE5ELNS1_11target_archE942ELNS1_3gpuE9ELNS1_3repE0EEENS1_30default_config_static_selectorELNS0_4arch9wavefront6targetE0EEEvT1_,"axG",@progbits,_ZN7rocprim17ROCPRIM_400000_NS6detail17trampoline_kernelINS0_14default_configENS1_25partition_config_selectorILNS1_17partition_subalgoE9EiibEEZZNS1_14partition_implILS5_9ELb0ES3_jN6thrust23THRUST_200600_302600_NS6detail15normal_iteratorINS9_10device_ptrIiEEEESE_PNS0_10empty_typeENS0_5tupleIJSE_SF_EEENSH_IJSE_SG_EEENS0_18inequality_wrapperI22is_equal_div_10_uniqueIiEEEPmJSF_EEE10hipError_tPvRmT3_T4_T5_T6_T7_T9_mT8_P12ihipStream_tbDpT10_ENKUlT_T0_E_clISt17integral_constantIbLb1EES18_EEDaS13_S14_EUlS13_E_NS1_11comp_targetILNS1_3genE5ELNS1_11target_archE942ELNS1_3gpuE9ELNS1_3repE0EEENS1_30default_config_static_selectorELNS0_4arch9wavefront6targetE0EEEvT1_,comdat
.Lfunc_end445:
	.size	_ZN7rocprim17ROCPRIM_400000_NS6detail17trampoline_kernelINS0_14default_configENS1_25partition_config_selectorILNS1_17partition_subalgoE9EiibEEZZNS1_14partition_implILS5_9ELb0ES3_jN6thrust23THRUST_200600_302600_NS6detail15normal_iteratorINS9_10device_ptrIiEEEESE_PNS0_10empty_typeENS0_5tupleIJSE_SF_EEENSH_IJSE_SG_EEENS0_18inequality_wrapperI22is_equal_div_10_uniqueIiEEEPmJSF_EEE10hipError_tPvRmT3_T4_T5_T6_T7_T9_mT8_P12ihipStream_tbDpT10_ENKUlT_T0_E_clISt17integral_constantIbLb1EES18_EEDaS13_S14_EUlS13_E_NS1_11comp_targetILNS1_3genE5ELNS1_11target_archE942ELNS1_3gpuE9ELNS1_3repE0EEENS1_30default_config_static_selectorELNS0_4arch9wavefront6targetE0EEEvT1_, .Lfunc_end445-_ZN7rocprim17ROCPRIM_400000_NS6detail17trampoline_kernelINS0_14default_configENS1_25partition_config_selectorILNS1_17partition_subalgoE9EiibEEZZNS1_14partition_implILS5_9ELb0ES3_jN6thrust23THRUST_200600_302600_NS6detail15normal_iteratorINS9_10device_ptrIiEEEESE_PNS0_10empty_typeENS0_5tupleIJSE_SF_EEENSH_IJSE_SG_EEENS0_18inequality_wrapperI22is_equal_div_10_uniqueIiEEEPmJSF_EEE10hipError_tPvRmT3_T4_T5_T6_T7_T9_mT8_P12ihipStream_tbDpT10_ENKUlT_T0_E_clISt17integral_constantIbLb1EES18_EEDaS13_S14_EUlS13_E_NS1_11comp_targetILNS1_3genE5ELNS1_11target_archE942ELNS1_3gpuE9ELNS1_3repE0EEENS1_30default_config_static_selectorELNS0_4arch9wavefront6targetE0EEEvT1_
                                        ; -- End function
	.section	.AMDGPU.csdata,"",@progbits
; Kernel info:
; codeLenInByte = 0
; NumSgprs: 0
; NumVgprs: 0
; ScratchSize: 0
; MemoryBound: 0
; FloatMode: 240
; IeeeMode: 1
; LDSByteSize: 0 bytes/workgroup (compile time only)
; SGPRBlocks: 0
; VGPRBlocks: 0
; NumSGPRsForWavesPerEU: 1
; NumVGPRsForWavesPerEU: 1
; Occupancy: 16
; WaveLimiterHint : 0
; COMPUTE_PGM_RSRC2:SCRATCH_EN: 0
; COMPUTE_PGM_RSRC2:USER_SGPR: 15
; COMPUTE_PGM_RSRC2:TRAP_HANDLER: 0
; COMPUTE_PGM_RSRC2:TGID_X_EN: 1
; COMPUTE_PGM_RSRC2:TGID_Y_EN: 0
; COMPUTE_PGM_RSRC2:TGID_Z_EN: 0
; COMPUTE_PGM_RSRC2:TIDIG_COMP_CNT: 0
	.section	.text._ZN7rocprim17ROCPRIM_400000_NS6detail17trampoline_kernelINS0_14default_configENS1_25partition_config_selectorILNS1_17partition_subalgoE9EiibEEZZNS1_14partition_implILS5_9ELb0ES3_jN6thrust23THRUST_200600_302600_NS6detail15normal_iteratorINS9_10device_ptrIiEEEESE_PNS0_10empty_typeENS0_5tupleIJSE_SF_EEENSH_IJSE_SG_EEENS0_18inequality_wrapperI22is_equal_div_10_uniqueIiEEEPmJSF_EEE10hipError_tPvRmT3_T4_T5_T6_T7_T9_mT8_P12ihipStream_tbDpT10_ENKUlT_T0_E_clISt17integral_constantIbLb1EES18_EEDaS13_S14_EUlS13_E_NS1_11comp_targetILNS1_3genE4ELNS1_11target_archE910ELNS1_3gpuE8ELNS1_3repE0EEENS1_30default_config_static_selectorELNS0_4arch9wavefront6targetE0EEEvT1_,"axG",@progbits,_ZN7rocprim17ROCPRIM_400000_NS6detail17trampoline_kernelINS0_14default_configENS1_25partition_config_selectorILNS1_17partition_subalgoE9EiibEEZZNS1_14partition_implILS5_9ELb0ES3_jN6thrust23THRUST_200600_302600_NS6detail15normal_iteratorINS9_10device_ptrIiEEEESE_PNS0_10empty_typeENS0_5tupleIJSE_SF_EEENSH_IJSE_SG_EEENS0_18inequality_wrapperI22is_equal_div_10_uniqueIiEEEPmJSF_EEE10hipError_tPvRmT3_T4_T5_T6_T7_T9_mT8_P12ihipStream_tbDpT10_ENKUlT_T0_E_clISt17integral_constantIbLb1EES18_EEDaS13_S14_EUlS13_E_NS1_11comp_targetILNS1_3genE4ELNS1_11target_archE910ELNS1_3gpuE8ELNS1_3repE0EEENS1_30default_config_static_selectorELNS0_4arch9wavefront6targetE0EEEvT1_,comdat
	.protected	_ZN7rocprim17ROCPRIM_400000_NS6detail17trampoline_kernelINS0_14default_configENS1_25partition_config_selectorILNS1_17partition_subalgoE9EiibEEZZNS1_14partition_implILS5_9ELb0ES3_jN6thrust23THRUST_200600_302600_NS6detail15normal_iteratorINS9_10device_ptrIiEEEESE_PNS0_10empty_typeENS0_5tupleIJSE_SF_EEENSH_IJSE_SG_EEENS0_18inequality_wrapperI22is_equal_div_10_uniqueIiEEEPmJSF_EEE10hipError_tPvRmT3_T4_T5_T6_T7_T9_mT8_P12ihipStream_tbDpT10_ENKUlT_T0_E_clISt17integral_constantIbLb1EES18_EEDaS13_S14_EUlS13_E_NS1_11comp_targetILNS1_3genE4ELNS1_11target_archE910ELNS1_3gpuE8ELNS1_3repE0EEENS1_30default_config_static_selectorELNS0_4arch9wavefront6targetE0EEEvT1_ ; -- Begin function _ZN7rocprim17ROCPRIM_400000_NS6detail17trampoline_kernelINS0_14default_configENS1_25partition_config_selectorILNS1_17partition_subalgoE9EiibEEZZNS1_14partition_implILS5_9ELb0ES3_jN6thrust23THRUST_200600_302600_NS6detail15normal_iteratorINS9_10device_ptrIiEEEESE_PNS0_10empty_typeENS0_5tupleIJSE_SF_EEENSH_IJSE_SG_EEENS0_18inequality_wrapperI22is_equal_div_10_uniqueIiEEEPmJSF_EEE10hipError_tPvRmT3_T4_T5_T6_T7_T9_mT8_P12ihipStream_tbDpT10_ENKUlT_T0_E_clISt17integral_constantIbLb1EES18_EEDaS13_S14_EUlS13_E_NS1_11comp_targetILNS1_3genE4ELNS1_11target_archE910ELNS1_3gpuE8ELNS1_3repE0EEENS1_30default_config_static_selectorELNS0_4arch9wavefront6targetE0EEEvT1_
	.globl	_ZN7rocprim17ROCPRIM_400000_NS6detail17trampoline_kernelINS0_14default_configENS1_25partition_config_selectorILNS1_17partition_subalgoE9EiibEEZZNS1_14partition_implILS5_9ELb0ES3_jN6thrust23THRUST_200600_302600_NS6detail15normal_iteratorINS9_10device_ptrIiEEEESE_PNS0_10empty_typeENS0_5tupleIJSE_SF_EEENSH_IJSE_SG_EEENS0_18inequality_wrapperI22is_equal_div_10_uniqueIiEEEPmJSF_EEE10hipError_tPvRmT3_T4_T5_T6_T7_T9_mT8_P12ihipStream_tbDpT10_ENKUlT_T0_E_clISt17integral_constantIbLb1EES18_EEDaS13_S14_EUlS13_E_NS1_11comp_targetILNS1_3genE4ELNS1_11target_archE910ELNS1_3gpuE8ELNS1_3repE0EEENS1_30default_config_static_selectorELNS0_4arch9wavefront6targetE0EEEvT1_
	.p2align	8
	.type	_ZN7rocprim17ROCPRIM_400000_NS6detail17trampoline_kernelINS0_14default_configENS1_25partition_config_selectorILNS1_17partition_subalgoE9EiibEEZZNS1_14partition_implILS5_9ELb0ES3_jN6thrust23THRUST_200600_302600_NS6detail15normal_iteratorINS9_10device_ptrIiEEEESE_PNS0_10empty_typeENS0_5tupleIJSE_SF_EEENSH_IJSE_SG_EEENS0_18inequality_wrapperI22is_equal_div_10_uniqueIiEEEPmJSF_EEE10hipError_tPvRmT3_T4_T5_T6_T7_T9_mT8_P12ihipStream_tbDpT10_ENKUlT_T0_E_clISt17integral_constantIbLb1EES18_EEDaS13_S14_EUlS13_E_NS1_11comp_targetILNS1_3genE4ELNS1_11target_archE910ELNS1_3gpuE8ELNS1_3repE0EEENS1_30default_config_static_selectorELNS0_4arch9wavefront6targetE0EEEvT1_,@function
_ZN7rocprim17ROCPRIM_400000_NS6detail17trampoline_kernelINS0_14default_configENS1_25partition_config_selectorILNS1_17partition_subalgoE9EiibEEZZNS1_14partition_implILS5_9ELb0ES3_jN6thrust23THRUST_200600_302600_NS6detail15normal_iteratorINS9_10device_ptrIiEEEESE_PNS0_10empty_typeENS0_5tupleIJSE_SF_EEENSH_IJSE_SG_EEENS0_18inequality_wrapperI22is_equal_div_10_uniqueIiEEEPmJSF_EEE10hipError_tPvRmT3_T4_T5_T6_T7_T9_mT8_P12ihipStream_tbDpT10_ENKUlT_T0_E_clISt17integral_constantIbLb1EES18_EEDaS13_S14_EUlS13_E_NS1_11comp_targetILNS1_3genE4ELNS1_11target_archE910ELNS1_3gpuE8ELNS1_3repE0EEENS1_30default_config_static_selectorELNS0_4arch9wavefront6targetE0EEEvT1_: ; @_ZN7rocprim17ROCPRIM_400000_NS6detail17trampoline_kernelINS0_14default_configENS1_25partition_config_selectorILNS1_17partition_subalgoE9EiibEEZZNS1_14partition_implILS5_9ELb0ES3_jN6thrust23THRUST_200600_302600_NS6detail15normal_iteratorINS9_10device_ptrIiEEEESE_PNS0_10empty_typeENS0_5tupleIJSE_SF_EEENSH_IJSE_SG_EEENS0_18inequality_wrapperI22is_equal_div_10_uniqueIiEEEPmJSF_EEE10hipError_tPvRmT3_T4_T5_T6_T7_T9_mT8_P12ihipStream_tbDpT10_ENKUlT_T0_E_clISt17integral_constantIbLb1EES18_EEDaS13_S14_EUlS13_E_NS1_11comp_targetILNS1_3genE4ELNS1_11target_archE910ELNS1_3gpuE8ELNS1_3repE0EEENS1_30default_config_static_selectorELNS0_4arch9wavefront6targetE0EEEvT1_
; %bb.0:
	.section	.rodata,"a",@progbits
	.p2align	6, 0x0
	.amdhsa_kernel _ZN7rocprim17ROCPRIM_400000_NS6detail17trampoline_kernelINS0_14default_configENS1_25partition_config_selectorILNS1_17partition_subalgoE9EiibEEZZNS1_14partition_implILS5_9ELb0ES3_jN6thrust23THRUST_200600_302600_NS6detail15normal_iteratorINS9_10device_ptrIiEEEESE_PNS0_10empty_typeENS0_5tupleIJSE_SF_EEENSH_IJSE_SG_EEENS0_18inequality_wrapperI22is_equal_div_10_uniqueIiEEEPmJSF_EEE10hipError_tPvRmT3_T4_T5_T6_T7_T9_mT8_P12ihipStream_tbDpT10_ENKUlT_T0_E_clISt17integral_constantIbLb1EES18_EEDaS13_S14_EUlS13_E_NS1_11comp_targetILNS1_3genE4ELNS1_11target_archE910ELNS1_3gpuE8ELNS1_3repE0EEENS1_30default_config_static_selectorELNS0_4arch9wavefront6targetE0EEEvT1_
		.amdhsa_group_segment_fixed_size 0
		.amdhsa_private_segment_fixed_size 0
		.amdhsa_kernarg_size 128
		.amdhsa_user_sgpr_count 15
		.amdhsa_user_sgpr_dispatch_ptr 0
		.amdhsa_user_sgpr_queue_ptr 0
		.amdhsa_user_sgpr_kernarg_segment_ptr 1
		.amdhsa_user_sgpr_dispatch_id 0
		.amdhsa_user_sgpr_private_segment_size 0
		.amdhsa_wavefront_size32 1
		.amdhsa_uses_dynamic_stack 0
		.amdhsa_enable_private_segment 0
		.amdhsa_system_sgpr_workgroup_id_x 1
		.amdhsa_system_sgpr_workgroup_id_y 0
		.amdhsa_system_sgpr_workgroup_id_z 0
		.amdhsa_system_sgpr_workgroup_info 0
		.amdhsa_system_vgpr_workitem_id 0
		.amdhsa_next_free_vgpr 1
		.amdhsa_next_free_sgpr 1
		.amdhsa_reserve_vcc 0
		.amdhsa_float_round_mode_32 0
		.amdhsa_float_round_mode_16_64 0
		.amdhsa_float_denorm_mode_32 3
		.amdhsa_float_denorm_mode_16_64 3
		.amdhsa_dx10_clamp 1
		.amdhsa_ieee_mode 1
		.amdhsa_fp16_overflow 0
		.amdhsa_workgroup_processor_mode 1
		.amdhsa_memory_ordered 1
		.amdhsa_forward_progress 0
		.amdhsa_shared_vgpr_count 0
		.amdhsa_exception_fp_ieee_invalid_op 0
		.amdhsa_exception_fp_denorm_src 0
		.amdhsa_exception_fp_ieee_div_zero 0
		.amdhsa_exception_fp_ieee_overflow 0
		.amdhsa_exception_fp_ieee_underflow 0
		.amdhsa_exception_fp_ieee_inexact 0
		.amdhsa_exception_int_div_zero 0
	.end_amdhsa_kernel
	.section	.text._ZN7rocprim17ROCPRIM_400000_NS6detail17trampoline_kernelINS0_14default_configENS1_25partition_config_selectorILNS1_17partition_subalgoE9EiibEEZZNS1_14partition_implILS5_9ELb0ES3_jN6thrust23THRUST_200600_302600_NS6detail15normal_iteratorINS9_10device_ptrIiEEEESE_PNS0_10empty_typeENS0_5tupleIJSE_SF_EEENSH_IJSE_SG_EEENS0_18inequality_wrapperI22is_equal_div_10_uniqueIiEEEPmJSF_EEE10hipError_tPvRmT3_T4_T5_T6_T7_T9_mT8_P12ihipStream_tbDpT10_ENKUlT_T0_E_clISt17integral_constantIbLb1EES18_EEDaS13_S14_EUlS13_E_NS1_11comp_targetILNS1_3genE4ELNS1_11target_archE910ELNS1_3gpuE8ELNS1_3repE0EEENS1_30default_config_static_selectorELNS0_4arch9wavefront6targetE0EEEvT1_,"axG",@progbits,_ZN7rocprim17ROCPRIM_400000_NS6detail17trampoline_kernelINS0_14default_configENS1_25partition_config_selectorILNS1_17partition_subalgoE9EiibEEZZNS1_14partition_implILS5_9ELb0ES3_jN6thrust23THRUST_200600_302600_NS6detail15normal_iteratorINS9_10device_ptrIiEEEESE_PNS0_10empty_typeENS0_5tupleIJSE_SF_EEENSH_IJSE_SG_EEENS0_18inequality_wrapperI22is_equal_div_10_uniqueIiEEEPmJSF_EEE10hipError_tPvRmT3_T4_T5_T6_T7_T9_mT8_P12ihipStream_tbDpT10_ENKUlT_T0_E_clISt17integral_constantIbLb1EES18_EEDaS13_S14_EUlS13_E_NS1_11comp_targetILNS1_3genE4ELNS1_11target_archE910ELNS1_3gpuE8ELNS1_3repE0EEENS1_30default_config_static_selectorELNS0_4arch9wavefront6targetE0EEEvT1_,comdat
.Lfunc_end446:
	.size	_ZN7rocprim17ROCPRIM_400000_NS6detail17trampoline_kernelINS0_14default_configENS1_25partition_config_selectorILNS1_17partition_subalgoE9EiibEEZZNS1_14partition_implILS5_9ELb0ES3_jN6thrust23THRUST_200600_302600_NS6detail15normal_iteratorINS9_10device_ptrIiEEEESE_PNS0_10empty_typeENS0_5tupleIJSE_SF_EEENSH_IJSE_SG_EEENS0_18inequality_wrapperI22is_equal_div_10_uniqueIiEEEPmJSF_EEE10hipError_tPvRmT3_T4_T5_T6_T7_T9_mT8_P12ihipStream_tbDpT10_ENKUlT_T0_E_clISt17integral_constantIbLb1EES18_EEDaS13_S14_EUlS13_E_NS1_11comp_targetILNS1_3genE4ELNS1_11target_archE910ELNS1_3gpuE8ELNS1_3repE0EEENS1_30default_config_static_selectorELNS0_4arch9wavefront6targetE0EEEvT1_, .Lfunc_end446-_ZN7rocprim17ROCPRIM_400000_NS6detail17trampoline_kernelINS0_14default_configENS1_25partition_config_selectorILNS1_17partition_subalgoE9EiibEEZZNS1_14partition_implILS5_9ELb0ES3_jN6thrust23THRUST_200600_302600_NS6detail15normal_iteratorINS9_10device_ptrIiEEEESE_PNS0_10empty_typeENS0_5tupleIJSE_SF_EEENSH_IJSE_SG_EEENS0_18inequality_wrapperI22is_equal_div_10_uniqueIiEEEPmJSF_EEE10hipError_tPvRmT3_T4_T5_T6_T7_T9_mT8_P12ihipStream_tbDpT10_ENKUlT_T0_E_clISt17integral_constantIbLb1EES18_EEDaS13_S14_EUlS13_E_NS1_11comp_targetILNS1_3genE4ELNS1_11target_archE910ELNS1_3gpuE8ELNS1_3repE0EEENS1_30default_config_static_selectorELNS0_4arch9wavefront6targetE0EEEvT1_
                                        ; -- End function
	.section	.AMDGPU.csdata,"",@progbits
; Kernel info:
; codeLenInByte = 0
; NumSgprs: 0
; NumVgprs: 0
; ScratchSize: 0
; MemoryBound: 0
; FloatMode: 240
; IeeeMode: 1
; LDSByteSize: 0 bytes/workgroup (compile time only)
; SGPRBlocks: 0
; VGPRBlocks: 0
; NumSGPRsForWavesPerEU: 1
; NumVGPRsForWavesPerEU: 1
; Occupancy: 15
; WaveLimiterHint : 0
; COMPUTE_PGM_RSRC2:SCRATCH_EN: 0
; COMPUTE_PGM_RSRC2:USER_SGPR: 15
; COMPUTE_PGM_RSRC2:TRAP_HANDLER: 0
; COMPUTE_PGM_RSRC2:TGID_X_EN: 1
; COMPUTE_PGM_RSRC2:TGID_Y_EN: 0
; COMPUTE_PGM_RSRC2:TGID_Z_EN: 0
; COMPUTE_PGM_RSRC2:TIDIG_COMP_CNT: 0
	.section	.text._ZN7rocprim17ROCPRIM_400000_NS6detail17trampoline_kernelINS0_14default_configENS1_25partition_config_selectorILNS1_17partition_subalgoE9EiibEEZZNS1_14partition_implILS5_9ELb0ES3_jN6thrust23THRUST_200600_302600_NS6detail15normal_iteratorINS9_10device_ptrIiEEEESE_PNS0_10empty_typeENS0_5tupleIJSE_SF_EEENSH_IJSE_SG_EEENS0_18inequality_wrapperI22is_equal_div_10_uniqueIiEEEPmJSF_EEE10hipError_tPvRmT3_T4_T5_T6_T7_T9_mT8_P12ihipStream_tbDpT10_ENKUlT_T0_E_clISt17integral_constantIbLb1EES18_EEDaS13_S14_EUlS13_E_NS1_11comp_targetILNS1_3genE3ELNS1_11target_archE908ELNS1_3gpuE7ELNS1_3repE0EEENS1_30default_config_static_selectorELNS0_4arch9wavefront6targetE0EEEvT1_,"axG",@progbits,_ZN7rocprim17ROCPRIM_400000_NS6detail17trampoline_kernelINS0_14default_configENS1_25partition_config_selectorILNS1_17partition_subalgoE9EiibEEZZNS1_14partition_implILS5_9ELb0ES3_jN6thrust23THRUST_200600_302600_NS6detail15normal_iteratorINS9_10device_ptrIiEEEESE_PNS0_10empty_typeENS0_5tupleIJSE_SF_EEENSH_IJSE_SG_EEENS0_18inequality_wrapperI22is_equal_div_10_uniqueIiEEEPmJSF_EEE10hipError_tPvRmT3_T4_T5_T6_T7_T9_mT8_P12ihipStream_tbDpT10_ENKUlT_T0_E_clISt17integral_constantIbLb1EES18_EEDaS13_S14_EUlS13_E_NS1_11comp_targetILNS1_3genE3ELNS1_11target_archE908ELNS1_3gpuE7ELNS1_3repE0EEENS1_30default_config_static_selectorELNS0_4arch9wavefront6targetE0EEEvT1_,comdat
	.protected	_ZN7rocprim17ROCPRIM_400000_NS6detail17trampoline_kernelINS0_14default_configENS1_25partition_config_selectorILNS1_17partition_subalgoE9EiibEEZZNS1_14partition_implILS5_9ELb0ES3_jN6thrust23THRUST_200600_302600_NS6detail15normal_iteratorINS9_10device_ptrIiEEEESE_PNS0_10empty_typeENS0_5tupleIJSE_SF_EEENSH_IJSE_SG_EEENS0_18inequality_wrapperI22is_equal_div_10_uniqueIiEEEPmJSF_EEE10hipError_tPvRmT3_T4_T5_T6_T7_T9_mT8_P12ihipStream_tbDpT10_ENKUlT_T0_E_clISt17integral_constantIbLb1EES18_EEDaS13_S14_EUlS13_E_NS1_11comp_targetILNS1_3genE3ELNS1_11target_archE908ELNS1_3gpuE7ELNS1_3repE0EEENS1_30default_config_static_selectorELNS0_4arch9wavefront6targetE0EEEvT1_ ; -- Begin function _ZN7rocprim17ROCPRIM_400000_NS6detail17trampoline_kernelINS0_14default_configENS1_25partition_config_selectorILNS1_17partition_subalgoE9EiibEEZZNS1_14partition_implILS5_9ELb0ES3_jN6thrust23THRUST_200600_302600_NS6detail15normal_iteratorINS9_10device_ptrIiEEEESE_PNS0_10empty_typeENS0_5tupleIJSE_SF_EEENSH_IJSE_SG_EEENS0_18inequality_wrapperI22is_equal_div_10_uniqueIiEEEPmJSF_EEE10hipError_tPvRmT3_T4_T5_T6_T7_T9_mT8_P12ihipStream_tbDpT10_ENKUlT_T0_E_clISt17integral_constantIbLb1EES18_EEDaS13_S14_EUlS13_E_NS1_11comp_targetILNS1_3genE3ELNS1_11target_archE908ELNS1_3gpuE7ELNS1_3repE0EEENS1_30default_config_static_selectorELNS0_4arch9wavefront6targetE0EEEvT1_
	.globl	_ZN7rocprim17ROCPRIM_400000_NS6detail17trampoline_kernelINS0_14default_configENS1_25partition_config_selectorILNS1_17partition_subalgoE9EiibEEZZNS1_14partition_implILS5_9ELb0ES3_jN6thrust23THRUST_200600_302600_NS6detail15normal_iteratorINS9_10device_ptrIiEEEESE_PNS0_10empty_typeENS0_5tupleIJSE_SF_EEENSH_IJSE_SG_EEENS0_18inequality_wrapperI22is_equal_div_10_uniqueIiEEEPmJSF_EEE10hipError_tPvRmT3_T4_T5_T6_T7_T9_mT8_P12ihipStream_tbDpT10_ENKUlT_T0_E_clISt17integral_constantIbLb1EES18_EEDaS13_S14_EUlS13_E_NS1_11comp_targetILNS1_3genE3ELNS1_11target_archE908ELNS1_3gpuE7ELNS1_3repE0EEENS1_30default_config_static_selectorELNS0_4arch9wavefront6targetE0EEEvT1_
	.p2align	8
	.type	_ZN7rocprim17ROCPRIM_400000_NS6detail17trampoline_kernelINS0_14default_configENS1_25partition_config_selectorILNS1_17partition_subalgoE9EiibEEZZNS1_14partition_implILS5_9ELb0ES3_jN6thrust23THRUST_200600_302600_NS6detail15normal_iteratorINS9_10device_ptrIiEEEESE_PNS0_10empty_typeENS0_5tupleIJSE_SF_EEENSH_IJSE_SG_EEENS0_18inequality_wrapperI22is_equal_div_10_uniqueIiEEEPmJSF_EEE10hipError_tPvRmT3_T4_T5_T6_T7_T9_mT8_P12ihipStream_tbDpT10_ENKUlT_T0_E_clISt17integral_constantIbLb1EES18_EEDaS13_S14_EUlS13_E_NS1_11comp_targetILNS1_3genE3ELNS1_11target_archE908ELNS1_3gpuE7ELNS1_3repE0EEENS1_30default_config_static_selectorELNS0_4arch9wavefront6targetE0EEEvT1_,@function
_ZN7rocprim17ROCPRIM_400000_NS6detail17trampoline_kernelINS0_14default_configENS1_25partition_config_selectorILNS1_17partition_subalgoE9EiibEEZZNS1_14partition_implILS5_9ELb0ES3_jN6thrust23THRUST_200600_302600_NS6detail15normal_iteratorINS9_10device_ptrIiEEEESE_PNS0_10empty_typeENS0_5tupleIJSE_SF_EEENSH_IJSE_SG_EEENS0_18inequality_wrapperI22is_equal_div_10_uniqueIiEEEPmJSF_EEE10hipError_tPvRmT3_T4_T5_T6_T7_T9_mT8_P12ihipStream_tbDpT10_ENKUlT_T0_E_clISt17integral_constantIbLb1EES18_EEDaS13_S14_EUlS13_E_NS1_11comp_targetILNS1_3genE3ELNS1_11target_archE908ELNS1_3gpuE7ELNS1_3repE0EEENS1_30default_config_static_selectorELNS0_4arch9wavefront6targetE0EEEvT1_: ; @_ZN7rocprim17ROCPRIM_400000_NS6detail17trampoline_kernelINS0_14default_configENS1_25partition_config_selectorILNS1_17partition_subalgoE9EiibEEZZNS1_14partition_implILS5_9ELb0ES3_jN6thrust23THRUST_200600_302600_NS6detail15normal_iteratorINS9_10device_ptrIiEEEESE_PNS0_10empty_typeENS0_5tupleIJSE_SF_EEENSH_IJSE_SG_EEENS0_18inequality_wrapperI22is_equal_div_10_uniqueIiEEEPmJSF_EEE10hipError_tPvRmT3_T4_T5_T6_T7_T9_mT8_P12ihipStream_tbDpT10_ENKUlT_T0_E_clISt17integral_constantIbLb1EES18_EEDaS13_S14_EUlS13_E_NS1_11comp_targetILNS1_3genE3ELNS1_11target_archE908ELNS1_3gpuE7ELNS1_3repE0EEENS1_30default_config_static_selectorELNS0_4arch9wavefront6targetE0EEEvT1_
; %bb.0:
	.section	.rodata,"a",@progbits
	.p2align	6, 0x0
	.amdhsa_kernel _ZN7rocprim17ROCPRIM_400000_NS6detail17trampoline_kernelINS0_14default_configENS1_25partition_config_selectorILNS1_17partition_subalgoE9EiibEEZZNS1_14partition_implILS5_9ELb0ES3_jN6thrust23THRUST_200600_302600_NS6detail15normal_iteratorINS9_10device_ptrIiEEEESE_PNS0_10empty_typeENS0_5tupleIJSE_SF_EEENSH_IJSE_SG_EEENS0_18inequality_wrapperI22is_equal_div_10_uniqueIiEEEPmJSF_EEE10hipError_tPvRmT3_T4_T5_T6_T7_T9_mT8_P12ihipStream_tbDpT10_ENKUlT_T0_E_clISt17integral_constantIbLb1EES18_EEDaS13_S14_EUlS13_E_NS1_11comp_targetILNS1_3genE3ELNS1_11target_archE908ELNS1_3gpuE7ELNS1_3repE0EEENS1_30default_config_static_selectorELNS0_4arch9wavefront6targetE0EEEvT1_
		.amdhsa_group_segment_fixed_size 0
		.amdhsa_private_segment_fixed_size 0
		.amdhsa_kernarg_size 128
		.amdhsa_user_sgpr_count 15
		.amdhsa_user_sgpr_dispatch_ptr 0
		.amdhsa_user_sgpr_queue_ptr 0
		.amdhsa_user_sgpr_kernarg_segment_ptr 1
		.amdhsa_user_sgpr_dispatch_id 0
		.amdhsa_user_sgpr_private_segment_size 0
		.amdhsa_wavefront_size32 1
		.amdhsa_uses_dynamic_stack 0
		.amdhsa_enable_private_segment 0
		.amdhsa_system_sgpr_workgroup_id_x 1
		.amdhsa_system_sgpr_workgroup_id_y 0
		.amdhsa_system_sgpr_workgroup_id_z 0
		.amdhsa_system_sgpr_workgroup_info 0
		.amdhsa_system_vgpr_workitem_id 0
		.amdhsa_next_free_vgpr 1
		.amdhsa_next_free_sgpr 1
		.amdhsa_reserve_vcc 0
		.amdhsa_float_round_mode_32 0
		.amdhsa_float_round_mode_16_64 0
		.amdhsa_float_denorm_mode_32 3
		.amdhsa_float_denorm_mode_16_64 3
		.amdhsa_dx10_clamp 1
		.amdhsa_ieee_mode 1
		.amdhsa_fp16_overflow 0
		.amdhsa_workgroup_processor_mode 1
		.amdhsa_memory_ordered 1
		.amdhsa_forward_progress 0
		.amdhsa_shared_vgpr_count 0
		.amdhsa_exception_fp_ieee_invalid_op 0
		.amdhsa_exception_fp_denorm_src 0
		.amdhsa_exception_fp_ieee_div_zero 0
		.amdhsa_exception_fp_ieee_overflow 0
		.amdhsa_exception_fp_ieee_underflow 0
		.amdhsa_exception_fp_ieee_inexact 0
		.amdhsa_exception_int_div_zero 0
	.end_amdhsa_kernel
	.section	.text._ZN7rocprim17ROCPRIM_400000_NS6detail17trampoline_kernelINS0_14default_configENS1_25partition_config_selectorILNS1_17partition_subalgoE9EiibEEZZNS1_14partition_implILS5_9ELb0ES3_jN6thrust23THRUST_200600_302600_NS6detail15normal_iteratorINS9_10device_ptrIiEEEESE_PNS0_10empty_typeENS0_5tupleIJSE_SF_EEENSH_IJSE_SG_EEENS0_18inequality_wrapperI22is_equal_div_10_uniqueIiEEEPmJSF_EEE10hipError_tPvRmT3_T4_T5_T6_T7_T9_mT8_P12ihipStream_tbDpT10_ENKUlT_T0_E_clISt17integral_constantIbLb1EES18_EEDaS13_S14_EUlS13_E_NS1_11comp_targetILNS1_3genE3ELNS1_11target_archE908ELNS1_3gpuE7ELNS1_3repE0EEENS1_30default_config_static_selectorELNS0_4arch9wavefront6targetE0EEEvT1_,"axG",@progbits,_ZN7rocprim17ROCPRIM_400000_NS6detail17trampoline_kernelINS0_14default_configENS1_25partition_config_selectorILNS1_17partition_subalgoE9EiibEEZZNS1_14partition_implILS5_9ELb0ES3_jN6thrust23THRUST_200600_302600_NS6detail15normal_iteratorINS9_10device_ptrIiEEEESE_PNS0_10empty_typeENS0_5tupleIJSE_SF_EEENSH_IJSE_SG_EEENS0_18inequality_wrapperI22is_equal_div_10_uniqueIiEEEPmJSF_EEE10hipError_tPvRmT3_T4_T5_T6_T7_T9_mT8_P12ihipStream_tbDpT10_ENKUlT_T0_E_clISt17integral_constantIbLb1EES18_EEDaS13_S14_EUlS13_E_NS1_11comp_targetILNS1_3genE3ELNS1_11target_archE908ELNS1_3gpuE7ELNS1_3repE0EEENS1_30default_config_static_selectorELNS0_4arch9wavefront6targetE0EEEvT1_,comdat
.Lfunc_end447:
	.size	_ZN7rocprim17ROCPRIM_400000_NS6detail17trampoline_kernelINS0_14default_configENS1_25partition_config_selectorILNS1_17partition_subalgoE9EiibEEZZNS1_14partition_implILS5_9ELb0ES3_jN6thrust23THRUST_200600_302600_NS6detail15normal_iteratorINS9_10device_ptrIiEEEESE_PNS0_10empty_typeENS0_5tupleIJSE_SF_EEENSH_IJSE_SG_EEENS0_18inequality_wrapperI22is_equal_div_10_uniqueIiEEEPmJSF_EEE10hipError_tPvRmT3_T4_T5_T6_T7_T9_mT8_P12ihipStream_tbDpT10_ENKUlT_T0_E_clISt17integral_constantIbLb1EES18_EEDaS13_S14_EUlS13_E_NS1_11comp_targetILNS1_3genE3ELNS1_11target_archE908ELNS1_3gpuE7ELNS1_3repE0EEENS1_30default_config_static_selectorELNS0_4arch9wavefront6targetE0EEEvT1_, .Lfunc_end447-_ZN7rocprim17ROCPRIM_400000_NS6detail17trampoline_kernelINS0_14default_configENS1_25partition_config_selectorILNS1_17partition_subalgoE9EiibEEZZNS1_14partition_implILS5_9ELb0ES3_jN6thrust23THRUST_200600_302600_NS6detail15normal_iteratorINS9_10device_ptrIiEEEESE_PNS0_10empty_typeENS0_5tupleIJSE_SF_EEENSH_IJSE_SG_EEENS0_18inequality_wrapperI22is_equal_div_10_uniqueIiEEEPmJSF_EEE10hipError_tPvRmT3_T4_T5_T6_T7_T9_mT8_P12ihipStream_tbDpT10_ENKUlT_T0_E_clISt17integral_constantIbLb1EES18_EEDaS13_S14_EUlS13_E_NS1_11comp_targetILNS1_3genE3ELNS1_11target_archE908ELNS1_3gpuE7ELNS1_3repE0EEENS1_30default_config_static_selectorELNS0_4arch9wavefront6targetE0EEEvT1_
                                        ; -- End function
	.section	.AMDGPU.csdata,"",@progbits
; Kernel info:
; codeLenInByte = 0
; NumSgprs: 0
; NumVgprs: 0
; ScratchSize: 0
; MemoryBound: 0
; FloatMode: 240
; IeeeMode: 1
; LDSByteSize: 0 bytes/workgroup (compile time only)
; SGPRBlocks: 0
; VGPRBlocks: 0
; NumSGPRsForWavesPerEU: 1
; NumVGPRsForWavesPerEU: 1
; Occupancy: 16
; WaveLimiterHint : 0
; COMPUTE_PGM_RSRC2:SCRATCH_EN: 0
; COMPUTE_PGM_RSRC2:USER_SGPR: 15
; COMPUTE_PGM_RSRC2:TRAP_HANDLER: 0
; COMPUTE_PGM_RSRC2:TGID_X_EN: 1
; COMPUTE_PGM_RSRC2:TGID_Y_EN: 0
; COMPUTE_PGM_RSRC2:TGID_Z_EN: 0
; COMPUTE_PGM_RSRC2:TIDIG_COMP_CNT: 0
	.section	.text._ZN7rocprim17ROCPRIM_400000_NS6detail17trampoline_kernelINS0_14default_configENS1_25partition_config_selectorILNS1_17partition_subalgoE9EiibEEZZNS1_14partition_implILS5_9ELb0ES3_jN6thrust23THRUST_200600_302600_NS6detail15normal_iteratorINS9_10device_ptrIiEEEESE_PNS0_10empty_typeENS0_5tupleIJSE_SF_EEENSH_IJSE_SG_EEENS0_18inequality_wrapperI22is_equal_div_10_uniqueIiEEEPmJSF_EEE10hipError_tPvRmT3_T4_T5_T6_T7_T9_mT8_P12ihipStream_tbDpT10_ENKUlT_T0_E_clISt17integral_constantIbLb1EES18_EEDaS13_S14_EUlS13_E_NS1_11comp_targetILNS1_3genE2ELNS1_11target_archE906ELNS1_3gpuE6ELNS1_3repE0EEENS1_30default_config_static_selectorELNS0_4arch9wavefront6targetE0EEEvT1_,"axG",@progbits,_ZN7rocprim17ROCPRIM_400000_NS6detail17trampoline_kernelINS0_14default_configENS1_25partition_config_selectorILNS1_17partition_subalgoE9EiibEEZZNS1_14partition_implILS5_9ELb0ES3_jN6thrust23THRUST_200600_302600_NS6detail15normal_iteratorINS9_10device_ptrIiEEEESE_PNS0_10empty_typeENS0_5tupleIJSE_SF_EEENSH_IJSE_SG_EEENS0_18inequality_wrapperI22is_equal_div_10_uniqueIiEEEPmJSF_EEE10hipError_tPvRmT3_T4_T5_T6_T7_T9_mT8_P12ihipStream_tbDpT10_ENKUlT_T0_E_clISt17integral_constantIbLb1EES18_EEDaS13_S14_EUlS13_E_NS1_11comp_targetILNS1_3genE2ELNS1_11target_archE906ELNS1_3gpuE6ELNS1_3repE0EEENS1_30default_config_static_selectorELNS0_4arch9wavefront6targetE0EEEvT1_,comdat
	.protected	_ZN7rocprim17ROCPRIM_400000_NS6detail17trampoline_kernelINS0_14default_configENS1_25partition_config_selectorILNS1_17partition_subalgoE9EiibEEZZNS1_14partition_implILS5_9ELb0ES3_jN6thrust23THRUST_200600_302600_NS6detail15normal_iteratorINS9_10device_ptrIiEEEESE_PNS0_10empty_typeENS0_5tupleIJSE_SF_EEENSH_IJSE_SG_EEENS0_18inequality_wrapperI22is_equal_div_10_uniqueIiEEEPmJSF_EEE10hipError_tPvRmT3_T4_T5_T6_T7_T9_mT8_P12ihipStream_tbDpT10_ENKUlT_T0_E_clISt17integral_constantIbLb1EES18_EEDaS13_S14_EUlS13_E_NS1_11comp_targetILNS1_3genE2ELNS1_11target_archE906ELNS1_3gpuE6ELNS1_3repE0EEENS1_30default_config_static_selectorELNS0_4arch9wavefront6targetE0EEEvT1_ ; -- Begin function _ZN7rocprim17ROCPRIM_400000_NS6detail17trampoline_kernelINS0_14default_configENS1_25partition_config_selectorILNS1_17partition_subalgoE9EiibEEZZNS1_14partition_implILS5_9ELb0ES3_jN6thrust23THRUST_200600_302600_NS6detail15normal_iteratorINS9_10device_ptrIiEEEESE_PNS0_10empty_typeENS0_5tupleIJSE_SF_EEENSH_IJSE_SG_EEENS0_18inequality_wrapperI22is_equal_div_10_uniqueIiEEEPmJSF_EEE10hipError_tPvRmT3_T4_T5_T6_T7_T9_mT8_P12ihipStream_tbDpT10_ENKUlT_T0_E_clISt17integral_constantIbLb1EES18_EEDaS13_S14_EUlS13_E_NS1_11comp_targetILNS1_3genE2ELNS1_11target_archE906ELNS1_3gpuE6ELNS1_3repE0EEENS1_30default_config_static_selectorELNS0_4arch9wavefront6targetE0EEEvT1_
	.globl	_ZN7rocprim17ROCPRIM_400000_NS6detail17trampoline_kernelINS0_14default_configENS1_25partition_config_selectorILNS1_17partition_subalgoE9EiibEEZZNS1_14partition_implILS5_9ELb0ES3_jN6thrust23THRUST_200600_302600_NS6detail15normal_iteratorINS9_10device_ptrIiEEEESE_PNS0_10empty_typeENS0_5tupleIJSE_SF_EEENSH_IJSE_SG_EEENS0_18inequality_wrapperI22is_equal_div_10_uniqueIiEEEPmJSF_EEE10hipError_tPvRmT3_T4_T5_T6_T7_T9_mT8_P12ihipStream_tbDpT10_ENKUlT_T0_E_clISt17integral_constantIbLb1EES18_EEDaS13_S14_EUlS13_E_NS1_11comp_targetILNS1_3genE2ELNS1_11target_archE906ELNS1_3gpuE6ELNS1_3repE0EEENS1_30default_config_static_selectorELNS0_4arch9wavefront6targetE0EEEvT1_
	.p2align	8
	.type	_ZN7rocprim17ROCPRIM_400000_NS6detail17trampoline_kernelINS0_14default_configENS1_25partition_config_selectorILNS1_17partition_subalgoE9EiibEEZZNS1_14partition_implILS5_9ELb0ES3_jN6thrust23THRUST_200600_302600_NS6detail15normal_iteratorINS9_10device_ptrIiEEEESE_PNS0_10empty_typeENS0_5tupleIJSE_SF_EEENSH_IJSE_SG_EEENS0_18inequality_wrapperI22is_equal_div_10_uniqueIiEEEPmJSF_EEE10hipError_tPvRmT3_T4_T5_T6_T7_T9_mT8_P12ihipStream_tbDpT10_ENKUlT_T0_E_clISt17integral_constantIbLb1EES18_EEDaS13_S14_EUlS13_E_NS1_11comp_targetILNS1_3genE2ELNS1_11target_archE906ELNS1_3gpuE6ELNS1_3repE0EEENS1_30default_config_static_selectorELNS0_4arch9wavefront6targetE0EEEvT1_,@function
_ZN7rocprim17ROCPRIM_400000_NS6detail17trampoline_kernelINS0_14default_configENS1_25partition_config_selectorILNS1_17partition_subalgoE9EiibEEZZNS1_14partition_implILS5_9ELb0ES3_jN6thrust23THRUST_200600_302600_NS6detail15normal_iteratorINS9_10device_ptrIiEEEESE_PNS0_10empty_typeENS0_5tupleIJSE_SF_EEENSH_IJSE_SG_EEENS0_18inequality_wrapperI22is_equal_div_10_uniqueIiEEEPmJSF_EEE10hipError_tPvRmT3_T4_T5_T6_T7_T9_mT8_P12ihipStream_tbDpT10_ENKUlT_T0_E_clISt17integral_constantIbLb1EES18_EEDaS13_S14_EUlS13_E_NS1_11comp_targetILNS1_3genE2ELNS1_11target_archE906ELNS1_3gpuE6ELNS1_3repE0EEENS1_30default_config_static_selectorELNS0_4arch9wavefront6targetE0EEEvT1_: ; @_ZN7rocprim17ROCPRIM_400000_NS6detail17trampoline_kernelINS0_14default_configENS1_25partition_config_selectorILNS1_17partition_subalgoE9EiibEEZZNS1_14partition_implILS5_9ELb0ES3_jN6thrust23THRUST_200600_302600_NS6detail15normal_iteratorINS9_10device_ptrIiEEEESE_PNS0_10empty_typeENS0_5tupleIJSE_SF_EEENSH_IJSE_SG_EEENS0_18inequality_wrapperI22is_equal_div_10_uniqueIiEEEPmJSF_EEE10hipError_tPvRmT3_T4_T5_T6_T7_T9_mT8_P12ihipStream_tbDpT10_ENKUlT_T0_E_clISt17integral_constantIbLb1EES18_EEDaS13_S14_EUlS13_E_NS1_11comp_targetILNS1_3genE2ELNS1_11target_archE906ELNS1_3gpuE6ELNS1_3repE0EEENS1_30default_config_static_selectorELNS0_4arch9wavefront6targetE0EEEvT1_
; %bb.0:
	.section	.rodata,"a",@progbits
	.p2align	6, 0x0
	.amdhsa_kernel _ZN7rocprim17ROCPRIM_400000_NS6detail17trampoline_kernelINS0_14default_configENS1_25partition_config_selectorILNS1_17partition_subalgoE9EiibEEZZNS1_14partition_implILS5_9ELb0ES3_jN6thrust23THRUST_200600_302600_NS6detail15normal_iteratorINS9_10device_ptrIiEEEESE_PNS0_10empty_typeENS0_5tupleIJSE_SF_EEENSH_IJSE_SG_EEENS0_18inequality_wrapperI22is_equal_div_10_uniqueIiEEEPmJSF_EEE10hipError_tPvRmT3_T4_T5_T6_T7_T9_mT8_P12ihipStream_tbDpT10_ENKUlT_T0_E_clISt17integral_constantIbLb1EES18_EEDaS13_S14_EUlS13_E_NS1_11comp_targetILNS1_3genE2ELNS1_11target_archE906ELNS1_3gpuE6ELNS1_3repE0EEENS1_30default_config_static_selectorELNS0_4arch9wavefront6targetE0EEEvT1_
		.amdhsa_group_segment_fixed_size 0
		.amdhsa_private_segment_fixed_size 0
		.amdhsa_kernarg_size 128
		.amdhsa_user_sgpr_count 15
		.amdhsa_user_sgpr_dispatch_ptr 0
		.amdhsa_user_sgpr_queue_ptr 0
		.amdhsa_user_sgpr_kernarg_segment_ptr 1
		.amdhsa_user_sgpr_dispatch_id 0
		.amdhsa_user_sgpr_private_segment_size 0
		.amdhsa_wavefront_size32 1
		.amdhsa_uses_dynamic_stack 0
		.amdhsa_enable_private_segment 0
		.amdhsa_system_sgpr_workgroup_id_x 1
		.amdhsa_system_sgpr_workgroup_id_y 0
		.amdhsa_system_sgpr_workgroup_id_z 0
		.amdhsa_system_sgpr_workgroup_info 0
		.amdhsa_system_vgpr_workitem_id 0
		.amdhsa_next_free_vgpr 1
		.amdhsa_next_free_sgpr 1
		.amdhsa_reserve_vcc 0
		.amdhsa_float_round_mode_32 0
		.amdhsa_float_round_mode_16_64 0
		.amdhsa_float_denorm_mode_32 3
		.amdhsa_float_denorm_mode_16_64 3
		.amdhsa_dx10_clamp 1
		.amdhsa_ieee_mode 1
		.amdhsa_fp16_overflow 0
		.amdhsa_workgroup_processor_mode 1
		.amdhsa_memory_ordered 1
		.amdhsa_forward_progress 0
		.amdhsa_shared_vgpr_count 0
		.amdhsa_exception_fp_ieee_invalid_op 0
		.amdhsa_exception_fp_denorm_src 0
		.amdhsa_exception_fp_ieee_div_zero 0
		.amdhsa_exception_fp_ieee_overflow 0
		.amdhsa_exception_fp_ieee_underflow 0
		.amdhsa_exception_fp_ieee_inexact 0
		.amdhsa_exception_int_div_zero 0
	.end_amdhsa_kernel
	.section	.text._ZN7rocprim17ROCPRIM_400000_NS6detail17trampoline_kernelINS0_14default_configENS1_25partition_config_selectorILNS1_17partition_subalgoE9EiibEEZZNS1_14partition_implILS5_9ELb0ES3_jN6thrust23THRUST_200600_302600_NS6detail15normal_iteratorINS9_10device_ptrIiEEEESE_PNS0_10empty_typeENS0_5tupleIJSE_SF_EEENSH_IJSE_SG_EEENS0_18inequality_wrapperI22is_equal_div_10_uniqueIiEEEPmJSF_EEE10hipError_tPvRmT3_T4_T5_T6_T7_T9_mT8_P12ihipStream_tbDpT10_ENKUlT_T0_E_clISt17integral_constantIbLb1EES18_EEDaS13_S14_EUlS13_E_NS1_11comp_targetILNS1_3genE2ELNS1_11target_archE906ELNS1_3gpuE6ELNS1_3repE0EEENS1_30default_config_static_selectorELNS0_4arch9wavefront6targetE0EEEvT1_,"axG",@progbits,_ZN7rocprim17ROCPRIM_400000_NS6detail17trampoline_kernelINS0_14default_configENS1_25partition_config_selectorILNS1_17partition_subalgoE9EiibEEZZNS1_14partition_implILS5_9ELb0ES3_jN6thrust23THRUST_200600_302600_NS6detail15normal_iteratorINS9_10device_ptrIiEEEESE_PNS0_10empty_typeENS0_5tupleIJSE_SF_EEENSH_IJSE_SG_EEENS0_18inequality_wrapperI22is_equal_div_10_uniqueIiEEEPmJSF_EEE10hipError_tPvRmT3_T4_T5_T6_T7_T9_mT8_P12ihipStream_tbDpT10_ENKUlT_T0_E_clISt17integral_constantIbLb1EES18_EEDaS13_S14_EUlS13_E_NS1_11comp_targetILNS1_3genE2ELNS1_11target_archE906ELNS1_3gpuE6ELNS1_3repE0EEENS1_30default_config_static_selectorELNS0_4arch9wavefront6targetE0EEEvT1_,comdat
.Lfunc_end448:
	.size	_ZN7rocprim17ROCPRIM_400000_NS6detail17trampoline_kernelINS0_14default_configENS1_25partition_config_selectorILNS1_17partition_subalgoE9EiibEEZZNS1_14partition_implILS5_9ELb0ES3_jN6thrust23THRUST_200600_302600_NS6detail15normal_iteratorINS9_10device_ptrIiEEEESE_PNS0_10empty_typeENS0_5tupleIJSE_SF_EEENSH_IJSE_SG_EEENS0_18inequality_wrapperI22is_equal_div_10_uniqueIiEEEPmJSF_EEE10hipError_tPvRmT3_T4_T5_T6_T7_T9_mT8_P12ihipStream_tbDpT10_ENKUlT_T0_E_clISt17integral_constantIbLb1EES18_EEDaS13_S14_EUlS13_E_NS1_11comp_targetILNS1_3genE2ELNS1_11target_archE906ELNS1_3gpuE6ELNS1_3repE0EEENS1_30default_config_static_selectorELNS0_4arch9wavefront6targetE0EEEvT1_, .Lfunc_end448-_ZN7rocprim17ROCPRIM_400000_NS6detail17trampoline_kernelINS0_14default_configENS1_25partition_config_selectorILNS1_17partition_subalgoE9EiibEEZZNS1_14partition_implILS5_9ELb0ES3_jN6thrust23THRUST_200600_302600_NS6detail15normal_iteratorINS9_10device_ptrIiEEEESE_PNS0_10empty_typeENS0_5tupleIJSE_SF_EEENSH_IJSE_SG_EEENS0_18inequality_wrapperI22is_equal_div_10_uniqueIiEEEPmJSF_EEE10hipError_tPvRmT3_T4_T5_T6_T7_T9_mT8_P12ihipStream_tbDpT10_ENKUlT_T0_E_clISt17integral_constantIbLb1EES18_EEDaS13_S14_EUlS13_E_NS1_11comp_targetILNS1_3genE2ELNS1_11target_archE906ELNS1_3gpuE6ELNS1_3repE0EEENS1_30default_config_static_selectorELNS0_4arch9wavefront6targetE0EEEvT1_
                                        ; -- End function
	.section	.AMDGPU.csdata,"",@progbits
; Kernel info:
; codeLenInByte = 0
; NumSgprs: 0
; NumVgprs: 0
; ScratchSize: 0
; MemoryBound: 0
; FloatMode: 240
; IeeeMode: 1
; LDSByteSize: 0 bytes/workgroup (compile time only)
; SGPRBlocks: 0
; VGPRBlocks: 0
; NumSGPRsForWavesPerEU: 1
; NumVGPRsForWavesPerEU: 1
; Occupancy: 16
; WaveLimiterHint : 0
; COMPUTE_PGM_RSRC2:SCRATCH_EN: 0
; COMPUTE_PGM_RSRC2:USER_SGPR: 15
; COMPUTE_PGM_RSRC2:TRAP_HANDLER: 0
; COMPUTE_PGM_RSRC2:TGID_X_EN: 1
; COMPUTE_PGM_RSRC2:TGID_Y_EN: 0
; COMPUTE_PGM_RSRC2:TGID_Z_EN: 0
; COMPUTE_PGM_RSRC2:TIDIG_COMP_CNT: 0
	.section	.text._ZN7rocprim17ROCPRIM_400000_NS6detail17trampoline_kernelINS0_14default_configENS1_25partition_config_selectorILNS1_17partition_subalgoE9EiibEEZZNS1_14partition_implILS5_9ELb0ES3_jN6thrust23THRUST_200600_302600_NS6detail15normal_iteratorINS9_10device_ptrIiEEEESE_PNS0_10empty_typeENS0_5tupleIJSE_SF_EEENSH_IJSE_SG_EEENS0_18inequality_wrapperI22is_equal_div_10_uniqueIiEEEPmJSF_EEE10hipError_tPvRmT3_T4_T5_T6_T7_T9_mT8_P12ihipStream_tbDpT10_ENKUlT_T0_E_clISt17integral_constantIbLb1EES18_EEDaS13_S14_EUlS13_E_NS1_11comp_targetILNS1_3genE10ELNS1_11target_archE1200ELNS1_3gpuE4ELNS1_3repE0EEENS1_30default_config_static_selectorELNS0_4arch9wavefront6targetE0EEEvT1_,"axG",@progbits,_ZN7rocprim17ROCPRIM_400000_NS6detail17trampoline_kernelINS0_14default_configENS1_25partition_config_selectorILNS1_17partition_subalgoE9EiibEEZZNS1_14partition_implILS5_9ELb0ES3_jN6thrust23THRUST_200600_302600_NS6detail15normal_iteratorINS9_10device_ptrIiEEEESE_PNS0_10empty_typeENS0_5tupleIJSE_SF_EEENSH_IJSE_SG_EEENS0_18inequality_wrapperI22is_equal_div_10_uniqueIiEEEPmJSF_EEE10hipError_tPvRmT3_T4_T5_T6_T7_T9_mT8_P12ihipStream_tbDpT10_ENKUlT_T0_E_clISt17integral_constantIbLb1EES18_EEDaS13_S14_EUlS13_E_NS1_11comp_targetILNS1_3genE10ELNS1_11target_archE1200ELNS1_3gpuE4ELNS1_3repE0EEENS1_30default_config_static_selectorELNS0_4arch9wavefront6targetE0EEEvT1_,comdat
	.protected	_ZN7rocprim17ROCPRIM_400000_NS6detail17trampoline_kernelINS0_14default_configENS1_25partition_config_selectorILNS1_17partition_subalgoE9EiibEEZZNS1_14partition_implILS5_9ELb0ES3_jN6thrust23THRUST_200600_302600_NS6detail15normal_iteratorINS9_10device_ptrIiEEEESE_PNS0_10empty_typeENS0_5tupleIJSE_SF_EEENSH_IJSE_SG_EEENS0_18inequality_wrapperI22is_equal_div_10_uniqueIiEEEPmJSF_EEE10hipError_tPvRmT3_T4_T5_T6_T7_T9_mT8_P12ihipStream_tbDpT10_ENKUlT_T0_E_clISt17integral_constantIbLb1EES18_EEDaS13_S14_EUlS13_E_NS1_11comp_targetILNS1_3genE10ELNS1_11target_archE1200ELNS1_3gpuE4ELNS1_3repE0EEENS1_30default_config_static_selectorELNS0_4arch9wavefront6targetE0EEEvT1_ ; -- Begin function _ZN7rocprim17ROCPRIM_400000_NS6detail17trampoline_kernelINS0_14default_configENS1_25partition_config_selectorILNS1_17partition_subalgoE9EiibEEZZNS1_14partition_implILS5_9ELb0ES3_jN6thrust23THRUST_200600_302600_NS6detail15normal_iteratorINS9_10device_ptrIiEEEESE_PNS0_10empty_typeENS0_5tupleIJSE_SF_EEENSH_IJSE_SG_EEENS0_18inequality_wrapperI22is_equal_div_10_uniqueIiEEEPmJSF_EEE10hipError_tPvRmT3_T4_T5_T6_T7_T9_mT8_P12ihipStream_tbDpT10_ENKUlT_T0_E_clISt17integral_constantIbLb1EES18_EEDaS13_S14_EUlS13_E_NS1_11comp_targetILNS1_3genE10ELNS1_11target_archE1200ELNS1_3gpuE4ELNS1_3repE0EEENS1_30default_config_static_selectorELNS0_4arch9wavefront6targetE0EEEvT1_
	.globl	_ZN7rocprim17ROCPRIM_400000_NS6detail17trampoline_kernelINS0_14default_configENS1_25partition_config_selectorILNS1_17partition_subalgoE9EiibEEZZNS1_14partition_implILS5_9ELb0ES3_jN6thrust23THRUST_200600_302600_NS6detail15normal_iteratorINS9_10device_ptrIiEEEESE_PNS0_10empty_typeENS0_5tupleIJSE_SF_EEENSH_IJSE_SG_EEENS0_18inequality_wrapperI22is_equal_div_10_uniqueIiEEEPmJSF_EEE10hipError_tPvRmT3_T4_T5_T6_T7_T9_mT8_P12ihipStream_tbDpT10_ENKUlT_T0_E_clISt17integral_constantIbLb1EES18_EEDaS13_S14_EUlS13_E_NS1_11comp_targetILNS1_3genE10ELNS1_11target_archE1200ELNS1_3gpuE4ELNS1_3repE0EEENS1_30default_config_static_selectorELNS0_4arch9wavefront6targetE0EEEvT1_
	.p2align	8
	.type	_ZN7rocprim17ROCPRIM_400000_NS6detail17trampoline_kernelINS0_14default_configENS1_25partition_config_selectorILNS1_17partition_subalgoE9EiibEEZZNS1_14partition_implILS5_9ELb0ES3_jN6thrust23THRUST_200600_302600_NS6detail15normal_iteratorINS9_10device_ptrIiEEEESE_PNS0_10empty_typeENS0_5tupleIJSE_SF_EEENSH_IJSE_SG_EEENS0_18inequality_wrapperI22is_equal_div_10_uniqueIiEEEPmJSF_EEE10hipError_tPvRmT3_T4_T5_T6_T7_T9_mT8_P12ihipStream_tbDpT10_ENKUlT_T0_E_clISt17integral_constantIbLb1EES18_EEDaS13_S14_EUlS13_E_NS1_11comp_targetILNS1_3genE10ELNS1_11target_archE1200ELNS1_3gpuE4ELNS1_3repE0EEENS1_30default_config_static_selectorELNS0_4arch9wavefront6targetE0EEEvT1_,@function
_ZN7rocprim17ROCPRIM_400000_NS6detail17trampoline_kernelINS0_14default_configENS1_25partition_config_selectorILNS1_17partition_subalgoE9EiibEEZZNS1_14partition_implILS5_9ELb0ES3_jN6thrust23THRUST_200600_302600_NS6detail15normal_iteratorINS9_10device_ptrIiEEEESE_PNS0_10empty_typeENS0_5tupleIJSE_SF_EEENSH_IJSE_SG_EEENS0_18inequality_wrapperI22is_equal_div_10_uniqueIiEEEPmJSF_EEE10hipError_tPvRmT3_T4_T5_T6_T7_T9_mT8_P12ihipStream_tbDpT10_ENKUlT_T0_E_clISt17integral_constantIbLb1EES18_EEDaS13_S14_EUlS13_E_NS1_11comp_targetILNS1_3genE10ELNS1_11target_archE1200ELNS1_3gpuE4ELNS1_3repE0EEENS1_30default_config_static_selectorELNS0_4arch9wavefront6targetE0EEEvT1_: ; @_ZN7rocprim17ROCPRIM_400000_NS6detail17trampoline_kernelINS0_14default_configENS1_25partition_config_selectorILNS1_17partition_subalgoE9EiibEEZZNS1_14partition_implILS5_9ELb0ES3_jN6thrust23THRUST_200600_302600_NS6detail15normal_iteratorINS9_10device_ptrIiEEEESE_PNS0_10empty_typeENS0_5tupleIJSE_SF_EEENSH_IJSE_SG_EEENS0_18inequality_wrapperI22is_equal_div_10_uniqueIiEEEPmJSF_EEE10hipError_tPvRmT3_T4_T5_T6_T7_T9_mT8_P12ihipStream_tbDpT10_ENKUlT_T0_E_clISt17integral_constantIbLb1EES18_EEDaS13_S14_EUlS13_E_NS1_11comp_targetILNS1_3genE10ELNS1_11target_archE1200ELNS1_3gpuE4ELNS1_3repE0EEENS1_30default_config_static_selectorELNS0_4arch9wavefront6targetE0EEEvT1_
; %bb.0:
	.section	.rodata,"a",@progbits
	.p2align	6, 0x0
	.amdhsa_kernel _ZN7rocprim17ROCPRIM_400000_NS6detail17trampoline_kernelINS0_14default_configENS1_25partition_config_selectorILNS1_17partition_subalgoE9EiibEEZZNS1_14partition_implILS5_9ELb0ES3_jN6thrust23THRUST_200600_302600_NS6detail15normal_iteratorINS9_10device_ptrIiEEEESE_PNS0_10empty_typeENS0_5tupleIJSE_SF_EEENSH_IJSE_SG_EEENS0_18inequality_wrapperI22is_equal_div_10_uniqueIiEEEPmJSF_EEE10hipError_tPvRmT3_T4_T5_T6_T7_T9_mT8_P12ihipStream_tbDpT10_ENKUlT_T0_E_clISt17integral_constantIbLb1EES18_EEDaS13_S14_EUlS13_E_NS1_11comp_targetILNS1_3genE10ELNS1_11target_archE1200ELNS1_3gpuE4ELNS1_3repE0EEENS1_30default_config_static_selectorELNS0_4arch9wavefront6targetE0EEEvT1_
		.amdhsa_group_segment_fixed_size 0
		.amdhsa_private_segment_fixed_size 0
		.amdhsa_kernarg_size 128
		.amdhsa_user_sgpr_count 15
		.amdhsa_user_sgpr_dispatch_ptr 0
		.amdhsa_user_sgpr_queue_ptr 0
		.amdhsa_user_sgpr_kernarg_segment_ptr 1
		.amdhsa_user_sgpr_dispatch_id 0
		.amdhsa_user_sgpr_private_segment_size 0
		.amdhsa_wavefront_size32 1
		.amdhsa_uses_dynamic_stack 0
		.amdhsa_enable_private_segment 0
		.amdhsa_system_sgpr_workgroup_id_x 1
		.amdhsa_system_sgpr_workgroup_id_y 0
		.amdhsa_system_sgpr_workgroup_id_z 0
		.amdhsa_system_sgpr_workgroup_info 0
		.amdhsa_system_vgpr_workitem_id 0
		.amdhsa_next_free_vgpr 1
		.amdhsa_next_free_sgpr 1
		.amdhsa_reserve_vcc 0
		.amdhsa_float_round_mode_32 0
		.amdhsa_float_round_mode_16_64 0
		.amdhsa_float_denorm_mode_32 3
		.amdhsa_float_denorm_mode_16_64 3
		.amdhsa_dx10_clamp 1
		.amdhsa_ieee_mode 1
		.amdhsa_fp16_overflow 0
		.amdhsa_workgroup_processor_mode 1
		.amdhsa_memory_ordered 1
		.amdhsa_forward_progress 0
		.amdhsa_shared_vgpr_count 0
		.amdhsa_exception_fp_ieee_invalid_op 0
		.amdhsa_exception_fp_denorm_src 0
		.amdhsa_exception_fp_ieee_div_zero 0
		.amdhsa_exception_fp_ieee_overflow 0
		.amdhsa_exception_fp_ieee_underflow 0
		.amdhsa_exception_fp_ieee_inexact 0
		.amdhsa_exception_int_div_zero 0
	.end_amdhsa_kernel
	.section	.text._ZN7rocprim17ROCPRIM_400000_NS6detail17trampoline_kernelINS0_14default_configENS1_25partition_config_selectorILNS1_17partition_subalgoE9EiibEEZZNS1_14partition_implILS5_9ELb0ES3_jN6thrust23THRUST_200600_302600_NS6detail15normal_iteratorINS9_10device_ptrIiEEEESE_PNS0_10empty_typeENS0_5tupleIJSE_SF_EEENSH_IJSE_SG_EEENS0_18inequality_wrapperI22is_equal_div_10_uniqueIiEEEPmJSF_EEE10hipError_tPvRmT3_T4_T5_T6_T7_T9_mT8_P12ihipStream_tbDpT10_ENKUlT_T0_E_clISt17integral_constantIbLb1EES18_EEDaS13_S14_EUlS13_E_NS1_11comp_targetILNS1_3genE10ELNS1_11target_archE1200ELNS1_3gpuE4ELNS1_3repE0EEENS1_30default_config_static_selectorELNS0_4arch9wavefront6targetE0EEEvT1_,"axG",@progbits,_ZN7rocprim17ROCPRIM_400000_NS6detail17trampoline_kernelINS0_14default_configENS1_25partition_config_selectorILNS1_17partition_subalgoE9EiibEEZZNS1_14partition_implILS5_9ELb0ES3_jN6thrust23THRUST_200600_302600_NS6detail15normal_iteratorINS9_10device_ptrIiEEEESE_PNS0_10empty_typeENS0_5tupleIJSE_SF_EEENSH_IJSE_SG_EEENS0_18inequality_wrapperI22is_equal_div_10_uniqueIiEEEPmJSF_EEE10hipError_tPvRmT3_T4_T5_T6_T7_T9_mT8_P12ihipStream_tbDpT10_ENKUlT_T0_E_clISt17integral_constantIbLb1EES18_EEDaS13_S14_EUlS13_E_NS1_11comp_targetILNS1_3genE10ELNS1_11target_archE1200ELNS1_3gpuE4ELNS1_3repE0EEENS1_30default_config_static_selectorELNS0_4arch9wavefront6targetE0EEEvT1_,comdat
.Lfunc_end449:
	.size	_ZN7rocprim17ROCPRIM_400000_NS6detail17trampoline_kernelINS0_14default_configENS1_25partition_config_selectorILNS1_17partition_subalgoE9EiibEEZZNS1_14partition_implILS5_9ELb0ES3_jN6thrust23THRUST_200600_302600_NS6detail15normal_iteratorINS9_10device_ptrIiEEEESE_PNS0_10empty_typeENS0_5tupleIJSE_SF_EEENSH_IJSE_SG_EEENS0_18inequality_wrapperI22is_equal_div_10_uniqueIiEEEPmJSF_EEE10hipError_tPvRmT3_T4_T5_T6_T7_T9_mT8_P12ihipStream_tbDpT10_ENKUlT_T0_E_clISt17integral_constantIbLb1EES18_EEDaS13_S14_EUlS13_E_NS1_11comp_targetILNS1_3genE10ELNS1_11target_archE1200ELNS1_3gpuE4ELNS1_3repE0EEENS1_30default_config_static_selectorELNS0_4arch9wavefront6targetE0EEEvT1_, .Lfunc_end449-_ZN7rocprim17ROCPRIM_400000_NS6detail17trampoline_kernelINS0_14default_configENS1_25partition_config_selectorILNS1_17partition_subalgoE9EiibEEZZNS1_14partition_implILS5_9ELb0ES3_jN6thrust23THRUST_200600_302600_NS6detail15normal_iteratorINS9_10device_ptrIiEEEESE_PNS0_10empty_typeENS0_5tupleIJSE_SF_EEENSH_IJSE_SG_EEENS0_18inequality_wrapperI22is_equal_div_10_uniqueIiEEEPmJSF_EEE10hipError_tPvRmT3_T4_T5_T6_T7_T9_mT8_P12ihipStream_tbDpT10_ENKUlT_T0_E_clISt17integral_constantIbLb1EES18_EEDaS13_S14_EUlS13_E_NS1_11comp_targetILNS1_3genE10ELNS1_11target_archE1200ELNS1_3gpuE4ELNS1_3repE0EEENS1_30default_config_static_selectorELNS0_4arch9wavefront6targetE0EEEvT1_
                                        ; -- End function
	.section	.AMDGPU.csdata,"",@progbits
; Kernel info:
; codeLenInByte = 0
; NumSgprs: 0
; NumVgprs: 0
; ScratchSize: 0
; MemoryBound: 0
; FloatMode: 240
; IeeeMode: 1
; LDSByteSize: 0 bytes/workgroup (compile time only)
; SGPRBlocks: 0
; VGPRBlocks: 0
; NumSGPRsForWavesPerEU: 1
; NumVGPRsForWavesPerEU: 1
; Occupancy: 15
; WaveLimiterHint : 0
; COMPUTE_PGM_RSRC2:SCRATCH_EN: 0
; COMPUTE_PGM_RSRC2:USER_SGPR: 15
; COMPUTE_PGM_RSRC2:TRAP_HANDLER: 0
; COMPUTE_PGM_RSRC2:TGID_X_EN: 1
; COMPUTE_PGM_RSRC2:TGID_Y_EN: 0
; COMPUTE_PGM_RSRC2:TGID_Z_EN: 0
; COMPUTE_PGM_RSRC2:TIDIG_COMP_CNT: 0
	.section	.text._ZN7rocprim17ROCPRIM_400000_NS6detail17trampoline_kernelINS0_14default_configENS1_25partition_config_selectorILNS1_17partition_subalgoE9EiibEEZZNS1_14partition_implILS5_9ELb0ES3_jN6thrust23THRUST_200600_302600_NS6detail15normal_iteratorINS9_10device_ptrIiEEEESE_PNS0_10empty_typeENS0_5tupleIJSE_SF_EEENSH_IJSE_SG_EEENS0_18inequality_wrapperI22is_equal_div_10_uniqueIiEEEPmJSF_EEE10hipError_tPvRmT3_T4_T5_T6_T7_T9_mT8_P12ihipStream_tbDpT10_ENKUlT_T0_E_clISt17integral_constantIbLb1EES18_EEDaS13_S14_EUlS13_E_NS1_11comp_targetILNS1_3genE9ELNS1_11target_archE1100ELNS1_3gpuE3ELNS1_3repE0EEENS1_30default_config_static_selectorELNS0_4arch9wavefront6targetE0EEEvT1_,"axG",@progbits,_ZN7rocprim17ROCPRIM_400000_NS6detail17trampoline_kernelINS0_14default_configENS1_25partition_config_selectorILNS1_17partition_subalgoE9EiibEEZZNS1_14partition_implILS5_9ELb0ES3_jN6thrust23THRUST_200600_302600_NS6detail15normal_iteratorINS9_10device_ptrIiEEEESE_PNS0_10empty_typeENS0_5tupleIJSE_SF_EEENSH_IJSE_SG_EEENS0_18inequality_wrapperI22is_equal_div_10_uniqueIiEEEPmJSF_EEE10hipError_tPvRmT3_T4_T5_T6_T7_T9_mT8_P12ihipStream_tbDpT10_ENKUlT_T0_E_clISt17integral_constantIbLb1EES18_EEDaS13_S14_EUlS13_E_NS1_11comp_targetILNS1_3genE9ELNS1_11target_archE1100ELNS1_3gpuE3ELNS1_3repE0EEENS1_30default_config_static_selectorELNS0_4arch9wavefront6targetE0EEEvT1_,comdat
	.protected	_ZN7rocprim17ROCPRIM_400000_NS6detail17trampoline_kernelINS0_14default_configENS1_25partition_config_selectorILNS1_17partition_subalgoE9EiibEEZZNS1_14partition_implILS5_9ELb0ES3_jN6thrust23THRUST_200600_302600_NS6detail15normal_iteratorINS9_10device_ptrIiEEEESE_PNS0_10empty_typeENS0_5tupleIJSE_SF_EEENSH_IJSE_SG_EEENS0_18inequality_wrapperI22is_equal_div_10_uniqueIiEEEPmJSF_EEE10hipError_tPvRmT3_T4_T5_T6_T7_T9_mT8_P12ihipStream_tbDpT10_ENKUlT_T0_E_clISt17integral_constantIbLb1EES18_EEDaS13_S14_EUlS13_E_NS1_11comp_targetILNS1_3genE9ELNS1_11target_archE1100ELNS1_3gpuE3ELNS1_3repE0EEENS1_30default_config_static_selectorELNS0_4arch9wavefront6targetE0EEEvT1_ ; -- Begin function _ZN7rocprim17ROCPRIM_400000_NS6detail17trampoline_kernelINS0_14default_configENS1_25partition_config_selectorILNS1_17partition_subalgoE9EiibEEZZNS1_14partition_implILS5_9ELb0ES3_jN6thrust23THRUST_200600_302600_NS6detail15normal_iteratorINS9_10device_ptrIiEEEESE_PNS0_10empty_typeENS0_5tupleIJSE_SF_EEENSH_IJSE_SG_EEENS0_18inequality_wrapperI22is_equal_div_10_uniqueIiEEEPmJSF_EEE10hipError_tPvRmT3_T4_T5_T6_T7_T9_mT8_P12ihipStream_tbDpT10_ENKUlT_T0_E_clISt17integral_constantIbLb1EES18_EEDaS13_S14_EUlS13_E_NS1_11comp_targetILNS1_3genE9ELNS1_11target_archE1100ELNS1_3gpuE3ELNS1_3repE0EEENS1_30default_config_static_selectorELNS0_4arch9wavefront6targetE0EEEvT1_
	.globl	_ZN7rocprim17ROCPRIM_400000_NS6detail17trampoline_kernelINS0_14default_configENS1_25partition_config_selectorILNS1_17partition_subalgoE9EiibEEZZNS1_14partition_implILS5_9ELb0ES3_jN6thrust23THRUST_200600_302600_NS6detail15normal_iteratorINS9_10device_ptrIiEEEESE_PNS0_10empty_typeENS0_5tupleIJSE_SF_EEENSH_IJSE_SG_EEENS0_18inequality_wrapperI22is_equal_div_10_uniqueIiEEEPmJSF_EEE10hipError_tPvRmT3_T4_T5_T6_T7_T9_mT8_P12ihipStream_tbDpT10_ENKUlT_T0_E_clISt17integral_constantIbLb1EES18_EEDaS13_S14_EUlS13_E_NS1_11comp_targetILNS1_3genE9ELNS1_11target_archE1100ELNS1_3gpuE3ELNS1_3repE0EEENS1_30default_config_static_selectorELNS0_4arch9wavefront6targetE0EEEvT1_
	.p2align	8
	.type	_ZN7rocprim17ROCPRIM_400000_NS6detail17trampoline_kernelINS0_14default_configENS1_25partition_config_selectorILNS1_17partition_subalgoE9EiibEEZZNS1_14partition_implILS5_9ELb0ES3_jN6thrust23THRUST_200600_302600_NS6detail15normal_iteratorINS9_10device_ptrIiEEEESE_PNS0_10empty_typeENS0_5tupleIJSE_SF_EEENSH_IJSE_SG_EEENS0_18inequality_wrapperI22is_equal_div_10_uniqueIiEEEPmJSF_EEE10hipError_tPvRmT3_T4_T5_T6_T7_T9_mT8_P12ihipStream_tbDpT10_ENKUlT_T0_E_clISt17integral_constantIbLb1EES18_EEDaS13_S14_EUlS13_E_NS1_11comp_targetILNS1_3genE9ELNS1_11target_archE1100ELNS1_3gpuE3ELNS1_3repE0EEENS1_30default_config_static_selectorELNS0_4arch9wavefront6targetE0EEEvT1_,@function
_ZN7rocprim17ROCPRIM_400000_NS6detail17trampoline_kernelINS0_14default_configENS1_25partition_config_selectorILNS1_17partition_subalgoE9EiibEEZZNS1_14partition_implILS5_9ELb0ES3_jN6thrust23THRUST_200600_302600_NS6detail15normal_iteratorINS9_10device_ptrIiEEEESE_PNS0_10empty_typeENS0_5tupleIJSE_SF_EEENSH_IJSE_SG_EEENS0_18inequality_wrapperI22is_equal_div_10_uniqueIiEEEPmJSF_EEE10hipError_tPvRmT3_T4_T5_T6_T7_T9_mT8_P12ihipStream_tbDpT10_ENKUlT_T0_E_clISt17integral_constantIbLb1EES18_EEDaS13_S14_EUlS13_E_NS1_11comp_targetILNS1_3genE9ELNS1_11target_archE1100ELNS1_3gpuE3ELNS1_3repE0EEENS1_30default_config_static_selectorELNS0_4arch9wavefront6targetE0EEEvT1_: ; @_ZN7rocprim17ROCPRIM_400000_NS6detail17trampoline_kernelINS0_14default_configENS1_25partition_config_selectorILNS1_17partition_subalgoE9EiibEEZZNS1_14partition_implILS5_9ELb0ES3_jN6thrust23THRUST_200600_302600_NS6detail15normal_iteratorINS9_10device_ptrIiEEEESE_PNS0_10empty_typeENS0_5tupleIJSE_SF_EEENSH_IJSE_SG_EEENS0_18inequality_wrapperI22is_equal_div_10_uniqueIiEEEPmJSF_EEE10hipError_tPvRmT3_T4_T5_T6_T7_T9_mT8_P12ihipStream_tbDpT10_ENKUlT_T0_E_clISt17integral_constantIbLb1EES18_EEDaS13_S14_EUlS13_E_NS1_11comp_targetILNS1_3genE9ELNS1_11target_archE1100ELNS1_3gpuE3ELNS1_3repE0EEENS1_30default_config_static_selectorELNS0_4arch9wavefront6targetE0EEEvT1_
; %bb.0:
	s_clause 0x4
	s_load_b128 s[4:7], s[0:1], 0x8
	s_load_b64 s[18:19], s[0:1], 0x18
	s_load_b128 s[8:11], s[0:1], 0x40
	s_load_b64 s[22:23], s[0:1], 0x50
	s_load_b64 s[16:17], s[0:1], 0x60
	v_cmp_ne_u32_e64 s3, 0, v0
	v_cmp_eq_u32_e64 s2, 0, v0
	s_delay_alu instid0(VALU_DEP_1)
	s_and_saveexec_b32 s12, s2
	s_cbranch_execz .LBB450_4
; %bb.1:
	s_mov_b32 s14, exec_lo
	s_mov_b32 s13, exec_lo
	v_mbcnt_lo_u32_b32 v1, s14, 0
                                        ; implicit-def: $vgpr2
	s_delay_alu instid0(VALU_DEP_1)
	v_cmpx_eq_u32_e32 0, v1
	s_cbranch_execz .LBB450_3
; %bb.2:
	s_load_b64 s[20:21], s[0:1], 0x70
	s_bcnt1_i32_b32 s14, s14
	s_delay_alu instid0(SALU_CYCLE_1)
	v_dual_mov_b32 v2, 0 :: v_dual_mov_b32 v3, s14
	s_waitcnt lgkmcnt(0)
	global_atomic_add_u32 v2, v2, v3, s[20:21] glc
.LBB450_3:
	s_or_b32 exec_lo, exec_lo, s13
	s_waitcnt vmcnt(0)
	v_readfirstlane_b32 s13, v2
	s_delay_alu instid0(VALU_DEP_1)
	v_dual_mov_b32 v2, 0 :: v_dual_add_nc_u32 v1, s13, v1
	ds_store_b32 v2, v1
.LBB450_4:
	s_or_b32 exec_lo, exec_lo, s12
	v_dual_mov_b32 v1, 0 :: v_dual_add_nc_u32 v22, 0x300, v0
	s_clause 0x1
	s_load_b128 s[12:15], s[0:1], 0x28
	s_load_b32 s0, s[0:1], 0x68
	s_waitcnt lgkmcnt(0)
	s_barrier
	buffer_gl0_inv
	ds_load_b32 v3, v1
	s_waitcnt lgkmcnt(0)
	s_barrier
	buffer_gl0_inv
	global_load_b64 v[1:2], v1, s[10:11]
	s_lshl_b64 s[20:21], s[6:7], 2
	s_mov_b32 s11, 0
	s_add_u32 s26, s4, s20
	s_addc_u32 s28, s5, s21
	v_lshrrev_b32_e32 v20, 3, v0
	v_add_nc_u32_e32 v25, 0x180, v0
	v_add_nc_u32_e32 v21, 0x480, v0
	v_or_b32_e32 v23, 0x600, v0
	v_add_nc_u32_e32 v18, 0x780, v0
	v_add_nc_u32_e32 v17, 0x900, v0
	;; [unrolled: 1-line block ×3, first 2 shown]
	s_mul_i32 s1, s0, 0xc00
	s_delay_alu instid0(SALU_CYCLE_1) | instskip(NEXT) | instid1(SALU_CYCLE_1)
	s_add_i32 s4, s1, s6
	s_sub_i32 s25, s22, s4
	s_add_i32 s4, s0, -1
	s_addk_i32 s25, 0xc00
	s_add_u32 s0, s6, s1
	v_readfirstlane_b32 s24, v3
	s_addc_u32 s1, s7, 0
	s_delay_alu instid0(SALU_CYCLE_1) | instskip(NEXT) | instid1(VALU_DEP_2)
	v_cmp_ge_u64_e64 s0, s[0:1], s[22:23]
	s_cmp_eq_u32 s24, s4
	s_mul_i32 s10, s24, 0xc00
	s_cselect_b32 s22, -1, 0
	s_lshl_b64 s[4:5], s[10:11], 2
	s_delay_alu instid0(VALU_DEP_1) | instskip(NEXT) | instid1(SALU_CYCLE_1)
	s_and_b32 s1, s0, s22
	s_xor_b32 s23, s1, -1
	s_add_u32 s27, s26, s4
	s_addc_u32 s26, s28, s5
	s_and_b32 vcc_lo, exec_lo, s23
	s_mov_b32 s28, -1
	s_waitcnt vmcnt(0)
	v_readfirstlane_b32 s10, v1
	v_readfirstlane_b32 s11, v2
	s_cbranch_vccz .LBB450_6
; %bb.5:
	v_lshlrev_b32_e32 v7, 2, v0
	v_lshrrev_b32_e32 v11, 3, v25
	v_lshrrev_b32_e32 v12, 3, v22
	;; [unrolled: 1-line block ×4, first 2 shown]
	v_add_co_u32 v1, s0, s27, v7
	s_delay_alu instid0(VALU_DEP_1) | instskip(SKIP_1) | instid1(VALU_DEP_3)
	v_add_co_ci_u32_e64 v2, null, s26, 0, s0
	v_lshrrev_b32_e32 v15, 3, v18
	v_add_co_u32 v3, vcc_lo, 0x1000, v1
	s_delay_alu instid0(VALU_DEP_3)
	v_add_co_ci_u32_e32 v4, vcc_lo, 0, v2, vcc_lo
	v_add_co_u32 v5, vcc_lo, 0x2000, v1
	v_add_co_ci_u32_e32 v6, vcc_lo, 0, v2, vcc_lo
	s_clause 0x7
	flat_load_b32 v8, v[1:2]
	flat_load_b32 v9, v[1:2] offset:1536
	flat_load_b32 v1, v[1:2] offset:3072
	;; [unrolled: 1-line block ×7, first 2 shown]
	v_and_b32_e32 v6, 60, v20
	v_lshrrev_b32_e32 v16, 3, v17
	v_lshrrev_b32_e32 v19, 3, v24
	v_and_b32_e32 v11, 0x7c, v11
	v_and_b32_e32 v12, 0xfc, v12
	;; [unrolled: 1-line block ×4, first 2 shown]
	v_add_nc_u32_e32 v6, v6, v7
	v_and_b32_e32 v15, 0x1fc, v15
	v_and_b32_e32 v16, 0x17c, v16
	v_and_b32_e32 v19, 0x1fc, v19
	v_add_nc_u32_e32 v11, v11, v7
	v_add_nc_u32_e32 v12, v12, v7
	;; [unrolled: 1-line block ×4, first 2 shown]
	s_mov_b32 s28, 0
	v_add_nc_u32_e32 v15, v15, v7
	v_add_nc_u32_e32 v16, v16, v7
	;; [unrolled: 1-line block ×3, first 2 shown]
	s_waitcnt vmcnt(7) lgkmcnt(7)
	ds_store_b32 v6, v8
	s_waitcnt vmcnt(6) lgkmcnt(7)
	ds_store_b32 v11, v9 offset:1536
	s_waitcnt vmcnt(5) lgkmcnt(7)
	ds_store_b32 v12, v1 offset:3072
	;; [unrolled: 2-line block ×7, first 2 shown]
	s_waitcnt lgkmcnt(0)
	s_barrier
.LBB450_6:
	v_cmp_gt_u32_e64 s0, s25, v0
	s_and_not1_b32 vcc_lo, exec_lo, s28
	s_cbranch_vccnz .LBB450_24
; %bb.7:
                                        ; implicit-def: $vgpr1_vgpr2_vgpr3_vgpr4_vgpr5_vgpr6_vgpr7_vgpr8
	s_delay_alu instid0(VALU_DEP_1)
	s_and_saveexec_b32 s28, s0
	s_cbranch_execz .LBB450_15
; %bb.8:
	v_lshlrev_b32_e32 v1, 2, v0
	s_delay_alu instid0(VALU_DEP_1) | instskip(NEXT) | instid1(VALU_DEP_1)
	v_add_co_u32 v1, s0, s27, v1
	v_add_co_ci_u32_e64 v2, null, s26, 0, s0
	flat_load_b32 v1, v[1:2]
	s_or_b32 exec_lo, exec_lo, s28
	s_delay_alu instid0(SALU_CYCLE_1)
	s_mov_b32 s0, exec_lo
	v_cmpx_gt_u32_e64 s25, v25
	s_cbranch_execnz .LBB450_16
.LBB450_9:
	s_or_b32 exec_lo, exec_lo, s0
	s_delay_alu instid0(SALU_CYCLE_1)
	s_mov_b32 s0, exec_lo
	v_cmpx_gt_u32_e64 s25, v22
	s_cbranch_execz .LBB450_17
.LBB450_10:
	v_lshlrev_b32_e32 v3, 2, v0
	s_delay_alu instid0(VALU_DEP_1) | instskip(NEXT) | instid1(VALU_DEP_1)
	v_add_co_u32 v9, s28, s27, v3
	v_add_co_ci_u32_e64 v10, null, s26, 0, s28
	flat_load_b32 v3, v[9:10] offset:3072
	s_or_b32 exec_lo, exec_lo, s0
	s_delay_alu instid0(SALU_CYCLE_1)
	s_mov_b32 s0, exec_lo
	v_cmpx_gt_u32_e64 s25, v21
	s_cbranch_execnz .LBB450_18
.LBB450_11:
	s_or_b32 exec_lo, exec_lo, s0
	s_delay_alu instid0(SALU_CYCLE_1)
	s_mov_b32 s0, exec_lo
	v_cmpx_gt_u32_e64 s25, v23
	s_cbranch_execz .LBB450_19
.LBB450_12:
	v_lshlrev_b32_e32 v5, 2, v23
	s_delay_alu instid0(VALU_DEP_1) | instskip(NEXT) | instid1(VALU_DEP_1)
	v_add_co_u32 v9, s28, s27, v5
	v_add_co_ci_u32_e64 v10, null, s26, 0, s28
	flat_load_b32 v5, v[9:10]
	s_or_b32 exec_lo, exec_lo, s0
	s_delay_alu instid0(SALU_CYCLE_1)
	s_mov_b32 s0, exec_lo
	v_cmpx_gt_u32_e64 s25, v18
	s_cbranch_execnz .LBB450_20
.LBB450_13:
	s_or_b32 exec_lo, exec_lo, s0
	s_delay_alu instid0(SALU_CYCLE_1)
	s_mov_b32 s0, exec_lo
	v_cmpx_gt_u32_e64 s25, v17
	s_cbranch_execz .LBB450_21
.LBB450_14:
	v_lshlrev_b32_e32 v7, 2, v17
	s_delay_alu instid0(VALU_DEP_1) | instskip(NEXT) | instid1(VALU_DEP_1)
	v_add_co_u32 v9, s28, s27, v7
	v_add_co_ci_u32_e64 v10, null, s26, 0, s28
	flat_load_b32 v7, v[9:10]
	s_or_b32 exec_lo, exec_lo, s0
	s_delay_alu instid0(SALU_CYCLE_1)
	s_mov_b32 s0, exec_lo
	v_cmpx_gt_u32_e64 s25, v24
	s_cbranch_execnz .LBB450_22
	s_branch .LBB450_23
.LBB450_15:
	s_or_b32 exec_lo, exec_lo, s28
	s_delay_alu instid0(SALU_CYCLE_1)
	s_mov_b32 s0, exec_lo
	v_cmpx_gt_u32_e64 s25, v25
	s_cbranch_execz .LBB450_9
.LBB450_16:
	v_lshlrev_b32_e32 v2, 2, v0
	s_delay_alu instid0(VALU_DEP_1) | instskip(NEXT) | instid1(VALU_DEP_1)
	v_add_co_u32 v9, s28, s27, v2
	v_add_co_ci_u32_e64 v10, null, s26, 0, s28
	flat_load_b32 v2, v[9:10] offset:1536
	s_or_b32 exec_lo, exec_lo, s0
	s_delay_alu instid0(SALU_CYCLE_1)
	s_mov_b32 s0, exec_lo
	v_cmpx_gt_u32_e64 s25, v22
	s_cbranch_execnz .LBB450_10
.LBB450_17:
	s_or_b32 exec_lo, exec_lo, s0
	s_delay_alu instid0(SALU_CYCLE_1)
	s_mov_b32 s0, exec_lo
	v_cmpx_gt_u32_e64 s25, v21
	s_cbranch_execz .LBB450_11
.LBB450_18:
	v_lshlrev_b32_e32 v4, 2, v21
	s_delay_alu instid0(VALU_DEP_1) | instskip(NEXT) | instid1(VALU_DEP_1)
	v_add_co_u32 v9, s28, s27, v4
	v_add_co_ci_u32_e64 v10, null, s26, 0, s28
	flat_load_b32 v4, v[9:10]
	s_or_b32 exec_lo, exec_lo, s0
	s_delay_alu instid0(SALU_CYCLE_1)
	s_mov_b32 s0, exec_lo
	v_cmpx_gt_u32_e64 s25, v23
	s_cbranch_execnz .LBB450_12
.LBB450_19:
	s_or_b32 exec_lo, exec_lo, s0
	s_delay_alu instid0(SALU_CYCLE_1)
	s_mov_b32 s0, exec_lo
	v_cmpx_gt_u32_e64 s25, v18
	s_cbranch_execz .LBB450_13
.LBB450_20:
	v_lshlrev_b32_e32 v6, 2, v18
	s_delay_alu instid0(VALU_DEP_1) | instskip(NEXT) | instid1(VALU_DEP_1)
	v_add_co_u32 v9, s28, s27, v6
	v_add_co_ci_u32_e64 v10, null, s26, 0, s28
	flat_load_b32 v6, v[9:10]
	s_or_b32 exec_lo, exec_lo, s0
	s_delay_alu instid0(SALU_CYCLE_1)
	s_mov_b32 s0, exec_lo
	v_cmpx_gt_u32_e64 s25, v17
	s_cbranch_execnz .LBB450_14
.LBB450_21:
	s_or_b32 exec_lo, exec_lo, s0
	s_delay_alu instid0(SALU_CYCLE_1)
	s_mov_b32 s0, exec_lo
	v_cmpx_gt_u32_e64 s25, v24
	s_cbranch_execz .LBB450_23
.LBB450_22:
	v_lshlrev_b32_e32 v8, 2, v24
	s_delay_alu instid0(VALU_DEP_1) | instskip(NEXT) | instid1(VALU_DEP_1)
	v_add_co_u32 v8, s28, s27, v8
	v_add_co_ci_u32_e64 v9, null, s26, 0, s28
	flat_load_b32 v8, v[8:9]
.LBB450_23:
	s_or_b32 exec_lo, exec_lo, s0
	v_lshrrev_b32_e32 v9, 3, v25
	v_lshrrev_b32_e32 v10, 3, v22
	;; [unrolled: 1-line block ×4, first 2 shown]
	v_and_b32_e32 v11, 60, v20
	v_lshlrev_b32_e32 v12, 2, v0
	v_lshrrev_b32_e32 v15, 3, v18
	v_lshrrev_b32_e32 v16, 3, v17
	;; [unrolled: 1-line block ×3, first 2 shown]
	v_and_b32_e32 v9, 0x7c, v9
	v_and_b32_e32 v10, 0xfc, v10
	;; [unrolled: 1-line block ×4, first 2 shown]
	v_add_nc_u32_e32 v11, v11, v12
	v_and_b32_e32 v15, 0x1fc, v15
	v_and_b32_e32 v16, 0x1fc, v16
	v_and_b32_e32 v19, 0x1fc, v19
	v_add_nc_u32_e32 v9, v9, v12
	v_add_nc_u32_e32 v10, v10, v12
	;; [unrolled: 1-line block ×7, first 2 shown]
	s_waitcnt vmcnt(0) lgkmcnt(0)
	ds_store_b32 v11, v1
	ds_store_b32 v9, v2 offset:1536
	ds_store_b32 v10, v3 offset:3072
	;; [unrolled: 1-line block ×7, first 2 shown]
	s_waitcnt lgkmcnt(0)
	s_barrier
.LBB450_24:
	v_lshlrev_b32_e32 v19, 3, v0
	v_lshrrev_b32_e32 v1, 2, v0
	buffer_gl0_inv
	s_add_u32 s0, s18, s20
	s_addc_u32 s18, s19, s21
	s_add_u32 s0, s0, s4
	v_add_lshl_u32 v1, v1, v19, 2
	s_addc_u32 s4, s18, s5
	s_and_b32 vcc_lo, exec_lo, s23
	s_mov_b32 s5, -1
	ds_load_2addr_b32 v[15:16], v1 offset1:1
	ds_load_2addr_b32 v[13:14], v1 offset0:2 offset1:3
	ds_load_2addr_b32 v[11:12], v1 offset0:4 offset1:5
	;; [unrolled: 1-line block ×3, first 2 shown]
	s_waitcnt lgkmcnt(0)
	s_barrier
	buffer_gl0_inv
	s_cbranch_vccz .LBB450_26
; %bb.25:
	v_lshlrev_b32_e32 v8, 2, v0
	v_lshrrev_b32_e32 v29, 3, v25
	v_lshrrev_b32_e32 v30, 3, v22
	;; [unrolled: 1-line block ×4, first 2 shown]
	v_add_co_u32 v2, s5, s0, v8
	s_delay_alu instid0(VALU_DEP_1) | instskip(SKIP_1) | instid1(VALU_DEP_3)
	v_add_co_ci_u32_e64 v3, null, s4, 0, s5
	v_lshrrev_b32_e32 v33, 3, v18
	v_add_co_u32 v4, vcc_lo, 0x1000, v2
	s_delay_alu instid0(VALU_DEP_3)
	v_add_co_ci_u32_e32 v5, vcc_lo, 0, v3, vcc_lo
	v_add_co_u32 v6, vcc_lo, 0x2000, v2
	v_add_co_ci_u32_e32 v7, vcc_lo, 0, v3, vcc_lo
	s_clause 0x7
	flat_load_b32 v26, v[2:3]
	flat_load_b32 v27, v[2:3] offset:1536
	flat_load_b32 v2, v[2:3] offset:3072
	;; [unrolled: 1-line block ×7, first 2 shown]
	v_and_b32_e32 v7, 60, v20
	v_lshrrev_b32_e32 v34, 3, v17
	v_lshrrev_b32_e32 v35, 3, v24
	v_and_b32_e32 v29, 0x7c, v29
	v_and_b32_e32 v30, 0xfc, v30
	;; [unrolled: 1-line block ×4, first 2 shown]
	v_add_nc_u32_e32 v7, v7, v8
	v_and_b32_e32 v33, 0x1fc, v33
	v_and_b32_e32 v34, 0x17c, v34
	;; [unrolled: 1-line block ×3, first 2 shown]
	v_add_nc_u32_e32 v29, v29, v8
	v_add_nc_u32_e32 v30, v30, v8
	;; [unrolled: 1-line block ×4, first 2 shown]
	s_mov_b32 s5, 0
	v_add_nc_u32_e32 v33, v33, v8
	v_add_nc_u32_e32 v34, v34, v8
	;; [unrolled: 1-line block ×3, first 2 shown]
	s_waitcnt vmcnt(7) lgkmcnt(7)
	ds_store_b32 v7, v26
	s_waitcnt vmcnt(6) lgkmcnt(7)
	ds_store_b32 v29, v27 offset:1536
	s_waitcnt vmcnt(5) lgkmcnt(7)
	ds_store_b32 v30, v2 offset:3072
	;; [unrolled: 2-line block ×7, first 2 shown]
	s_waitcnt lgkmcnt(0)
	s_barrier
.LBB450_26:
	s_and_not1_b32 vcc_lo, exec_lo, s5
	s_cbranch_vccnz .LBB450_44
; %bb.27:
	s_mov_b32 s5, exec_lo
                                        ; implicit-def: $vgpr2
	v_cmpx_gt_u32_e64 s25, v0
	s_cbranch_execz .LBB450_29
; %bb.28:
	v_lshlrev_b32_e32 v2, 2, v0
	s_delay_alu instid0(VALU_DEP_1) | instskip(NEXT) | instid1(VALU_DEP_1)
	v_add_co_u32 v2, s18, s0, v2
	v_add_co_ci_u32_e64 v3, null, s4, 0, s18
	flat_load_b32 v2, v[2:3]
.LBB450_29:
	s_or_b32 exec_lo, exec_lo, s5
	s_delay_alu instid0(SALU_CYCLE_1)
	s_mov_b32 s5, exec_lo
                                        ; implicit-def: $vgpr3
	v_cmpx_gt_u32_e64 s25, v25
	s_cbranch_execz .LBB450_31
; %bb.30:
	v_lshlrev_b32_e32 v3, 2, v0
	s_delay_alu instid0(VALU_DEP_1) | instskip(NEXT) | instid1(VALU_DEP_1)
	v_add_co_u32 v3, s18, s0, v3
	v_add_co_ci_u32_e64 v4, null, s4, 0, s18
	flat_load_b32 v3, v[3:4] offset:1536
.LBB450_31:
	s_or_b32 exec_lo, exec_lo, s5
	s_delay_alu instid0(SALU_CYCLE_1)
	s_mov_b32 s5, exec_lo
                                        ; implicit-def: $vgpr4
	v_cmpx_gt_u32_e64 s25, v22
	s_cbranch_execz .LBB450_33
; %bb.32:
	v_lshlrev_b32_e32 v4, 2, v0
	s_delay_alu instid0(VALU_DEP_1) | instskip(NEXT) | instid1(VALU_DEP_1)
	v_add_co_u32 v4, s18, s0, v4
	v_add_co_ci_u32_e64 v5, null, s4, 0, s18
	flat_load_b32 v4, v[4:5] offset:3072
.LBB450_33:
	s_or_b32 exec_lo, exec_lo, s5
	s_delay_alu instid0(SALU_CYCLE_1)
	s_mov_b32 s5, exec_lo
                                        ; implicit-def: $vgpr5
	v_cmpx_gt_u32_e64 s25, v21
	s_cbranch_execz .LBB450_35
; %bb.34:
	v_lshlrev_b32_e32 v5, 2, v21
	s_delay_alu instid0(VALU_DEP_1) | instskip(NEXT) | instid1(VALU_DEP_1)
	v_add_co_u32 v5, s18, s0, v5
	v_add_co_ci_u32_e64 v6, null, s4, 0, s18
	flat_load_b32 v5, v[5:6]
.LBB450_35:
	s_or_b32 exec_lo, exec_lo, s5
	s_delay_alu instid0(SALU_CYCLE_1)
	s_mov_b32 s5, exec_lo
                                        ; implicit-def: $vgpr6
	v_cmpx_gt_u32_e64 s25, v23
	s_cbranch_execz .LBB450_37
; %bb.36:
	v_lshlrev_b32_e32 v6, 2, v23
	s_delay_alu instid0(VALU_DEP_1) | instskip(NEXT) | instid1(VALU_DEP_1)
	v_add_co_u32 v6, s18, s0, v6
	v_add_co_ci_u32_e64 v7, null, s4, 0, s18
	flat_load_b32 v6, v[6:7]
.LBB450_37:
	s_or_b32 exec_lo, exec_lo, s5
	s_delay_alu instid0(SALU_CYCLE_1)
	s_mov_b32 s5, exec_lo
                                        ; implicit-def: $vgpr7
	v_cmpx_gt_u32_e64 s25, v18
	s_cbranch_execz .LBB450_39
; %bb.38:
	v_lshlrev_b32_e32 v7, 2, v18
	s_delay_alu instid0(VALU_DEP_1) | instskip(NEXT) | instid1(VALU_DEP_1)
	v_add_co_u32 v7, s18, s0, v7
	v_add_co_ci_u32_e64 v8, null, s4, 0, s18
	flat_load_b32 v7, v[7:8]
.LBB450_39:
	s_or_b32 exec_lo, exec_lo, s5
	s_delay_alu instid0(SALU_CYCLE_1)
	s_mov_b32 s5, exec_lo
                                        ; implicit-def: $vgpr8
	v_cmpx_gt_u32_e64 s25, v17
	s_cbranch_execz .LBB450_41
; %bb.40:
	v_lshlrev_b32_e32 v8, 2, v17
	s_delay_alu instid0(VALU_DEP_1) | instskip(NEXT) | instid1(VALU_DEP_1)
	v_add_co_u32 v26, s18, s0, v8
	v_add_co_ci_u32_e64 v27, null, s4, 0, s18
	flat_load_b32 v8, v[26:27]
.LBB450_41:
	s_or_b32 exec_lo, exec_lo, s5
	s_delay_alu instid0(SALU_CYCLE_1)
	s_mov_b32 s5, exec_lo
                                        ; implicit-def: $vgpr26
	v_cmpx_gt_u32_e64 s25, v24
	s_cbranch_execz .LBB450_43
; %bb.42:
	v_lshlrev_b32_e32 v26, 2, v24
	s_delay_alu instid0(VALU_DEP_1) | instskip(NEXT) | instid1(VALU_DEP_1)
	v_add_co_u32 v26, s0, s0, v26
	v_add_co_ci_u32_e64 v27, null, s4, 0, s0
	flat_load_b32 v26, v[26:27]
.LBB450_43:
	s_or_b32 exec_lo, exec_lo, s5
	v_lshrrev_b32_e32 v25, 3, v25
	v_lshrrev_b32_e32 v22, 3, v22
	;; [unrolled: 1-line block ×4, first 2 shown]
	v_and_b32_e32 v20, 60, v20
	v_lshlrev_b32_e32 v27, 2, v0
	v_lshrrev_b32_e32 v18, 3, v18
	v_lshrrev_b32_e32 v17, 3, v17
	;; [unrolled: 1-line block ×3, first 2 shown]
	v_and_b32_e32 v25, 0x7c, v25
	v_and_b32_e32 v22, 0xfc, v22
	;; [unrolled: 1-line block ×4, first 2 shown]
	v_add_nc_u32_e32 v20, v20, v27
	v_and_b32_e32 v18, 0x1fc, v18
	v_and_b32_e32 v17, 0x1fc, v17
	;; [unrolled: 1-line block ×3, first 2 shown]
	v_add_nc_u32_e32 v25, v25, v27
	v_add_nc_u32_e32 v22, v22, v27
	;; [unrolled: 1-line block ×7, first 2 shown]
	s_waitcnt vmcnt(0) lgkmcnt(0)
	ds_store_b32 v20, v2
	ds_store_b32 v25, v3 offset:1536
	ds_store_b32 v22, v4 offset:3072
	;; [unrolled: 1-line block ×7, first 2 shown]
	s_waitcnt lgkmcnt(0)
	s_barrier
.LBB450_44:
	buffer_gl0_inv
	ds_load_2addr_b32 v[7:8], v1 offset1:1
	ds_load_2addr_b32 v[5:6], v1 offset0:2 offset1:3
	ds_load_2addr_b32 v[3:4], v1 offset0:4 offset1:5
	;; [unrolled: 1-line block ×3, first 2 shown]
	s_cmp_lg_u32 s24, 0
	s_waitcnt lgkmcnt(0)
	s_cselect_b32 s18, -1, 0
	s_cmp_lg_u64 s[6:7], 0
	s_barrier
	s_cselect_b32 s0, -1, 0
	buffer_gl0_inv
	s_or_b32 s0, s0, s18
	s_delay_alu instid0(SALU_CYCLE_1)
	s_and_b32 vcc_lo, exec_lo, s0
	s_mov_b32 s0, 0
	s_cbranch_vccz .LBB450_49
; %bb.45:
	v_add_co_u32 v17, s0, -4, s27
	s_delay_alu instid0(VALU_DEP_1)
	v_add_co_ci_u32_e64 v18, null, -1, s26, s0
	v_lshlrev_b32_e32 v21, 2, v0
	s_mov_b32 s0, -1
	s_and_b32 vcc_lo, exec_lo, s23
	flat_load_b32 v20, v[17:18]
	ds_store_b32 v21, v10
	s_cbranch_vccz .LBB450_50
; %bb.46:
	s_waitcnt vmcnt(0) lgkmcnt(1)
	v_mov_b32_e32 v17, v20
	s_waitcnt lgkmcnt(0)
	s_barrier
	buffer_gl0_inv
	s_and_saveexec_b32 s0, s3
	s_cbranch_execz .LBB450_48
; %bb.47:
	v_add_nc_u32_e32 v17, -4, v21
	ds_load_b32 v17, v17
.LBB450_48:
	s_or_b32 exec_lo, exec_lo, s0
	v_mul_hi_i32 v18, 0x66666667, v9
	v_mul_hi_i32 v22, 0x66666667, v10
	v_mul_hi_i32 v23, 0x66666667, v12
	v_mul_hi_i32 v24, 0x66666667, v11
	v_mul_hi_i32 v25, 0x66666667, v14
	s_waitcnt lgkmcnt(0)
	v_mul_hi_i32 v17, 0x66666667, v17
	v_lshrrev_b32_e32 v26, 31, v18
	v_ashrrev_i32_e32 v18, 2, v18
	v_lshrrev_b32_e32 v27, 31, v22
	v_ashrrev_i32_e32 v22, 2, v22
	;; [unrolled: 2-line block ×3, first 2 shown]
	v_add_nc_u32_e32 v18, v18, v26
	v_lshrrev_b32_e32 v29, 31, v24
	v_add_nc_u32_e32 v22, v22, v27
	v_ashrrev_i32_e32 v24, 2, v24
	v_add_nc_u32_e32 v23, v23, v28
	v_mul_hi_i32 v27, 0x66666667, v13
	v_lshrrev_b32_e32 v26, 31, v25
	v_cmp_ne_u32_e32 vcc_lo, v18, v22
	v_add_nc_u32_e32 v24, v24, v29
	v_ashrrev_i32_e32 v25, 2, v25
	v_mul_hi_i32 v28, 0x66666667, v16
	v_mul_hi_i32 v29, 0x66666667, v15
	v_cndmask_b32_e64 v22, 0, 1, vcc_lo
	v_cmp_ne_u32_e32 vcc_lo, v23, v18
	v_add_nc_u32_e32 v25, v25, v26
	v_lshrrev_b32_e32 v26, 31, v27
	v_ashrrev_i32_e32 v27, 2, v27
	v_lshlrev_b16 v22, 8, v22
	v_cndmask_b32_e64 v18, 0, 1, vcc_lo
	v_cmp_ne_u32_e32 vcc_lo, v24, v23
	v_lshrrev_b32_e32 v30, 31, v28
	v_ashrrev_i32_e32 v28, 2, v28
	v_add_nc_u32_e32 v26, v27, v26
	v_lshrrev_b32_e32 v31, 31, v29
	v_cndmask_b32_e64 v23, 0, 1, vcc_lo
	v_cmp_ne_u32_e32 vcc_lo, v25, v24
	v_ashrrev_i32_e32 v29, 2, v29
	v_add_nc_u32_e32 v27, v28, v30
	v_or_b32_e32 v18, v18, v22
	v_lshlrev_b16 v23, 8, v23
	v_cndmask_b32_e64 v24, 0, 1, vcc_lo
	v_cmp_ne_u32_e32 vcc_lo, v26, v25
	v_add_nc_u32_e32 v28, v29, v31
	v_lshrrev_b32_e32 v29, 31, v17
	v_ashrrev_i32_e32 v17, 2, v17
	v_or_b32_e32 v23, v24, v23
	v_cndmask_b32_e64 v25, 0, 1, vcc_lo
	v_cmp_ne_u32_e32 vcc_lo, v27, v26
	v_lshlrev_b32_e32 v18, 16, v18
	v_add_nc_u32_e32 v17, v17, v29
	v_and_b32_e32 v23, 0xffff, v23
	v_lshlrev_b16 v25, 8, v25
	v_cndmask_b32_e64 v26, 0, 1, vcc_lo
	v_cmp_ne_u32_e32 vcc_lo, v28, v27
	v_cmp_ne_u32_e64 s4, v17, v28
	v_or_b32_e32 v18, v23, v18
	s_delay_alu instid0(VALU_DEP_4) | instskip(SKIP_1) | instid1(VALU_DEP_2)
	v_or_b32_e32 v25, v26, v25
	v_cndmask_b32_e64 v27, 0, 1, vcc_lo
	v_lshlrev_b32_e32 v22, 16, v25
	s_delay_alu instid0(VALU_DEP_2) | instskip(NEXT) | instid1(VALU_DEP_1)
	v_lshlrev_b16 v26, 8, v27
	v_and_b32_e32 v24, 0xffff, v26
	s_delay_alu instid0(VALU_DEP_1)
	v_or_b32_e32 v17, v24, v22
	s_branch .LBB450_70
.LBB450_49:
                                        ; implicit-def: $sgpr4
                                        ; implicit-def: $vgpr18
	s_branch .LBB450_71
.LBB450_50:
                                        ; implicit-def: $sgpr4
                                        ; implicit-def: $vgpr18
	s_and_b32 vcc_lo, exec_lo, s0
	s_cbranch_vccz .LBB450_70
; %bb.51:
	v_or_b32_e32 v17, 7, v19
	s_mov_b32 s0, 0
	s_mov_b32 s4, 0
	s_mov_b32 s5, exec_lo
	s_delay_alu instid0(VALU_DEP_1)
	v_cmpx_gt_u32_e64 s25, v17
; %bb.52:
	v_mul_hi_i32 v17, 0x66666667, v9
	v_mul_hi_i32 v18, 0x66666667, v10
	s_delay_alu instid0(VALU_DEP_2) | instskip(SKIP_1) | instid1(VALU_DEP_3)
	v_lshrrev_b32_e32 v22, 31, v17
	v_ashrrev_i32_e32 v17, 2, v17
	v_lshrrev_b32_e32 v23, 31, v18
	v_ashrrev_i32_e32 v18, 2, v18
	s_delay_alu instid0(VALU_DEP_3) | instskip(NEXT) | instid1(VALU_DEP_2)
	v_add_nc_u32_e32 v17, v17, v22
	v_add_nc_u32_e32 v18, v18, v23
	s_delay_alu instid0(VALU_DEP_1)
	v_cmp_ne_u32_e32 vcc_lo, v17, v18
	s_and_b32 s4, vcc_lo, exec_lo
; %bb.53:
	s_or_b32 exec_lo, exec_lo, s5
	v_or_b32_e32 v17, 6, v19
	s_mov_b32 s5, exec_lo
	s_delay_alu instid0(VALU_DEP_1)
	v_cmpx_gt_u32_e64 s25, v17
; %bb.54:
	v_mul_hi_i32 v17, 0x66666667, v12
	v_mul_hi_i32 v18, 0x66666667, v9
	s_delay_alu instid0(VALU_DEP_2) | instskip(SKIP_1) | instid1(VALU_DEP_3)
	v_lshrrev_b32_e32 v22, 31, v17
	v_ashrrev_i32_e32 v17, 2, v17
	v_lshrrev_b32_e32 v23, 31, v18
	v_ashrrev_i32_e32 v18, 2, v18
	s_delay_alu instid0(VALU_DEP_3) | instskip(NEXT) | instid1(VALU_DEP_2)
	v_add_nc_u32_e32 v17, v17, v22
	v_add_nc_u32_e32 v18, v18, v23
	s_delay_alu instid0(VALU_DEP_1)
	v_cmp_ne_u32_e32 vcc_lo, v17, v18
	s_and_b32 s0, vcc_lo, exec_lo
; %bb.55:
	s_or_b32 exec_lo, exec_lo, s5
	v_or_b32_e32 v17, 5, v19
	s_mov_b32 s6, 0
	s_mov_b32 s5, 0
	s_mov_b32 s7, exec_lo
	s_delay_alu instid0(VALU_DEP_1)
	v_cmpx_gt_u32_e64 s25, v17
; %bb.56:
	v_mul_hi_i32 v17, 0x66666667, v11
	v_mul_hi_i32 v18, 0x66666667, v12
	s_delay_alu instid0(VALU_DEP_2) | instskip(SKIP_1) | instid1(VALU_DEP_3)
	v_lshrrev_b32_e32 v22, 31, v17
	v_ashrrev_i32_e32 v17, 2, v17
	v_lshrrev_b32_e32 v23, 31, v18
	v_ashrrev_i32_e32 v18, 2, v18
	s_delay_alu instid0(VALU_DEP_3) | instskip(NEXT) | instid1(VALU_DEP_2)
	v_add_nc_u32_e32 v17, v17, v22
	v_add_nc_u32_e32 v18, v18, v23
	s_delay_alu instid0(VALU_DEP_1)
	v_cmp_ne_u32_e32 vcc_lo, v17, v18
	s_and_b32 s5, vcc_lo, exec_lo
; %bb.57:
	s_or_b32 exec_lo, exec_lo, s7
	v_or_b32_e32 v17, 4, v19
	s_mov_b32 s7, exec_lo
	s_delay_alu instid0(VALU_DEP_1)
	v_cmpx_gt_u32_e64 s25, v17
; %bb.58:
	v_mul_hi_i32 v17, 0x66666667, v14
	v_mul_hi_i32 v18, 0x66666667, v11
	s_delay_alu instid0(VALU_DEP_2) | instskip(SKIP_1) | instid1(VALU_DEP_3)
	v_lshrrev_b32_e32 v22, 31, v17
	v_ashrrev_i32_e32 v17, 2, v17
	v_lshrrev_b32_e32 v23, 31, v18
	v_ashrrev_i32_e32 v18, 2, v18
	s_delay_alu instid0(VALU_DEP_3) | instskip(NEXT) | instid1(VALU_DEP_2)
	v_add_nc_u32_e32 v17, v17, v22
	v_add_nc_u32_e32 v18, v18, v23
	s_delay_alu instid0(VALU_DEP_1)
	v_cmp_ne_u32_e32 vcc_lo, v17, v18
	s_and_b32 s6, vcc_lo, exec_lo
; %bb.59:
	s_or_b32 exec_lo, exec_lo, s7
	;; [unrolled: 42-line block ×3, first 2 shown]
	v_or_b32_e32 v17, 1, v19
	s_mov_b32 s20, 0
	s_mov_b32 s21, exec_lo
	s_delay_alu instid0(VALU_DEP_1)
	v_cmpx_gt_u32_e64 s25, v17
; %bb.64:
	v_mul_hi_i32 v17, 0x66666667, v15
	v_mul_hi_i32 v18, 0x66666667, v16
	s_delay_alu instid0(VALU_DEP_2) | instskip(SKIP_1) | instid1(VALU_DEP_3)
	v_lshrrev_b32_e32 v22, 31, v17
	v_ashrrev_i32_e32 v17, 2, v17
	v_lshrrev_b32_e32 v23, 31, v18
	v_ashrrev_i32_e32 v18, 2, v18
	s_delay_alu instid0(VALU_DEP_3) | instskip(NEXT) | instid1(VALU_DEP_2)
	v_add_nc_u32_e32 v17, v17, v22
	v_add_nc_u32_e32 v18, v18, v23
	s_delay_alu instid0(VALU_DEP_1)
	v_cmp_ne_u32_e32 vcc_lo, v17, v18
	s_and_b32 s20, vcc_lo, exec_lo
; %bb.65:
	s_or_b32 exec_lo, exec_lo, s21
	s_waitcnt vmcnt(0) lgkmcnt(0)
	s_barrier
	buffer_gl0_inv
	s_and_saveexec_b32 s21, s3
	s_cbranch_execz .LBB450_67
; %bb.66:
	v_add_nc_u32_e32 v17, -4, v21
	ds_load_b32 v20, v17
.LBB450_67:
	s_or_b32 exec_lo, exec_lo, s21
	v_cndmask_b32_e64 v18, 0, 1, s7
	v_cndmask_b32_e64 v22, 0, 1, s5
	;; [unrolled: 1-line block ×7, first 2 shown]
	v_lshlrev_b16 v18, 8, v18
	v_lshlrev_b16 v22, 8, v22
	;; [unrolled: 1-line block ×3, first 2 shown]
	s_mov_b32 s4, 0
	v_lshlrev_b16 v25, 8, v25
	v_or_b32_e32 v18, v17, v18
	v_or_b32_e32 v21, v21, v22
	;; [unrolled: 1-line block ×3, first 2 shown]
	s_mov_b32 s0, exec_lo
	v_and_b32_e32 v17, 0xffff, v25
	v_lshlrev_b32_e32 v18, 16, v18
	v_and_b32_e32 v21, 0xffff, v21
	v_lshlrev_b32_e32 v22, 16, v22
	v_cmpx_gt_u32_e64 s25, v19
	s_cbranch_execz .LBB450_69
; %bb.68:
	s_waitcnt lgkmcnt(0)
	v_mul_hi_i32 v20, 0x66666667, v20
	v_mul_hi_i32 v23, 0x66666667, v15
	s_delay_alu instid0(VALU_DEP_2) | instskip(SKIP_1) | instid1(VALU_DEP_3)
	v_lshrrev_b32_e32 v24, 31, v20
	v_ashrrev_i32_e32 v20, 2, v20
	v_lshrrev_b32_e32 v25, 31, v23
	v_ashrrev_i32_e32 v23, 2, v23
	s_delay_alu instid0(VALU_DEP_3) | instskip(NEXT) | instid1(VALU_DEP_2)
	v_add_nc_u32_e32 v20, v20, v24
	v_add_nc_u32_e32 v23, v23, v25
	s_delay_alu instid0(VALU_DEP_1)
	v_cmp_ne_u32_e32 vcc_lo, v20, v23
	s_and_b32 s4, vcc_lo, exec_lo
.LBB450_69:
	s_or_b32 exec_lo, exec_lo, s0
	v_or_b32_e32 v17, v17, v18
	v_or_b32_e32 v18, v21, v22
.LBB450_70:
	s_mov_b32 s0, -1
	s_cbranch_execnz .LBB450_95
.LBB450_71:
	v_mul_hi_i32 v26, 0x66666667, v9
	v_mul_hi_i32 v25, 0x66666667, v12
	;; [unrolled: 1-line block ×6, first 2 shown]
	s_waitcnt vmcnt(0) lgkmcnt(0)
	v_lshlrev_b32_e32 v20, 2, v0
	s_and_b32 vcc_lo, exec_lo, s23
	ds_store_b32 v20, v10
	s_cbranch_vccz .LBB450_75
; %bb.72:
	v_mul_hi_i32 v17, 0x66666667, v10
	v_lshrrev_b32_e32 v18, 31, v26
	v_ashrrev_i32_e32 v27, 2, v26
	v_lshrrev_b32_e32 v28, 31, v25
	v_ashrrev_i32_e32 v29, 2, v25
	;; [unrolled: 2-line block ×3, first 2 shown]
	v_add_nc_u32_e32 v18, v27, v18
	v_lshrrev_b32_e32 v31, 31, v17
	v_ashrrev_i32_e32 v17, 2, v17
	v_add_nc_u32_e32 v27, v29, v28
	v_lshrrev_b32_e32 v28, 31, v23
	v_ashrrev_i32_e32 v29, 2, v23
	v_ashrrev_i32_e32 v34, 2, v21
	v_add_nc_u32_e32 v17, v17, v31
	v_cmp_ne_u32_e32 vcc_lo, v27, v18
	v_mul_hi_i32 v31, 0x66666667, v15
	v_add_nc_u32_e32 v28, v29, v28
	v_lshrrev_b32_e32 v29, 31, v22
	s_waitcnt lgkmcnt(0)
	v_cndmask_b32_e64 v33, 0, 1, vcc_lo
	v_cmp_ne_u32_e32 vcc_lo, v18, v17
	v_add_nc_u32_e32 v18, v32, v30
	v_ashrrev_i32_e32 v30, 2, v22
	v_lshrrev_b32_e32 v32, 31, v21
	v_lshrrev_b32_e32 v35, 31, v31
	v_cndmask_b32_e64 v17, 0, 1, vcc_lo
	v_cmp_ne_u32_e32 vcc_lo, v18, v27
	v_ashrrev_i32_e32 v31, 2, v31
	v_add_nc_u32_e32 v29, v30, v29
	v_add_nc_u32_e32 v30, v34, v32
	v_lshlrev_b16 v17, 8, v17
	v_cndmask_b32_e64 v36, 0, 1, vcc_lo
	v_cmp_ne_u32_e32 vcc_lo, v28, v18
	v_add_nc_u32_e32 v27, v31, v35
	s_barrier
	v_or_b32_e32 v17, v33, v17
	buffer_gl0_inv
	v_cndmask_b32_e64 v18, 0, 1, vcc_lo
	v_cmp_ne_u32_e32 vcc_lo, v29, v28
                                        ; implicit-def: $sgpr4
	v_lshlrev_b32_e32 v17, 16, v17
	v_cndmask_b32_e64 v28, 0, 1, vcc_lo
	v_cmp_ne_u32_e32 vcc_lo, v27, v30
	s_delay_alu instid0(VALU_DEP_2) | instskip(SKIP_3) | instid1(VALU_DEP_3)
	v_lshlrev_b16 v28, 8, v28
	v_cndmask_b32_e64 v31, 0, 1, vcc_lo
	v_cmp_ne_u32_e32 vcc_lo, v30, v29
	v_lshlrev_b16 v30, 8, v36
	v_lshlrev_b16 v31, 8, v31
	v_cndmask_b32_e64 v29, 0, 1, vcc_lo
	s_delay_alu instid0(VALU_DEP_3) | instskip(NEXT) | instid1(VALU_DEP_2)
	v_or_b32_e32 v18, v18, v30
	v_or_b32_e32 v28, v29, v28
	s_delay_alu instid0(VALU_DEP_4) | instskip(NEXT) | instid1(VALU_DEP_3)
	v_or_b32_e32 v29, 1, v31
	v_and_b32_e32 v18, 0xffff, v18
	s_delay_alu instid0(VALU_DEP_3) | instskip(NEXT) | instid1(VALU_DEP_3)
	v_lshlrev_b32_e32 v28, 16, v28
	v_and_b32_e32 v29, 0xffff, v29
	s_delay_alu instid0(VALU_DEP_3) | instskip(NEXT) | instid1(VALU_DEP_2)
	v_or_b32_e32 v18, v18, v17
	v_or_b32_e32 v17, v29, v28
	s_and_saveexec_b32 s5, s3
	s_delay_alu instid0(SALU_CYCLE_1)
	s_xor_b32 s5, exec_lo, s5
	s_cbranch_execz .LBB450_74
; %bb.73:
	v_add_nc_u32_e32 v28, -4, v20
	s_or_b32 s0, s0, exec_lo
	ds_load_b32 v28, v28
	s_waitcnt lgkmcnt(0)
	v_mul_hi_i32 v28, 0x66666667, v28
	s_delay_alu instid0(VALU_DEP_1) | instskip(SKIP_1) | instid1(VALU_DEP_1)
	v_lshrrev_b32_e32 v29, 31, v28
	v_ashrrev_i32_e32 v28, 2, v28
	v_add_nc_u32_e32 v28, v28, v29
	s_delay_alu instid0(VALU_DEP_1)
	v_cmp_ne_u32_e32 vcc_lo, v28, v27
	s_and_b32 s4, vcc_lo, exec_lo
.LBB450_74:
	s_or_b32 exec_lo, exec_lo, s5
	s_branch .LBB450_95
.LBB450_75:
                                        ; implicit-def: $sgpr4
                                        ; implicit-def: $vgpr18
	s_cbranch_execz .LBB450_95
; %bb.76:
	v_or_b32_e32 v17, 7, v19
	s_mov_b32 s4, 0
	s_mov_b32 s5, 0
	s_mov_b32 s6, exec_lo
	s_delay_alu instid0(VALU_DEP_1)
	v_cmpx_gt_u32_e64 s25, v17
; %bb.77:
	v_mul_hi_i32 v17, 0x66666667, v10
	v_lshrrev_b32_e32 v18, 31, v26
	v_ashrrev_i32_e32 v27, 2, v26
	s_delay_alu instid0(VALU_DEP_1) | instskip(NEXT) | instid1(VALU_DEP_4)
	v_add_nc_u32_e32 v18, v27, v18
	v_lshrrev_b32_e32 v28, 31, v17
	v_ashrrev_i32_e32 v17, 2, v17
	s_delay_alu instid0(VALU_DEP_1) | instskip(NEXT) | instid1(VALU_DEP_1)
	v_add_nc_u32_e32 v17, v17, v28
	v_cmp_ne_u32_e32 vcc_lo, v18, v17
	s_and_b32 s5, vcc_lo, exec_lo
; %bb.78:
	s_or_b32 exec_lo, exec_lo, s6
	v_or_b32_e32 v17, 6, v19
	s_mov_b32 s6, exec_lo
	s_delay_alu instid0(VALU_DEP_1)
	v_cmpx_gt_u32_e64 s25, v17
; %bb.79:
	v_lshrrev_b32_e32 v17, 31, v25
	v_ashrrev_i32_e32 v18, 2, v25
	v_lshrrev_b32_e32 v27, 31, v26
	v_ashrrev_i32_e32 v26, 2, v26
	s_delay_alu instid0(VALU_DEP_3) | instskip(NEXT) | instid1(VALU_DEP_2)
	v_add_nc_u32_e32 v17, v18, v17
	v_add_nc_u32_e32 v18, v26, v27
	s_delay_alu instid0(VALU_DEP_1)
	v_cmp_ne_u32_e32 vcc_lo, v17, v18
	s_and_b32 s4, vcc_lo, exec_lo
; %bb.80:
	s_or_b32 exec_lo, exec_lo, s6
	v_or_b32_e32 v17, 5, v19
	s_mov_b32 s6, 0
	s_mov_b32 s7, 0
	s_mov_b32 s19, exec_lo
	s_delay_alu instid0(VALU_DEP_1)
	v_cmpx_gt_u32_e64 s25, v17
; %bb.81:
	v_lshrrev_b32_e32 v17, 31, v24
	v_ashrrev_i32_e32 v18, 2, v24
	v_lshrrev_b32_e32 v26, 31, v25
	v_ashrrev_i32_e32 v25, 2, v25
	s_delay_alu instid0(VALU_DEP_3) | instskip(NEXT) | instid1(VALU_DEP_2)
	v_add_nc_u32_e32 v17, v18, v17
	v_add_nc_u32_e32 v18, v25, v26
	s_delay_alu instid0(VALU_DEP_1)
	v_cmp_ne_u32_e32 vcc_lo, v17, v18
	s_and_b32 s7, vcc_lo, exec_lo
; %bb.82:
	s_or_b32 exec_lo, exec_lo, s19
	v_or_b32_e32 v17, 4, v19
	s_mov_b32 s19, exec_lo
	s_delay_alu instid0(VALU_DEP_1)
	v_cmpx_gt_u32_e64 s25, v17
; %bb.83:
	v_lshrrev_b32_e32 v17, 31, v23
	v_ashrrev_i32_e32 v18, 2, v23
	v_lshrrev_b32_e32 v25, 31, v24
	v_ashrrev_i32_e32 v24, 2, v24
	s_delay_alu instid0(VALU_DEP_3) | instskip(NEXT) | instid1(VALU_DEP_2)
	v_add_nc_u32_e32 v17, v18, v17
	v_add_nc_u32_e32 v18, v24, v25
	s_delay_alu instid0(VALU_DEP_1)
	v_cmp_ne_u32_e32 vcc_lo, v17, v18
	s_and_b32 s6, vcc_lo, exec_lo
; %bb.84:
	s_or_b32 exec_lo, exec_lo, s19
	v_or_b32_e32 v17, 3, v19
	s_mov_b32 s20, 0
	s_mov_b32 s19, 0
	s_mov_b32 s21, exec_lo
	s_delay_alu instid0(VALU_DEP_1)
	v_cmpx_gt_u32_e64 s25, v17
; %bb.85:
	v_lshrrev_b32_e32 v17, 31, v22
	v_ashrrev_i32_e32 v18, 2, v22
	v_lshrrev_b32_e32 v24, 31, v23
	v_ashrrev_i32_e32 v23, 2, v23
	s_delay_alu instid0(VALU_DEP_3) | instskip(NEXT) | instid1(VALU_DEP_2)
	v_add_nc_u32_e32 v17, v18, v17
	v_add_nc_u32_e32 v18, v23, v24
	s_delay_alu instid0(VALU_DEP_1)
	v_cmp_ne_u32_e32 vcc_lo, v17, v18
	s_and_b32 s19, vcc_lo, exec_lo
; %bb.86:
	s_or_b32 exec_lo, exec_lo, s21
	v_or_b32_e32 v17, 2, v19
	s_mov_b32 s21, exec_lo
	s_delay_alu instid0(VALU_DEP_1)
	v_cmpx_gt_u32_e64 s25, v17
; %bb.87:
	v_lshrrev_b32_e32 v17, 31, v21
	v_ashrrev_i32_e32 v18, 2, v21
	v_lshrrev_b32_e32 v23, 31, v22
	v_ashrrev_i32_e32 v22, 2, v22
	s_delay_alu instid0(VALU_DEP_3) | instskip(NEXT) | instid1(VALU_DEP_2)
	v_add_nc_u32_e32 v17, v18, v17
	v_add_nc_u32_e32 v18, v22, v23
	s_delay_alu instid0(VALU_DEP_1)
	v_cmp_ne_u32_e32 vcc_lo, v17, v18
	s_and_b32 s20, vcc_lo, exec_lo
; %bb.88:
	s_or_b32 exec_lo, exec_lo, s21
	v_or_b32_e32 v17, 1, v19
	s_mov_b32 s26, 0
	s_mov_b32 s21, exec_lo
	s_delay_alu instid0(VALU_DEP_1)
	v_cmpx_gt_u32_e64 s25, v17
; %bb.89:
	v_mul_hi_i32 v17, 0x66666667, v15
	v_lshrrev_b32_e32 v18, 31, v21
	v_ashrrev_i32_e32 v21, 2, v21
	s_delay_alu instid0(VALU_DEP_1) | instskip(NEXT) | instid1(VALU_DEP_4)
	v_add_nc_u32_e32 v18, v21, v18
	v_lshrrev_b32_e32 v22, 31, v17
	v_ashrrev_i32_e32 v17, 2, v17
	s_delay_alu instid0(VALU_DEP_1) | instskip(NEXT) | instid1(VALU_DEP_1)
	v_add_nc_u32_e32 v17, v17, v22
	v_cmp_ne_u32_e32 vcc_lo, v17, v18
	s_and_b32 s26, vcc_lo, exec_lo
; %bb.90:
	s_or_b32 exec_lo, exec_lo, s21
	v_cndmask_b32_e64 v18, 0, 1, s19
	v_cndmask_b32_e64 v21, 0, 1, s7
	;; [unrolled: 1-line block ×7, first 2 shown]
	v_lshlrev_b16 v21, 8, v21
	v_lshlrev_b16 v22, 8, v22
	;; [unrolled: 1-line block ×4, first 2 shown]
	s_waitcnt lgkmcnt(0)
	v_or_b32_e32 v21, v24, v21
	v_or_b32_e32 v22, v25, v22
	;; [unrolled: 1-line block ×4, first 2 shown]
	s_barrier
	v_and_b32_e32 v18, 0xffff, v21
	v_lshlrev_b32_e32 v21, 16, v22
	v_and_b32_e32 v22, 0xffff, v23
	v_lshlrev_b32_e32 v17, 16, v17
	buffer_gl0_inv
                                        ; implicit-def: $sgpr4
	v_or_b32_e32 v18, v18, v21
	v_or_b32_e32 v17, v22, v17
	s_and_saveexec_b32 s5, s3
	s_cbranch_execz .LBB450_94
; %bb.91:
	s_mov_b32 s4, 0
	s_mov_b32 s3, exec_lo
	v_cmpx_gt_u32_e64 s25, v19
	s_cbranch_execz .LBB450_93
; %bb.92:
	v_add_nc_u32_e32 v20, -4, v20
	v_mul_hi_i32 v21, 0x66666667, v15
	ds_load_b32 v20, v20
	v_lshrrev_b32_e32 v22, 31, v21
	v_ashrrev_i32_e32 v21, 2, v21
	s_delay_alu instid0(VALU_DEP_1) | instskip(SKIP_2) | instid1(VALU_DEP_1)
	v_add_nc_u32_e32 v21, v21, v22
	s_waitcnt lgkmcnt(0)
	v_mul_hi_i32 v20, 0x66666667, v20
	v_lshrrev_b32_e32 v23, 31, v20
	v_ashrrev_i32_e32 v20, 2, v20
	s_delay_alu instid0(VALU_DEP_1) | instskip(NEXT) | instid1(VALU_DEP_1)
	v_add_nc_u32_e32 v20, v20, v23
	v_cmp_ne_u32_e32 vcc_lo, v20, v21
	s_and_b32 s4, vcc_lo, exec_lo
.LBB450_93:
	s_or_b32 exec_lo, exec_lo, s3
	s_delay_alu instid0(SALU_CYCLE_1)
	s_and_b32 s4, s4, exec_lo
	s_or_b32 s0, s0, exec_lo
.LBB450_94:
	s_or_b32 exec_lo, exec_lo, s5
.LBB450_95:
	s_and_saveexec_b32 s3, s0
	s_cbranch_execz .LBB450_97
; %bb.96:
	s_waitcnt vmcnt(0) lgkmcnt(0)
	v_and_b32_e32 v20, 0xffffff00, v17
	v_cndmask_b32_e64 v21, 0, 1, s4
	s_delay_alu instid0(VALU_DEP_1) | instskip(NEXT) | instid1(VALU_DEP_1)
	v_or_b32_e32 v20, v21, v20
	v_and_b32_e32 v20, 0xffff, v20
	s_delay_alu instid0(VALU_DEP_1)
	v_and_or_b32 v17, 0xffff0000, v17, v20
.LBB450_97:
	s_or_b32 exec_lo, exec_lo, s3
	s_delay_alu instid0(SALU_CYCLE_1)
	s_and_not1_b32 vcc_lo, exec_lo, s1
	s_cbranch_vccnz .LBB450_99
; %bb.98:
	v_cmp_gt_u32_e32 vcc_lo, s25, v19
	v_or_b32_e32 v21, 1, v19
	v_and_b32_e32 v22, 0xffffff00, v18
	v_or_b32_e32 v23, 2, v19
	s_waitcnt vmcnt(0) lgkmcnt(0)
	v_cndmask_b32_e32 v20, 0, v17, vcc_lo
	v_cmp_gt_u32_e32 vcc_lo, s25, v21
	v_or_b32_e32 v21, 4, v19
	v_cmp_gt_u32_e64 s0, s25, v23
	v_or_b32_e32 v23, 3, v19
	v_and_b32_e32 v20, 0xff, v20
	s_delay_alu instid0(VALU_DEP_2) | instskip(NEXT) | instid1(VALU_DEP_2)
	v_cmp_gt_u32_e64 s1, s25, v23
	v_cndmask_b32_e32 v20, v20, v17, vcc_lo
	v_cmp_gt_u32_e32 vcc_lo, s25, v21
	s_delay_alu instid0(VALU_DEP_2) | instskip(SKIP_1) | instid1(VALU_DEP_2)
	v_dual_cndmask_b32 v21, v22, v18 :: v_dual_and_b32 v20, 0xffff, v20
	v_or_b32_e32 v22, 5, v19
	v_cndmask_b32_e64 v20, v20, v17, s0
	s_delay_alu instid0(VALU_DEP_3) | instskip(NEXT) | instid1(VALU_DEP_3)
	v_and_b32_e32 v21, 0xffff00ff, v21
	v_cmp_gt_u32_e64 s0, s25, v22
	v_or_b32_e32 v22, 6, v19
	v_or_b32_e32 v19, 7, v19
	v_and_b32_e32 v20, 0xffffff, v20
	s_delay_alu instid0(VALU_DEP_4) | instskip(NEXT) | instid1(VALU_DEP_2)
	v_cndmask_b32_e64 v21, v21, v18, s0
	v_cndmask_b32_e64 v20, v20, v17, s1
	s_delay_alu instid0(VALU_DEP_2) | instskip(NEXT) | instid1(VALU_DEP_2)
	v_and_b32_e32 v21, 0xff00ffff, v21
	v_cndmask_b32_e32 v20, v20, v17, vcc_lo
	v_cmp_gt_u32_e32 vcc_lo, s25, v22
	s_delay_alu instid0(VALU_DEP_2) | instskip(NEXT) | instid1(VALU_DEP_1)
	v_cndmask_b32_e64 v20, v20, v17, s0
	v_dual_cndmask_b32 v21, v21, v18 :: v_dual_cndmask_b32 v20, v20, v17
	s_delay_alu instid0(VALU_DEP_1) | instskip(SKIP_1) | instid1(VALU_DEP_2)
	v_and_b32_e32 v21, 0xffffff, v21
	v_cmp_gt_u32_e32 vcc_lo, s25, v19
	v_dual_cndmask_b32 v18, v21, v18 :: v_dual_cndmask_b32 v17, v20, v17
.LBB450_99:
	s_delay_alu instid0(VALU_DEP_1) | instskip(NEXT) | instid1(VALU_DEP_2)
	v_and_b32_e32 v28, 0xff, v17
	v_alignbit_b32 v19, v18, v17, 24
	v_bfe_u32 v30, v17, 8, 8
	v_bfe_u32 v32, v17, 16, 8
	v_and_b32_e32 v36, 0xff, v18
	v_bfe_u32 v38, v18, 8, 8
	v_and_b32_e32 v34, 0xff, v19
	v_add_nc_u32_e32 v19, v30, v28
	s_waitcnt vmcnt(0) lgkmcnt(0)
	v_and_b32_e32 v20, 0x1e0, v0
	v_mbcnt_lo_u32_b32 v41, -1, 0
	v_bfe_u32 v40, v18, 16, 8
	v_lshrrev_b32_e32 v39, 24, v18
	v_add3_u32 v19, v19, v32, v34
	v_min_u32_e32 v20, 0x160, v20
	v_and_b32_e32 v21, 15, v41
	v_lshrrev_b32_e32 v42, 5, v0
	s_and_b32 vcc_lo, exec_lo, s18
	v_add3_u32 v19, v19, v36, v38
	v_or_b32_e32 v20, 31, v20
	v_cmp_eq_u32_e64 s3, 0, v21
	v_cmp_lt_u32_e64 s4, 1, v21
	v_cmp_lt_u32_e64 s1, 3, v21
	v_add3_u32 v43, v19, v40, v39
	v_and_b32_e32 v19, 16, v41
	v_cmp_lt_u32_e64 s0, 7, v21
	v_cmp_eq_u32_e64 s5, v20, v0
	s_mov_b32 s7, -1
	s_delay_alu instid0(VALU_DEP_3)
	v_cmp_eq_u32_e64 s6, 0, v19
	s_barrier
	buffer_gl0_inv
	s_cbranch_vccz .LBB450_130
; %bb.100:
	v_mov_b32_dpp v19, v43 row_shr:1 row_mask:0xf bank_mask:0xf
	s_delay_alu instid0(VALU_DEP_1) | instskip(NEXT) | instid1(VALU_DEP_1)
	v_cndmask_b32_e64 v19, v19, 0, s3
	v_add_nc_u32_e32 v19, v19, v43
	s_delay_alu instid0(VALU_DEP_1) | instskip(NEXT) | instid1(VALU_DEP_1)
	v_mov_b32_dpp v20, v19 row_shr:2 row_mask:0xf bank_mask:0xf
	v_cndmask_b32_e64 v20, 0, v20, s4
	s_delay_alu instid0(VALU_DEP_1) | instskip(NEXT) | instid1(VALU_DEP_1)
	v_add_nc_u32_e32 v19, v19, v20
	v_mov_b32_dpp v20, v19 row_shr:4 row_mask:0xf bank_mask:0xf
	s_delay_alu instid0(VALU_DEP_1) | instskip(NEXT) | instid1(VALU_DEP_1)
	v_cndmask_b32_e64 v20, 0, v20, s1
	v_add_nc_u32_e32 v19, v19, v20
	s_delay_alu instid0(VALU_DEP_1) | instskip(NEXT) | instid1(VALU_DEP_1)
	v_mov_b32_dpp v20, v19 row_shr:8 row_mask:0xf bank_mask:0xf
	v_cndmask_b32_e64 v20, 0, v20, s0
	s_delay_alu instid0(VALU_DEP_1) | instskip(SKIP_3) | instid1(VALU_DEP_1)
	v_add_nc_u32_e32 v19, v19, v20
	ds_swizzle_b32 v20, v19 offset:swizzle(BROADCAST,32,15)
	s_waitcnt lgkmcnt(0)
	v_cndmask_b32_e64 v20, v20, 0, s6
	v_add_nc_u32_e32 v19, v19, v20
	s_and_saveexec_b32 s7, s5
	s_cbranch_execz .LBB450_102
; %bb.101:
	v_lshlrev_b32_e32 v20, 2, v42
	ds_store_b32 v20, v19
.LBB450_102:
	s_or_b32 exec_lo, exec_lo, s7
	s_delay_alu instid0(SALU_CYCLE_1)
	s_mov_b32 s7, exec_lo
	s_waitcnt lgkmcnt(0)
	s_barrier
	buffer_gl0_inv
	v_cmpx_gt_u32_e32 12, v0
	s_cbranch_execz .LBB450_104
; %bb.103:
	v_lshlrev_b32_e32 v20, 2, v0
	ds_load_b32 v21, v20
	s_waitcnt lgkmcnt(0)
	v_mov_b32_dpp v22, v21 row_shr:1 row_mask:0xf bank_mask:0xf
	s_delay_alu instid0(VALU_DEP_1) | instskip(NEXT) | instid1(VALU_DEP_1)
	v_cndmask_b32_e64 v22, v22, 0, s3
	v_add_nc_u32_e32 v21, v22, v21
	s_delay_alu instid0(VALU_DEP_1) | instskip(NEXT) | instid1(VALU_DEP_1)
	v_mov_b32_dpp v22, v21 row_shr:2 row_mask:0xf bank_mask:0xf
	v_cndmask_b32_e64 v22, 0, v22, s4
	s_delay_alu instid0(VALU_DEP_1) | instskip(NEXT) | instid1(VALU_DEP_1)
	v_add_nc_u32_e32 v21, v21, v22
	v_mov_b32_dpp v22, v21 row_shr:4 row_mask:0xf bank_mask:0xf
	s_delay_alu instid0(VALU_DEP_1) | instskip(NEXT) | instid1(VALU_DEP_1)
	v_cndmask_b32_e64 v22, 0, v22, s1
	v_add_nc_u32_e32 v21, v21, v22
	s_delay_alu instid0(VALU_DEP_1) | instskip(NEXT) | instid1(VALU_DEP_1)
	v_mov_b32_dpp v22, v21 row_shr:8 row_mask:0xf bank_mask:0xf
	v_cndmask_b32_e64 v22, 0, v22, s0
	s_delay_alu instid0(VALU_DEP_1)
	v_add_nc_u32_e32 v21, v21, v22
	ds_store_b32 v20, v21
.LBB450_104:
	s_or_b32 exec_lo, exec_lo, s7
	v_cmp_gt_u32_e32 vcc_lo, 32, v0
	s_mov_b32 s18, exec_lo
	s_waitcnt lgkmcnt(0)
	s_barrier
	buffer_gl0_inv
                                        ; implicit-def: $vgpr27
	v_cmpx_lt_u32_e32 31, v0
	s_cbranch_execz .LBB450_106
; %bb.105:
	v_lshl_add_u32 v20, v42, 2, -4
	ds_load_b32 v27, v20
	s_waitcnt lgkmcnt(0)
	v_add_nc_u32_e32 v19, v27, v19
.LBB450_106:
	s_or_b32 exec_lo, exec_lo, s18
	v_add_nc_u32_e32 v20, -1, v41
	s_delay_alu instid0(VALU_DEP_1) | instskip(NEXT) | instid1(VALU_DEP_1)
	v_cmp_gt_i32_e64 s7, 0, v20
	v_cndmask_b32_e64 v20, v20, v41, s7
	v_cmp_eq_u32_e64 s7, 0, v41
	s_delay_alu instid0(VALU_DEP_2)
	v_lshlrev_b32_e32 v20, 2, v20
	ds_bpermute_b32 v29, v20, v19
	s_and_saveexec_b32 s18, vcc_lo
	s_cbranch_execz .LBB450_129
; %bb.107:
	v_mov_b32_e32 v23, 0
	ds_load_b32 v19, v23 offset:44
	s_and_saveexec_b32 s19, s7
	s_cbranch_execz .LBB450_109
; %bb.108:
	s_add_i32 s20, s24, 32
	s_mov_b32 s21, 0
	v_mov_b32_e32 v20, 1
	s_lshl_b64 s[20:21], s[20:21], 3
	s_delay_alu instid0(SALU_CYCLE_1)
	s_add_u32 s20, s16, s20
	s_addc_u32 s21, s17, s21
	s_waitcnt lgkmcnt(0)
	global_store_b64 v23, v[19:20], s[20:21]
.LBB450_109:
	s_or_b32 exec_lo, exec_lo, s19
	v_xad_u32 v21, v41, -1, s24
	s_mov_b32 s20, 0
	s_mov_b32 s19, exec_lo
	s_delay_alu instid0(VALU_DEP_1) | instskip(NEXT) | instid1(VALU_DEP_1)
	v_add_nc_u32_e32 v22, 32, v21
	v_lshlrev_b64 v[22:23], 3, v[22:23]
	s_delay_alu instid0(VALU_DEP_1) | instskip(NEXT) | instid1(VALU_DEP_2)
	v_add_co_u32 v25, vcc_lo, s16, v22
	v_add_co_ci_u32_e32 v26, vcc_lo, s17, v23, vcc_lo
	global_load_b64 v[23:24], v[25:26], off glc
	s_waitcnt vmcnt(0)
	v_and_b32_e32 v20, 0xff, v24
	s_delay_alu instid0(VALU_DEP_1)
	v_cmpx_eq_u16_e32 0, v20
	s_cbranch_execz .LBB450_115
; %bb.110:
	s_mov_b32 s21, 1
	.p2align	6
.LBB450_111:                            ; =>This Loop Header: Depth=1
                                        ;     Child Loop BB450_112 Depth 2
	s_delay_alu instid0(SALU_CYCLE_1)
	s_max_u32 s25, s21, 1
.LBB450_112:                            ;   Parent Loop BB450_111 Depth=1
                                        ; =>  This Inner Loop Header: Depth=2
	s_delay_alu instid0(SALU_CYCLE_1)
	s_add_i32 s25, s25, -1
	s_sleep 1
	s_cmp_eq_u32 s25, 0
	s_cbranch_scc0 .LBB450_112
; %bb.113:                              ;   in Loop: Header=BB450_111 Depth=1
	global_load_b64 v[23:24], v[25:26], off glc
	s_cmp_lt_u32 s21, 32
	s_cselect_b32 s25, -1, 0
	s_delay_alu instid0(SALU_CYCLE_1) | instskip(SKIP_3) | instid1(VALU_DEP_1)
	s_cmp_lg_u32 s25, 0
	s_addc_u32 s21, s21, 0
	s_waitcnt vmcnt(0)
	v_and_b32_e32 v20, 0xff, v24
	v_cmp_ne_u16_e32 vcc_lo, 0, v20
	s_or_b32 s20, vcc_lo, s20
	s_delay_alu instid0(SALU_CYCLE_1)
	s_and_not1_b32 exec_lo, exec_lo, s20
	s_cbranch_execnz .LBB450_111
; %bb.114:
	s_or_b32 exec_lo, exec_lo, s20
.LBB450_115:
	s_delay_alu instid0(SALU_CYCLE_1)
	s_or_b32 exec_lo, exec_lo, s19
	v_cmp_ne_u32_e32 vcc_lo, 31, v41
	v_lshlrev_b32_e64 v33, v41, -1
	v_add_nc_u32_e32 v37, 2, v41
	v_add_nc_u32_e32 v45, 4, v41
	;; [unrolled: 1-line block ×3, first 2 shown]
	v_add_co_ci_u32_e32 v20, vcc_lo, 0, v41, vcc_lo
	v_add_nc_u32_e32 v49, 16, v41
	s_delay_alu instid0(VALU_DEP_2)
	v_lshlrev_b32_e32 v31, 2, v20
	v_and_b32_e32 v20, 0xff, v24
	ds_bpermute_b32 v22, v31, v23
	v_cmp_eq_u16_e32 vcc_lo, 2, v20
	v_and_or_b32 v20, vcc_lo, v33, 0x80000000
	v_cmp_gt_u32_e32 vcc_lo, 30, v41
	s_delay_alu instid0(VALU_DEP_2) | instskip(SKIP_1) | instid1(VALU_DEP_2)
	v_ctz_i32_b32_e32 v20, v20
	v_cndmask_b32_e64 v25, 0, 1, vcc_lo
	v_cmp_lt_u32_e32 vcc_lo, v41, v20
	s_waitcnt lgkmcnt(0)
	s_delay_alu instid0(VALU_DEP_2) | instskip(NEXT) | instid1(VALU_DEP_1)
	v_dual_cndmask_b32 v22, 0, v22 :: v_dual_lshlrev_b32 v25, 1, v25
	v_add_lshl_u32 v35, v25, v41, 2
	v_cmp_gt_u32_e32 vcc_lo, 28, v41
	s_delay_alu instid0(VALU_DEP_3) | instskip(SKIP_4) | instid1(VALU_DEP_1)
	v_add_nc_u32_e32 v22, v22, v23
	v_cndmask_b32_e64 v25, 0, 1, vcc_lo
	v_cmp_le_u32_e32 vcc_lo, v37, v20
	ds_bpermute_b32 v23, v35, v22
	v_lshlrev_b32_e32 v25, 2, v25
	v_add_lshl_u32 v44, v25, v41, 2
	s_waitcnt lgkmcnt(0)
	v_cndmask_b32_e32 v23, 0, v23, vcc_lo
	v_cmp_gt_u32_e32 vcc_lo, 24, v41
	s_delay_alu instid0(VALU_DEP_2) | instskip(SKIP_4) | instid1(VALU_DEP_1)
	v_add_nc_u32_e32 v22, v22, v23
	v_cndmask_b32_e64 v25, 0, 1, vcc_lo
	v_cmp_le_u32_e32 vcc_lo, v45, v20
	ds_bpermute_b32 v23, v44, v22
	v_lshlrev_b32_e32 v25, 3, v25
	v_add_lshl_u32 v46, v25, v41, 2
	s_waitcnt lgkmcnt(0)
	v_cndmask_b32_e32 v23, 0, v23, vcc_lo
	v_cmp_gt_u32_e32 vcc_lo, 16, v41
	s_delay_alu instid0(VALU_DEP_2) | instskip(SKIP_4) | instid1(VALU_DEP_1)
	v_add_nc_u32_e32 v22, v22, v23
	v_cndmask_b32_e64 v25, 0, 1, vcc_lo
	v_cmp_le_u32_e32 vcc_lo, v47, v20
	ds_bpermute_b32 v23, v46, v22
	v_lshlrev_b32_e32 v25, 4, v25
	v_add_lshl_u32 v48, v25, v41, 2
	s_waitcnt lgkmcnt(0)
	v_cndmask_b32_e32 v23, 0, v23, vcc_lo
	v_cmp_le_u32_e32 vcc_lo, v49, v20
	s_delay_alu instid0(VALU_DEP_2) | instskip(SKIP_3) | instid1(VALU_DEP_1)
	v_add_nc_u32_e32 v22, v22, v23
	ds_bpermute_b32 v23, v48, v22
	s_waitcnt lgkmcnt(0)
	v_cndmask_b32_e32 v20, 0, v23, vcc_lo
	v_dual_mov_b32 v22, 0 :: v_dual_add_nc_u32 v23, v22, v20
	s_branch .LBB450_117
.LBB450_116:                            ;   in Loop: Header=BB450_117 Depth=1
	s_or_b32 exec_lo, exec_lo, s19
	ds_bpermute_b32 v26, v31, v23
	v_and_b32_e32 v25, 0xff, v24
	v_subrev_nc_u32_e32 v21, 32, v21
	s_delay_alu instid0(VALU_DEP_2) | instskip(SKIP_1) | instid1(VALU_DEP_1)
	v_cmp_eq_u16_e32 vcc_lo, 2, v25
	v_and_or_b32 v25, vcc_lo, v33, 0x80000000
	v_ctz_i32_b32_e32 v25, v25
	s_delay_alu instid0(VALU_DEP_1) | instskip(SKIP_3) | instid1(VALU_DEP_2)
	v_cmp_lt_u32_e32 vcc_lo, v41, v25
	s_waitcnt lgkmcnt(0)
	v_cndmask_b32_e32 v26, 0, v26, vcc_lo
	v_cmp_le_u32_e32 vcc_lo, v37, v25
	v_add_nc_u32_e32 v23, v26, v23
	ds_bpermute_b32 v26, v35, v23
	s_waitcnt lgkmcnt(0)
	v_cndmask_b32_e32 v26, 0, v26, vcc_lo
	v_cmp_le_u32_e32 vcc_lo, v45, v25
	s_delay_alu instid0(VALU_DEP_2) | instskip(SKIP_4) | instid1(VALU_DEP_2)
	v_add_nc_u32_e32 v23, v23, v26
	ds_bpermute_b32 v26, v44, v23
	s_waitcnt lgkmcnt(0)
	v_cndmask_b32_e32 v26, 0, v26, vcc_lo
	v_cmp_le_u32_e32 vcc_lo, v47, v25
	v_add_nc_u32_e32 v23, v23, v26
	ds_bpermute_b32 v26, v46, v23
	s_waitcnt lgkmcnt(0)
	v_cndmask_b32_e32 v26, 0, v26, vcc_lo
	v_cmp_le_u32_e32 vcc_lo, v49, v25
	s_delay_alu instid0(VALU_DEP_2) | instskip(SKIP_3) | instid1(VALU_DEP_1)
	v_add_nc_u32_e32 v23, v23, v26
	ds_bpermute_b32 v26, v48, v23
	s_waitcnt lgkmcnt(0)
	v_cndmask_b32_e32 v25, 0, v26, vcc_lo
	v_add3_u32 v23, v25, v20, v23
.LBB450_117:                            ; =>This Loop Header: Depth=1
                                        ;     Child Loop BB450_120 Depth 2
                                        ;       Child Loop BB450_121 Depth 3
	v_and_b32_e32 v20, 0xff, v24
	s_delay_alu instid0(VALU_DEP_1) | instskip(SKIP_2) | instid1(VALU_DEP_1)
	v_cmp_ne_u16_e32 vcc_lo, 2, v20
	v_cndmask_b32_e64 v20, 0, 1, vcc_lo
	;;#ASMSTART
	;;#ASMEND
	v_cmp_ne_u32_e32 vcc_lo, 0, v20
	v_mov_b32_e32 v20, v23
	s_cmp_lg_u32 vcc_lo, exec_lo
	s_cbranch_scc1 .LBB450_124
; %bb.118:                              ;   in Loop: Header=BB450_117 Depth=1
	v_lshlrev_b64 v[23:24], 3, v[21:22]
	s_mov_b32 s19, exec_lo
	s_delay_alu instid0(VALU_DEP_1) | instskip(NEXT) | instid1(VALU_DEP_2)
	v_add_co_u32 v25, vcc_lo, s16, v23
	v_add_co_ci_u32_e32 v26, vcc_lo, s17, v24, vcc_lo
	global_load_b64 v[23:24], v[25:26], off glc
	s_waitcnt vmcnt(0)
	v_and_b32_e32 v50, 0xff, v24
	s_delay_alu instid0(VALU_DEP_1)
	v_cmpx_eq_u16_e32 0, v50
	s_cbranch_execz .LBB450_116
; %bb.119:                              ;   in Loop: Header=BB450_117 Depth=1
	s_mov_b32 s21, 1
	s_mov_b32 s20, 0
	.p2align	6
.LBB450_120:                            ;   Parent Loop BB450_117 Depth=1
                                        ; =>  This Loop Header: Depth=2
                                        ;       Child Loop BB450_121 Depth 3
	s_max_u32 s25, s21, 1
.LBB450_121:                            ;   Parent Loop BB450_117 Depth=1
                                        ;     Parent Loop BB450_120 Depth=2
                                        ; =>    This Inner Loop Header: Depth=3
	s_delay_alu instid0(SALU_CYCLE_1)
	s_add_i32 s25, s25, -1
	s_sleep 1
	s_cmp_eq_u32 s25, 0
	s_cbranch_scc0 .LBB450_121
; %bb.122:                              ;   in Loop: Header=BB450_120 Depth=2
	global_load_b64 v[23:24], v[25:26], off glc
	s_cmp_lt_u32 s21, 32
	s_cselect_b32 s25, -1, 0
	s_delay_alu instid0(SALU_CYCLE_1) | instskip(SKIP_3) | instid1(VALU_DEP_1)
	s_cmp_lg_u32 s25, 0
	s_addc_u32 s21, s21, 0
	s_waitcnt vmcnt(0)
	v_and_b32_e32 v50, 0xff, v24
	v_cmp_ne_u16_e32 vcc_lo, 0, v50
	s_or_b32 s20, vcc_lo, s20
	s_delay_alu instid0(SALU_CYCLE_1)
	s_and_not1_b32 exec_lo, exec_lo, s20
	s_cbranch_execnz .LBB450_120
; %bb.123:                              ;   in Loop: Header=BB450_117 Depth=1
	s_or_b32 exec_lo, exec_lo, s20
	s_branch .LBB450_116
.LBB450_124:                            ;   in Loop: Header=BB450_117 Depth=1
                                        ; implicit-def: $vgpr23
                                        ; implicit-def: $vgpr24
	s_cbranch_execz .LBB450_117
; %bb.125:
	s_and_saveexec_b32 s19, s7
	s_cbranch_execz .LBB450_127
; %bb.126:
	s_add_i32 s20, s24, 32
	s_mov_b32 s21, 0
	v_dual_mov_b32 v22, 2 :: v_dual_add_nc_u32 v21, v20, v19
	s_lshl_b64 s[20:21], s[20:21], 3
	v_mov_b32_e32 v23, 0
	s_add_u32 s20, s16, s20
	s_addc_u32 s21, s17, s21
	global_store_b64 v23, v[21:22], s[20:21]
	ds_store_b64 v23, v[19:20] offset:12672
.LBB450_127:
	s_or_b32 exec_lo, exec_lo, s19
	s_delay_alu instid0(SALU_CYCLE_1)
	s_and_b32 exec_lo, exec_lo, s2
	s_cbranch_execz .LBB450_129
; %bb.128:
	v_mov_b32_e32 v19, 0
	ds_store_b32 v19, v20 offset:44
.LBB450_129:
	s_or_b32 exec_lo, exec_lo, s18
	v_mov_b32_e32 v19, 0
	s_waitcnt lgkmcnt(0)
	s_waitcnt_vscnt null, 0x0
	s_barrier
	buffer_gl0_inv
	v_cndmask_b32_e64 v21, v29, v27, s7
	ds_load_b32 v20, v19 offset:44
	s_waitcnt lgkmcnt(0)
	s_barrier
	buffer_gl0_inv
	v_cndmask_b32_e64 v21, v21, 0, s2
	s_delay_alu instid0(VALU_DEP_1) | instskip(SKIP_2) | instid1(VALU_DEP_1)
	v_add_nc_u32_e32 v37, v20, v21
	ds_load_b64 v[19:20], v19 offset:12672
	v_add_nc_u32_e32 v35, v37, v28
	v_add_nc_u32_e32 v33, v35, v30
	s_delay_alu instid0(VALU_DEP_1) | instskip(NEXT) | instid1(VALU_DEP_1)
	v_add_nc_u32_e32 v31, v33, v32
	v_add_nc_u32_e32 v29, v31, v34
	s_delay_alu instid0(VALU_DEP_1) | instskip(NEXT) | instid1(VALU_DEP_1)
	v_add_nc_u32_e32 v27, v29, v36
	v_add_nc_u32_e32 v25, v27, v38
	s_delay_alu instid0(VALU_DEP_1)
	v_add_nc_u32_e32 v23, v25, v40
	v_lshrrev_b64 v[21:22], 24, v[17:18]
	s_branch .LBB450_140
.LBB450_130:
                                        ; implicit-def: $vgpr23
                                        ; implicit-def: $vgpr25
                                        ; implicit-def: $vgpr27
                                        ; implicit-def: $vgpr29
                                        ; implicit-def: $vgpr31
                                        ; implicit-def: $vgpr33
                                        ; implicit-def: $vgpr35
                                        ; implicit-def: $vgpr37
                                        ; implicit-def: $vgpr20
	v_lshrrev_b64 v[21:22], 24, v[17:18]
	s_and_b32 vcc_lo, exec_lo, s7
	s_cbranch_vccz .LBB450_140
; %bb.131:
	s_waitcnt lgkmcnt(0)
	v_mov_b32_dpp v19, v43 row_shr:1 row_mask:0xf bank_mask:0xf
	s_delay_alu instid0(VALU_DEP_1) | instskip(NEXT) | instid1(VALU_DEP_1)
	v_cndmask_b32_e64 v19, v19, 0, s3
	v_add_nc_u32_e32 v19, v19, v43
	s_delay_alu instid0(VALU_DEP_1) | instskip(NEXT) | instid1(VALU_DEP_1)
	v_mov_b32_dpp v20, v19 row_shr:2 row_mask:0xf bank_mask:0xf
	v_cndmask_b32_e64 v20, 0, v20, s4
	s_delay_alu instid0(VALU_DEP_1) | instskip(NEXT) | instid1(VALU_DEP_1)
	v_add_nc_u32_e32 v19, v19, v20
	v_mov_b32_dpp v20, v19 row_shr:4 row_mask:0xf bank_mask:0xf
	s_delay_alu instid0(VALU_DEP_1) | instskip(NEXT) | instid1(VALU_DEP_1)
	v_cndmask_b32_e64 v20, 0, v20, s1
	v_add_nc_u32_e32 v19, v19, v20
	s_delay_alu instid0(VALU_DEP_1) | instskip(NEXT) | instid1(VALU_DEP_1)
	v_mov_b32_dpp v20, v19 row_shr:8 row_mask:0xf bank_mask:0xf
	v_cndmask_b32_e64 v20, 0, v20, s0
	s_delay_alu instid0(VALU_DEP_1) | instskip(SKIP_3) | instid1(VALU_DEP_1)
	v_add_nc_u32_e32 v19, v19, v20
	ds_swizzle_b32 v20, v19 offset:swizzle(BROADCAST,32,15)
	s_waitcnt lgkmcnt(0)
	v_cndmask_b32_e64 v20, v20, 0, s6
	v_add_nc_u32_e32 v19, v19, v20
	s_and_saveexec_b32 s6, s5
	s_cbranch_execz .LBB450_133
; %bb.132:
	v_lshlrev_b32_e32 v20, 2, v42
	ds_store_b32 v20, v19
.LBB450_133:
	s_or_b32 exec_lo, exec_lo, s6
	s_delay_alu instid0(SALU_CYCLE_1)
	s_mov_b32 s5, exec_lo
	s_waitcnt lgkmcnt(0)
	s_barrier
	buffer_gl0_inv
	v_cmpx_gt_u32_e32 12, v0
	s_cbranch_execz .LBB450_135
; %bb.134:
	v_lshlrev_b32_e32 v20, 2, v0
	ds_load_b32 v22, v20
	s_waitcnt lgkmcnt(0)
	v_mov_b32_dpp v23, v22 row_shr:1 row_mask:0xf bank_mask:0xf
	s_delay_alu instid0(VALU_DEP_1) | instskip(NEXT) | instid1(VALU_DEP_1)
	v_cndmask_b32_e64 v23, v23, 0, s3
	v_add_nc_u32_e32 v22, v23, v22
	s_delay_alu instid0(VALU_DEP_1) | instskip(NEXT) | instid1(VALU_DEP_1)
	v_mov_b32_dpp v23, v22 row_shr:2 row_mask:0xf bank_mask:0xf
	v_cndmask_b32_e64 v23, 0, v23, s4
	s_delay_alu instid0(VALU_DEP_1) | instskip(NEXT) | instid1(VALU_DEP_1)
	v_add_nc_u32_e32 v22, v22, v23
	v_mov_b32_dpp v23, v22 row_shr:4 row_mask:0xf bank_mask:0xf
	s_delay_alu instid0(VALU_DEP_1) | instskip(NEXT) | instid1(VALU_DEP_1)
	v_cndmask_b32_e64 v23, 0, v23, s1
	v_add_nc_u32_e32 v22, v22, v23
	s_delay_alu instid0(VALU_DEP_1) | instskip(NEXT) | instid1(VALU_DEP_1)
	v_mov_b32_dpp v23, v22 row_shr:8 row_mask:0xf bank_mask:0xf
	v_cndmask_b32_e64 v23, 0, v23, s0
	s_delay_alu instid0(VALU_DEP_1)
	v_add_nc_u32_e32 v22, v22, v23
	ds_store_b32 v20, v22
.LBB450_135:
	s_or_b32 exec_lo, exec_lo, s5
	v_mov_b32_e32 v20, 0
	v_mov_b32_e32 v22, 0
	s_mov_b32 s0, exec_lo
	s_waitcnt lgkmcnt(0)
	s_barrier
	buffer_gl0_inv
	v_cmpx_lt_u32_e32 31, v0
	s_cbranch_execz .LBB450_137
; %bb.136:
	v_lshl_add_u32 v22, v42, 2, -4
	ds_load_b32 v22, v22
.LBB450_137:
	s_or_b32 exec_lo, exec_lo, s0
	v_add_nc_u32_e32 v23, -1, v41
	s_waitcnt lgkmcnt(0)
	v_add_nc_u32_e32 v19, v22, v19
	s_delay_alu instid0(VALU_DEP_2) | instskip(SKIP_1) | instid1(VALU_DEP_1)
	v_cmp_gt_i32_e32 vcc_lo, 0, v23
	v_cndmask_b32_e32 v23, v23, v41, vcc_lo
	v_lshlrev_b32_e32 v23, 2, v23
	ds_bpermute_b32 v23, v23, v19
	ds_load_b32 v19, v20 offset:44
	s_and_saveexec_b32 s0, s2
	s_cbranch_execz .LBB450_139
; %bb.138:
	v_mov_b32_e32 v24, 0
	v_mov_b32_e32 v20, 2
	s_waitcnt lgkmcnt(0)
	global_store_b64 v24, v[19:20], s[16:17] offset:256
.LBB450_139:
	s_or_b32 exec_lo, exec_lo, s0
	v_cmp_eq_u32_e32 vcc_lo, 0, v41
	s_waitcnt lgkmcnt(0)
	s_waitcnt_vscnt null, 0x0
	s_barrier
	buffer_gl0_inv
	v_cndmask_b32_e32 v20, v23, v22, vcc_lo
	s_delay_alu instid0(VALU_DEP_1) | instskip(NEXT) | instid1(VALU_DEP_1)
	v_cndmask_b32_e64 v37, v20, 0, s2
	v_dual_mov_b32 v20, 0 :: v_dual_add_nc_u32 v35, v37, v28
	s_delay_alu instid0(VALU_DEP_1) | instskip(NEXT) | instid1(VALU_DEP_1)
	v_add_nc_u32_e32 v33, v35, v30
	v_add_nc_u32_e32 v31, v33, v32
	s_delay_alu instid0(VALU_DEP_1) | instskip(NEXT) | instid1(VALU_DEP_1)
	v_add_nc_u32_e32 v29, v31, v34
	v_add_nc_u32_e32 v27, v29, v36
	;; [unrolled: 3-line block ×3, first 2 shown]
.LBB450_140:
	s_waitcnt lgkmcnt(0)
	v_add_nc_u32_e32 v43, v20, v19
	v_cmp_gt_u32_e64 s0, 0x181, v19
	v_lshrrev_b32_e32 v42, 8, v17
	v_lshrrev_b32_e32 v41, 16, v17
	;; [unrolled: 1-line block ×4, first 2 shown]
	v_cmp_lt_u32_e64 s1, v37, v43
	s_and_b32 vcc_lo, exec_lo, s0
	s_mov_b32 s3, -1
	s_cbranch_vccz .LBB450_166
; %bb.141:
	s_lshl_b64 s[4:5], s[10:11], 2
	s_delay_alu instid0(SALU_CYCLE_1) | instskip(SKIP_2) | instid1(SALU_CYCLE_1)
	s_add_u32 s3, s12, s4
	s_addc_u32 s4, s13, s5
	s_or_b32 s5, s23, s1
	s_and_saveexec_b32 s1, s5
	s_cbranch_execz .LBB450_144
; %bb.142:
	v_and_b32_e32 v24, 1, v17
	s_delay_alu instid0(VALU_DEP_1)
	v_cmp_eq_u32_e32 vcc_lo, 1, v24
	s_and_b32 exec_lo, exec_lo, vcc_lo
	s_cbranch_execz .LBB450_144
; %bb.143:
	v_mov_b32_e32 v38, 0
	s_delay_alu instid0(VALU_DEP_1) | instskip(NEXT) | instid1(VALU_DEP_1)
	v_lshlrev_b64 v[44:45], 2, v[37:38]
	v_add_co_u32 v44, vcc_lo, s3, v44
	s_delay_alu instid0(VALU_DEP_2)
	v_add_co_ci_u32_e32 v45, vcc_lo, s4, v45, vcc_lo
	global_store_b32 v[44:45], v15, off
.LBB450_144:
	s_or_b32 exec_lo, exec_lo, s1
	v_cmp_lt_u32_e32 vcc_lo, v35, v43
	s_or_b32 s5, s23, vcc_lo
	s_delay_alu instid0(SALU_CYCLE_1)
	s_and_saveexec_b32 s1, s5
	s_cbranch_execz .LBB450_147
; %bb.145:
	v_and_b32_e32 v24, 1, v42
	s_delay_alu instid0(VALU_DEP_1)
	v_cmp_eq_u32_e32 vcc_lo, 1, v24
	s_and_b32 exec_lo, exec_lo, vcc_lo
	s_cbranch_execz .LBB450_147
; %bb.146:
	v_mov_b32_e32 v36, 0
	s_delay_alu instid0(VALU_DEP_1) | instskip(NEXT) | instid1(VALU_DEP_1)
	v_lshlrev_b64 v[44:45], 2, v[35:36]
	v_add_co_u32 v44, vcc_lo, s3, v44
	s_delay_alu instid0(VALU_DEP_2)
	v_add_co_ci_u32_e32 v45, vcc_lo, s4, v45, vcc_lo
	global_store_b32 v[44:45], v16, off
.LBB450_147:
	s_or_b32 exec_lo, exec_lo, s1
	v_cmp_lt_u32_e32 vcc_lo, v33, v43
	s_or_b32 s5, s23, vcc_lo
	s_delay_alu instid0(SALU_CYCLE_1)
	;; [unrolled: 21-line block ×7, first 2 shown]
	s_and_saveexec_b32 s1, s5
	s_cbranch_execz .LBB450_165
; %bb.163:
	v_and_b32_e32 v24, 1, v39
	s_delay_alu instid0(VALU_DEP_1)
	v_cmp_eq_u32_e32 vcc_lo, 1, v24
	s_and_b32 exec_lo, exec_lo, vcc_lo
	s_cbranch_execz .LBB450_165
; %bb.164:
	v_mov_b32_e32 v24, 0
	s_delay_alu instid0(VALU_DEP_1) | instskip(NEXT) | instid1(VALU_DEP_1)
	v_lshlrev_b64 v[44:45], 2, v[23:24]
	v_add_co_u32 v44, vcc_lo, s3, v44
	s_delay_alu instid0(VALU_DEP_2)
	v_add_co_ci_u32_e32 v45, vcc_lo, s4, v45, vcc_lo
	global_store_b32 v[44:45], v10, off
.LBB450_165:
	s_or_b32 exec_lo, exec_lo, s1
	s_mov_b32 s3, 0
.LBB450_166:
	v_and_b32_e32 v17, 1, v17
	s_and_b32 vcc_lo, exec_lo, s3
	s_delay_alu instid0(VALU_DEP_1)
	v_cmp_eq_u32_e64 s1, 1, v17
	s_cbranch_vccz .LBB450_187
; %bb.167:
	s_delay_alu instid0(VALU_DEP_1)
	s_and_saveexec_b32 s3, s1
	s_cbranch_execz .LBB450_169
; %bb.168:
	v_sub_nc_u32_e32 v24, v37, v20
	s_delay_alu instid0(VALU_DEP_1)
	v_lshlrev_b32_e32 v24, 2, v24
	ds_store_b32 v24, v15
.LBB450_169:
	s_or_b32 exec_lo, exec_lo, s3
	v_and_b32_e32 v15, 1, v42
	s_mov_b32 s1, exec_lo
	s_delay_alu instid0(VALU_DEP_1)
	v_cmpx_eq_u32_e32 1, v15
	s_cbranch_execz .LBB450_171
; %bb.170:
	v_sub_nc_u32_e32 v15, v35, v20
	s_delay_alu instid0(VALU_DEP_1)
	v_lshlrev_b32_e32 v15, 2, v15
	ds_store_b32 v15, v16
.LBB450_171:
	s_or_b32 exec_lo, exec_lo, s1
	v_and_b32_e32 v15, 1, v41
	s_mov_b32 s1, exec_lo
	s_delay_alu instid0(VALU_DEP_1)
	v_cmpx_eq_u32_e32 1, v15
	;; [unrolled: 12-line block ×7, first 2 shown]
	s_cbranch_execz .LBB450_183
; %bb.182:
	v_sub_nc_u32_e32 v9, v23, v20
	s_delay_alu instid0(VALU_DEP_1)
	v_lshlrev_b32_e32 v9, 2, v9
	ds_store_b32 v9, v10
.LBB450_183:
	s_or_b32 exec_lo, exec_lo, s1
	s_delay_alu instid0(SALU_CYCLE_1)
	s_mov_b32 s3, exec_lo
	s_waitcnt lgkmcnt(0)
	s_waitcnt_vscnt null, 0x0
	s_barrier
	buffer_gl0_inv
	v_cmpx_lt_u32_e64 v0, v19
	s_cbranch_execz .LBB450_186
; %bb.184:
	v_dual_mov_b32 v10, 0 :: v_dual_mov_b32 v9, v20
	s_lshl_b64 s[4:5], s[10:11], 2
	v_lshlrev_b32_e32 v11, 2, v0
	s_add_u32 s1, s12, s4
	s_addc_u32 s4, s13, s5
	v_lshlrev_b64 v[12:13], 2, v[9:10]
	v_mov_b32_e32 v9, v0
	s_delay_alu instid0(VALU_DEP_2) | instskip(NEXT) | instid1(VALU_DEP_3)
	v_add_co_u32 v12, vcc_lo, s1, v12
	v_add_co_ci_u32_e32 v13, vcc_lo, s4, v13, vcc_lo
	s_mov_b32 s4, 0
	.p2align	6
.LBB450_185:                            ; =>This Inner Loop Header: Depth=1
	ds_load_b32 v16, v11
	v_lshlrev_b64 v[14:15], 2, v[9:10]
	v_add_nc_u32_e32 v9, 0x180, v9
	v_add_nc_u32_e32 v11, 0x600, v11
	s_delay_alu instid0(VALU_DEP_2) | instskip(NEXT) | instid1(VALU_DEP_4)
	v_cmp_ge_u32_e32 vcc_lo, v9, v19
	v_add_co_u32 v14, s1, v12, v14
	s_delay_alu instid0(VALU_DEP_1)
	v_add_co_ci_u32_e64 v15, s1, v13, v15, s1
	s_or_b32 s4, vcc_lo, s4
	s_waitcnt lgkmcnt(0)
	global_store_b32 v[14:15], v16, off
	s_and_not1_b32 exec_lo, exec_lo, s4
	s_cbranch_execnz .LBB450_185
.LBB450_186:
	s_or_b32 exec_lo, exec_lo, s3
.LBB450_187:
	s_delay_alu instid0(SALU_CYCLE_1)
	s_and_b32 vcc_lo, exec_lo, s0
	s_mov_b32 s0, -1
	s_waitcnt_vscnt null, 0x0
	s_barrier
	buffer_gl0_inv
	s_cbranch_vccz .LBB450_215
; %bb.188:
	v_cmp_lt_u32_e32 vcc_lo, v37, v43
	s_lshl_b64 s[0:1], s[10:11], 2
	s_delay_alu instid0(SALU_CYCLE_1) | instskip(SKIP_2) | instid1(SALU_CYCLE_1)
	s_add_u32 s0, s14, s0
	s_addc_u32 s1, s15, s1
	s_or_b32 s4, s23, vcc_lo
	s_and_saveexec_b32 s3, s4
	s_cbranch_execz .LBB450_191
; %bb.189:
	v_cmp_eq_u32_e32 vcc_lo, 1, v17
	s_and_b32 exec_lo, exec_lo, vcc_lo
	s_cbranch_execz .LBB450_191
; %bb.190:
	v_mov_b32_e32 v38, 0
	s_delay_alu instid0(VALU_DEP_1) | instskip(NEXT) | instid1(VALU_DEP_1)
	v_lshlrev_b64 v[9:10], 2, v[37:38]
	v_add_co_u32 v9, vcc_lo, s0, v9
	s_delay_alu instid0(VALU_DEP_2)
	v_add_co_ci_u32_e32 v10, vcc_lo, s1, v10, vcc_lo
	global_store_b32 v[9:10], v7, off
.LBB450_191:
	s_or_b32 exec_lo, exec_lo, s3
	v_cmp_lt_u32_e32 vcc_lo, v35, v43
	s_or_b32 s4, s23, vcc_lo
	s_delay_alu instid0(SALU_CYCLE_1)
	s_and_saveexec_b32 s3, s4
	s_cbranch_execz .LBB450_194
; %bb.192:
	v_and_b32_e32 v9, 1, v42
	s_delay_alu instid0(VALU_DEP_1)
	v_cmp_eq_u32_e32 vcc_lo, 1, v9
	s_and_b32 exec_lo, exec_lo, vcc_lo
	s_cbranch_execz .LBB450_194
; %bb.193:
	v_mov_b32_e32 v36, 0
	s_delay_alu instid0(VALU_DEP_1) | instskip(NEXT) | instid1(VALU_DEP_1)
	v_lshlrev_b64 v[9:10], 2, v[35:36]
	v_add_co_u32 v9, vcc_lo, s0, v9
	s_delay_alu instid0(VALU_DEP_2)
	v_add_co_ci_u32_e32 v10, vcc_lo, s1, v10, vcc_lo
	global_store_b32 v[9:10], v8, off
.LBB450_194:
	s_or_b32 exec_lo, exec_lo, s3
	v_cmp_lt_u32_e32 vcc_lo, v33, v43
	s_or_b32 s4, s23, vcc_lo
	s_delay_alu instid0(SALU_CYCLE_1)
	s_and_saveexec_b32 s3, s4
	s_cbranch_execz .LBB450_197
; %bb.195:
	v_and_b32_e32 v9, 1, v41
	s_delay_alu instid0(VALU_DEP_1)
	v_cmp_eq_u32_e32 vcc_lo, 1, v9
	s_and_b32 exec_lo, exec_lo, vcc_lo
	s_cbranch_execz .LBB450_197
; %bb.196:
	v_mov_b32_e32 v34, 0
	s_delay_alu instid0(VALU_DEP_1) | instskip(NEXT) | instid1(VALU_DEP_1)
	v_lshlrev_b64 v[9:10], 2, v[33:34]
	v_add_co_u32 v9, vcc_lo, s0, v9
	s_delay_alu instid0(VALU_DEP_2)
	v_add_co_ci_u32_e32 v10, vcc_lo, s1, v10, vcc_lo
	global_store_b32 v[9:10], v5, off
.LBB450_197:
	s_or_b32 exec_lo, exec_lo, s3
	v_cmp_lt_u32_e32 vcc_lo, v31, v43
	s_or_b32 s4, s23, vcc_lo
	s_delay_alu instid0(SALU_CYCLE_1)
	s_and_saveexec_b32 s3, s4
	s_cbranch_execz .LBB450_200
; %bb.198:
	v_and_b32_e32 v9, 1, v21
	s_delay_alu instid0(VALU_DEP_1)
	v_cmp_eq_u32_e32 vcc_lo, 1, v9
	s_and_b32 exec_lo, exec_lo, vcc_lo
	s_cbranch_execz .LBB450_200
; %bb.199:
	v_mov_b32_e32 v32, 0
	s_delay_alu instid0(VALU_DEP_1) | instskip(NEXT) | instid1(VALU_DEP_1)
	v_lshlrev_b64 v[9:10], 2, v[31:32]
	v_add_co_u32 v9, vcc_lo, s0, v9
	s_delay_alu instid0(VALU_DEP_2)
	v_add_co_ci_u32_e32 v10, vcc_lo, s1, v10, vcc_lo
	global_store_b32 v[9:10], v6, off
.LBB450_200:
	s_or_b32 exec_lo, exec_lo, s3
	v_cmp_lt_u32_e32 vcc_lo, v29, v43
	s_or_b32 s4, s23, vcc_lo
	s_delay_alu instid0(SALU_CYCLE_1)
	s_and_saveexec_b32 s3, s4
	s_cbranch_execz .LBB450_203
; %bb.201:
	v_and_b32_e32 v9, 1, v18
	s_delay_alu instid0(VALU_DEP_1)
	v_cmp_eq_u32_e32 vcc_lo, 1, v9
	s_and_b32 exec_lo, exec_lo, vcc_lo
	s_cbranch_execz .LBB450_203
; %bb.202:
	v_mov_b32_e32 v30, 0
	s_delay_alu instid0(VALU_DEP_1) | instskip(NEXT) | instid1(VALU_DEP_1)
	v_lshlrev_b64 v[9:10], 2, v[29:30]
	v_add_co_u32 v9, vcc_lo, s0, v9
	s_delay_alu instid0(VALU_DEP_2)
	v_add_co_ci_u32_e32 v10, vcc_lo, s1, v10, vcc_lo
	global_store_b32 v[9:10], v3, off
.LBB450_203:
	s_or_b32 exec_lo, exec_lo, s3
	v_cmp_lt_u32_e32 vcc_lo, v27, v43
	s_or_b32 s4, s23, vcc_lo
	s_delay_alu instid0(SALU_CYCLE_1)
	s_and_saveexec_b32 s3, s4
	s_cbranch_execz .LBB450_206
; %bb.204:
	v_and_b32_e32 v9, 1, v40
	s_delay_alu instid0(VALU_DEP_1)
	v_cmp_eq_u32_e32 vcc_lo, 1, v9
	s_and_b32 exec_lo, exec_lo, vcc_lo
	s_cbranch_execz .LBB450_206
; %bb.205:
	v_mov_b32_e32 v28, 0
	s_delay_alu instid0(VALU_DEP_1) | instskip(NEXT) | instid1(VALU_DEP_1)
	v_lshlrev_b64 v[9:10], 2, v[27:28]
	v_add_co_u32 v9, vcc_lo, s0, v9
	s_delay_alu instid0(VALU_DEP_2)
	v_add_co_ci_u32_e32 v10, vcc_lo, s1, v10, vcc_lo
	global_store_b32 v[9:10], v4, off
.LBB450_206:
	s_or_b32 exec_lo, exec_lo, s3
	v_cmp_lt_u32_e32 vcc_lo, v25, v43
	s_or_b32 s4, s23, vcc_lo
	s_delay_alu instid0(SALU_CYCLE_1)
	s_and_saveexec_b32 s3, s4
	s_cbranch_execz .LBB450_209
; %bb.207:
	v_and_b32_e32 v9, 1, v22
	s_delay_alu instid0(VALU_DEP_1)
	v_cmp_eq_u32_e32 vcc_lo, 1, v9
	s_and_b32 exec_lo, exec_lo, vcc_lo
	s_cbranch_execz .LBB450_209
; %bb.208:
	v_mov_b32_e32 v26, 0
	s_delay_alu instid0(VALU_DEP_1) | instskip(NEXT) | instid1(VALU_DEP_1)
	v_lshlrev_b64 v[9:10], 2, v[25:26]
	v_add_co_u32 v9, vcc_lo, s0, v9
	s_delay_alu instid0(VALU_DEP_2)
	v_add_co_ci_u32_e32 v10, vcc_lo, s1, v10, vcc_lo
	global_store_b32 v[9:10], v1, off
.LBB450_209:
	s_or_b32 exec_lo, exec_lo, s3
	v_cmp_lt_u32_e32 vcc_lo, v23, v43
	s_or_b32 s4, s23, vcc_lo
	s_delay_alu instid0(SALU_CYCLE_1)
	s_and_saveexec_b32 s3, s4
	s_cbranch_execz .LBB450_212
; %bb.210:
	v_and_b32_e32 v9, 1, v39
	s_delay_alu instid0(VALU_DEP_1)
	v_cmp_eq_u32_e32 vcc_lo, 1, v9
	s_and_b32 exec_lo, exec_lo, vcc_lo
	s_cbranch_execz .LBB450_212
; %bb.211:
	v_mov_b32_e32 v24, 0
	s_delay_alu instid0(VALU_DEP_1) | instskip(NEXT) | instid1(VALU_DEP_1)
	v_lshlrev_b64 v[9:10], 2, v[23:24]
	v_add_co_u32 v9, vcc_lo, s0, v9
	s_delay_alu instid0(VALU_DEP_2)
	v_add_co_ci_u32_e32 v10, vcc_lo, s1, v10, vcc_lo
	global_store_b32 v[9:10], v2, off
.LBB450_212:
	s_or_b32 exec_lo, exec_lo, s3
.LBB450_213:
	s_and_b32 s0, s2, s22
	s_delay_alu instid0(SALU_CYCLE_1)
	s_and_saveexec_b32 s1, s0
	s_cbranch_execz .LBB450_236
.LBB450_214:
	v_add_co_u32 v0, s0, s10, v19
	s_delay_alu instid0(VALU_DEP_1) | instskip(SKIP_1) | instid1(VALU_DEP_3)
	v_add_co_ci_u32_e64 v1, null, s11, 0, s0
	v_mov_b32_e32 v2, 0
	v_add_co_u32 v0, vcc_lo, v0, v20
	s_delay_alu instid0(VALU_DEP_3)
	v_add_co_ci_u32_e32 v1, vcc_lo, 0, v1, vcc_lo
	global_store_b64 v2, v[0:1], s[8:9]
	s_nop 0
	s_sendmsg sendmsg(MSG_DEALLOC_VGPRS)
	s_endpgm
.LBB450_215:
	s_and_b32 vcc_lo, exec_lo, s0
	s_cbranch_vccz .LBB450_213
; %bb.216:
	s_mov_b32 s0, exec_lo
	v_cmpx_eq_u32_e32 1, v17
	s_cbranch_execz .LBB450_218
; %bb.217:
	v_sub_nc_u32_e32 v9, v37, v20
	s_delay_alu instid0(VALU_DEP_1)
	v_lshlrev_b32_e32 v9, 2, v9
	ds_store_b32 v9, v7
.LBB450_218:
	s_or_b32 exec_lo, exec_lo, s0
	v_and_b32_e32 v7, 1, v42
	s_mov_b32 s0, exec_lo
	s_delay_alu instid0(VALU_DEP_1)
	v_cmpx_eq_u32_e32 1, v7
	s_cbranch_execz .LBB450_220
; %bb.219:
	v_sub_nc_u32_e32 v7, v35, v20
	s_delay_alu instid0(VALU_DEP_1)
	v_lshlrev_b32_e32 v7, 2, v7
	ds_store_b32 v7, v8
.LBB450_220:
	s_or_b32 exec_lo, exec_lo, s0
	v_and_b32_e32 v7, 1, v41
	s_mov_b32 s0, exec_lo
	s_delay_alu instid0(VALU_DEP_1)
	;; [unrolled: 12-line block ×7, first 2 shown]
	v_cmpx_eq_u32_e32 1, v1
	s_cbranch_execz .LBB450_232
; %bb.231:
	v_sub_nc_u32_e32 v1, v23, v20
	s_delay_alu instid0(VALU_DEP_1)
	v_lshlrev_b32_e32 v1, 2, v1
	ds_store_b32 v1, v2
.LBB450_232:
	s_or_b32 exec_lo, exec_lo, s0
	s_delay_alu instid0(SALU_CYCLE_1)
	s_mov_b32 s1, exec_lo
	s_waitcnt lgkmcnt(0)
	s_waitcnt_vscnt null, 0x0
	s_barrier
	buffer_gl0_inv
	v_cmpx_lt_u32_e64 v0, v19
	s_cbranch_execz .LBB450_235
; %bb.233:
	v_dual_mov_b32 v1, 0 :: v_dual_mov_b32 v2, v20
	s_lshl_b64 s[4:5], s[10:11], 2
	v_lshlrev_b32_e32 v4, 2, v0
	s_add_u32 s0, s14, s4
	s_delay_alu instid0(VALU_DEP_2) | instskip(SKIP_1) | instid1(VALU_DEP_1)
	v_mov_b32_e32 v3, v1
	s_addc_u32 s3, s15, s5
	v_lshlrev_b64 v[2:3], 2, v[2:3]
	s_delay_alu instid0(VALU_DEP_1) | instskip(NEXT) | instid1(VALU_DEP_2)
	v_add_co_u32 v2, vcc_lo, s0, v2
	v_add_co_ci_u32_e32 v3, vcc_lo, s3, v3, vcc_lo
	s_mov_b32 s3, 0
	.p2align	6
.LBB450_234:                            ; =>This Inner Loop Header: Depth=1
	ds_load_b32 v7, v4
	v_lshlrev_b64 v[5:6], 2, v[0:1]
	v_add_nc_u32_e32 v0, 0x180, v0
	v_add_nc_u32_e32 v4, 0x600, v4
	s_delay_alu instid0(VALU_DEP_2) | instskip(NEXT) | instid1(VALU_DEP_4)
	v_cmp_ge_u32_e32 vcc_lo, v0, v19
	v_add_co_u32 v5, s0, v2, v5
	s_delay_alu instid0(VALU_DEP_1)
	v_add_co_ci_u32_e64 v6, s0, v3, v6, s0
	s_or_b32 s3, vcc_lo, s3
	s_waitcnt lgkmcnt(0)
	global_store_b32 v[5:6], v7, off
	s_and_not1_b32 exec_lo, exec_lo, s3
	s_cbranch_execnz .LBB450_234
.LBB450_235:
	s_or_b32 exec_lo, exec_lo, s1
	s_and_b32 s0, s2, s22
	s_delay_alu instid0(SALU_CYCLE_1)
	s_and_saveexec_b32 s1, s0
	s_cbranch_execnz .LBB450_214
.LBB450_236:
	s_nop 0
	s_sendmsg sendmsg(MSG_DEALLOC_VGPRS)
	s_endpgm
	.section	.rodata,"a",@progbits
	.p2align	6, 0x0
	.amdhsa_kernel _ZN7rocprim17ROCPRIM_400000_NS6detail17trampoline_kernelINS0_14default_configENS1_25partition_config_selectorILNS1_17partition_subalgoE9EiibEEZZNS1_14partition_implILS5_9ELb0ES3_jN6thrust23THRUST_200600_302600_NS6detail15normal_iteratorINS9_10device_ptrIiEEEESE_PNS0_10empty_typeENS0_5tupleIJSE_SF_EEENSH_IJSE_SG_EEENS0_18inequality_wrapperI22is_equal_div_10_uniqueIiEEEPmJSF_EEE10hipError_tPvRmT3_T4_T5_T6_T7_T9_mT8_P12ihipStream_tbDpT10_ENKUlT_T0_E_clISt17integral_constantIbLb1EES18_EEDaS13_S14_EUlS13_E_NS1_11comp_targetILNS1_3genE9ELNS1_11target_archE1100ELNS1_3gpuE3ELNS1_3repE0EEENS1_30default_config_static_selectorELNS0_4arch9wavefront6targetE0EEEvT1_
		.amdhsa_group_segment_fixed_size 12680
		.amdhsa_private_segment_fixed_size 0
		.amdhsa_kernarg_size 128
		.amdhsa_user_sgpr_count 15
		.amdhsa_user_sgpr_dispatch_ptr 0
		.amdhsa_user_sgpr_queue_ptr 0
		.amdhsa_user_sgpr_kernarg_segment_ptr 1
		.amdhsa_user_sgpr_dispatch_id 0
		.amdhsa_user_sgpr_private_segment_size 0
		.amdhsa_wavefront_size32 1
		.amdhsa_uses_dynamic_stack 0
		.amdhsa_enable_private_segment 0
		.amdhsa_system_sgpr_workgroup_id_x 1
		.amdhsa_system_sgpr_workgroup_id_y 0
		.amdhsa_system_sgpr_workgroup_id_z 0
		.amdhsa_system_sgpr_workgroup_info 0
		.amdhsa_system_vgpr_workitem_id 0
		.amdhsa_next_free_vgpr 51
		.amdhsa_next_free_sgpr 29
		.amdhsa_reserve_vcc 1
		.amdhsa_float_round_mode_32 0
		.amdhsa_float_round_mode_16_64 0
		.amdhsa_float_denorm_mode_32 3
		.amdhsa_float_denorm_mode_16_64 3
		.amdhsa_dx10_clamp 1
		.amdhsa_ieee_mode 1
		.amdhsa_fp16_overflow 0
		.amdhsa_workgroup_processor_mode 1
		.amdhsa_memory_ordered 1
		.amdhsa_forward_progress 0
		.amdhsa_shared_vgpr_count 0
		.amdhsa_exception_fp_ieee_invalid_op 0
		.amdhsa_exception_fp_denorm_src 0
		.amdhsa_exception_fp_ieee_div_zero 0
		.amdhsa_exception_fp_ieee_overflow 0
		.amdhsa_exception_fp_ieee_underflow 0
		.amdhsa_exception_fp_ieee_inexact 0
		.amdhsa_exception_int_div_zero 0
	.end_amdhsa_kernel
	.section	.text._ZN7rocprim17ROCPRIM_400000_NS6detail17trampoline_kernelINS0_14default_configENS1_25partition_config_selectorILNS1_17partition_subalgoE9EiibEEZZNS1_14partition_implILS5_9ELb0ES3_jN6thrust23THRUST_200600_302600_NS6detail15normal_iteratorINS9_10device_ptrIiEEEESE_PNS0_10empty_typeENS0_5tupleIJSE_SF_EEENSH_IJSE_SG_EEENS0_18inequality_wrapperI22is_equal_div_10_uniqueIiEEEPmJSF_EEE10hipError_tPvRmT3_T4_T5_T6_T7_T9_mT8_P12ihipStream_tbDpT10_ENKUlT_T0_E_clISt17integral_constantIbLb1EES18_EEDaS13_S14_EUlS13_E_NS1_11comp_targetILNS1_3genE9ELNS1_11target_archE1100ELNS1_3gpuE3ELNS1_3repE0EEENS1_30default_config_static_selectorELNS0_4arch9wavefront6targetE0EEEvT1_,"axG",@progbits,_ZN7rocprim17ROCPRIM_400000_NS6detail17trampoline_kernelINS0_14default_configENS1_25partition_config_selectorILNS1_17partition_subalgoE9EiibEEZZNS1_14partition_implILS5_9ELb0ES3_jN6thrust23THRUST_200600_302600_NS6detail15normal_iteratorINS9_10device_ptrIiEEEESE_PNS0_10empty_typeENS0_5tupleIJSE_SF_EEENSH_IJSE_SG_EEENS0_18inequality_wrapperI22is_equal_div_10_uniqueIiEEEPmJSF_EEE10hipError_tPvRmT3_T4_T5_T6_T7_T9_mT8_P12ihipStream_tbDpT10_ENKUlT_T0_E_clISt17integral_constantIbLb1EES18_EEDaS13_S14_EUlS13_E_NS1_11comp_targetILNS1_3genE9ELNS1_11target_archE1100ELNS1_3gpuE3ELNS1_3repE0EEENS1_30default_config_static_selectorELNS0_4arch9wavefront6targetE0EEEvT1_,comdat
.Lfunc_end450:
	.size	_ZN7rocprim17ROCPRIM_400000_NS6detail17trampoline_kernelINS0_14default_configENS1_25partition_config_selectorILNS1_17partition_subalgoE9EiibEEZZNS1_14partition_implILS5_9ELb0ES3_jN6thrust23THRUST_200600_302600_NS6detail15normal_iteratorINS9_10device_ptrIiEEEESE_PNS0_10empty_typeENS0_5tupleIJSE_SF_EEENSH_IJSE_SG_EEENS0_18inequality_wrapperI22is_equal_div_10_uniqueIiEEEPmJSF_EEE10hipError_tPvRmT3_T4_T5_T6_T7_T9_mT8_P12ihipStream_tbDpT10_ENKUlT_T0_E_clISt17integral_constantIbLb1EES18_EEDaS13_S14_EUlS13_E_NS1_11comp_targetILNS1_3genE9ELNS1_11target_archE1100ELNS1_3gpuE3ELNS1_3repE0EEENS1_30default_config_static_selectorELNS0_4arch9wavefront6targetE0EEEvT1_, .Lfunc_end450-_ZN7rocprim17ROCPRIM_400000_NS6detail17trampoline_kernelINS0_14default_configENS1_25partition_config_selectorILNS1_17partition_subalgoE9EiibEEZZNS1_14partition_implILS5_9ELb0ES3_jN6thrust23THRUST_200600_302600_NS6detail15normal_iteratorINS9_10device_ptrIiEEEESE_PNS0_10empty_typeENS0_5tupleIJSE_SF_EEENSH_IJSE_SG_EEENS0_18inequality_wrapperI22is_equal_div_10_uniqueIiEEEPmJSF_EEE10hipError_tPvRmT3_T4_T5_T6_T7_T9_mT8_P12ihipStream_tbDpT10_ENKUlT_T0_E_clISt17integral_constantIbLb1EES18_EEDaS13_S14_EUlS13_E_NS1_11comp_targetILNS1_3genE9ELNS1_11target_archE1100ELNS1_3gpuE3ELNS1_3repE0EEENS1_30default_config_static_selectorELNS0_4arch9wavefront6targetE0EEEvT1_
                                        ; -- End function
	.section	.AMDGPU.csdata,"",@progbits
; Kernel info:
; codeLenInByte = 10880
; NumSgprs: 31
; NumVgprs: 51
; ScratchSize: 0
; MemoryBound: 0
; FloatMode: 240
; IeeeMode: 1
; LDSByteSize: 12680 bytes/workgroup (compile time only)
; SGPRBlocks: 3
; VGPRBlocks: 6
; NumSGPRsForWavesPerEU: 31
; NumVGPRsForWavesPerEU: 51
; Occupancy: 15
; WaveLimiterHint : 1
; COMPUTE_PGM_RSRC2:SCRATCH_EN: 0
; COMPUTE_PGM_RSRC2:USER_SGPR: 15
; COMPUTE_PGM_RSRC2:TRAP_HANDLER: 0
; COMPUTE_PGM_RSRC2:TGID_X_EN: 1
; COMPUTE_PGM_RSRC2:TGID_Y_EN: 0
; COMPUTE_PGM_RSRC2:TGID_Z_EN: 0
; COMPUTE_PGM_RSRC2:TIDIG_COMP_CNT: 0
	.section	.text._ZN7rocprim17ROCPRIM_400000_NS6detail17trampoline_kernelINS0_14default_configENS1_25partition_config_selectorILNS1_17partition_subalgoE9EiibEEZZNS1_14partition_implILS5_9ELb0ES3_jN6thrust23THRUST_200600_302600_NS6detail15normal_iteratorINS9_10device_ptrIiEEEESE_PNS0_10empty_typeENS0_5tupleIJSE_SF_EEENSH_IJSE_SG_EEENS0_18inequality_wrapperI22is_equal_div_10_uniqueIiEEEPmJSF_EEE10hipError_tPvRmT3_T4_T5_T6_T7_T9_mT8_P12ihipStream_tbDpT10_ENKUlT_T0_E_clISt17integral_constantIbLb1EES18_EEDaS13_S14_EUlS13_E_NS1_11comp_targetILNS1_3genE8ELNS1_11target_archE1030ELNS1_3gpuE2ELNS1_3repE0EEENS1_30default_config_static_selectorELNS0_4arch9wavefront6targetE0EEEvT1_,"axG",@progbits,_ZN7rocprim17ROCPRIM_400000_NS6detail17trampoline_kernelINS0_14default_configENS1_25partition_config_selectorILNS1_17partition_subalgoE9EiibEEZZNS1_14partition_implILS5_9ELb0ES3_jN6thrust23THRUST_200600_302600_NS6detail15normal_iteratorINS9_10device_ptrIiEEEESE_PNS0_10empty_typeENS0_5tupleIJSE_SF_EEENSH_IJSE_SG_EEENS0_18inequality_wrapperI22is_equal_div_10_uniqueIiEEEPmJSF_EEE10hipError_tPvRmT3_T4_T5_T6_T7_T9_mT8_P12ihipStream_tbDpT10_ENKUlT_T0_E_clISt17integral_constantIbLb1EES18_EEDaS13_S14_EUlS13_E_NS1_11comp_targetILNS1_3genE8ELNS1_11target_archE1030ELNS1_3gpuE2ELNS1_3repE0EEENS1_30default_config_static_selectorELNS0_4arch9wavefront6targetE0EEEvT1_,comdat
	.protected	_ZN7rocprim17ROCPRIM_400000_NS6detail17trampoline_kernelINS0_14default_configENS1_25partition_config_selectorILNS1_17partition_subalgoE9EiibEEZZNS1_14partition_implILS5_9ELb0ES3_jN6thrust23THRUST_200600_302600_NS6detail15normal_iteratorINS9_10device_ptrIiEEEESE_PNS0_10empty_typeENS0_5tupleIJSE_SF_EEENSH_IJSE_SG_EEENS0_18inequality_wrapperI22is_equal_div_10_uniqueIiEEEPmJSF_EEE10hipError_tPvRmT3_T4_T5_T6_T7_T9_mT8_P12ihipStream_tbDpT10_ENKUlT_T0_E_clISt17integral_constantIbLb1EES18_EEDaS13_S14_EUlS13_E_NS1_11comp_targetILNS1_3genE8ELNS1_11target_archE1030ELNS1_3gpuE2ELNS1_3repE0EEENS1_30default_config_static_selectorELNS0_4arch9wavefront6targetE0EEEvT1_ ; -- Begin function _ZN7rocprim17ROCPRIM_400000_NS6detail17trampoline_kernelINS0_14default_configENS1_25partition_config_selectorILNS1_17partition_subalgoE9EiibEEZZNS1_14partition_implILS5_9ELb0ES3_jN6thrust23THRUST_200600_302600_NS6detail15normal_iteratorINS9_10device_ptrIiEEEESE_PNS0_10empty_typeENS0_5tupleIJSE_SF_EEENSH_IJSE_SG_EEENS0_18inequality_wrapperI22is_equal_div_10_uniqueIiEEEPmJSF_EEE10hipError_tPvRmT3_T4_T5_T6_T7_T9_mT8_P12ihipStream_tbDpT10_ENKUlT_T0_E_clISt17integral_constantIbLb1EES18_EEDaS13_S14_EUlS13_E_NS1_11comp_targetILNS1_3genE8ELNS1_11target_archE1030ELNS1_3gpuE2ELNS1_3repE0EEENS1_30default_config_static_selectorELNS0_4arch9wavefront6targetE0EEEvT1_
	.globl	_ZN7rocprim17ROCPRIM_400000_NS6detail17trampoline_kernelINS0_14default_configENS1_25partition_config_selectorILNS1_17partition_subalgoE9EiibEEZZNS1_14partition_implILS5_9ELb0ES3_jN6thrust23THRUST_200600_302600_NS6detail15normal_iteratorINS9_10device_ptrIiEEEESE_PNS0_10empty_typeENS0_5tupleIJSE_SF_EEENSH_IJSE_SG_EEENS0_18inequality_wrapperI22is_equal_div_10_uniqueIiEEEPmJSF_EEE10hipError_tPvRmT3_T4_T5_T6_T7_T9_mT8_P12ihipStream_tbDpT10_ENKUlT_T0_E_clISt17integral_constantIbLb1EES18_EEDaS13_S14_EUlS13_E_NS1_11comp_targetILNS1_3genE8ELNS1_11target_archE1030ELNS1_3gpuE2ELNS1_3repE0EEENS1_30default_config_static_selectorELNS0_4arch9wavefront6targetE0EEEvT1_
	.p2align	8
	.type	_ZN7rocprim17ROCPRIM_400000_NS6detail17trampoline_kernelINS0_14default_configENS1_25partition_config_selectorILNS1_17partition_subalgoE9EiibEEZZNS1_14partition_implILS5_9ELb0ES3_jN6thrust23THRUST_200600_302600_NS6detail15normal_iteratorINS9_10device_ptrIiEEEESE_PNS0_10empty_typeENS0_5tupleIJSE_SF_EEENSH_IJSE_SG_EEENS0_18inequality_wrapperI22is_equal_div_10_uniqueIiEEEPmJSF_EEE10hipError_tPvRmT3_T4_T5_T6_T7_T9_mT8_P12ihipStream_tbDpT10_ENKUlT_T0_E_clISt17integral_constantIbLb1EES18_EEDaS13_S14_EUlS13_E_NS1_11comp_targetILNS1_3genE8ELNS1_11target_archE1030ELNS1_3gpuE2ELNS1_3repE0EEENS1_30default_config_static_selectorELNS0_4arch9wavefront6targetE0EEEvT1_,@function
_ZN7rocprim17ROCPRIM_400000_NS6detail17trampoline_kernelINS0_14default_configENS1_25partition_config_selectorILNS1_17partition_subalgoE9EiibEEZZNS1_14partition_implILS5_9ELb0ES3_jN6thrust23THRUST_200600_302600_NS6detail15normal_iteratorINS9_10device_ptrIiEEEESE_PNS0_10empty_typeENS0_5tupleIJSE_SF_EEENSH_IJSE_SG_EEENS0_18inequality_wrapperI22is_equal_div_10_uniqueIiEEEPmJSF_EEE10hipError_tPvRmT3_T4_T5_T6_T7_T9_mT8_P12ihipStream_tbDpT10_ENKUlT_T0_E_clISt17integral_constantIbLb1EES18_EEDaS13_S14_EUlS13_E_NS1_11comp_targetILNS1_3genE8ELNS1_11target_archE1030ELNS1_3gpuE2ELNS1_3repE0EEENS1_30default_config_static_selectorELNS0_4arch9wavefront6targetE0EEEvT1_: ; @_ZN7rocprim17ROCPRIM_400000_NS6detail17trampoline_kernelINS0_14default_configENS1_25partition_config_selectorILNS1_17partition_subalgoE9EiibEEZZNS1_14partition_implILS5_9ELb0ES3_jN6thrust23THRUST_200600_302600_NS6detail15normal_iteratorINS9_10device_ptrIiEEEESE_PNS0_10empty_typeENS0_5tupleIJSE_SF_EEENSH_IJSE_SG_EEENS0_18inequality_wrapperI22is_equal_div_10_uniqueIiEEEPmJSF_EEE10hipError_tPvRmT3_T4_T5_T6_T7_T9_mT8_P12ihipStream_tbDpT10_ENKUlT_T0_E_clISt17integral_constantIbLb1EES18_EEDaS13_S14_EUlS13_E_NS1_11comp_targetILNS1_3genE8ELNS1_11target_archE1030ELNS1_3gpuE2ELNS1_3repE0EEENS1_30default_config_static_selectorELNS0_4arch9wavefront6targetE0EEEvT1_
; %bb.0:
	.section	.rodata,"a",@progbits
	.p2align	6, 0x0
	.amdhsa_kernel _ZN7rocprim17ROCPRIM_400000_NS6detail17trampoline_kernelINS0_14default_configENS1_25partition_config_selectorILNS1_17partition_subalgoE9EiibEEZZNS1_14partition_implILS5_9ELb0ES3_jN6thrust23THRUST_200600_302600_NS6detail15normal_iteratorINS9_10device_ptrIiEEEESE_PNS0_10empty_typeENS0_5tupleIJSE_SF_EEENSH_IJSE_SG_EEENS0_18inequality_wrapperI22is_equal_div_10_uniqueIiEEEPmJSF_EEE10hipError_tPvRmT3_T4_T5_T6_T7_T9_mT8_P12ihipStream_tbDpT10_ENKUlT_T0_E_clISt17integral_constantIbLb1EES18_EEDaS13_S14_EUlS13_E_NS1_11comp_targetILNS1_3genE8ELNS1_11target_archE1030ELNS1_3gpuE2ELNS1_3repE0EEENS1_30default_config_static_selectorELNS0_4arch9wavefront6targetE0EEEvT1_
		.amdhsa_group_segment_fixed_size 0
		.amdhsa_private_segment_fixed_size 0
		.amdhsa_kernarg_size 128
		.amdhsa_user_sgpr_count 15
		.amdhsa_user_sgpr_dispatch_ptr 0
		.amdhsa_user_sgpr_queue_ptr 0
		.amdhsa_user_sgpr_kernarg_segment_ptr 1
		.amdhsa_user_sgpr_dispatch_id 0
		.amdhsa_user_sgpr_private_segment_size 0
		.amdhsa_wavefront_size32 1
		.amdhsa_uses_dynamic_stack 0
		.amdhsa_enable_private_segment 0
		.amdhsa_system_sgpr_workgroup_id_x 1
		.amdhsa_system_sgpr_workgroup_id_y 0
		.amdhsa_system_sgpr_workgroup_id_z 0
		.amdhsa_system_sgpr_workgroup_info 0
		.amdhsa_system_vgpr_workitem_id 0
		.amdhsa_next_free_vgpr 1
		.amdhsa_next_free_sgpr 1
		.amdhsa_reserve_vcc 0
		.amdhsa_float_round_mode_32 0
		.amdhsa_float_round_mode_16_64 0
		.amdhsa_float_denorm_mode_32 3
		.amdhsa_float_denorm_mode_16_64 3
		.amdhsa_dx10_clamp 1
		.amdhsa_ieee_mode 1
		.amdhsa_fp16_overflow 0
		.amdhsa_workgroup_processor_mode 1
		.amdhsa_memory_ordered 1
		.amdhsa_forward_progress 0
		.amdhsa_shared_vgpr_count 0
		.amdhsa_exception_fp_ieee_invalid_op 0
		.amdhsa_exception_fp_denorm_src 0
		.amdhsa_exception_fp_ieee_div_zero 0
		.amdhsa_exception_fp_ieee_overflow 0
		.amdhsa_exception_fp_ieee_underflow 0
		.amdhsa_exception_fp_ieee_inexact 0
		.amdhsa_exception_int_div_zero 0
	.end_amdhsa_kernel
	.section	.text._ZN7rocprim17ROCPRIM_400000_NS6detail17trampoline_kernelINS0_14default_configENS1_25partition_config_selectorILNS1_17partition_subalgoE9EiibEEZZNS1_14partition_implILS5_9ELb0ES3_jN6thrust23THRUST_200600_302600_NS6detail15normal_iteratorINS9_10device_ptrIiEEEESE_PNS0_10empty_typeENS0_5tupleIJSE_SF_EEENSH_IJSE_SG_EEENS0_18inequality_wrapperI22is_equal_div_10_uniqueIiEEEPmJSF_EEE10hipError_tPvRmT3_T4_T5_T6_T7_T9_mT8_P12ihipStream_tbDpT10_ENKUlT_T0_E_clISt17integral_constantIbLb1EES18_EEDaS13_S14_EUlS13_E_NS1_11comp_targetILNS1_3genE8ELNS1_11target_archE1030ELNS1_3gpuE2ELNS1_3repE0EEENS1_30default_config_static_selectorELNS0_4arch9wavefront6targetE0EEEvT1_,"axG",@progbits,_ZN7rocprim17ROCPRIM_400000_NS6detail17trampoline_kernelINS0_14default_configENS1_25partition_config_selectorILNS1_17partition_subalgoE9EiibEEZZNS1_14partition_implILS5_9ELb0ES3_jN6thrust23THRUST_200600_302600_NS6detail15normal_iteratorINS9_10device_ptrIiEEEESE_PNS0_10empty_typeENS0_5tupleIJSE_SF_EEENSH_IJSE_SG_EEENS0_18inequality_wrapperI22is_equal_div_10_uniqueIiEEEPmJSF_EEE10hipError_tPvRmT3_T4_T5_T6_T7_T9_mT8_P12ihipStream_tbDpT10_ENKUlT_T0_E_clISt17integral_constantIbLb1EES18_EEDaS13_S14_EUlS13_E_NS1_11comp_targetILNS1_3genE8ELNS1_11target_archE1030ELNS1_3gpuE2ELNS1_3repE0EEENS1_30default_config_static_selectorELNS0_4arch9wavefront6targetE0EEEvT1_,comdat
.Lfunc_end451:
	.size	_ZN7rocprim17ROCPRIM_400000_NS6detail17trampoline_kernelINS0_14default_configENS1_25partition_config_selectorILNS1_17partition_subalgoE9EiibEEZZNS1_14partition_implILS5_9ELb0ES3_jN6thrust23THRUST_200600_302600_NS6detail15normal_iteratorINS9_10device_ptrIiEEEESE_PNS0_10empty_typeENS0_5tupleIJSE_SF_EEENSH_IJSE_SG_EEENS0_18inequality_wrapperI22is_equal_div_10_uniqueIiEEEPmJSF_EEE10hipError_tPvRmT3_T4_T5_T6_T7_T9_mT8_P12ihipStream_tbDpT10_ENKUlT_T0_E_clISt17integral_constantIbLb1EES18_EEDaS13_S14_EUlS13_E_NS1_11comp_targetILNS1_3genE8ELNS1_11target_archE1030ELNS1_3gpuE2ELNS1_3repE0EEENS1_30default_config_static_selectorELNS0_4arch9wavefront6targetE0EEEvT1_, .Lfunc_end451-_ZN7rocprim17ROCPRIM_400000_NS6detail17trampoline_kernelINS0_14default_configENS1_25partition_config_selectorILNS1_17partition_subalgoE9EiibEEZZNS1_14partition_implILS5_9ELb0ES3_jN6thrust23THRUST_200600_302600_NS6detail15normal_iteratorINS9_10device_ptrIiEEEESE_PNS0_10empty_typeENS0_5tupleIJSE_SF_EEENSH_IJSE_SG_EEENS0_18inequality_wrapperI22is_equal_div_10_uniqueIiEEEPmJSF_EEE10hipError_tPvRmT3_T4_T5_T6_T7_T9_mT8_P12ihipStream_tbDpT10_ENKUlT_T0_E_clISt17integral_constantIbLb1EES18_EEDaS13_S14_EUlS13_E_NS1_11comp_targetILNS1_3genE8ELNS1_11target_archE1030ELNS1_3gpuE2ELNS1_3repE0EEENS1_30default_config_static_selectorELNS0_4arch9wavefront6targetE0EEEvT1_
                                        ; -- End function
	.section	.AMDGPU.csdata,"",@progbits
; Kernel info:
; codeLenInByte = 0
; NumSgprs: 0
; NumVgprs: 0
; ScratchSize: 0
; MemoryBound: 0
; FloatMode: 240
; IeeeMode: 1
; LDSByteSize: 0 bytes/workgroup (compile time only)
; SGPRBlocks: 0
; VGPRBlocks: 0
; NumSGPRsForWavesPerEU: 1
; NumVGPRsForWavesPerEU: 1
; Occupancy: 16
; WaveLimiterHint : 0
; COMPUTE_PGM_RSRC2:SCRATCH_EN: 0
; COMPUTE_PGM_RSRC2:USER_SGPR: 15
; COMPUTE_PGM_RSRC2:TRAP_HANDLER: 0
; COMPUTE_PGM_RSRC2:TGID_X_EN: 1
; COMPUTE_PGM_RSRC2:TGID_Y_EN: 0
; COMPUTE_PGM_RSRC2:TGID_Z_EN: 0
; COMPUTE_PGM_RSRC2:TIDIG_COMP_CNT: 0
	.section	.text._ZN7rocprim17ROCPRIM_400000_NS6detail17trampoline_kernelINS0_14default_configENS1_25partition_config_selectorILNS1_17partition_subalgoE9EiibEEZZNS1_14partition_implILS5_9ELb0ES3_jN6thrust23THRUST_200600_302600_NS6detail15normal_iteratorINS9_10device_ptrIiEEEESE_PNS0_10empty_typeENS0_5tupleIJSE_SF_EEENSH_IJSE_SG_EEENS0_18inequality_wrapperI22is_equal_div_10_uniqueIiEEEPmJSF_EEE10hipError_tPvRmT3_T4_T5_T6_T7_T9_mT8_P12ihipStream_tbDpT10_ENKUlT_T0_E_clISt17integral_constantIbLb1EES17_IbLb0EEEEDaS13_S14_EUlS13_E_NS1_11comp_targetILNS1_3genE0ELNS1_11target_archE4294967295ELNS1_3gpuE0ELNS1_3repE0EEENS1_30default_config_static_selectorELNS0_4arch9wavefront6targetE0EEEvT1_,"axG",@progbits,_ZN7rocprim17ROCPRIM_400000_NS6detail17trampoline_kernelINS0_14default_configENS1_25partition_config_selectorILNS1_17partition_subalgoE9EiibEEZZNS1_14partition_implILS5_9ELb0ES3_jN6thrust23THRUST_200600_302600_NS6detail15normal_iteratorINS9_10device_ptrIiEEEESE_PNS0_10empty_typeENS0_5tupleIJSE_SF_EEENSH_IJSE_SG_EEENS0_18inequality_wrapperI22is_equal_div_10_uniqueIiEEEPmJSF_EEE10hipError_tPvRmT3_T4_T5_T6_T7_T9_mT8_P12ihipStream_tbDpT10_ENKUlT_T0_E_clISt17integral_constantIbLb1EES17_IbLb0EEEEDaS13_S14_EUlS13_E_NS1_11comp_targetILNS1_3genE0ELNS1_11target_archE4294967295ELNS1_3gpuE0ELNS1_3repE0EEENS1_30default_config_static_selectorELNS0_4arch9wavefront6targetE0EEEvT1_,comdat
	.protected	_ZN7rocprim17ROCPRIM_400000_NS6detail17trampoline_kernelINS0_14default_configENS1_25partition_config_selectorILNS1_17partition_subalgoE9EiibEEZZNS1_14partition_implILS5_9ELb0ES3_jN6thrust23THRUST_200600_302600_NS6detail15normal_iteratorINS9_10device_ptrIiEEEESE_PNS0_10empty_typeENS0_5tupleIJSE_SF_EEENSH_IJSE_SG_EEENS0_18inequality_wrapperI22is_equal_div_10_uniqueIiEEEPmJSF_EEE10hipError_tPvRmT3_T4_T5_T6_T7_T9_mT8_P12ihipStream_tbDpT10_ENKUlT_T0_E_clISt17integral_constantIbLb1EES17_IbLb0EEEEDaS13_S14_EUlS13_E_NS1_11comp_targetILNS1_3genE0ELNS1_11target_archE4294967295ELNS1_3gpuE0ELNS1_3repE0EEENS1_30default_config_static_selectorELNS0_4arch9wavefront6targetE0EEEvT1_ ; -- Begin function _ZN7rocprim17ROCPRIM_400000_NS6detail17trampoline_kernelINS0_14default_configENS1_25partition_config_selectorILNS1_17partition_subalgoE9EiibEEZZNS1_14partition_implILS5_9ELb0ES3_jN6thrust23THRUST_200600_302600_NS6detail15normal_iteratorINS9_10device_ptrIiEEEESE_PNS0_10empty_typeENS0_5tupleIJSE_SF_EEENSH_IJSE_SG_EEENS0_18inequality_wrapperI22is_equal_div_10_uniqueIiEEEPmJSF_EEE10hipError_tPvRmT3_T4_T5_T6_T7_T9_mT8_P12ihipStream_tbDpT10_ENKUlT_T0_E_clISt17integral_constantIbLb1EES17_IbLb0EEEEDaS13_S14_EUlS13_E_NS1_11comp_targetILNS1_3genE0ELNS1_11target_archE4294967295ELNS1_3gpuE0ELNS1_3repE0EEENS1_30default_config_static_selectorELNS0_4arch9wavefront6targetE0EEEvT1_
	.globl	_ZN7rocprim17ROCPRIM_400000_NS6detail17trampoline_kernelINS0_14default_configENS1_25partition_config_selectorILNS1_17partition_subalgoE9EiibEEZZNS1_14partition_implILS5_9ELb0ES3_jN6thrust23THRUST_200600_302600_NS6detail15normal_iteratorINS9_10device_ptrIiEEEESE_PNS0_10empty_typeENS0_5tupleIJSE_SF_EEENSH_IJSE_SG_EEENS0_18inequality_wrapperI22is_equal_div_10_uniqueIiEEEPmJSF_EEE10hipError_tPvRmT3_T4_T5_T6_T7_T9_mT8_P12ihipStream_tbDpT10_ENKUlT_T0_E_clISt17integral_constantIbLb1EES17_IbLb0EEEEDaS13_S14_EUlS13_E_NS1_11comp_targetILNS1_3genE0ELNS1_11target_archE4294967295ELNS1_3gpuE0ELNS1_3repE0EEENS1_30default_config_static_selectorELNS0_4arch9wavefront6targetE0EEEvT1_
	.p2align	8
	.type	_ZN7rocprim17ROCPRIM_400000_NS6detail17trampoline_kernelINS0_14default_configENS1_25partition_config_selectorILNS1_17partition_subalgoE9EiibEEZZNS1_14partition_implILS5_9ELb0ES3_jN6thrust23THRUST_200600_302600_NS6detail15normal_iteratorINS9_10device_ptrIiEEEESE_PNS0_10empty_typeENS0_5tupleIJSE_SF_EEENSH_IJSE_SG_EEENS0_18inequality_wrapperI22is_equal_div_10_uniqueIiEEEPmJSF_EEE10hipError_tPvRmT3_T4_T5_T6_T7_T9_mT8_P12ihipStream_tbDpT10_ENKUlT_T0_E_clISt17integral_constantIbLb1EES17_IbLb0EEEEDaS13_S14_EUlS13_E_NS1_11comp_targetILNS1_3genE0ELNS1_11target_archE4294967295ELNS1_3gpuE0ELNS1_3repE0EEENS1_30default_config_static_selectorELNS0_4arch9wavefront6targetE0EEEvT1_,@function
_ZN7rocprim17ROCPRIM_400000_NS6detail17trampoline_kernelINS0_14default_configENS1_25partition_config_selectorILNS1_17partition_subalgoE9EiibEEZZNS1_14partition_implILS5_9ELb0ES3_jN6thrust23THRUST_200600_302600_NS6detail15normal_iteratorINS9_10device_ptrIiEEEESE_PNS0_10empty_typeENS0_5tupleIJSE_SF_EEENSH_IJSE_SG_EEENS0_18inequality_wrapperI22is_equal_div_10_uniqueIiEEEPmJSF_EEE10hipError_tPvRmT3_T4_T5_T6_T7_T9_mT8_P12ihipStream_tbDpT10_ENKUlT_T0_E_clISt17integral_constantIbLb1EES17_IbLb0EEEEDaS13_S14_EUlS13_E_NS1_11comp_targetILNS1_3genE0ELNS1_11target_archE4294967295ELNS1_3gpuE0ELNS1_3repE0EEENS1_30default_config_static_selectorELNS0_4arch9wavefront6targetE0EEEvT1_: ; @_ZN7rocprim17ROCPRIM_400000_NS6detail17trampoline_kernelINS0_14default_configENS1_25partition_config_selectorILNS1_17partition_subalgoE9EiibEEZZNS1_14partition_implILS5_9ELb0ES3_jN6thrust23THRUST_200600_302600_NS6detail15normal_iteratorINS9_10device_ptrIiEEEESE_PNS0_10empty_typeENS0_5tupleIJSE_SF_EEENSH_IJSE_SG_EEENS0_18inequality_wrapperI22is_equal_div_10_uniqueIiEEEPmJSF_EEE10hipError_tPvRmT3_T4_T5_T6_T7_T9_mT8_P12ihipStream_tbDpT10_ENKUlT_T0_E_clISt17integral_constantIbLb1EES17_IbLb0EEEEDaS13_S14_EUlS13_E_NS1_11comp_targetILNS1_3genE0ELNS1_11target_archE4294967295ELNS1_3gpuE0ELNS1_3repE0EEENS1_30default_config_static_selectorELNS0_4arch9wavefront6targetE0EEEvT1_
; %bb.0:
	.section	.rodata,"a",@progbits
	.p2align	6, 0x0
	.amdhsa_kernel _ZN7rocprim17ROCPRIM_400000_NS6detail17trampoline_kernelINS0_14default_configENS1_25partition_config_selectorILNS1_17partition_subalgoE9EiibEEZZNS1_14partition_implILS5_9ELb0ES3_jN6thrust23THRUST_200600_302600_NS6detail15normal_iteratorINS9_10device_ptrIiEEEESE_PNS0_10empty_typeENS0_5tupleIJSE_SF_EEENSH_IJSE_SG_EEENS0_18inequality_wrapperI22is_equal_div_10_uniqueIiEEEPmJSF_EEE10hipError_tPvRmT3_T4_T5_T6_T7_T9_mT8_P12ihipStream_tbDpT10_ENKUlT_T0_E_clISt17integral_constantIbLb1EES17_IbLb0EEEEDaS13_S14_EUlS13_E_NS1_11comp_targetILNS1_3genE0ELNS1_11target_archE4294967295ELNS1_3gpuE0ELNS1_3repE0EEENS1_30default_config_static_selectorELNS0_4arch9wavefront6targetE0EEEvT1_
		.amdhsa_group_segment_fixed_size 0
		.amdhsa_private_segment_fixed_size 0
		.amdhsa_kernarg_size 112
		.amdhsa_user_sgpr_count 15
		.amdhsa_user_sgpr_dispatch_ptr 0
		.amdhsa_user_sgpr_queue_ptr 0
		.amdhsa_user_sgpr_kernarg_segment_ptr 1
		.amdhsa_user_sgpr_dispatch_id 0
		.amdhsa_user_sgpr_private_segment_size 0
		.amdhsa_wavefront_size32 1
		.amdhsa_uses_dynamic_stack 0
		.amdhsa_enable_private_segment 0
		.amdhsa_system_sgpr_workgroup_id_x 1
		.amdhsa_system_sgpr_workgroup_id_y 0
		.amdhsa_system_sgpr_workgroup_id_z 0
		.amdhsa_system_sgpr_workgroup_info 0
		.amdhsa_system_vgpr_workitem_id 0
		.amdhsa_next_free_vgpr 1
		.amdhsa_next_free_sgpr 1
		.amdhsa_reserve_vcc 0
		.amdhsa_float_round_mode_32 0
		.amdhsa_float_round_mode_16_64 0
		.amdhsa_float_denorm_mode_32 3
		.amdhsa_float_denorm_mode_16_64 3
		.amdhsa_dx10_clamp 1
		.amdhsa_ieee_mode 1
		.amdhsa_fp16_overflow 0
		.amdhsa_workgroup_processor_mode 1
		.amdhsa_memory_ordered 1
		.amdhsa_forward_progress 0
		.amdhsa_shared_vgpr_count 0
		.amdhsa_exception_fp_ieee_invalid_op 0
		.amdhsa_exception_fp_denorm_src 0
		.amdhsa_exception_fp_ieee_div_zero 0
		.amdhsa_exception_fp_ieee_overflow 0
		.amdhsa_exception_fp_ieee_underflow 0
		.amdhsa_exception_fp_ieee_inexact 0
		.amdhsa_exception_int_div_zero 0
	.end_amdhsa_kernel
	.section	.text._ZN7rocprim17ROCPRIM_400000_NS6detail17trampoline_kernelINS0_14default_configENS1_25partition_config_selectorILNS1_17partition_subalgoE9EiibEEZZNS1_14partition_implILS5_9ELb0ES3_jN6thrust23THRUST_200600_302600_NS6detail15normal_iteratorINS9_10device_ptrIiEEEESE_PNS0_10empty_typeENS0_5tupleIJSE_SF_EEENSH_IJSE_SG_EEENS0_18inequality_wrapperI22is_equal_div_10_uniqueIiEEEPmJSF_EEE10hipError_tPvRmT3_T4_T5_T6_T7_T9_mT8_P12ihipStream_tbDpT10_ENKUlT_T0_E_clISt17integral_constantIbLb1EES17_IbLb0EEEEDaS13_S14_EUlS13_E_NS1_11comp_targetILNS1_3genE0ELNS1_11target_archE4294967295ELNS1_3gpuE0ELNS1_3repE0EEENS1_30default_config_static_selectorELNS0_4arch9wavefront6targetE0EEEvT1_,"axG",@progbits,_ZN7rocprim17ROCPRIM_400000_NS6detail17trampoline_kernelINS0_14default_configENS1_25partition_config_selectorILNS1_17partition_subalgoE9EiibEEZZNS1_14partition_implILS5_9ELb0ES3_jN6thrust23THRUST_200600_302600_NS6detail15normal_iteratorINS9_10device_ptrIiEEEESE_PNS0_10empty_typeENS0_5tupleIJSE_SF_EEENSH_IJSE_SG_EEENS0_18inequality_wrapperI22is_equal_div_10_uniqueIiEEEPmJSF_EEE10hipError_tPvRmT3_T4_T5_T6_T7_T9_mT8_P12ihipStream_tbDpT10_ENKUlT_T0_E_clISt17integral_constantIbLb1EES17_IbLb0EEEEDaS13_S14_EUlS13_E_NS1_11comp_targetILNS1_3genE0ELNS1_11target_archE4294967295ELNS1_3gpuE0ELNS1_3repE0EEENS1_30default_config_static_selectorELNS0_4arch9wavefront6targetE0EEEvT1_,comdat
.Lfunc_end452:
	.size	_ZN7rocprim17ROCPRIM_400000_NS6detail17trampoline_kernelINS0_14default_configENS1_25partition_config_selectorILNS1_17partition_subalgoE9EiibEEZZNS1_14partition_implILS5_9ELb0ES3_jN6thrust23THRUST_200600_302600_NS6detail15normal_iteratorINS9_10device_ptrIiEEEESE_PNS0_10empty_typeENS0_5tupleIJSE_SF_EEENSH_IJSE_SG_EEENS0_18inequality_wrapperI22is_equal_div_10_uniqueIiEEEPmJSF_EEE10hipError_tPvRmT3_T4_T5_T6_T7_T9_mT8_P12ihipStream_tbDpT10_ENKUlT_T0_E_clISt17integral_constantIbLb1EES17_IbLb0EEEEDaS13_S14_EUlS13_E_NS1_11comp_targetILNS1_3genE0ELNS1_11target_archE4294967295ELNS1_3gpuE0ELNS1_3repE0EEENS1_30default_config_static_selectorELNS0_4arch9wavefront6targetE0EEEvT1_, .Lfunc_end452-_ZN7rocprim17ROCPRIM_400000_NS6detail17trampoline_kernelINS0_14default_configENS1_25partition_config_selectorILNS1_17partition_subalgoE9EiibEEZZNS1_14partition_implILS5_9ELb0ES3_jN6thrust23THRUST_200600_302600_NS6detail15normal_iteratorINS9_10device_ptrIiEEEESE_PNS0_10empty_typeENS0_5tupleIJSE_SF_EEENSH_IJSE_SG_EEENS0_18inequality_wrapperI22is_equal_div_10_uniqueIiEEEPmJSF_EEE10hipError_tPvRmT3_T4_T5_T6_T7_T9_mT8_P12ihipStream_tbDpT10_ENKUlT_T0_E_clISt17integral_constantIbLb1EES17_IbLb0EEEEDaS13_S14_EUlS13_E_NS1_11comp_targetILNS1_3genE0ELNS1_11target_archE4294967295ELNS1_3gpuE0ELNS1_3repE0EEENS1_30default_config_static_selectorELNS0_4arch9wavefront6targetE0EEEvT1_
                                        ; -- End function
	.section	.AMDGPU.csdata,"",@progbits
; Kernel info:
; codeLenInByte = 0
; NumSgprs: 0
; NumVgprs: 0
; ScratchSize: 0
; MemoryBound: 0
; FloatMode: 240
; IeeeMode: 1
; LDSByteSize: 0 bytes/workgroup (compile time only)
; SGPRBlocks: 0
; VGPRBlocks: 0
; NumSGPRsForWavesPerEU: 1
; NumVGPRsForWavesPerEU: 1
; Occupancy: 16
; WaveLimiterHint : 0
; COMPUTE_PGM_RSRC2:SCRATCH_EN: 0
; COMPUTE_PGM_RSRC2:USER_SGPR: 15
; COMPUTE_PGM_RSRC2:TRAP_HANDLER: 0
; COMPUTE_PGM_RSRC2:TGID_X_EN: 1
; COMPUTE_PGM_RSRC2:TGID_Y_EN: 0
; COMPUTE_PGM_RSRC2:TGID_Z_EN: 0
; COMPUTE_PGM_RSRC2:TIDIG_COMP_CNT: 0
	.section	.text._ZN7rocprim17ROCPRIM_400000_NS6detail17trampoline_kernelINS0_14default_configENS1_25partition_config_selectorILNS1_17partition_subalgoE9EiibEEZZNS1_14partition_implILS5_9ELb0ES3_jN6thrust23THRUST_200600_302600_NS6detail15normal_iteratorINS9_10device_ptrIiEEEESE_PNS0_10empty_typeENS0_5tupleIJSE_SF_EEENSH_IJSE_SG_EEENS0_18inequality_wrapperI22is_equal_div_10_uniqueIiEEEPmJSF_EEE10hipError_tPvRmT3_T4_T5_T6_T7_T9_mT8_P12ihipStream_tbDpT10_ENKUlT_T0_E_clISt17integral_constantIbLb1EES17_IbLb0EEEEDaS13_S14_EUlS13_E_NS1_11comp_targetILNS1_3genE5ELNS1_11target_archE942ELNS1_3gpuE9ELNS1_3repE0EEENS1_30default_config_static_selectorELNS0_4arch9wavefront6targetE0EEEvT1_,"axG",@progbits,_ZN7rocprim17ROCPRIM_400000_NS6detail17trampoline_kernelINS0_14default_configENS1_25partition_config_selectorILNS1_17partition_subalgoE9EiibEEZZNS1_14partition_implILS5_9ELb0ES3_jN6thrust23THRUST_200600_302600_NS6detail15normal_iteratorINS9_10device_ptrIiEEEESE_PNS0_10empty_typeENS0_5tupleIJSE_SF_EEENSH_IJSE_SG_EEENS0_18inequality_wrapperI22is_equal_div_10_uniqueIiEEEPmJSF_EEE10hipError_tPvRmT3_T4_T5_T6_T7_T9_mT8_P12ihipStream_tbDpT10_ENKUlT_T0_E_clISt17integral_constantIbLb1EES17_IbLb0EEEEDaS13_S14_EUlS13_E_NS1_11comp_targetILNS1_3genE5ELNS1_11target_archE942ELNS1_3gpuE9ELNS1_3repE0EEENS1_30default_config_static_selectorELNS0_4arch9wavefront6targetE0EEEvT1_,comdat
	.protected	_ZN7rocprim17ROCPRIM_400000_NS6detail17trampoline_kernelINS0_14default_configENS1_25partition_config_selectorILNS1_17partition_subalgoE9EiibEEZZNS1_14partition_implILS5_9ELb0ES3_jN6thrust23THRUST_200600_302600_NS6detail15normal_iteratorINS9_10device_ptrIiEEEESE_PNS0_10empty_typeENS0_5tupleIJSE_SF_EEENSH_IJSE_SG_EEENS0_18inequality_wrapperI22is_equal_div_10_uniqueIiEEEPmJSF_EEE10hipError_tPvRmT3_T4_T5_T6_T7_T9_mT8_P12ihipStream_tbDpT10_ENKUlT_T0_E_clISt17integral_constantIbLb1EES17_IbLb0EEEEDaS13_S14_EUlS13_E_NS1_11comp_targetILNS1_3genE5ELNS1_11target_archE942ELNS1_3gpuE9ELNS1_3repE0EEENS1_30default_config_static_selectorELNS0_4arch9wavefront6targetE0EEEvT1_ ; -- Begin function _ZN7rocprim17ROCPRIM_400000_NS6detail17trampoline_kernelINS0_14default_configENS1_25partition_config_selectorILNS1_17partition_subalgoE9EiibEEZZNS1_14partition_implILS5_9ELb0ES3_jN6thrust23THRUST_200600_302600_NS6detail15normal_iteratorINS9_10device_ptrIiEEEESE_PNS0_10empty_typeENS0_5tupleIJSE_SF_EEENSH_IJSE_SG_EEENS0_18inequality_wrapperI22is_equal_div_10_uniqueIiEEEPmJSF_EEE10hipError_tPvRmT3_T4_T5_T6_T7_T9_mT8_P12ihipStream_tbDpT10_ENKUlT_T0_E_clISt17integral_constantIbLb1EES17_IbLb0EEEEDaS13_S14_EUlS13_E_NS1_11comp_targetILNS1_3genE5ELNS1_11target_archE942ELNS1_3gpuE9ELNS1_3repE0EEENS1_30default_config_static_selectorELNS0_4arch9wavefront6targetE0EEEvT1_
	.globl	_ZN7rocprim17ROCPRIM_400000_NS6detail17trampoline_kernelINS0_14default_configENS1_25partition_config_selectorILNS1_17partition_subalgoE9EiibEEZZNS1_14partition_implILS5_9ELb0ES3_jN6thrust23THRUST_200600_302600_NS6detail15normal_iteratorINS9_10device_ptrIiEEEESE_PNS0_10empty_typeENS0_5tupleIJSE_SF_EEENSH_IJSE_SG_EEENS0_18inequality_wrapperI22is_equal_div_10_uniqueIiEEEPmJSF_EEE10hipError_tPvRmT3_T4_T5_T6_T7_T9_mT8_P12ihipStream_tbDpT10_ENKUlT_T0_E_clISt17integral_constantIbLb1EES17_IbLb0EEEEDaS13_S14_EUlS13_E_NS1_11comp_targetILNS1_3genE5ELNS1_11target_archE942ELNS1_3gpuE9ELNS1_3repE0EEENS1_30default_config_static_selectorELNS0_4arch9wavefront6targetE0EEEvT1_
	.p2align	8
	.type	_ZN7rocprim17ROCPRIM_400000_NS6detail17trampoline_kernelINS0_14default_configENS1_25partition_config_selectorILNS1_17partition_subalgoE9EiibEEZZNS1_14partition_implILS5_9ELb0ES3_jN6thrust23THRUST_200600_302600_NS6detail15normal_iteratorINS9_10device_ptrIiEEEESE_PNS0_10empty_typeENS0_5tupleIJSE_SF_EEENSH_IJSE_SG_EEENS0_18inequality_wrapperI22is_equal_div_10_uniqueIiEEEPmJSF_EEE10hipError_tPvRmT3_T4_T5_T6_T7_T9_mT8_P12ihipStream_tbDpT10_ENKUlT_T0_E_clISt17integral_constantIbLb1EES17_IbLb0EEEEDaS13_S14_EUlS13_E_NS1_11comp_targetILNS1_3genE5ELNS1_11target_archE942ELNS1_3gpuE9ELNS1_3repE0EEENS1_30default_config_static_selectorELNS0_4arch9wavefront6targetE0EEEvT1_,@function
_ZN7rocprim17ROCPRIM_400000_NS6detail17trampoline_kernelINS0_14default_configENS1_25partition_config_selectorILNS1_17partition_subalgoE9EiibEEZZNS1_14partition_implILS5_9ELb0ES3_jN6thrust23THRUST_200600_302600_NS6detail15normal_iteratorINS9_10device_ptrIiEEEESE_PNS0_10empty_typeENS0_5tupleIJSE_SF_EEENSH_IJSE_SG_EEENS0_18inequality_wrapperI22is_equal_div_10_uniqueIiEEEPmJSF_EEE10hipError_tPvRmT3_T4_T5_T6_T7_T9_mT8_P12ihipStream_tbDpT10_ENKUlT_T0_E_clISt17integral_constantIbLb1EES17_IbLb0EEEEDaS13_S14_EUlS13_E_NS1_11comp_targetILNS1_3genE5ELNS1_11target_archE942ELNS1_3gpuE9ELNS1_3repE0EEENS1_30default_config_static_selectorELNS0_4arch9wavefront6targetE0EEEvT1_: ; @_ZN7rocprim17ROCPRIM_400000_NS6detail17trampoline_kernelINS0_14default_configENS1_25partition_config_selectorILNS1_17partition_subalgoE9EiibEEZZNS1_14partition_implILS5_9ELb0ES3_jN6thrust23THRUST_200600_302600_NS6detail15normal_iteratorINS9_10device_ptrIiEEEESE_PNS0_10empty_typeENS0_5tupleIJSE_SF_EEENSH_IJSE_SG_EEENS0_18inequality_wrapperI22is_equal_div_10_uniqueIiEEEPmJSF_EEE10hipError_tPvRmT3_T4_T5_T6_T7_T9_mT8_P12ihipStream_tbDpT10_ENKUlT_T0_E_clISt17integral_constantIbLb1EES17_IbLb0EEEEDaS13_S14_EUlS13_E_NS1_11comp_targetILNS1_3genE5ELNS1_11target_archE942ELNS1_3gpuE9ELNS1_3repE0EEENS1_30default_config_static_selectorELNS0_4arch9wavefront6targetE0EEEvT1_
; %bb.0:
	.section	.rodata,"a",@progbits
	.p2align	6, 0x0
	.amdhsa_kernel _ZN7rocprim17ROCPRIM_400000_NS6detail17trampoline_kernelINS0_14default_configENS1_25partition_config_selectorILNS1_17partition_subalgoE9EiibEEZZNS1_14partition_implILS5_9ELb0ES3_jN6thrust23THRUST_200600_302600_NS6detail15normal_iteratorINS9_10device_ptrIiEEEESE_PNS0_10empty_typeENS0_5tupleIJSE_SF_EEENSH_IJSE_SG_EEENS0_18inequality_wrapperI22is_equal_div_10_uniqueIiEEEPmJSF_EEE10hipError_tPvRmT3_T4_T5_T6_T7_T9_mT8_P12ihipStream_tbDpT10_ENKUlT_T0_E_clISt17integral_constantIbLb1EES17_IbLb0EEEEDaS13_S14_EUlS13_E_NS1_11comp_targetILNS1_3genE5ELNS1_11target_archE942ELNS1_3gpuE9ELNS1_3repE0EEENS1_30default_config_static_selectorELNS0_4arch9wavefront6targetE0EEEvT1_
		.amdhsa_group_segment_fixed_size 0
		.amdhsa_private_segment_fixed_size 0
		.amdhsa_kernarg_size 112
		.amdhsa_user_sgpr_count 15
		.amdhsa_user_sgpr_dispatch_ptr 0
		.amdhsa_user_sgpr_queue_ptr 0
		.amdhsa_user_sgpr_kernarg_segment_ptr 1
		.amdhsa_user_sgpr_dispatch_id 0
		.amdhsa_user_sgpr_private_segment_size 0
		.amdhsa_wavefront_size32 1
		.amdhsa_uses_dynamic_stack 0
		.amdhsa_enable_private_segment 0
		.amdhsa_system_sgpr_workgroup_id_x 1
		.amdhsa_system_sgpr_workgroup_id_y 0
		.amdhsa_system_sgpr_workgroup_id_z 0
		.amdhsa_system_sgpr_workgroup_info 0
		.amdhsa_system_vgpr_workitem_id 0
		.amdhsa_next_free_vgpr 1
		.amdhsa_next_free_sgpr 1
		.amdhsa_reserve_vcc 0
		.amdhsa_float_round_mode_32 0
		.amdhsa_float_round_mode_16_64 0
		.amdhsa_float_denorm_mode_32 3
		.amdhsa_float_denorm_mode_16_64 3
		.amdhsa_dx10_clamp 1
		.amdhsa_ieee_mode 1
		.amdhsa_fp16_overflow 0
		.amdhsa_workgroup_processor_mode 1
		.amdhsa_memory_ordered 1
		.amdhsa_forward_progress 0
		.amdhsa_shared_vgpr_count 0
		.amdhsa_exception_fp_ieee_invalid_op 0
		.amdhsa_exception_fp_denorm_src 0
		.amdhsa_exception_fp_ieee_div_zero 0
		.amdhsa_exception_fp_ieee_overflow 0
		.amdhsa_exception_fp_ieee_underflow 0
		.amdhsa_exception_fp_ieee_inexact 0
		.amdhsa_exception_int_div_zero 0
	.end_amdhsa_kernel
	.section	.text._ZN7rocprim17ROCPRIM_400000_NS6detail17trampoline_kernelINS0_14default_configENS1_25partition_config_selectorILNS1_17partition_subalgoE9EiibEEZZNS1_14partition_implILS5_9ELb0ES3_jN6thrust23THRUST_200600_302600_NS6detail15normal_iteratorINS9_10device_ptrIiEEEESE_PNS0_10empty_typeENS0_5tupleIJSE_SF_EEENSH_IJSE_SG_EEENS0_18inequality_wrapperI22is_equal_div_10_uniqueIiEEEPmJSF_EEE10hipError_tPvRmT3_T4_T5_T6_T7_T9_mT8_P12ihipStream_tbDpT10_ENKUlT_T0_E_clISt17integral_constantIbLb1EES17_IbLb0EEEEDaS13_S14_EUlS13_E_NS1_11comp_targetILNS1_3genE5ELNS1_11target_archE942ELNS1_3gpuE9ELNS1_3repE0EEENS1_30default_config_static_selectorELNS0_4arch9wavefront6targetE0EEEvT1_,"axG",@progbits,_ZN7rocprim17ROCPRIM_400000_NS6detail17trampoline_kernelINS0_14default_configENS1_25partition_config_selectorILNS1_17partition_subalgoE9EiibEEZZNS1_14partition_implILS5_9ELb0ES3_jN6thrust23THRUST_200600_302600_NS6detail15normal_iteratorINS9_10device_ptrIiEEEESE_PNS0_10empty_typeENS0_5tupleIJSE_SF_EEENSH_IJSE_SG_EEENS0_18inequality_wrapperI22is_equal_div_10_uniqueIiEEEPmJSF_EEE10hipError_tPvRmT3_T4_T5_T6_T7_T9_mT8_P12ihipStream_tbDpT10_ENKUlT_T0_E_clISt17integral_constantIbLb1EES17_IbLb0EEEEDaS13_S14_EUlS13_E_NS1_11comp_targetILNS1_3genE5ELNS1_11target_archE942ELNS1_3gpuE9ELNS1_3repE0EEENS1_30default_config_static_selectorELNS0_4arch9wavefront6targetE0EEEvT1_,comdat
.Lfunc_end453:
	.size	_ZN7rocprim17ROCPRIM_400000_NS6detail17trampoline_kernelINS0_14default_configENS1_25partition_config_selectorILNS1_17partition_subalgoE9EiibEEZZNS1_14partition_implILS5_9ELb0ES3_jN6thrust23THRUST_200600_302600_NS6detail15normal_iteratorINS9_10device_ptrIiEEEESE_PNS0_10empty_typeENS0_5tupleIJSE_SF_EEENSH_IJSE_SG_EEENS0_18inequality_wrapperI22is_equal_div_10_uniqueIiEEEPmJSF_EEE10hipError_tPvRmT3_T4_T5_T6_T7_T9_mT8_P12ihipStream_tbDpT10_ENKUlT_T0_E_clISt17integral_constantIbLb1EES17_IbLb0EEEEDaS13_S14_EUlS13_E_NS1_11comp_targetILNS1_3genE5ELNS1_11target_archE942ELNS1_3gpuE9ELNS1_3repE0EEENS1_30default_config_static_selectorELNS0_4arch9wavefront6targetE0EEEvT1_, .Lfunc_end453-_ZN7rocprim17ROCPRIM_400000_NS6detail17trampoline_kernelINS0_14default_configENS1_25partition_config_selectorILNS1_17partition_subalgoE9EiibEEZZNS1_14partition_implILS5_9ELb0ES3_jN6thrust23THRUST_200600_302600_NS6detail15normal_iteratorINS9_10device_ptrIiEEEESE_PNS0_10empty_typeENS0_5tupleIJSE_SF_EEENSH_IJSE_SG_EEENS0_18inequality_wrapperI22is_equal_div_10_uniqueIiEEEPmJSF_EEE10hipError_tPvRmT3_T4_T5_T6_T7_T9_mT8_P12ihipStream_tbDpT10_ENKUlT_T0_E_clISt17integral_constantIbLb1EES17_IbLb0EEEEDaS13_S14_EUlS13_E_NS1_11comp_targetILNS1_3genE5ELNS1_11target_archE942ELNS1_3gpuE9ELNS1_3repE0EEENS1_30default_config_static_selectorELNS0_4arch9wavefront6targetE0EEEvT1_
                                        ; -- End function
	.section	.AMDGPU.csdata,"",@progbits
; Kernel info:
; codeLenInByte = 0
; NumSgprs: 0
; NumVgprs: 0
; ScratchSize: 0
; MemoryBound: 0
; FloatMode: 240
; IeeeMode: 1
; LDSByteSize: 0 bytes/workgroup (compile time only)
; SGPRBlocks: 0
; VGPRBlocks: 0
; NumSGPRsForWavesPerEU: 1
; NumVGPRsForWavesPerEU: 1
; Occupancy: 16
; WaveLimiterHint : 0
; COMPUTE_PGM_RSRC2:SCRATCH_EN: 0
; COMPUTE_PGM_RSRC2:USER_SGPR: 15
; COMPUTE_PGM_RSRC2:TRAP_HANDLER: 0
; COMPUTE_PGM_RSRC2:TGID_X_EN: 1
; COMPUTE_PGM_RSRC2:TGID_Y_EN: 0
; COMPUTE_PGM_RSRC2:TGID_Z_EN: 0
; COMPUTE_PGM_RSRC2:TIDIG_COMP_CNT: 0
	.section	.text._ZN7rocprim17ROCPRIM_400000_NS6detail17trampoline_kernelINS0_14default_configENS1_25partition_config_selectorILNS1_17partition_subalgoE9EiibEEZZNS1_14partition_implILS5_9ELb0ES3_jN6thrust23THRUST_200600_302600_NS6detail15normal_iteratorINS9_10device_ptrIiEEEESE_PNS0_10empty_typeENS0_5tupleIJSE_SF_EEENSH_IJSE_SG_EEENS0_18inequality_wrapperI22is_equal_div_10_uniqueIiEEEPmJSF_EEE10hipError_tPvRmT3_T4_T5_T6_T7_T9_mT8_P12ihipStream_tbDpT10_ENKUlT_T0_E_clISt17integral_constantIbLb1EES17_IbLb0EEEEDaS13_S14_EUlS13_E_NS1_11comp_targetILNS1_3genE4ELNS1_11target_archE910ELNS1_3gpuE8ELNS1_3repE0EEENS1_30default_config_static_selectorELNS0_4arch9wavefront6targetE0EEEvT1_,"axG",@progbits,_ZN7rocprim17ROCPRIM_400000_NS6detail17trampoline_kernelINS0_14default_configENS1_25partition_config_selectorILNS1_17partition_subalgoE9EiibEEZZNS1_14partition_implILS5_9ELb0ES3_jN6thrust23THRUST_200600_302600_NS6detail15normal_iteratorINS9_10device_ptrIiEEEESE_PNS0_10empty_typeENS0_5tupleIJSE_SF_EEENSH_IJSE_SG_EEENS0_18inequality_wrapperI22is_equal_div_10_uniqueIiEEEPmJSF_EEE10hipError_tPvRmT3_T4_T5_T6_T7_T9_mT8_P12ihipStream_tbDpT10_ENKUlT_T0_E_clISt17integral_constantIbLb1EES17_IbLb0EEEEDaS13_S14_EUlS13_E_NS1_11comp_targetILNS1_3genE4ELNS1_11target_archE910ELNS1_3gpuE8ELNS1_3repE0EEENS1_30default_config_static_selectorELNS0_4arch9wavefront6targetE0EEEvT1_,comdat
	.protected	_ZN7rocprim17ROCPRIM_400000_NS6detail17trampoline_kernelINS0_14default_configENS1_25partition_config_selectorILNS1_17partition_subalgoE9EiibEEZZNS1_14partition_implILS5_9ELb0ES3_jN6thrust23THRUST_200600_302600_NS6detail15normal_iteratorINS9_10device_ptrIiEEEESE_PNS0_10empty_typeENS0_5tupleIJSE_SF_EEENSH_IJSE_SG_EEENS0_18inequality_wrapperI22is_equal_div_10_uniqueIiEEEPmJSF_EEE10hipError_tPvRmT3_T4_T5_T6_T7_T9_mT8_P12ihipStream_tbDpT10_ENKUlT_T0_E_clISt17integral_constantIbLb1EES17_IbLb0EEEEDaS13_S14_EUlS13_E_NS1_11comp_targetILNS1_3genE4ELNS1_11target_archE910ELNS1_3gpuE8ELNS1_3repE0EEENS1_30default_config_static_selectorELNS0_4arch9wavefront6targetE0EEEvT1_ ; -- Begin function _ZN7rocprim17ROCPRIM_400000_NS6detail17trampoline_kernelINS0_14default_configENS1_25partition_config_selectorILNS1_17partition_subalgoE9EiibEEZZNS1_14partition_implILS5_9ELb0ES3_jN6thrust23THRUST_200600_302600_NS6detail15normal_iteratorINS9_10device_ptrIiEEEESE_PNS0_10empty_typeENS0_5tupleIJSE_SF_EEENSH_IJSE_SG_EEENS0_18inequality_wrapperI22is_equal_div_10_uniqueIiEEEPmJSF_EEE10hipError_tPvRmT3_T4_T5_T6_T7_T9_mT8_P12ihipStream_tbDpT10_ENKUlT_T0_E_clISt17integral_constantIbLb1EES17_IbLb0EEEEDaS13_S14_EUlS13_E_NS1_11comp_targetILNS1_3genE4ELNS1_11target_archE910ELNS1_3gpuE8ELNS1_3repE0EEENS1_30default_config_static_selectorELNS0_4arch9wavefront6targetE0EEEvT1_
	.globl	_ZN7rocprim17ROCPRIM_400000_NS6detail17trampoline_kernelINS0_14default_configENS1_25partition_config_selectorILNS1_17partition_subalgoE9EiibEEZZNS1_14partition_implILS5_9ELb0ES3_jN6thrust23THRUST_200600_302600_NS6detail15normal_iteratorINS9_10device_ptrIiEEEESE_PNS0_10empty_typeENS0_5tupleIJSE_SF_EEENSH_IJSE_SG_EEENS0_18inequality_wrapperI22is_equal_div_10_uniqueIiEEEPmJSF_EEE10hipError_tPvRmT3_T4_T5_T6_T7_T9_mT8_P12ihipStream_tbDpT10_ENKUlT_T0_E_clISt17integral_constantIbLb1EES17_IbLb0EEEEDaS13_S14_EUlS13_E_NS1_11comp_targetILNS1_3genE4ELNS1_11target_archE910ELNS1_3gpuE8ELNS1_3repE0EEENS1_30default_config_static_selectorELNS0_4arch9wavefront6targetE0EEEvT1_
	.p2align	8
	.type	_ZN7rocprim17ROCPRIM_400000_NS6detail17trampoline_kernelINS0_14default_configENS1_25partition_config_selectorILNS1_17partition_subalgoE9EiibEEZZNS1_14partition_implILS5_9ELb0ES3_jN6thrust23THRUST_200600_302600_NS6detail15normal_iteratorINS9_10device_ptrIiEEEESE_PNS0_10empty_typeENS0_5tupleIJSE_SF_EEENSH_IJSE_SG_EEENS0_18inequality_wrapperI22is_equal_div_10_uniqueIiEEEPmJSF_EEE10hipError_tPvRmT3_T4_T5_T6_T7_T9_mT8_P12ihipStream_tbDpT10_ENKUlT_T0_E_clISt17integral_constantIbLb1EES17_IbLb0EEEEDaS13_S14_EUlS13_E_NS1_11comp_targetILNS1_3genE4ELNS1_11target_archE910ELNS1_3gpuE8ELNS1_3repE0EEENS1_30default_config_static_selectorELNS0_4arch9wavefront6targetE0EEEvT1_,@function
_ZN7rocprim17ROCPRIM_400000_NS6detail17trampoline_kernelINS0_14default_configENS1_25partition_config_selectorILNS1_17partition_subalgoE9EiibEEZZNS1_14partition_implILS5_9ELb0ES3_jN6thrust23THRUST_200600_302600_NS6detail15normal_iteratorINS9_10device_ptrIiEEEESE_PNS0_10empty_typeENS0_5tupleIJSE_SF_EEENSH_IJSE_SG_EEENS0_18inequality_wrapperI22is_equal_div_10_uniqueIiEEEPmJSF_EEE10hipError_tPvRmT3_T4_T5_T6_T7_T9_mT8_P12ihipStream_tbDpT10_ENKUlT_T0_E_clISt17integral_constantIbLb1EES17_IbLb0EEEEDaS13_S14_EUlS13_E_NS1_11comp_targetILNS1_3genE4ELNS1_11target_archE910ELNS1_3gpuE8ELNS1_3repE0EEENS1_30default_config_static_selectorELNS0_4arch9wavefront6targetE0EEEvT1_: ; @_ZN7rocprim17ROCPRIM_400000_NS6detail17trampoline_kernelINS0_14default_configENS1_25partition_config_selectorILNS1_17partition_subalgoE9EiibEEZZNS1_14partition_implILS5_9ELb0ES3_jN6thrust23THRUST_200600_302600_NS6detail15normal_iteratorINS9_10device_ptrIiEEEESE_PNS0_10empty_typeENS0_5tupleIJSE_SF_EEENSH_IJSE_SG_EEENS0_18inequality_wrapperI22is_equal_div_10_uniqueIiEEEPmJSF_EEE10hipError_tPvRmT3_T4_T5_T6_T7_T9_mT8_P12ihipStream_tbDpT10_ENKUlT_T0_E_clISt17integral_constantIbLb1EES17_IbLb0EEEEDaS13_S14_EUlS13_E_NS1_11comp_targetILNS1_3genE4ELNS1_11target_archE910ELNS1_3gpuE8ELNS1_3repE0EEENS1_30default_config_static_selectorELNS0_4arch9wavefront6targetE0EEEvT1_
; %bb.0:
	.section	.rodata,"a",@progbits
	.p2align	6, 0x0
	.amdhsa_kernel _ZN7rocprim17ROCPRIM_400000_NS6detail17trampoline_kernelINS0_14default_configENS1_25partition_config_selectorILNS1_17partition_subalgoE9EiibEEZZNS1_14partition_implILS5_9ELb0ES3_jN6thrust23THRUST_200600_302600_NS6detail15normal_iteratorINS9_10device_ptrIiEEEESE_PNS0_10empty_typeENS0_5tupleIJSE_SF_EEENSH_IJSE_SG_EEENS0_18inequality_wrapperI22is_equal_div_10_uniqueIiEEEPmJSF_EEE10hipError_tPvRmT3_T4_T5_T6_T7_T9_mT8_P12ihipStream_tbDpT10_ENKUlT_T0_E_clISt17integral_constantIbLb1EES17_IbLb0EEEEDaS13_S14_EUlS13_E_NS1_11comp_targetILNS1_3genE4ELNS1_11target_archE910ELNS1_3gpuE8ELNS1_3repE0EEENS1_30default_config_static_selectorELNS0_4arch9wavefront6targetE0EEEvT1_
		.amdhsa_group_segment_fixed_size 0
		.amdhsa_private_segment_fixed_size 0
		.amdhsa_kernarg_size 112
		.amdhsa_user_sgpr_count 15
		.amdhsa_user_sgpr_dispatch_ptr 0
		.amdhsa_user_sgpr_queue_ptr 0
		.amdhsa_user_sgpr_kernarg_segment_ptr 1
		.amdhsa_user_sgpr_dispatch_id 0
		.amdhsa_user_sgpr_private_segment_size 0
		.amdhsa_wavefront_size32 1
		.amdhsa_uses_dynamic_stack 0
		.amdhsa_enable_private_segment 0
		.amdhsa_system_sgpr_workgroup_id_x 1
		.amdhsa_system_sgpr_workgroup_id_y 0
		.amdhsa_system_sgpr_workgroup_id_z 0
		.amdhsa_system_sgpr_workgroup_info 0
		.amdhsa_system_vgpr_workitem_id 0
		.amdhsa_next_free_vgpr 1
		.amdhsa_next_free_sgpr 1
		.amdhsa_reserve_vcc 0
		.amdhsa_float_round_mode_32 0
		.amdhsa_float_round_mode_16_64 0
		.amdhsa_float_denorm_mode_32 3
		.amdhsa_float_denorm_mode_16_64 3
		.amdhsa_dx10_clamp 1
		.amdhsa_ieee_mode 1
		.amdhsa_fp16_overflow 0
		.amdhsa_workgroup_processor_mode 1
		.amdhsa_memory_ordered 1
		.amdhsa_forward_progress 0
		.amdhsa_shared_vgpr_count 0
		.amdhsa_exception_fp_ieee_invalid_op 0
		.amdhsa_exception_fp_denorm_src 0
		.amdhsa_exception_fp_ieee_div_zero 0
		.amdhsa_exception_fp_ieee_overflow 0
		.amdhsa_exception_fp_ieee_underflow 0
		.amdhsa_exception_fp_ieee_inexact 0
		.amdhsa_exception_int_div_zero 0
	.end_amdhsa_kernel
	.section	.text._ZN7rocprim17ROCPRIM_400000_NS6detail17trampoline_kernelINS0_14default_configENS1_25partition_config_selectorILNS1_17partition_subalgoE9EiibEEZZNS1_14partition_implILS5_9ELb0ES3_jN6thrust23THRUST_200600_302600_NS6detail15normal_iteratorINS9_10device_ptrIiEEEESE_PNS0_10empty_typeENS0_5tupleIJSE_SF_EEENSH_IJSE_SG_EEENS0_18inequality_wrapperI22is_equal_div_10_uniqueIiEEEPmJSF_EEE10hipError_tPvRmT3_T4_T5_T6_T7_T9_mT8_P12ihipStream_tbDpT10_ENKUlT_T0_E_clISt17integral_constantIbLb1EES17_IbLb0EEEEDaS13_S14_EUlS13_E_NS1_11comp_targetILNS1_3genE4ELNS1_11target_archE910ELNS1_3gpuE8ELNS1_3repE0EEENS1_30default_config_static_selectorELNS0_4arch9wavefront6targetE0EEEvT1_,"axG",@progbits,_ZN7rocprim17ROCPRIM_400000_NS6detail17trampoline_kernelINS0_14default_configENS1_25partition_config_selectorILNS1_17partition_subalgoE9EiibEEZZNS1_14partition_implILS5_9ELb0ES3_jN6thrust23THRUST_200600_302600_NS6detail15normal_iteratorINS9_10device_ptrIiEEEESE_PNS0_10empty_typeENS0_5tupleIJSE_SF_EEENSH_IJSE_SG_EEENS0_18inequality_wrapperI22is_equal_div_10_uniqueIiEEEPmJSF_EEE10hipError_tPvRmT3_T4_T5_T6_T7_T9_mT8_P12ihipStream_tbDpT10_ENKUlT_T0_E_clISt17integral_constantIbLb1EES17_IbLb0EEEEDaS13_S14_EUlS13_E_NS1_11comp_targetILNS1_3genE4ELNS1_11target_archE910ELNS1_3gpuE8ELNS1_3repE0EEENS1_30default_config_static_selectorELNS0_4arch9wavefront6targetE0EEEvT1_,comdat
.Lfunc_end454:
	.size	_ZN7rocprim17ROCPRIM_400000_NS6detail17trampoline_kernelINS0_14default_configENS1_25partition_config_selectorILNS1_17partition_subalgoE9EiibEEZZNS1_14partition_implILS5_9ELb0ES3_jN6thrust23THRUST_200600_302600_NS6detail15normal_iteratorINS9_10device_ptrIiEEEESE_PNS0_10empty_typeENS0_5tupleIJSE_SF_EEENSH_IJSE_SG_EEENS0_18inequality_wrapperI22is_equal_div_10_uniqueIiEEEPmJSF_EEE10hipError_tPvRmT3_T4_T5_T6_T7_T9_mT8_P12ihipStream_tbDpT10_ENKUlT_T0_E_clISt17integral_constantIbLb1EES17_IbLb0EEEEDaS13_S14_EUlS13_E_NS1_11comp_targetILNS1_3genE4ELNS1_11target_archE910ELNS1_3gpuE8ELNS1_3repE0EEENS1_30default_config_static_selectorELNS0_4arch9wavefront6targetE0EEEvT1_, .Lfunc_end454-_ZN7rocprim17ROCPRIM_400000_NS6detail17trampoline_kernelINS0_14default_configENS1_25partition_config_selectorILNS1_17partition_subalgoE9EiibEEZZNS1_14partition_implILS5_9ELb0ES3_jN6thrust23THRUST_200600_302600_NS6detail15normal_iteratorINS9_10device_ptrIiEEEESE_PNS0_10empty_typeENS0_5tupleIJSE_SF_EEENSH_IJSE_SG_EEENS0_18inequality_wrapperI22is_equal_div_10_uniqueIiEEEPmJSF_EEE10hipError_tPvRmT3_T4_T5_T6_T7_T9_mT8_P12ihipStream_tbDpT10_ENKUlT_T0_E_clISt17integral_constantIbLb1EES17_IbLb0EEEEDaS13_S14_EUlS13_E_NS1_11comp_targetILNS1_3genE4ELNS1_11target_archE910ELNS1_3gpuE8ELNS1_3repE0EEENS1_30default_config_static_selectorELNS0_4arch9wavefront6targetE0EEEvT1_
                                        ; -- End function
	.section	.AMDGPU.csdata,"",@progbits
; Kernel info:
; codeLenInByte = 0
; NumSgprs: 0
; NumVgprs: 0
; ScratchSize: 0
; MemoryBound: 0
; FloatMode: 240
; IeeeMode: 1
; LDSByteSize: 0 bytes/workgroup (compile time only)
; SGPRBlocks: 0
; VGPRBlocks: 0
; NumSGPRsForWavesPerEU: 1
; NumVGPRsForWavesPerEU: 1
; Occupancy: 15
; WaveLimiterHint : 0
; COMPUTE_PGM_RSRC2:SCRATCH_EN: 0
; COMPUTE_PGM_RSRC2:USER_SGPR: 15
; COMPUTE_PGM_RSRC2:TRAP_HANDLER: 0
; COMPUTE_PGM_RSRC2:TGID_X_EN: 1
; COMPUTE_PGM_RSRC2:TGID_Y_EN: 0
; COMPUTE_PGM_RSRC2:TGID_Z_EN: 0
; COMPUTE_PGM_RSRC2:TIDIG_COMP_CNT: 0
	.section	.text._ZN7rocprim17ROCPRIM_400000_NS6detail17trampoline_kernelINS0_14default_configENS1_25partition_config_selectorILNS1_17partition_subalgoE9EiibEEZZNS1_14partition_implILS5_9ELb0ES3_jN6thrust23THRUST_200600_302600_NS6detail15normal_iteratorINS9_10device_ptrIiEEEESE_PNS0_10empty_typeENS0_5tupleIJSE_SF_EEENSH_IJSE_SG_EEENS0_18inequality_wrapperI22is_equal_div_10_uniqueIiEEEPmJSF_EEE10hipError_tPvRmT3_T4_T5_T6_T7_T9_mT8_P12ihipStream_tbDpT10_ENKUlT_T0_E_clISt17integral_constantIbLb1EES17_IbLb0EEEEDaS13_S14_EUlS13_E_NS1_11comp_targetILNS1_3genE3ELNS1_11target_archE908ELNS1_3gpuE7ELNS1_3repE0EEENS1_30default_config_static_selectorELNS0_4arch9wavefront6targetE0EEEvT1_,"axG",@progbits,_ZN7rocprim17ROCPRIM_400000_NS6detail17trampoline_kernelINS0_14default_configENS1_25partition_config_selectorILNS1_17partition_subalgoE9EiibEEZZNS1_14partition_implILS5_9ELb0ES3_jN6thrust23THRUST_200600_302600_NS6detail15normal_iteratorINS9_10device_ptrIiEEEESE_PNS0_10empty_typeENS0_5tupleIJSE_SF_EEENSH_IJSE_SG_EEENS0_18inequality_wrapperI22is_equal_div_10_uniqueIiEEEPmJSF_EEE10hipError_tPvRmT3_T4_T5_T6_T7_T9_mT8_P12ihipStream_tbDpT10_ENKUlT_T0_E_clISt17integral_constantIbLb1EES17_IbLb0EEEEDaS13_S14_EUlS13_E_NS1_11comp_targetILNS1_3genE3ELNS1_11target_archE908ELNS1_3gpuE7ELNS1_3repE0EEENS1_30default_config_static_selectorELNS0_4arch9wavefront6targetE0EEEvT1_,comdat
	.protected	_ZN7rocprim17ROCPRIM_400000_NS6detail17trampoline_kernelINS0_14default_configENS1_25partition_config_selectorILNS1_17partition_subalgoE9EiibEEZZNS1_14partition_implILS5_9ELb0ES3_jN6thrust23THRUST_200600_302600_NS6detail15normal_iteratorINS9_10device_ptrIiEEEESE_PNS0_10empty_typeENS0_5tupleIJSE_SF_EEENSH_IJSE_SG_EEENS0_18inequality_wrapperI22is_equal_div_10_uniqueIiEEEPmJSF_EEE10hipError_tPvRmT3_T4_T5_T6_T7_T9_mT8_P12ihipStream_tbDpT10_ENKUlT_T0_E_clISt17integral_constantIbLb1EES17_IbLb0EEEEDaS13_S14_EUlS13_E_NS1_11comp_targetILNS1_3genE3ELNS1_11target_archE908ELNS1_3gpuE7ELNS1_3repE0EEENS1_30default_config_static_selectorELNS0_4arch9wavefront6targetE0EEEvT1_ ; -- Begin function _ZN7rocprim17ROCPRIM_400000_NS6detail17trampoline_kernelINS0_14default_configENS1_25partition_config_selectorILNS1_17partition_subalgoE9EiibEEZZNS1_14partition_implILS5_9ELb0ES3_jN6thrust23THRUST_200600_302600_NS6detail15normal_iteratorINS9_10device_ptrIiEEEESE_PNS0_10empty_typeENS0_5tupleIJSE_SF_EEENSH_IJSE_SG_EEENS0_18inequality_wrapperI22is_equal_div_10_uniqueIiEEEPmJSF_EEE10hipError_tPvRmT3_T4_T5_T6_T7_T9_mT8_P12ihipStream_tbDpT10_ENKUlT_T0_E_clISt17integral_constantIbLb1EES17_IbLb0EEEEDaS13_S14_EUlS13_E_NS1_11comp_targetILNS1_3genE3ELNS1_11target_archE908ELNS1_3gpuE7ELNS1_3repE0EEENS1_30default_config_static_selectorELNS0_4arch9wavefront6targetE0EEEvT1_
	.globl	_ZN7rocprim17ROCPRIM_400000_NS6detail17trampoline_kernelINS0_14default_configENS1_25partition_config_selectorILNS1_17partition_subalgoE9EiibEEZZNS1_14partition_implILS5_9ELb0ES3_jN6thrust23THRUST_200600_302600_NS6detail15normal_iteratorINS9_10device_ptrIiEEEESE_PNS0_10empty_typeENS0_5tupleIJSE_SF_EEENSH_IJSE_SG_EEENS0_18inequality_wrapperI22is_equal_div_10_uniqueIiEEEPmJSF_EEE10hipError_tPvRmT3_T4_T5_T6_T7_T9_mT8_P12ihipStream_tbDpT10_ENKUlT_T0_E_clISt17integral_constantIbLb1EES17_IbLb0EEEEDaS13_S14_EUlS13_E_NS1_11comp_targetILNS1_3genE3ELNS1_11target_archE908ELNS1_3gpuE7ELNS1_3repE0EEENS1_30default_config_static_selectorELNS0_4arch9wavefront6targetE0EEEvT1_
	.p2align	8
	.type	_ZN7rocprim17ROCPRIM_400000_NS6detail17trampoline_kernelINS0_14default_configENS1_25partition_config_selectorILNS1_17partition_subalgoE9EiibEEZZNS1_14partition_implILS5_9ELb0ES3_jN6thrust23THRUST_200600_302600_NS6detail15normal_iteratorINS9_10device_ptrIiEEEESE_PNS0_10empty_typeENS0_5tupleIJSE_SF_EEENSH_IJSE_SG_EEENS0_18inequality_wrapperI22is_equal_div_10_uniqueIiEEEPmJSF_EEE10hipError_tPvRmT3_T4_T5_T6_T7_T9_mT8_P12ihipStream_tbDpT10_ENKUlT_T0_E_clISt17integral_constantIbLb1EES17_IbLb0EEEEDaS13_S14_EUlS13_E_NS1_11comp_targetILNS1_3genE3ELNS1_11target_archE908ELNS1_3gpuE7ELNS1_3repE0EEENS1_30default_config_static_selectorELNS0_4arch9wavefront6targetE0EEEvT1_,@function
_ZN7rocprim17ROCPRIM_400000_NS6detail17trampoline_kernelINS0_14default_configENS1_25partition_config_selectorILNS1_17partition_subalgoE9EiibEEZZNS1_14partition_implILS5_9ELb0ES3_jN6thrust23THRUST_200600_302600_NS6detail15normal_iteratorINS9_10device_ptrIiEEEESE_PNS0_10empty_typeENS0_5tupleIJSE_SF_EEENSH_IJSE_SG_EEENS0_18inequality_wrapperI22is_equal_div_10_uniqueIiEEEPmJSF_EEE10hipError_tPvRmT3_T4_T5_T6_T7_T9_mT8_P12ihipStream_tbDpT10_ENKUlT_T0_E_clISt17integral_constantIbLb1EES17_IbLb0EEEEDaS13_S14_EUlS13_E_NS1_11comp_targetILNS1_3genE3ELNS1_11target_archE908ELNS1_3gpuE7ELNS1_3repE0EEENS1_30default_config_static_selectorELNS0_4arch9wavefront6targetE0EEEvT1_: ; @_ZN7rocprim17ROCPRIM_400000_NS6detail17trampoline_kernelINS0_14default_configENS1_25partition_config_selectorILNS1_17partition_subalgoE9EiibEEZZNS1_14partition_implILS5_9ELb0ES3_jN6thrust23THRUST_200600_302600_NS6detail15normal_iteratorINS9_10device_ptrIiEEEESE_PNS0_10empty_typeENS0_5tupleIJSE_SF_EEENSH_IJSE_SG_EEENS0_18inequality_wrapperI22is_equal_div_10_uniqueIiEEEPmJSF_EEE10hipError_tPvRmT3_T4_T5_T6_T7_T9_mT8_P12ihipStream_tbDpT10_ENKUlT_T0_E_clISt17integral_constantIbLb1EES17_IbLb0EEEEDaS13_S14_EUlS13_E_NS1_11comp_targetILNS1_3genE3ELNS1_11target_archE908ELNS1_3gpuE7ELNS1_3repE0EEENS1_30default_config_static_selectorELNS0_4arch9wavefront6targetE0EEEvT1_
; %bb.0:
	.section	.rodata,"a",@progbits
	.p2align	6, 0x0
	.amdhsa_kernel _ZN7rocprim17ROCPRIM_400000_NS6detail17trampoline_kernelINS0_14default_configENS1_25partition_config_selectorILNS1_17partition_subalgoE9EiibEEZZNS1_14partition_implILS5_9ELb0ES3_jN6thrust23THRUST_200600_302600_NS6detail15normal_iteratorINS9_10device_ptrIiEEEESE_PNS0_10empty_typeENS0_5tupleIJSE_SF_EEENSH_IJSE_SG_EEENS0_18inequality_wrapperI22is_equal_div_10_uniqueIiEEEPmJSF_EEE10hipError_tPvRmT3_T4_T5_T6_T7_T9_mT8_P12ihipStream_tbDpT10_ENKUlT_T0_E_clISt17integral_constantIbLb1EES17_IbLb0EEEEDaS13_S14_EUlS13_E_NS1_11comp_targetILNS1_3genE3ELNS1_11target_archE908ELNS1_3gpuE7ELNS1_3repE0EEENS1_30default_config_static_selectorELNS0_4arch9wavefront6targetE0EEEvT1_
		.amdhsa_group_segment_fixed_size 0
		.amdhsa_private_segment_fixed_size 0
		.amdhsa_kernarg_size 112
		.amdhsa_user_sgpr_count 15
		.amdhsa_user_sgpr_dispatch_ptr 0
		.amdhsa_user_sgpr_queue_ptr 0
		.amdhsa_user_sgpr_kernarg_segment_ptr 1
		.amdhsa_user_sgpr_dispatch_id 0
		.amdhsa_user_sgpr_private_segment_size 0
		.amdhsa_wavefront_size32 1
		.amdhsa_uses_dynamic_stack 0
		.amdhsa_enable_private_segment 0
		.amdhsa_system_sgpr_workgroup_id_x 1
		.amdhsa_system_sgpr_workgroup_id_y 0
		.amdhsa_system_sgpr_workgroup_id_z 0
		.amdhsa_system_sgpr_workgroup_info 0
		.amdhsa_system_vgpr_workitem_id 0
		.amdhsa_next_free_vgpr 1
		.amdhsa_next_free_sgpr 1
		.amdhsa_reserve_vcc 0
		.amdhsa_float_round_mode_32 0
		.amdhsa_float_round_mode_16_64 0
		.amdhsa_float_denorm_mode_32 3
		.amdhsa_float_denorm_mode_16_64 3
		.amdhsa_dx10_clamp 1
		.amdhsa_ieee_mode 1
		.amdhsa_fp16_overflow 0
		.amdhsa_workgroup_processor_mode 1
		.amdhsa_memory_ordered 1
		.amdhsa_forward_progress 0
		.amdhsa_shared_vgpr_count 0
		.amdhsa_exception_fp_ieee_invalid_op 0
		.amdhsa_exception_fp_denorm_src 0
		.amdhsa_exception_fp_ieee_div_zero 0
		.amdhsa_exception_fp_ieee_overflow 0
		.amdhsa_exception_fp_ieee_underflow 0
		.amdhsa_exception_fp_ieee_inexact 0
		.amdhsa_exception_int_div_zero 0
	.end_amdhsa_kernel
	.section	.text._ZN7rocprim17ROCPRIM_400000_NS6detail17trampoline_kernelINS0_14default_configENS1_25partition_config_selectorILNS1_17partition_subalgoE9EiibEEZZNS1_14partition_implILS5_9ELb0ES3_jN6thrust23THRUST_200600_302600_NS6detail15normal_iteratorINS9_10device_ptrIiEEEESE_PNS0_10empty_typeENS0_5tupleIJSE_SF_EEENSH_IJSE_SG_EEENS0_18inequality_wrapperI22is_equal_div_10_uniqueIiEEEPmJSF_EEE10hipError_tPvRmT3_T4_T5_T6_T7_T9_mT8_P12ihipStream_tbDpT10_ENKUlT_T0_E_clISt17integral_constantIbLb1EES17_IbLb0EEEEDaS13_S14_EUlS13_E_NS1_11comp_targetILNS1_3genE3ELNS1_11target_archE908ELNS1_3gpuE7ELNS1_3repE0EEENS1_30default_config_static_selectorELNS0_4arch9wavefront6targetE0EEEvT1_,"axG",@progbits,_ZN7rocprim17ROCPRIM_400000_NS6detail17trampoline_kernelINS0_14default_configENS1_25partition_config_selectorILNS1_17partition_subalgoE9EiibEEZZNS1_14partition_implILS5_9ELb0ES3_jN6thrust23THRUST_200600_302600_NS6detail15normal_iteratorINS9_10device_ptrIiEEEESE_PNS0_10empty_typeENS0_5tupleIJSE_SF_EEENSH_IJSE_SG_EEENS0_18inequality_wrapperI22is_equal_div_10_uniqueIiEEEPmJSF_EEE10hipError_tPvRmT3_T4_T5_T6_T7_T9_mT8_P12ihipStream_tbDpT10_ENKUlT_T0_E_clISt17integral_constantIbLb1EES17_IbLb0EEEEDaS13_S14_EUlS13_E_NS1_11comp_targetILNS1_3genE3ELNS1_11target_archE908ELNS1_3gpuE7ELNS1_3repE0EEENS1_30default_config_static_selectorELNS0_4arch9wavefront6targetE0EEEvT1_,comdat
.Lfunc_end455:
	.size	_ZN7rocprim17ROCPRIM_400000_NS6detail17trampoline_kernelINS0_14default_configENS1_25partition_config_selectorILNS1_17partition_subalgoE9EiibEEZZNS1_14partition_implILS5_9ELb0ES3_jN6thrust23THRUST_200600_302600_NS6detail15normal_iteratorINS9_10device_ptrIiEEEESE_PNS0_10empty_typeENS0_5tupleIJSE_SF_EEENSH_IJSE_SG_EEENS0_18inequality_wrapperI22is_equal_div_10_uniqueIiEEEPmJSF_EEE10hipError_tPvRmT3_T4_T5_T6_T7_T9_mT8_P12ihipStream_tbDpT10_ENKUlT_T0_E_clISt17integral_constantIbLb1EES17_IbLb0EEEEDaS13_S14_EUlS13_E_NS1_11comp_targetILNS1_3genE3ELNS1_11target_archE908ELNS1_3gpuE7ELNS1_3repE0EEENS1_30default_config_static_selectorELNS0_4arch9wavefront6targetE0EEEvT1_, .Lfunc_end455-_ZN7rocprim17ROCPRIM_400000_NS6detail17trampoline_kernelINS0_14default_configENS1_25partition_config_selectorILNS1_17partition_subalgoE9EiibEEZZNS1_14partition_implILS5_9ELb0ES3_jN6thrust23THRUST_200600_302600_NS6detail15normal_iteratorINS9_10device_ptrIiEEEESE_PNS0_10empty_typeENS0_5tupleIJSE_SF_EEENSH_IJSE_SG_EEENS0_18inequality_wrapperI22is_equal_div_10_uniqueIiEEEPmJSF_EEE10hipError_tPvRmT3_T4_T5_T6_T7_T9_mT8_P12ihipStream_tbDpT10_ENKUlT_T0_E_clISt17integral_constantIbLb1EES17_IbLb0EEEEDaS13_S14_EUlS13_E_NS1_11comp_targetILNS1_3genE3ELNS1_11target_archE908ELNS1_3gpuE7ELNS1_3repE0EEENS1_30default_config_static_selectorELNS0_4arch9wavefront6targetE0EEEvT1_
                                        ; -- End function
	.section	.AMDGPU.csdata,"",@progbits
; Kernel info:
; codeLenInByte = 0
; NumSgprs: 0
; NumVgprs: 0
; ScratchSize: 0
; MemoryBound: 0
; FloatMode: 240
; IeeeMode: 1
; LDSByteSize: 0 bytes/workgroup (compile time only)
; SGPRBlocks: 0
; VGPRBlocks: 0
; NumSGPRsForWavesPerEU: 1
; NumVGPRsForWavesPerEU: 1
; Occupancy: 16
; WaveLimiterHint : 0
; COMPUTE_PGM_RSRC2:SCRATCH_EN: 0
; COMPUTE_PGM_RSRC2:USER_SGPR: 15
; COMPUTE_PGM_RSRC2:TRAP_HANDLER: 0
; COMPUTE_PGM_RSRC2:TGID_X_EN: 1
; COMPUTE_PGM_RSRC2:TGID_Y_EN: 0
; COMPUTE_PGM_RSRC2:TGID_Z_EN: 0
; COMPUTE_PGM_RSRC2:TIDIG_COMP_CNT: 0
	.section	.text._ZN7rocprim17ROCPRIM_400000_NS6detail17trampoline_kernelINS0_14default_configENS1_25partition_config_selectorILNS1_17partition_subalgoE9EiibEEZZNS1_14partition_implILS5_9ELb0ES3_jN6thrust23THRUST_200600_302600_NS6detail15normal_iteratorINS9_10device_ptrIiEEEESE_PNS0_10empty_typeENS0_5tupleIJSE_SF_EEENSH_IJSE_SG_EEENS0_18inequality_wrapperI22is_equal_div_10_uniqueIiEEEPmJSF_EEE10hipError_tPvRmT3_T4_T5_T6_T7_T9_mT8_P12ihipStream_tbDpT10_ENKUlT_T0_E_clISt17integral_constantIbLb1EES17_IbLb0EEEEDaS13_S14_EUlS13_E_NS1_11comp_targetILNS1_3genE2ELNS1_11target_archE906ELNS1_3gpuE6ELNS1_3repE0EEENS1_30default_config_static_selectorELNS0_4arch9wavefront6targetE0EEEvT1_,"axG",@progbits,_ZN7rocprim17ROCPRIM_400000_NS6detail17trampoline_kernelINS0_14default_configENS1_25partition_config_selectorILNS1_17partition_subalgoE9EiibEEZZNS1_14partition_implILS5_9ELb0ES3_jN6thrust23THRUST_200600_302600_NS6detail15normal_iteratorINS9_10device_ptrIiEEEESE_PNS0_10empty_typeENS0_5tupleIJSE_SF_EEENSH_IJSE_SG_EEENS0_18inequality_wrapperI22is_equal_div_10_uniqueIiEEEPmJSF_EEE10hipError_tPvRmT3_T4_T5_T6_T7_T9_mT8_P12ihipStream_tbDpT10_ENKUlT_T0_E_clISt17integral_constantIbLb1EES17_IbLb0EEEEDaS13_S14_EUlS13_E_NS1_11comp_targetILNS1_3genE2ELNS1_11target_archE906ELNS1_3gpuE6ELNS1_3repE0EEENS1_30default_config_static_selectorELNS0_4arch9wavefront6targetE0EEEvT1_,comdat
	.protected	_ZN7rocprim17ROCPRIM_400000_NS6detail17trampoline_kernelINS0_14default_configENS1_25partition_config_selectorILNS1_17partition_subalgoE9EiibEEZZNS1_14partition_implILS5_9ELb0ES3_jN6thrust23THRUST_200600_302600_NS6detail15normal_iteratorINS9_10device_ptrIiEEEESE_PNS0_10empty_typeENS0_5tupleIJSE_SF_EEENSH_IJSE_SG_EEENS0_18inequality_wrapperI22is_equal_div_10_uniqueIiEEEPmJSF_EEE10hipError_tPvRmT3_T4_T5_T6_T7_T9_mT8_P12ihipStream_tbDpT10_ENKUlT_T0_E_clISt17integral_constantIbLb1EES17_IbLb0EEEEDaS13_S14_EUlS13_E_NS1_11comp_targetILNS1_3genE2ELNS1_11target_archE906ELNS1_3gpuE6ELNS1_3repE0EEENS1_30default_config_static_selectorELNS0_4arch9wavefront6targetE0EEEvT1_ ; -- Begin function _ZN7rocprim17ROCPRIM_400000_NS6detail17trampoline_kernelINS0_14default_configENS1_25partition_config_selectorILNS1_17partition_subalgoE9EiibEEZZNS1_14partition_implILS5_9ELb0ES3_jN6thrust23THRUST_200600_302600_NS6detail15normal_iteratorINS9_10device_ptrIiEEEESE_PNS0_10empty_typeENS0_5tupleIJSE_SF_EEENSH_IJSE_SG_EEENS0_18inequality_wrapperI22is_equal_div_10_uniqueIiEEEPmJSF_EEE10hipError_tPvRmT3_T4_T5_T6_T7_T9_mT8_P12ihipStream_tbDpT10_ENKUlT_T0_E_clISt17integral_constantIbLb1EES17_IbLb0EEEEDaS13_S14_EUlS13_E_NS1_11comp_targetILNS1_3genE2ELNS1_11target_archE906ELNS1_3gpuE6ELNS1_3repE0EEENS1_30default_config_static_selectorELNS0_4arch9wavefront6targetE0EEEvT1_
	.globl	_ZN7rocprim17ROCPRIM_400000_NS6detail17trampoline_kernelINS0_14default_configENS1_25partition_config_selectorILNS1_17partition_subalgoE9EiibEEZZNS1_14partition_implILS5_9ELb0ES3_jN6thrust23THRUST_200600_302600_NS6detail15normal_iteratorINS9_10device_ptrIiEEEESE_PNS0_10empty_typeENS0_5tupleIJSE_SF_EEENSH_IJSE_SG_EEENS0_18inequality_wrapperI22is_equal_div_10_uniqueIiEEEPmJSF_EEE10hipError_tPvRmT3_T4_T5_T6_T7_T9_mT8_P12ihipStream_tbDpT10_ENKUlT_T0_E_clISt17integral_constantIbLb1EES17_IbLb0EEEEDaS13_S14_EUlS13_E_NS1_11comp_targetILNS1_3genE2ELNS1_11target_archE906ELNS1_3gpuE6ELNS1_3repE0EEENS1_30default_config_static_selectorELNS0_4arch9wavefront6targetE0EEEvT1_
	.p2align	8
	.type	_ZN7rocprim17ROCPRIM_400000_NS6detail17trampoline_kernelINS0_14default_configENS1_25partition_config_selectorILNS1_17partition_subalgoE9EiibEEZZNS1_14partition_implILS5_9ELb0ES3_jN6thrust23THRUST_200600_302600_NS6detail15normal_iteratorINS9_10device_ptrIiEEEESE_PNS0_10empty_typeENS0_5tupleIJSE_SF_EEENSH_IJSE_SG_EEENS0_18inequality_wrapperI22is_equal_div_10_uniqueIiEEEPmJSF_EEE10hipError_tPvRmT3_T4_T5_T6_T7_T9_mT8_P12ihipStream_tbDpT10_ENKUlT_T0_E_clISt17integral_constantIbLb1EES17_IbLb0EEEEDaS13_S14_EUlS13_E_NS1_11comp_targetILNS1_3genE2ELNS1_11target_archE906ELNS1_3gpuE6ELNS1_3repE0EEENS1_30default_config_static_selectorELNS0_4arch9wavefront6targetE0EEEvT1_,@function
_ZN7rocprim17ROCPRIM_400000_NS6detail17trampoline_kernelINS0_14default_configENS1_25partition_config_selectorILNS1_17partition_subalgoE9EiibEEZZNS1_14partition_implILS5_9ELb0ES3_jN6thrust23THRUST_200600_302600_NS6detail15normal_iteratorINS9_10device_ptrIiEEEESE_PNS0_10empty_typeENS0_5tupleIJSE_SF_EEENSH_IJSE_SG_EEENS0_18inequality_wrapperI22is_equal_div_10_uniqueIiEEEPmJSF_EEE10hipError_tPvRmT3_T4_T5_T6_T7_T9_mT8_P12ihipStream_tbDpT10_ENKUlT_T0_E_clISt17integral_constantIbLb1EES17_IbLb0EEEEDaS13_S14_EUlS13_E_NS1_11comp_targetILNS1_3genE2ELNS1_11target_archE906ELNS1_3gpuE6ELNS1_3repE0EEENS1_30default_config_static_selectorELNS0_4arch9wavefront6targetE0EEEvT1_: ; @_ZN7rocprim17ROCPRIM_400000_NS6detail17trampoline_kernelINS0_14default_configENS1_25partition_config_selectorILNS1_17partition_subalgoE9EiibEEZZNS1_14partition_implILS5_9ELb0ES3_jN6thrust23THRUST_200600_302600_NS6detail15normal_iteratorINS9_10device_ptrIiEEEESE_PNS0_10empty_typeENS0_5tupleIJSE_SF_EEENSH_IJSE_SG_EEENS0_18inequality_wrapperI22is_equal_div_10_uniqueIiEEEPmJSF_EEE10hipError_tPvRmT3_T4_T5_T6_T7_T9_mT8_P12ihipStream_tbDpT10_ENKUlT_T0_E_clISt17integral_constantIbLb1EES17_IbLb0EEEEDaS13_S14_EUlS13_E_NS1_11comp_targetILNS1_3genE2ELNS1_11target_archE906ELNS1_3gpuE6ELNS1_3repE0EEENS1_30default_config_static_selectorELNS0_4arch9wavefront6targetE0EEEvT1_
; %bb.0:
	.section	.rodata,"a",@progbits
	.p2align	6, 0x0
	.amdhsa_kernel _ZN7rocprim17ROCPRIM_400000_NS6detail17trampoline_kernelINS0_14default_configENS1_25partition_config_selectorILNS1_17partition_subalgoE9EiibEEZZNS1_14partition_implILS5_9ELb0ES3_jN6thrust23THRUST_200600_302600_NS6detail15normal_iteratorINS9_10device_ptrIiEEEESE_PNS0_10empty_typeENS0_5tupleIJSE_SF_EEENSH_IJSE_SG_EEENS0_18inequality_wrapperI22is_equal_div_10_uniqueIiEEEPmJSF_EEE10hipError_tPvRmT3_T4_T5_T6_T7_T9_mT8_P12ihipStream_tbDpT10_ENKUlT_T0_E_clISt17integral_constantIbLb1EES17_IbLb0EEEEDaS13_S14_EUlS13_E_NS1_11comp_targetILNS1_3genE2ELNS1_11target_archE906ELNS1_3gpuE6ELNS1_3repE0EEENS1_30default_config_static_selectorELNS0_4arch9wavefront6targetE0EEEvT1_
		.amdhsa_group_segment_fixed_size 0
		.amdhsa_private_segment_fixed_size 0
		.amdhsa_kernarg_size 112
		.amdhsa_user_sgpr_count 15
		.amdhsa_user_sgpr_dispatch_ptr 0
		.amdhsa_user_sgpr_queue_ptr 0
		.amdhsa_user_sgpr_kernarg_segment_ptr 1
		.amdhsa_user_sgpr_dispatch_id 0
		.amdhsa_user_sgpr_private_segment_size 0
		.amdhsa_wavefront_size32 1
		.amdhsa_uses_dynamic_stack 0
		.amdhsa_enable_private_segment 0
		.amdhsa_system_sgpr_workgroup_id_x 1
		.amdhsa_system_sgpr_workgroup_id_y 0
		.amdhsa_system_sgpr_workgroup_id_z 0
		.amdhsa_system_sgpr_workgroup_info 0
		.amdhsa_system_vgpr_workitem_id 0
		.amdhsa_next_free_vgpr 1
		.amdhsa_next_free_sgpr 1
		.amdhsa_reserve_vcc 0
		.amdhsa_float_round_mode_32 0
		.amdhsa_float_round_mode_16_64 0
		.amdhsa_float_denorm_mode_32 3
		.amdhsa_float_denorm_mode_16_64 3
		.amdhsa_dx10_clamp 1
		.amdhsa_ieee_mode 1
		.amdhsa_fp16_overflow 0
		.amdhsa_workgroup_processor_mode 1
		.amdhsa_memory_ordered 1
		.amdhsa_forward_progress 0
		.amdhsa_shared_vgpr_count 0
		.amdhsa_exception_fp_ieee_invalid_op 0
		.amdhsa_exception_fp_denorm_src 0
		.amdhsa_exception_fp_ieee_div_zero 0
		.amdhsa_exception_fp_ieee_overflow 0
		.amdhsa_exception_fp_ieee_underflow 0
		.amdhsa_exception_fp_ieee_inexact 0
		.amdhsa_exception_int_div_zero 0
	.end_amdhsa_kernel
	.section	.text._ZN7rocprim17ROCPRIM_400000_NS6detail17trampoline_kernelINS0_14default_configENS1_25partition_config_selectorILNS1_17partition_subalgoE9EiibEEZZNS1_14partition_implILS5_9ELb0ES3_jN6thrust23THRUST_200600_302600_NS6detail15normal_iteratorINS9_10device_ptrIiEEEESE_PNS0_10empty_typeENS0_5tupleIJSE_SF_EEENSH_IJSE_SG_EEENS0_18inequality_wrapperI22is_equal_div_10_uniqueIiEEEPmJSF_EEE10hipError_tPvRmT3_T4_T5_T6_T7_T9_mT8_P12ihipStream_tbDpT10_ENKUlT_T0_E_clISt17integral_constantIbLb1EES17_IbLb0EEEEDaS13_S14_EUlS13_E_NS1_11comp_targetILNS1_3genE2ELNS1_11target_archE906ELNS1_3gpuE6ELNS1_3repE0EEENS1_30default_config_static_selectorELNS0_4arch9wavefront6targetE0EEEvT1_,"axG",@progbits,_ZN7rocprim17ROCPRIM_400000_NS6detail17trampoline_kernelINS0_14default_configENS1_25partition_config_selectorILNS1_17partition_subalgoE9EiibEEZZNS1_14partition_implILS5_9ELb0ES3_jN6thrust23THRUST_200600_302600_NS6detail15normal_iteratorINS9_10device_ptrIiEEEESE_PNS0_10empty_typeENS0_5tupleIJSE_SF_EEENSH_IJSE_SG_EEENS0_18inequality_wrapperI22is_equal_div_10_uniqueIiEEEPmJSF_EEE10hipError_tPvRmT3_T4_T5_T6_T7_T9_mT8_P12ihipStream_tbDpT10_ENKUlT_T0_E_clISt17integral_constantIbLb1EES17_IbLb0EEEEDaS13_S14_EUlS13_E_NS1_11comp_targetILNS1_3genE2ELNS1_11target_archE906ELNS1_3gpuE6ELNS1_3repE0EEENS1_30default_config_static_selectorELNS0_4arch9wavefront6targetE0EEEvT1_,comdat
.Lfunc_end456:
	.size	_ZN7rocprim17ROCPRIM_400000_NS6detail17trampoline_kernelINS0_14default_configENS1_25partition_config_selectorILNS1_17partition_subalgoE9EiibEEZZNS1_14partition_implILS5_9ELb0ES3_jN6thrust23THRUST_200600_302600_NS6detail15normal_iteratorINS9_10device_ptrIiEEEESE_PNS0_10empty_typeENS0_5tupleIJSE_SF_EEENSH_IJSE_SG_EEENS0_18inequality_wrapperI22is_equal_div_10_uniqueIiEEEPmJSF_EEE10hipError_tPvRmT3_T4_T5_T6_T7_T9_mT8_P12ihipStream_tbDpT10_ENKUlT_T0_E_clISt17integral_constantIbLb1EES17_IbLb0EEEEDaS13_S14_EUlS13_E_NS1_11comp_targetILNS1_3genE2ELNS1_11target_archE906ELNS1_3gpuE6ELNS1_3repE0EEENS1_30default_config_static_selectorELNS0_4arch9wavefront6targetE0EEEvT1_, .Lfunc_end456-_ZN7rocprim17ROCPRIM_400000_NS6detail17trampoline_kernelINS0_14default_configENS1_25partition_config_selectorILNS1_17partition_subalgoE9EiibEEZZNS1_14partition_implILS5_9ELb0ES3_jN6thrust23THRUST_200600_302600_NS6detail15normal_iteratorINS9_10device_ptrIiEEEESE_PNS0_10empty_typeENS0_5tupleIJSE_SF_EEENSH_IJSE_SG_EEENS0_18inequality_wrapperI22is_equal_div_10_uniqueIiEEEPmJSF_EEE10hipError_tPvRmT3_T4_T5_T6_T7_T9_mT8_P12ihipStream_tbDpT10_ENKUlT_T0_E_clISt17integral_constantIbLb1EES17_IbLb0EEEEDaS13_S14_EUlS13_E_NS1_11comp_targetILNS1_3genE2ELNS1_11target_archE906ELNS1_3gpuE6ELNS1_3repE0EEENS1_30default_config_static_selectorELNS0_4arch9wavefront6targetE0EEEvT1_
                                        ; -- End function
	.section	.AMDGPU.csdata,"",@progbits
; Kernel info:
; codeLenInByte = 0
; NumSgprs: 0
; NumVgprs: 0
; ScratchSize: 0
; MemoryBound: 0
; FloatMode: 240
; IeeeMode: 1
; LDSByteSize: 0 bytes/workgroup (compile time only)
; SGPRBlocks: 0
; VGPRBlocks: 0
; NumSGPRsForWavesPerEU: 1
; NumVGPRsForWavesPerEU: 1
; Occupancy: 16
; WaveLimiterHint : 0
; COMPUTE_PGM_RSRC2:SCRATCH_EN: 0
; COMPUTE_PGM_RSRC2:USER_SGPR: 15
; COMPUTE_PGM_RSRC2:TRAP_HANDLER: 0
; COMPUTE_PGM_RSRC2:TGID_X_EN: 1
; COMPUTE_PGM_RSRC2:TGID_Y_EN: 0
; COMPUTE_PGM_RSRC2:TGID_Z_EN: 0
; COMPUTE_PGM_RSRC2:TIDIG_COMP_CNT: 0
	.section	.text._ZN7rocprim17ROCPRIM_400000_NS6detail17trampoline_kernelINS0_14default_configENS1_25partition_config_selectorILNS1_17partition_subalgoE9EiibEEZZNS1_14partition_implILS5_9ELb0ES3_jN6thrust23THRUST_200600_302600_NS6detail15normal_iteratorINS9_10device_ptrIiEEEESE_PNS0_10empty_typeENS0_5tupleIJSE_SF_EEENSH_IJSE_SG_EEENS0_18inequality_wrapperI22is_equal_div_10_uniqueIiEEEPmJSF_EEE10hipError_tPvRmT3_T4_T5_T6_T7_T9_mT8_P12ihipStream_tbDpT10_ENKUlT_T0_E_clISt17integral_constantIbLb1EES17_IbLb0EEEEDaS13_S14_EUlS13_E_NS1_11comp_targetILNS1_3genE10ELNS1_11target_archE1200ELNS1_3gpuE4ELNS1_3repE0EEENS1_30default_config_static_selectorELNS0_4arch9wavefront6targetE0EEEvT1_,"axG",@progbits,_ZN7rocprim17ROCPRIM_400000_NS6detail17trampoline_kernelINS0_14default_configENS1_25partition_config_selectorILNS1_17partition_subalgoE9EiibEEZZNS1_14partition_implILS5_9ELb0ES3_jN6thrust23THRUST_200600_302600_NS6detail15normal_iteratorINS9_10device_ptrIiEEEESE_PNS0_10empty_typeENS0_5tupleIJSE_SF_EEENSH_IJSE_SG_EEENS0_18inequality_wrapperI22is_equal_div_10_uniqueIiEEEPmJSF_EEE10hipError_tPvRmT3_T4_T5_T6_T7_T9_mT8_P12ihipStream_tbDpT10_ENKUlT_T0_E_clISt17integral_constantIbLb1EES17_IbLb0EEEEDaS13_S14_EUlS13_E_NS1_11comp_targetILNS1_3genE10ELNS1_11target_archE1200ELNS1_3gpuE4ELNS1_3repE0EEENS1_30default_config_static_selectorELNS0_4arch9wavefront6targetE0EEEvT1_,comdat
	.protected	_ZN7rocprim17ROCPRIM_400000_NS6detail17trampoline_kernelINS0_14default_configENS1_25partition_config_selectorILNS1_17partition_subalgoE9EiibEEZZNS1_14partition_implILS5_9ELb0ES3_jN6thrust23THRUST_200600_302600_NS6detail15normal_iteratorINS9_10device_ptrIiEEEESE_PNS0_10empty_typeENS0_5tupleIJSE_SF_EEENSH_IJSE_SG_EEENS0_18inequality_wrapperI22is_equal_div_10_uniqueIiEEEPmJSF_EEE10hipError_tPvRmT3_T4_T5_T6_T7_T9_mT8_P12ihipStream_tbDpT10_ENKUlT_T0_E_clISt17integral_constantIbLb1EES17_IbLb0EEEEDaS13_S14_EUlS13_E_NS1_11comp_targetILNS1_3genE10ELNS1_11target_archE1200ELNS1_3gpuE4ELNS1_3repE0EEENS1_30default_config_static_selectorELNS0_4arch9wavefront6targetE0EEEvT1_ ; -- Begin function _ZN7rocprim17ROCPRIM_400000_NS6detail17trampoline_kernelINS0_14default_configENS1_25partition_config_selectorILNS1_17partition_subalgoE9EiibEEZZNS1_14partition_implILS5_9ELb0ES3_jN6thrust23THRUST_200600_302600_NS6detail15normal_iteratorINS9_10device_ptrIiEEEESE_PNS0_10empty_typeENS0_5tupleIJSE_SF_EEENSH_IJSE_SG_EEENS0_18inequality_wrapperI22is_equal_div_10_uniqueIiEEEPmJSF_EEE10hipError_tPvRmT3_T4_T5_T6_T7_T9_mT8_P12ihipStream_tbDpT10_ENKUlT_T0_E_clISt17integral_constantIbLb1EES17_IbLb0EEEEDaS13_S14_EUlS13_E_NS1_11comp_targetILNS1_3genE10ELNS1_11target_archE1200ELNS1_3gpuE4ELNS1_3repE0EEENS1_30default_config_static_selectorELNS0_4arch9wavefront6targetE0EEEvT1_
	.globl	_ZN7rocprim17ROCPRIM_400000_NS6detail17trampoline_kernelINS0_14default_configENS1_25partition_config_selectorILNS1_17partition_subalgoE9EiibEEZZNS1_14partition_implILS5_9ELb0ES3_jN6thrust23THRUST_200600_302600_NS6detail15normal_iteratorINS9_10device_ptrIiEEEESE_PNS0_10empty_typeENS0_5tupleIJSE_SF_EEENSH_IJSE_SG_EEENS0_18inequality_wrapperI22is_equal_div_10_uniqueIiEEEPmJSF_EEE10hipError_tPvRmT3_T4_T5_T6_T7_T9_mT8_P12ihipStream_tbDpT10_ENKUlT_T0_E_clISt17integral_constantIbLb1EES17_IbLb0EEEEDaS13_S14_EUlS13_E_NS1_11comp_targetILNS1_3genE10ELNS1_11target_archE1200ELNS1_3gpuE4ELNS1_3repE0EEENS1_30default_config_static_selectorELNS0_4arch9wavefront6targetE0EEEvT1_
	.p2align	8
	.type	_ZN7rocprim17ROCPRIM_400000_NS6detail17trampoline_kernelINS0_14default_configENS1_25partition_config_selectorILNS1_17partition_subalgoE9EiibEEZZNS1_14partition_implILS5_9ELb0ES3_jN6thrust23THRUST_200600_302600_NS6detail15normal_iteratorINS9_10device_ptrIiEEEESE_PNS0_10empty_typeENS0_5tupleIJSE_SF_EEENSH_IJSE_SG_EEENS0_18inequality_wrapperI22is_equal_div_10_uniqueIiEEEPmJSF_EEE10hipError_tPvRmT3_T4_T5_T6_T7_T9_mT8_P12ihipStream_tbDpT10_ENKUlT_T0_E_clISt17integral_constantIbLb1EES17_IbLb0EEEEDaS13_S14_EUlS13_E_NS1_11comp_targetILNS1_3genE10ELNS1_11target_archE1200ELNS1_3gpuE4ELNS1_3repE0EEENS1_30default_config_static_selectorELNS0_4arch9wavefront6targetE0EEEvT1_,@function
_ZN7rocprim17ROCPRIM_400000_NS6detail17trampoline_kernelINS0_14default_configENS1_25partition_config_selectorILNS1_17partition_subalgoE9EiibEEZZNS1_14partition_implILS5_9ELb0ES3_jN6thrust23THRUST_200600_302600_NS6detail15normal_iteratorINS9_10device_ptrIiEEEESE_PNS0_10empty_typeENS0_5tupleIJSE_SF_EEENSH_IJSE_SG_EEENS0_18inequality_wrapperI22is_equal_div_10_uniqueIiEEEPmJSF_EEE10hipError_tPvRmT3_T4_T5_T6_T7_T9_mT8_P12ihipStream_tbDpT10_ENKUlT_T0_E_clISt17integral_constantIbLb1EES17_IbLb0EEEEDaS13_S14_EUlS13_E_NS1_11comp_targetILNS1_3genE10ELNS1_11target_archE1200ELNS1_3gpuE4ELNS1_3repE0EEENS1_30default_config_static_selectorELNS0_4arch9wavefront6targetE0EEEvT1_: ; @_ZN7rocprim17ROCPRIM_400000_NS6detail17trampoline_kernelINS0_14default_configENS1_25partition_config_selectorILNS1_17partition_subalgoE9EiibEEZZNS1_14partition_implILS5_9ELb0ES3_jN6thrust23THRUST_200600_302600_NS6detail15normal_iteratorINS9_10device_ptrIiEEEESE_PNS0_10empty_typeENS0_5tupleIJSE_SF_EEENSH_IJSE_SG_EEENS0_18inequality_wrapperI22is_equal_div_10_uniqueIiEEEPmJSF_EEE10hipError_tPvRmT3_T4_T5_T6_T7_T9_mT8_P12ihipStream_tbDpT10_ENKUlT_T0_E_clISt17integral_constantIbLb1EES17_IbLb0EEEEDaS13_S14_EUlS13_E_NS1_11comp_targetILNS1_3genE10ELNS1_11target_archE1200ELNS1_3gpuE4ELNS1_3repE0EEENS1_30default_config_static_selectorELNS0_4arch9wavefront6targetE0EEEvT1_
; %bb.0:
	.section	.rodata,"a",@progbits
	.p2align	6, 0x0
	.amdhsa_kernel _ZN7rocprim17ROCPRIM_400000_NS6detail17trampoline_kernelINS0_14default_configENS1_25partition_config_selectorILNS1_17partition_subalgoE9EiibEEZZNS1_14partition_implILS5_9ELb0ES3_jN6thrust23THRUST_200600_302600_NS6detail15normal_iteratorINS9_10device_ptrIiEEEESE_PNS0_10empty_typeENS0_5tupleIJSE_SF_EEENSH_IJSE_SG_EEENS0_18inequality_wrapperI22is_equal_div_10_uniqueIiEEEPmJSF_EEE10hipError_tPvRmT3_T4_T5_T6_T7_T9_mT8_P12ihipStream_tbDpT10_ENKUlT_T0_E_clISt17integral_constantIbLb1EES17_IbLb0EEEEDaS13_S14_EUlS13_E_NS1_11comp_targetILNS1_3genE10ELNS1_11target_archE1200ELNS1_3gpuE4ELNS1_3repE0EEENS1_30default_config_static_selectorELNS0_4arch9wavefront6targetE0EEEvT1_
		.amdhsa_group_segment_fixed_size 0
		.amdhsa_private_segment_fixed_size 0
		.amdhsa_kernarg_size 112
		.amdhsa_user_sgpr_count 15
		.amdhsa_user_sgpr_dispatch_ptr 0
		.amdhsa_user_sgpr_queue_ptr 0
		.amdhsa_user_sgpr_kernarg_segment_ptr 1
		.amdhsa_user_sgpr_dispatch_id 0
		.amdhsa_user_sgpr_private_segment_size 0
		.amdhsa_wavefront_size32 1
		.amdhsa_uses_dynamic_stack 0
		.amdhsa_enable_private_segment 0
		.amdhsa_system_sgpr_workgroup_id_x 1
		.amdhsa_system_sgpr_workgroup_id_y 0
		.amdhsa_system_sgpr_workgroup_id_z 0
		.amdhsa_system_sgpr_workgroup_info 0
		.amdhsa_system_vgpr_workitem_id 0
		.amdhsa_next_free_vgpr 1
		.amdhsa_next_free_sgpr 1
		.amdhsa_reserve_vcc 0
		.amdhsa_float_round_mode_32 0
		.amdhsa_float_round_mode_16_64 0
		.amdhsa_float_denorm_mode_32 3
		.amdhsa_float_denorm_mode_16_64 3
		.amdhsa_dx10_clamp 1
		.amdhsa_ieee_mode 1
		.amdhsa_fp16_overflow 0
		.amdhsa_workgroup_processor_mode 1
		.amdhsa_memory_ordered 1
		.amdhsa_forward_progress 0
		.amdhsa_shared_vgpr_count 0
		.amdhsa_exception_fp_ieee_invalid_op 0
		.amdhsa_exception_fp_denorm_src 0
		.amdhsa_exception_fp_ieee_div_zero 0
		.amdhsa_exception_fp_ieee_overflow 0
		.amdhsa_exception_fp_ieee_underflow 0
		.amdhsa_exception_fp_ieee_inexact 0
		.amdhsa_exception_int_div_zero 0
	.end_amdhsa_kernel
	.section	.text._ZN7rocprim17ROCPRIM_400000_NS6detail17trampoline_kernelINS0_14default_configENS1_25partition_config_selectorILNS1_17partition_subalgoE9EiibEEZZNS1_14partition_implILS5_9ELb0ES3_jN6thrust23THRUST_200600_302600_NS6detail15normal_iteratorINS9_10device_ptrIiEEEESE_PNS0_10empty_typeENS0_5tupleIJSE_SF_EEENSH_IJSE_SG_EEENS0_18inequality_wrapperI22is_equal_div_10_uniqueIiEEEPmJSF_EEE10hipError_tPvRmT3_T4_T5_T6_T7_T9_mT8_P12ihipStream_tbDpT10_ENKUlT_T0_E_clISt17integral_constantIbLb1EES17_IbLb0EEEEDaS13_S14_EUlS13_E_NS1_11comp_targetILNS1_3genE10ELNS1_11target_archE1200ELNS1_3gpuE4ELNS1_3repE0EEENS1_30default_config_static_selectorELNS0_4arch9wavefront6targetE0EEEvT1_,"axG",@progbits,_ZN7rocprim17ROCPRIM_400000_NS6detail17trampoline_kernelINS0_14default_configENS1_25partition_config_selectorILNS1_17partition_subalgoE9EiibEEZZNS1_14partition_implILS5_9ELb0ES3_jN6thrust23THRUST_200600_302600_NS6detail15normal_iteratorINS9_10device_ptrIiEEEESE_PNS0_10empty_typeENS0_5tupleIJSE_SF_EEENSH_IJSE_SG_EEENS0_18inequality_wrapperI22is_equal_div_10_uniqueIiEEEPmJSF_EEE10hipError_tPvRmT3_T4_T5_T6_T7_T9_mT8_P12ihipStream_tbDpT10_ENKUlT_T0_E_clISt17integral_constantIbLb1EES17_IbLb0EEEEDaS13_S14_EUlS13_E_NS1_11comp_targetILNS1_3genE10ELNS1_11target_archE1200ELNS1_3gpuE4ELNS1_3repE0EEENS1_30default_config_static_selectorELNS0_4arch9wavefront6targetE0EEEvT1_,comdat
.Lfunc_end457:
	.size	_ZN7rocprim17ROCPRIM_400000_NS6detail17trampoline_kernelINS0_14default_configENS1_25partition_config_selectorILNS1_17partition_subalgoE9EiibEEZZNS1_14partition_implILS5_9ELb0ES3_jN6thrust23THRUST_200600_302600_NS6detail15normal_iteratorINS9_10device_ptrIiEEEESE_PNS0_10empty_typeENS0_5tupleIJSE_SF_EEENSH_IJSE_SG_EEENS0_18inequality_wrapperI22is_equal_div_10_uniqueIiEEEPmJSF_EEE10hipError_tPvRmT3_T4_T5_T6_T7_T9_mT8_P12ihipStream_tbDpT10_ENKUlT_T0_E_clISt17integral_constantIbLb1EES17_IbLb0EEEEDaS13_S14_EUlS13_E_NS1_11comp_targetILNS1_3genE10ELNS1_11target_archE1200ELNS1_3gpuE4ELNS1_3repE0EEENS1_30default_config_static_selectorELNS0_4arch9wavefront6targetE0EEEvT1_, .Lfunc_end457-_ZN7rocprim17ROCPRIM_400000_NS6detail17trampoline_kernelINS0_14default_configENS1_25partition_config_selectorILNS1_17partition_subalgoE9EiibEEZZNS1_14partition_implILS5_9ELb0ES3_jN6thrust23THRUST_200600_302600_NS6detail15normal_iteratorINS9_10device_ptrIiEEEESE_PNS0_10empty_typeENS0_5tupleIJSE_SF_EEENSH_IJSE_SG_EEENS0_18inequality_wrapperI22is_equal_div_10_uniqueIiEEEPmJSF_EEE10hipError_tPvRmT3_T4_T5_T6_T7_T9_mT8_P12ihipStream_tbDpT10_ENKUlT_T0_E_clISt17integral_constantIbLb1EES17_IbLb0EEEEDaS13_S14_EUlS13_E_NS1_11comp_targetILNS1_3genE10ELNS1_11target_archE1200ELNS1_3gpuE4ELNS1_3repE0EEENS1_30default_config_static_selectorELNS0_4arch9wavefront6targetE0EEEvT1_
                                        ; -- End function
	.section	.AMDGPU.csdata,"",@progbits
; Kernel info:
; codeLenInByte = 0
; NumSgprs: 0
; NumVgprs: 0
; ScratchSize: 0
; MemoryBound: 0
; FloatMode: 240
; IeeeMode: 1
; LDSByteSize: 0 bytes/workgroup (compile time only)
; SGPRBlocks: 0
; VGPRBlocks: 0
; NumSGPRsForWavesPerEU: 1
; NumVGPRsForWavesPerEU: 1
; Occupancy: 15
; WaveLimiterHint : 0
; COMPUTE_PGM_RSRC2:SCRATCH_EN: 0
; COMPUTE_PGM_RSRC2:USER_SGPR: 15
; COMPUTE_PGM_RSRC2:TRAP_HANDLER: 0
; COMPUTE_PGM_RSRC2:TGID_X_EN: 1
; COMPUTE_PGM_RSRC2:TGID_Y_EN: 0
; COMPUTE_PGM_RSRC2:TGID_Z_EN: 0
; COMPUTE_PGM_RSRC2:TIDIG_COMP_CNT: 0
	.section	.text._ZN7rocprim17ROCPRIM_400000_NS6detail17trampoline_kernelINS0_14default_configENS1_25partition_config_selectorILNS1_17partition_subalgoE9EiibEEZZNS1_14partition_implILS5_9ELb0ES3_jN6thrust23THRUST_200600_302600_NS6detail15normal_iteratorINS9_10device_ptrIiEEEESE_PNS0_10empty_typeENS0_5tupleIJSE_SF_EEENSH_IJSE_SG_EEENS0_18inequality_wrapperI22is_equal_div_10_uniqueIiEEEPmJSF_EEE10hipError_tPvRmT3_T4_T5_T6_T7_T9_mT8_P12ihipStream_tbDpT10_ENKUlT_T0_E_clISt17integral_constantIbLb1EES17_IbLb0EEEEDaS13_S14_EUlS13_E_NS1_11comp_targetILNS1_3genE9ELNS1_11target_archE1100ELNS1_3gpuE3ELNS1_3repE0EEENS1_30default_config_static_selectorELNS0_4arch9wavefront6targetE0EEEvT1_,"axG",@progbits,_ZN7rocprim17ROCPRIM_400000_NS6detail17trampoline_kernelINS0_14default_configENS1_25partition_config_selectorILNS1_17partition_subalgoE9EiibEEZZNS1_14partition_implILS5_9ELb0ES3_jN6thrust23THRUST_200600_302600_NS6detail15normal_iteratorINS9_10device_ptrIiEEEESE_PNS0_10empty_typeENS0_5tupleIJSE_SF_EEENSH_IJSE_SG_EEENS0_18inequality_wrapperI22is_equal_div_10_uniqueIiEEEPmJSF_EEE10hipError_tPvRmT3_T4_T5_T6_T7_T9_mT8_P12ihipStream_tbDpT10_ENKUlT_T0_E_clISt17integral_constantIbLb1EES17_IbLb0EEEEDaS13_S14_EUlS13_E_NS1_11comp_targetILNS1_3genE9ELNS1_11target_archE1100ELNS1_3gpuE3ELNS1_3repE0EEENS1_30default_config_static_selectorELNS0_4arch9wavefront6targetE0EEEvT1_,comdat
	.protected	_ZN7rocprim17ROCPRIM_400000_NS6detail17trampoline_kernelINS0_14default_configENS1_25partition_config_selectorILNS1_17partition_subalgoE9EiibEEZZNS1_14partition_implILS5_9ELb0ES3_jN6thrust23THRUST_200600_302600_NS6detail15normal_iteratorINS9_10device_ptrIiEEEESE_PNS0_10empty_typeENS0_5tupleIJSE_SF_EEENSH_IJSE_SG_EEENS0_18inequality_wrapperI22is_equal_div_10_uniqueIiEEEPmJSF_EEE10hipError_tPvRmT3_T4_T5_T6_T7_T9_mT8_P12ihipStream_tbDpT10_ENKUlT_T0_E_clISt17integral_constantIbLb1EES17_IbLb0EEEEDaS13_S14_EUlS13_E_NS1_11comp_targetILNS1_3genE9ELNS1_11target_archE1100ELNS1_3gpuE3ELNS1_3repE0EEENS1_30default_config_static_selectorELNS0_4arch9wavefront6targetE0EEEvT1_ ; -- Begin function _ZN7rocprim17ROCPRIM_400000_NS6detail17trampoline_kernelINS0_14default_configENS1_25partition_config_selectorILNS1_17partition_subalgoE9EiibEEZZNS1_14partition_implILS5_9ELb0ES3_jN6thrust23THRUST_200600_302600_NS6detail15normal_iteratorINS9_10device_ptrIiEEEESE_PNS0_10empty_typeENS0_5tupleIJSE_SF_EEENSH_IJSE_SG_EEENS0_18inequality_wrapperI22is_equal_div_10_uniqueIiEEEPmJSF_EEE10hipError_tPvRmT3_T4_T5_T6_T7_T9_mT8_P12ihipStream_tbDpT10_ENKUlT_T0_E_clISt17integral_constantIbLb1EES17_IbLb0EEEEDaS13_S14_EUlS13_E_NS1_11comp_targetILNS1_3genE9ELNS1_11target_archE1100ELNS1_3gpuE3ELNS1_3repE0EEENS1_30default_config_static_selectorELNS0_4arch9wavefront6targetE0EEEvT1_
	.globl	_ZN7rocprim17ROCPRIM_400000_NS6detail17trampoline_kernelINS0_14default_configENS1_25partition_config_selectorILNS1_17partition_subalgoE9EiibEEZZNS1_14partition_implILS5_9ELb0ES3_jN6thrust23THRUST_200600_302600_NS6detail15normal_iteratorINS9_10device_ptrIiEEEESE_PNS0_10empty_typeENS0_5tupleIJSE_SF_EEENSH_IJSE_SG_EEENS0_18inequality_wrapperI22is_equal_div_10_uniqueIiEEEPmJSF_EEE10hipError_tPvRmT3_T4_T5_T6_T7_T9_mT8_P12ihipStream_tbDpT10_ENKUlT_T0_E_clISt17integral_constantIbLb1EES17_IbLb0EEEEDaS13_S14_EUlS13_E_NS1_11comp_targetILNS1_3genE9ELNS1_11target_archE1100ELNS1_3gpuE3ELNS1_3repE0EEENS1_30default_config_static_selectorELNS0_4arch9wavefront6targetE0EEEvT1_
	.p2align	8
	.type	_ZN7rocprim17ROCPRIM_400000_NS6detail17trampoline_kernelINS0_14default_configENS1_25partition_config_selectorILNS1_17partition_subalgoE9EiibEEZZNS1_14partition_implILS5_9ELb0ES3_jN6thrust23THRUST_200600_302600_NS6detail15normal_iteratorINS9_10device_ptrIiEEEESE_PNS0_10empty_typeENS0_5tupleIJSE_SF_EEENSH_IJSE_SG_EEENS0_18inequality_wrapperI22is_equal_div_10_uniqueIiEEEPmJSF_EEE10hipError_tPvRmT3_T4_T5_T6_T7_T9_mT8_P12ihipStream_tbDpT10_ENKUlT_T0_E_clISt17integral_constantIbLb1EES17_IbLb0EEEEDaS13_S14_EUlS13_E_NS1_11comp_targetILNS1_3genE9ELNS1_11target_archE1100ELNS1_3gpuE3ELNS1_3repE0EEENS1_30default_config_static_selectorELNS0_4arch9wavefront6targetE0EEEvT1_,@function
_ZN7rocprim17ROCPRIM_400000_NS6detail17trampoline_kernelINS0_14default_configENS1_25partition_config_selectorILNS1_17partition_subalgoE9EiibEEZZNS1_14partition_implILS5_9ELb0ES3_jN6thrust23THRUST_200600_302600_NS6detail15normal_iteratorINS9_10device_ptrIiEEEESE_PNS0_10empty_typeENS0_5tupleIJSE_SF_EEENSH_IJSE_SG_EEENS0_18inequality_wrapperI22is_equal_div_10_uniqueIiEEEPmJSF_EEE10hipError_tPvRmT3_T4_T5_T6_T7_T9_mT8_P12ihipStream_tbDpT10_ENKUlT_T0_E_clISt17integral_constantIbLb1EES17_IbLb0EEEEDaS13_S14_EUlS13_E_NS1_11comp_targetILNS1_3genE9ELNS1_11target_archE1100ELNS1_3gpuE3ELNS1_3repE0EEENS1_30default_config_static_selectorELNS0_4arch9wavefront6targetE0EEEvT1_: ; @_ZN7rocprim17ROCPRIM_400000_NS6detail17trampoline_kernelINS0_14default_configENS1_25partition_config_selectorILNS1_17partition_subalgoE9EiibEEZZNS1_14partition_implILS5_9ELb0ES3_jN6thrust23THRUST_200600_302600_NS6detail15normal_iteratorINS9_10device_ptrIiEEEESE_PNS0_10empty_typeENS0_5tupleIJSE_SF_EEENSH_IJSE_SG_EEENS0_18inequality_wrapperI22is_equal_div_10_uniqueIiEEEPmJSF_EEE10hipError_tPvRmT3_T4_T5_T6_T7_T9_mT8_P12ihipStream_tbDpT10_ENKUlT_T0_E_clISt17integral_constantIbLb1EES17_IbLb0EEEEDaS13_S14_EUlS13_E_NS1_11comp_targetILNS1_3genE9ELNS1_11target_archE1100ELNS1_3gpuE3ELNS1_3repE0EEENS1_30default_config_static_selectorELNS0_4arch9wavefront6targetE0EEEvT1_
; %bb.0:
	s_clause 0x4
	s_load_b128 s[4:7], s[0:1], 0x8
	s_load_b32 s14, s[0:1], 0x68
	s_load_b128 s[16:19], s[0:1], 0x40
	s_load_b64 s[2:3], s[0:1], 0x50
	s_load_b64 s[8:9], s[0:1], 0x18
	s_mov_b32 s21, 0
	s_mul_i32 s20, s15, 0xc00
	v_lshrrev_b32_e32 v18, 3, v0
	v_add_nc_u32_e32 v23, 0x180, v0
	v_add_nc_u32_e32 v22, 0x300, v0
	;; [unrolled: 1-line block ×3, first 2 shown]
	v_or_b32_e32 v24, 0x600, v0
	v_add_nc_u32_e32 v20, 0x780, v0
	v_add_nc_u32_e32 v17, 0x900, v0
	;; [unrolled: 1-line block ×3, first 2 shown]
	s_waitcnt lgkmcnt(0)
	s_lshl_b64 s[12:13], s[6:7], 2
	s_mul_i32 s22, s14, 0xc00
	s_add_u32 s23, s4, s12
	s_addc_u32 s24, s5, s13
	s_add_i32 s4, s22, s6
	s_load_b64 s[10:11], s[18:19], 0x0
	s_sub_i32 s19, s2, s4
	s_add_i32 s14, s14, -1
	s_addk_i32 s19, 0xc00
	s_add_u32 s4, s6, s22
	s_addc_u32 s5, s7, 0
	s_cmp_eq_u32 s15, s14
	v_cmp_ge_u64_e64 s2, s[4:5], s[2:3]
	s_cselect_b32 s14, -1, 0
	s_lshl_b64 s[4:5], s[20:21], 2
	s_mov_b32 s22, -1
	s_delay_alu instid0(VALU_DEP_1) | instskip(NEXT) | instid1(SALU_CYCLE_1)
	s_and_b32 s3, s14, s2
	s_xor_b32 s18, s3, -1
	s_add_u32 s21, s23, s4
	s_addc_u32 s20, s24, s5
	s_and_b32 vcc_lo, exec_lo, s18
	s_cbranch_vccz .LBB458_2
; %bb.1:
	v_lshlrev_b32_e32 v7, 2, v0
	v_lshrrev_b32_e32 v11, 3, v23
	v_lshrrev_b32_e32 v12, 3, v22
	;; [unrolled: 1-line block ×4, first 2 shown]
	v_add_co_u32 v1, s2, s21, v7
	s_delay_alu instid0(VALU_DEP_1) | instskip(SKIP_1) | instid1(VALU_DEP_3)
	v_add_co_ci_u32_e64 v2, null, s20, 0, s2
	v_lshrrev_b32_e32 v15, 3, v20
	v_add_co_u32 v3, vcc_lo, 0x1000, v1
	s_delay_alu instid0(VALU_DEP_3)
	v_add_co_ci_u32_e32 v4, vcc_lo, 0, v2, vcc_lo
	v_add_co_u32 v5, vcc_lo, 0x2000, v1
	v_add_co_ci_u32_e32 v6, vcc_lo, 0, v2, vcc_lo
	s_clause 0x7
	flat_load_b32 v8, v[1:2]
	flat_load_b32 v9, v[1:2] offset:1536
	flat_load_b32 v1, v[1:2] offset:3072
	;; [unrolled: 1-line block ×7, first 2 shown]
	v_and_b32_e32 v6, 60, v18
	v_lshrrev_b32_e32 v16, 3, v17
	v_lshrrev_b32_e32 v19, 3, v21
	v_and_b32_e32 v11, 0x7c, v11
	v_and_b32_e32 v12, 0xfc, v12
	;; [unrolled: 1-line block ×4, first 2 shown]
	v_add_nc_u32_e32 v6, v6, v7
	v_and_b32_e32 v15, 0x1fc, v15
	v_and_b32_e32 v16, 0x17c, v16
	;; [unrolled: 1-line block ×3, first 2 shown]
	v_add_nc_u32_e32 v11, v11, v7
	v_add_nc_u32_e32 v12, v12, v7
	;; [unrolled: 1-line block ×4, first 2 shown]
	s_mov_b32 s22, 0
	v_add_nc_u32_e32 v15, v15, v7
	v_add_nc_u32_e32 v16, v16, v7
	;; [unrolled: 1-line block ×3, first 2 shown]
	s_waitcnt vmcnt(7) lgkmcnt(0)
	ds_store_b32 v6, v8
	s_waitcnt vmcnt(6)
	ds_store_b32 v11, v9 offset:1536
	s_waitcnt vmcnt(5)
	ds_store_b32 v12, v1 offset:3072
	;; [unrolled: 2-line block ×7, first 2 shown]
	s_waitcnt lgkmcnt(0)
	s_barrier
.LBB458_2:
	v_cmp_gt_u32_e64 s2, s19, v0
	s_and_not1_b32 vcc_lo, exec_lo, s22
	s_cbranch_vccnz .LBB458_20
; %bb.3:
                                        ; implicit-def: $vgpr1_vgpr2_vgpr3_vgpr4_vgpr5_vgpr6_vgpr7_vgpr8
	s_delay_alu instid0(VALU_DEP_1)
	s_and_saveexec_b32 s22, s2
	s_cbranch_execz .LBB458_11
; %bb.4:
	v_lshlrev_b32_e32 v1, 2, v0
	s_delay_alu instid0(VALU_DEP_1) | instskip(NEXT) | instid1(VALU_DEP_1)
	v_add_co_u32 v1, s2, s21, v1
	v_add_co_ci_u32_e64 v2, null, s20, 0, s2
	flat_load_b32 v1, v[1:2]
	s_or_b32 exec_lo, exec_lo, s22
	s_delay_alu instid0(SALU_CYCLE_1)
	s_mov_b32 s2, exec_lo
	v_cmpx_gt_u32_e64 s19, v23
	s_cbranch_execnz .LBB458_12
.LBB458_5:
	s_or_b32 exec_lo, exec_lo, s2
	s_delay_alu instid0(SALU_CYCLE_1)
	s_mov_b32 s2, exec_lo
	v_cmpx_gt_u32_e64 s19, v22
	s_cbranch_execz .LBB458_13
.LBB458_6:
	v_lshlrev_b32_e32 v3, 2, v0
	s_delay_alu instid0(VALU_DEP_1) | instskip(NEXT) | instid1(VALU_DEP_1)
	v_add_co_u32 v9, s22, s21, v3
	v_add_co_ci_u32_e64 v10, null, s20, 0, s22
	flat_load_b32 v3, v[9:10] offset:3072
	s_or_b32 exec_lo, exec_lo, s2
	s_delay_alu instid0(SALU_CYCLE_1)
	s_mov_b32 s2, exec_lo
	v_cmpx_gt_u32_e64 s19, v25
	s_cbranch_execnz .LBB458_14
.LBB458_7:
	s_or_b32 exec_lo, exec_lo, s2
	s_delay_alu instid0(SALU_CYCLE_1)
	s_mov_b32 s2, exec_lo
	v_cmpx_gt_u32_e64 s19, v24
	s_cbranch_execz .LBB458_15
.LBB458_8:
	v_lshlrev_b32_e32 v5, 2, v24
	s_delay_alu instid0(VALU_DEP_1) | instskip(NEXT) | instid1(VALU_DEP_1)
	v_add_co_u32 v9, s22, s21, v5
	v_add_co_ci_u32_e64 v10, null, s20, 0, s22
	flat_load_b32 v5, v[9:10]
	s_or_b32 exec_lo, exec_lo, s2
	s_delay_alu instid0(SALU_CYCLE_1)
	s_mov_b32 s2, exec_lo
	v_cmpx_gt_u32_e64 s19, v20
	s_cbranch_execnz .LBB458_16
.LBB458_9:
	s_or_b32 exec_lo, exec_lo, s2
	s_delay_alu instid0(SALU_CYCLE_1)
	s_mov_b32 s2, exec_lo
	v_cmpx_gt_u32_e64 s19, v17
	s_cbranch_execz .LBB458_17
.LBB458_10:
	v_lshlrev_b32_e32 v7, 2, v17
	s_delay_alu instid0(VALU_DEP_1) | instskip(NEXT) | instid1(VALU_DEP_1)
	v_add_co_u32 v9, s22, s21, v7
	v_add_co_ci_u32_e64 v10, null, s20, 0, s22
	flat_load_b32 v7, v[9:10]
	s_or_b32 exec_lo, exec_lo, s2
	s_delay_alu instid0(SALU_CYCLE_1)
	s_mov_b32 s2, exec_lo
	v_cmpx_gt_u32_e64 s19, v21
	s_cbranch_execnz .LBB458_18
	s_branch .LBB458_19
.LBB458_11:
	s_or_b32 exec_lo, exec_lo, s22
	s_delay_alu instid0(SALU_CYCLE_1)
	s_mov_b32 s2, exec_lo
	v_cmpx_gt_u32_e64 s19, v23
	s_cbranch_execz .LBB458_5
.LBB458_12:
	v_lshlrev_b32_e32 v2, 2, v0
	s_delay_alu instid0(VALU_DEP_1) | instskip(NEXT) | instid1(VALU_DEP_1)
	v_add_co_u32 v9, s22, s21, v2
	v_add_co_ci_u32_e64 v10, null, s20, 0, s22
	flat_load_b32 v2, v[9:10] offset:1536
	s_or_b32 exec_lo, exec_lo, s2
	s_delay_alu instid0(SALU_CYCLE_1)
	s_mov_b32 s2, exec_lo
	v_cmpx_gt_u32_e64 s19, v22
	s_cbranch_execnz .LBB458_6
.LBB458_13:
	s_or_b32 exec_lo, exec_lo, s2
	s_delay_alu instid0(SALU_CYCLE_1)
	s_mov_b32 s2, exec_lo
	v_cmpx_gt_u32_e64 s19, v25
	s_cbranch_execz .LBB458_7
.LBB458_14:
	v_lshlrev_b32_e32 v4, 2, v25
	s_delay_alu instid0(VALU_DEP_1) | instskip(NEXT) | instid1(VALU_DEP_1)
	v_add_co_u32 v9, s22, s21, v4
	v_add_co_ci_u32_e64 v10, null, s20, 0, s22
	flat_load_b32 v4, v[9:10]
	s_or_b32 exec_lo, exec_lo, s2
	s_delay_alu instid0(SALU_CYCLE_1)
	s_mov_b32 s2, exec_lo
	v_cmpx_gt_u32_e64 s19, v24
	s_cbranch_execnz .LBB458_8
.LBB458_15:
	s_or_b32 exec_lo, exec_lo, s2
	s_delay_alu instid0(SALU_CYCLE_1)
	s_mov_b32 s2, exec_lo
	v_cmpx_gt_u32_e64 s19, v20
	s_cbranch_execz .LBB458_9
.LBB458_16:
	v_lshlrev_b32_e32 v6, 2, v20
	s_delay_alu instid0(VALU_DEP_1) | instskip(NEXT) | instid1(VALU_DEP_1)
	v_add_co_u32 v9, s22, s21, v6
	v_add_co_ci_u32_e64 v10, null, s20, 0, s22
	flat_load_b32 v6, v[9:10]
	s_or_b32 exec_lo, exec_lo, s2
	s_delay_alu instid0(SALU_CYCLE_1)
	s_mov_b32 s2, exec_lo
	v_cmpx_gt_u32_e64 s19, v17
	s_cbranch_execnz .LBB458_10
.LBB458_17:
	s_or_b32 exec_lo, exec_lo, s2
	s_delay_alu instid0(SALU_CYCLE_1)
	s_mov_b32 s2, exec_lo
	v_cmpx_gt_u32_e64 s19, v21
	s_cbranch_execz .LBB458_19
.LBB458_18:
	v_lshlrev_b32_e32 v8, 2, v21
	s_delay_alu instid0(VALU_DEP_1) | instskip(NEXT) | instid1(VALU_DEP_1)
	v_add_co_u32 v8, s22, s21, v8
	v_add_co_ci_u32_e64 v9, null, s20, 0, s22
	flat_load_b32 v8, v[8:9]
.LBB458_19:
	s_or_b32 exec_lo, exec_lo, s2
	v_lshrrev_b32_e32 v9, 3, v23
	v_lshrrev_b32_e32 v10, 3, v22
	;; [unrolled: 1-line block ×4, first 2 shown]
	v_and_b32_e32 v11, 60, v18
	v_lshlrev_b32_e32 v12, 2, v0
	v_lshrrev_b32_e32 v15, 3, v20
	v_lshrrev_b32_e32 v16, 3, v17
	;; [unrolled: 1-line block ×3, first 2 shown]
	v_and_b32_e32 v9, 0x7c, v9
	v_and_b32_e32 v10, 0xfc, v10
	;; [unrolled: 1-line block ×4, first 2 shown]
	v_add_nc_u32_e32 v11, v11, v12
	v_and_b32_e32 v15, 0x1fc, v15
	v_and_b32_e32 v16, 0x1fc, v16
	;; [unrolled: 1-line block ×3, first 2 shown]
	v_add_nc_u32_e32 v9, v9, v12
	v_add_nc_u32_e32 v10, v10, v12
	;; [unrolled: 1-line block ×7, first 2 shown]
	s_waitcnt vmcnt(0) lgkmcnt(0)
	ds_store_b32 v11, v1
	ds_store_b32 v9, v2 offset:1536
	ds_store_b32 v10, v3 offset:3072
	ds_store_b32 v13, v4 offset:4608
	ds_store_b32 v14, v5 offset:6144
	ds_store_b32 v15, v6 offset:7680
	ds_store_b32 v16, v7 offset:9216
	ds_store_b32 v12, v8 offset:10752
	s_waitcnt lgkmcnt(0)
	s_barrier
.LBB458_20:
	v_lshlrev_b32_e32 v19, 3, v0
	v_lshrrev_b32_e32 v1, 2, v0
	s_waitcnt lgkmcnt(0)
	buffer_gl0_inv
	s_add_u32 s2, s8, s12
	s_addc_u32 s8, s9, s13
	s_add_u32 s2, s2, s4
	v_add_lshl_u32 v1, v1, v19, 2
	s_addc_u32 s4, s8, s5
	s_and_b32 vcc_lo, exec_lo, s18
	s_mov_b32 s5, -1
	ds_load_2addr_b32 v[15:16], v1 offset1:1
	ds_load_2addr_b32 v[13:14], v1 offset0:2 offset1:3
	ds_load_2addr_b32 v[11:12], v1 offset0:4 offset1:5
	;; [unrolled: 1-line block ×3, first 2 shown]
	s_waitcnt lgkmcnt(0)
	s_barrier
	buffer_gl0_inv
	s_cbranch_vccz .LBB458_22
; %bb.21:
	v_lshlrev_b32_e32 v8, 2, v0
	v_lshrrev_b32_e32 v29, 3, v23
	v_lshrrev_b32_e32 v30, 3, v22
	;; [unrolled: 1-line block ×4, first 2 shown]
	v_add_co_u32 v2, s5, s2, v8
	s_delay_alu instid0(VALU_DEP_1) | instskip(SKIP_1) | instid1(VALU_DEP_3)
	v_add_co_ci_u32_e64 v3, null, s4, 0, s5
	v_lshrrev_b32_e32 v33, 3, v20
	v_add_co_u32 v4, vcc_lo, 0x1000, v2
	s_delay_alu instid0(VALU_DEP_3)
	v_add_co_ci_u32_e32 v5, vcc_lo, 0, v3, vcc_lo
	v_add_co_u32 v6, vcc_lo, 0x2000, v2
	v_add_co_ci_u32_e32 v7, vcc_lo, 0, v3, vcc_lo
	s_clause 0x7
	flat_load_b32 v26, v[2:3]
	flat_load_b32 v27, v[2:3] offset:1536
	flat_load_b32 v2, v[2:3] offset:3072
	;; [unrolled: 1-line block ×7, first 2 shown]
	v_and_b32_e32 v7, 60, v18
	v_lshrrev_b32_e32 v34, 3, v17
	v_lshrrev_b32_e32 v35, 3, v21
	v_and_b32_e32 v29, 0x7c, v29
	v_and_b32_e32 v30, 0xfc, v30
	;; [unrolled: 1-line block ×4, first 2 shown]
	v_add_nc_u32_e32 v7, v7, v8
	v_and_b32_e32 v33, 0x1fc, v33
	v_and_b32_e32 v34, 0x17c, v34
	;; [unrolled: 1-line block ×3, first 2 shown]
	v_add_nc_u32_e32 v29, v29, v8
	v_add_nc_u32_e32 v30, v30, v8
	;; [unrolled: 1-line block ×4, first 2 shown]
	s_mov_b32 s5, 0
	v_add_nc_u32_e32 v33, v33, v8
	v_add_nc_u32_e32 v34, v34, v8
	v_add_nc_u32_e32 v8, v35, v8
	s_waitcnt vmcnt(7) lgkmcnt(7)
	ds_store_b32 v7, v26
	s_waitcnt vmcnt(6) lgkmcnt(7)
	ds_store_b32 v29, v27 offset:1536
	s_waitcnt vmcnt(5) lgkmcnt(7)
	ds_store_b32 v30, v2 offset:3072
	;; [unrolled: 2-line block ×7, first 2 shown]
	s_waitcnt lgkmcnt(0)
	s_barrier
.LBB458_22:
	s_and_not1_b32 vcc_lo, exec_lo, s5
	s_cbranch_vccnz .LBB458_40
; %bb.23:
	s_mov_b32 s5, exec_lo
                                        ; implicit-def: $vgpr2
	v_cmpx_gt_u32_e64 s19, v0
	s_cbranch_execz .LBB458_25
; %bb.24:
	v_lshlrev_b32_e32 v2, 2, v0
	s_delay_alu instid0(VALU_DEP_1) | instskip(NEXT) | instid1(VALU_DEP_1)
	v_add_co_u32 v2, s8, s2, v2
	v_add_co_ci_u32_e64 v3, null, s4, 0, s8
	flat_load_b32 v2, v[2:3]
.LBB458_25:
	s_or_b32 exec_lo, exec_lo, s5
	s_delay_alu instid0(SALU_CYCLE_1)
	s_mov_b32 s5, exec_lo
                                        ; implicit-def: $vgpr3
	v_cmpx_gt_u32_e64 s19, v23
	s_cbranch_execz .LBB458_27
; %bb.26:
	v_lshlrev_b32_e32 v3, 2, v0
	s_delay_alu instid0(VALU_DEP_1) | instskip(NEXT) | instid1(VALU_DEP_1)
	v_add_co_u32 v3, s8, s2, v3
	v_add_co_ci_u32_e64 v4, null, s4, 0, s8
	flat_load_b32 v3, v[3:4] offset:1536
.LBB458_27:
	s_or_b32 exec_lo, exec_lo, s5
	s_delay_alu instid0(SALU_CYCLE_1)
	s_mov_b32 s5, exec_lo
                                        ; implicit-def: $vgpr4
	v_cmpx_gt_u32_e64 s19, v22
	s_cbranch_execz .LBB458_29
; %bb.28:
	v_lshlrev_b32_e32 v4, 2, v0
	s_delay_alu instid0(VALU_DEP_1) | instskip(NEXT) | instid1(VALU_DEP_1)
	v_add_co_u32 v4, s8, s2, v4
	v_add_co_ci_u32_e64 v5, null, s4, 0, s8
	flat_load_b32 v4, v[4:5] offset:3072
.LBB458_29:
	s_or_b32 exec_lo, exec_lo, s5
	s_delay_alu instid0(SALU_CYCLE_1)
	s_mov_b32 s5, exec_lo
                                        ; implicit-def: $vgpr5
	v_cmpx_gt_u32_e64 s19, v25
	s_cbranch_execz .LBB458_31
; %bb.30:
	v_lshlrev_b32_e32 v5, 2, v25
	s_delay_alu instid0(VALU_DEP_1) | instskip(NEXT) | instid1(VALU_DEP_1)
	v_add_co_u32 v5, s8, s2, v5
	v_add_co_ci_u32_e64 v6, null, s4, 0, s8
	flat_load_b32 v5, v[5:6]
.LBB458_31:
	s_or_b32 exec_lo, exec_lo, s5
	s_delay_alu instid0(SALU_CYCLE_1)
	s_mov_b32 s5, exec_lo
                                        ; implicit-def: $vgpr6
	v_cmpx_gt_u32_e64 s19, v24
	s_cbranch_execz .LBB458_33
; %bb.32:
	v_lshlrev_b32_e32 v6, 2, v24
	s_delay_alu instid0(VALU_DEP_1) | instskip(NEXT) | instid1(VALU_DEP_1)
	v_add_co_u32 v6, s8, s2, v6
	v_add_co_ci_u32_e64 v7, null, s4, 0, s8
	flat_load_b32 v6, v[6:7]
.LBB458_33:
	s_or_b32 exec_lo, exec_lo, s5
	s_delay_alu instid0(SALU_CYCLE_1)
	s_mov_b32 s5, exec_lo
                                        ; implicit-def: $vgpr7
	v_cmpx_gt_u32_e64 s19, v20
	s_cbranch_execz .LBB458_35
; %bb.34:
	v_lshlrev_b32_e32 v7, 2, v20
	s_delay_alu instid0(VALU_DEP_1) | instskip(NEXT) | instid1(VALU_DEP_1)
	v_add_co_u32 v7, s8, s2, v7
	v_add_co_ci_u32_e64 v8, null, s4, 0, s8
	flat_load_b32 v7, v[7:8]
.LBB458_35:
	s_or_b32 exec_lo, exec_lo, s5
	s_delay_alu instid0(SALU_CYCLE_1)
	s_mov_b32 s5, exec_lo
                                        ; implicit-def: $vgpr8
	v_cmpx_gt_u32_e64 s19, v17
	s_cbranch_execz .LBB458_37
; %bb.36:
	v_lshlrev_b32_e32 v8, 2, v17
	s_delay_alu instid0(VALU_DEP_1) | instskip(NEXT) | instid1(VALU_DEP_1)
	v_add_co_u32 v26, s8, s2, v8
	v_add_co_ci_u32_e64 v27, null, s4, 0, s8
	flat_load_b32 v8, v[26:27]
.LBB458_37:
	s_or_b32 exec_lo, exec_lo, s5
	s_delay_alu instid0(SALU_CYCLE_1)
	s_mov_b32 s5, exec_lo
                                        ; implicit-def: $vgpr26
	v_cmpx_gt_u32_e64 s19, v21
	s_cbranch_execz .LBB458_39
; %bb.38:
	v_lshlrev_b32_e32 v26, 2, v21
	s_delay_alu instid0(VALU_DEP_1) | instskip(NEXT) | instid1(VALU_DEP_1)
	v_add_co_u32 v26, s2, s2, v26
	v_add_co_ci_u32_e64 v27, null, s4, 0, s2
	flat_load_b32 v26, v[26:27]
.LBB458_39:
	s_or_b32 exec_lo, exec_lo, s5
	v_lshrrev_b32_e32 v23, 3, v23
	v_lshrrev_b32_e32 v22, 3, v22
	;; [unrolled: 1-line block ×4, first 2 shown]
	v_and_b32_e32 v18, 60, v18
	v_lshlrev_b32_e32 v27, 2, v0
	v_lshrrev_b32_e32 v20, 3, v20
	v_lshrrev_b32_e32 v17, 3, v17
	;; [unrolled: 1-line block ×3, first 2 shown]
	v_and_b32_e32 v23, 0x7c, v23
	v_and_b32_e32 v22, 0xfc, v22
	;; [unrolled: 1-line block ×4, first 2 shown]
	v_add_nc_u32_e32 v18, v18, v27
	v_and_b32_e32 v20, 0x1fc, v20
	v_and_b32_e32 v17, 0x1fc, v17
	;; [unrolled: 1-line block ×3, first 2 shown]
	v_add_nc_u32_e32 v23, v23, v27
	v_add_nc_u32_e32 v22, v22, v27
	;; [unrolled: 1-line block ×7, first 2 shown]
	s_waitcnt vmcnt(0) lgkmcnt(0)
	ds_store_b32 v18, v2
	ds_store_b32 v23, v3 offset:1536
	ds_store_b32 v22, v4 offset:3072
	;; [unrolled: 1-line block ×7, first 2 shown]
	s_waitcnt lgkmcnt(0)
	s_barrier
.LBB458_40:
	buffer_gl0_inv
	ds_load_2addr_b32 v[7:8], v1 offset1:1
	ds_load_2addr_b32 v[5:6], v1 offset0:2 offset1:3
	ds_load_2addr_b32 v[3:4], v1 offset0:4 offset1:5
	ds_load_2addr_b32 v[1:2], v1 offset0:6 offset1:7
	s_cmp_lg_u32 s15, 0
	s_waitcnt lgkmcnt(0)
	s_cselect_b32 s8, -1, 0
	s_cmp_lg_u64 s[6:7], 0
	s_barrier
	s_cselect_b32 s2, -1, 0
	buffer_gl0_inv
	s_or_b32 s2, s8, s2
	s_delay_alu instid0(SALU_CYCLE_1)
	s_and_b32 vcc_lo, exec_lo, s2
	s_mov_b32 s2, 0
	s_cbranch_vccz .LBB458_45
; %bb.41:
	v_add_co_u32 v17, s2, -4, s21
	s_delay_alu instid0(VALU_DEP_1)
	v_add_co_ci_u32_e64 v18, null, -1, s20, s2
	v_lshlrev_b32_e32 v21, 2, v0
	s_mov_b32 s2, -1
	s_and_b32 vcc_lo, exec_lo, s18
	flat_load_b32 v20, v[17:18]
	ds_store_b32 v21, v10
	s_cbranch_vccz .LBB458_46
; %bb.42:
	s_waitcnt vmcnt(0) lgkmcnt(1)
	v_mov_b32_e32 v17, v20
	s_mov_b32 s2, 0
	s_mov_b32 s4, exec_lo
	s_waitcnt lgkmcnt(0)
	s_barrier
	buffer_gl0_inv
	v_cmpx_ne_u32_e32 0, v0
	s_cbranch_execz .LBB458_44
; %bb.43:
	v_add_nc_u32_e32 v17, -4, v21
	ds_load_b32 v17, v17
.LBB458_44:
	s_or_b32 exec_lo, exec_lo, s4
	v_mul_hi_i32 v18, 0x66666667, v9
	v_mul_hi_i32 v22, 0x66666667, v10
	v_mul_hi_i32 v23, 0x66666667, v12
	v_mul_hi_i32 v24, 0x66666667, v11
	v_mul_hi_i32 v25, 0x66666667, v14
	s_waitcnt lgkmcnt(0)
	v_mul_hi_i32 v17, 0x66666667, v17
	v_lshrrev_b32_e32 v26, 31, v18
	v_ashrrev_i32_e32 v18, 2, v18
	v_lshrrev_b32_e32 v27, 31, v22
	v_ashrrev_i32_e32 v22, 2, v22
	;; [unrolled: 2-line block ×3, first 2 shown]
	v_add_nc_u32_e32 v18, v18, v26
	v_lshrrev_b32_e32 v29, 31, v24
	v_add_nc_u32_e32 v22, v22, v27
	v_ashrrev_i32_e32 v24, 2, v24
	v_add_nc_u32_e32 v23, v23, v28
	v_mul_hi_i32 v27, 0x66666667, v13
	v_lshrrev_b32_e32 v26, 31, v25
	v_cmp_ne_u32_e32 vcc_lo, v18, v22
	v_add_nc_u32_e32 v24, v24, v29
	v_ashrrev_i32_e32 v25, 2, v25
	v_mul_hi_i32 v28, 0x66666667, v16
	v_mul_hi_i32 v29, 0x66666667, v15
	v_cndmask_b32_e64 v22, 0, 1, vcc_lo
	v_cmp_ne_u32_e32 vcc_lo, v23, v18
	v_add_nc_u32_e32 v25, v25, v26
	v_lshrrev_b32_e32 v26, 31, v27
	v_ashrrev_i32_e32 v27, 2, v27
	v_lshlrev_b16 v22, 8, v22
	v_cndmask_b32_e64 v18, 0, 1, vcc_lo
	v_cmp_ne_u32_e32 vcc_lo, v24, v23
	v_lshrrev_b32_e32 v30, 31, v28
	v_ashrrev_i32_e32 v28, 2, v28
	v_add_nc_u32_e32 v26, v27, v26
	v_lshrrev_b32_e32 v31, 31, v29
	v_cndmask_b32_e64 v23, 0, 1, vcc_lo
	v_cmp_ne_u32_e32 vcc_lo, v25, v24
	v_ashrrev_i32_e32 v29, 2, v29
	v_add_nc_u32_e32 v27, v28, v30
	v_or_b32_e32 v18, v18, v22
	v_lshlrev_b16 v23, 8, v23
	v_cndmask_b32_e64 v24, 0, 1, vcc_lo
	v_cmp_ne_u32_e32 vcc_lo, v26, v25
	v_add_nc_u32_e32 v28, v29, v31
	v_lshrrev_b32_e32 v29, 31, v17
	v_ashrrev_i32_e32 v17, 2, v17
	v_or_b32_e32 v23, v24, v23
	v_cndmask_b32_e64 v25, 0, 1, vcc_lo
	v_cmp_ne_u32_e32 vcc_lo, v27, v26
	v_lshlrev_b32_e32 v18, 16, v18
	v_add_nc_u32_e32 v17, v17, v29
	v_and_b32_e32 v23, 0xffff, v23
	v_lshlrev_b16 v25, 8, v25
	v_cndmask_b32_e64 v26, 0, 1, vcc_lo
	v_cmp_ne_u32_e32 vcc_lo, v28, v27
	v_cmp_ne_u32_e64 s4, v17, v28
	v_or_b32_e32 v18, v23, v18
	s_delay_alu instid0(VALU_DEP_4) | instskip(SKIP_1) | instid1(VALU_DEP_2)
	v_or_b32_e32 v25, v26, v25
	v_cndmask_b32_e64 v27, 0, 1, vcc_lo
	v_lshlrev_b32_e32 v22, 16, v25
	s_delay_alu instid0(VALU_DEP_2) | instskip(NEXT) | instid1(VALU_DEP_1)
	v_lshlrev_b16 v26, 8, v27
	v_and_b32_e32 v24, 0xffff, v26
	s_delay_alu instid0(VALU_DEP_1)
	v_or_b32_e32 v17, v24, v22
	s_and_b32 vcc_lo, exec_lo, s2
	s_cbranch_vccnz .LBB458_47
	s_branch .LBB458_66
.LBB458_45:
                                        ; implicit-def: $sgpr4
                                        ; implicit-def: $vgpr18
	s_branch .LBB458_67
.LBB458_46:
                                        ; implicit-def: $sgpr4
                                        ; implicit-def: $vgpr18
	s_and_b32 vcc_lo, exec_lo, s2
	s_cbranch_vccz .LBB458_66
.LBB458_47:
	v_or_b32_e32 v17, 7, v19
	s_mov_b32 s2, 0
	s_mov_b32 s4, 0
	s_mov_b32 s5, exec_lo
	s_delay_alu instid0(VALU_DEP_1)
	v_cmpx_gt_u32_e64 s19, v17
; %bb.48:
	v_mul_hi_i32 v17, 0x66666667, v9
	v_mul_hi_i32 v18, 0x66666667, v10
	s_delay_alu instid0(VALU_DEP_2) | instskip(SKIP_1) | instid1(VALU_DEP_3)
	v_lshrrev_b32_e32 v22, 31, v17
	v_ashrrev_i32_e32 v17, 2, v17
	v_lshrrev_b32_e32 v23, 31, v18
	v_ashrrev_i32_e32 v18, 2, v18
	s_delay_alu instid0(VALU_DEP_3) | instskip(NEXT) | instid1(VALU_DEP_2)
	v_add_nc_u32_e32 v17, v17, v22
	v_add_nc_u32_e32 v18, v18, v23
	s_delay_alu instid0(VALU_DEP_1)
	v_cmp_ne_u32_e32 vcc_lo, v17, v18
	s_and_b32 s4, vcc_lo, exec_lo
; %bb.49:
	s_or_b32 exec_lo, exec_lo, s5
	v_or_b32_e32 v17, 6, v19
	s_mov_b32 s5, exec_lo
	s_delay_alu instid0(VALU_DEP_1)
	v_cmpx_gt_u32_e64 s19, v17
; %bb.50:
	v_mul_hi_i32 v17, 0x66666667, v12
	v_mul_hi_i32 v18, 0x66666667, v9
	s_delay_alu instid0(VALU_DEP_2) | instskip(SKIP_1) | instid1(VALU_DEP_3)
	v_lshrrev_b32_e32 v22, 31, v17
	v_ashrrev_i32_e32 v17, 2, v17
	v_lshrrev_b32_e32 v23, 31, v18
	v_ashrrev_i32_e32 v18, 2, v18
	s_delay_alu instid0(VALU_DEP_3) | instskip(NEXT) | instid1(VALU_DEP_2)
	v_add_nc_u32_e32 v17, v17, v22
	v_add_nc_u32_e32 v18, v18, v23
	s_delay_alu instid0(VALU_DEP_1)
	v_cmp_ne_u32_e32 vcc_lo, v17, v18
	s_and_b32 s2, vcc_lo, exec_lo
; %bb.51:
	s_or_b32 exec_lo, exec_lo, s5
	v_or_b32_e32 v17, 5, v19
	s_mov_b32 s6, 0
	s_mov_b32 s5, 0
	s_mov_b32 s7, exec_lo
	s_delay_alu instid0(VALU_DEP_1)
	v_cmpx_gt_u32_e64 s19, v17
; %bb.52:
	v_mul_hi_i32 v17, 0x66666667, v11
	v_mul_hi_i32 v18, 0x66666667, v12
	s_delay_alu instid0(VALU_DEP_2) | instskip(SKIP_1) | instid1(VALU_DEP_3)
	v_lshrrev_b32_e32 v22, 31, v17
	v_ashrrev_i32_e32 v17, 2, v17
	v_lshrrev_b32_e32 v23, 31, v18
	v_ashrrev_i32_e32 v18, 2, v18
	s_delay_alu instid0(VALU_DEP_3) | instskip(NEXT) | instid1(VALU_DEP_2)
	v_add_nc_u32_e32 v17, v17, v22
	v_add_nc_u32_e32 v18, v18, v23
	s_delay_alu instid0(VALU_DEP_1)
	v_cmp_ne_u32_e32 vcc_lo, v17, v18
	s_and_b32 s5, vcc_lo, exec_lo
; %bb.53:
	s_or_b32 exec_lo, exec_lo, s7
	v_or_b32_e32 v17, 4, v19
	s_mov_b32 s7, exec_lo
	s_delay_alu instid0(VALU_DEP_1)
	v_cmpx_gt_u32_e64 s19, v17
; %bb.54:
	v_mul_hi_i32 v17, 0x66666667, v14
	v_mul_hi_i32 v18, 0x66666667, v11
	s_delay_alu instid0(VALU_DEP_2) | instskip(SKIP_1) | instid1(VALU_DEP_3)
	v_lshrrev_b32_e32 v22, 31, v17
	v_ashrrev_i32_e32 v17, 2, v17
	v_lshrrev_b32_e32 v23, 31, v18
	v_ashrrev_i32_e32 v18, 2, v18
	s_delay_alu instid0(VALU_DEP_3) | instskip(NEXT) | instid1(VALU_DEP_2)
	v_add_nc_u32_e32 v17, v17, v22
	v_add_nc_u32_e32 v18, v18, v23
	s_delay_alu instid0(VALU_DEP_1)
	v_cmp_ne_u32_e32 vcc_lo, v17, v18
	s_and_b32 s6, vcc_lo, exec_lo
; %bb.55:
	s_or_b32 exec_lo, exec_lo, s7
	v_or_b32_e32 v17, 3, v19
	s_mov_b32 s9, 0
	s_mov_b32 s7, 0
	s_mov_b32 s12, exec_lo
	s_delay_alu instid0(VALU_DEP_1)
	v_cmpx_gt_u32_e64 s19, v17
; %bb.56:
	v_mul_hi_i32 v17, 0x66666667, v13
	v_mul_hi_i32 v18, 0x66666667, v14
	s_delay_alu instid0(VALU_DEP_2) | instskip(SKIP_1) | instid1(VALU_DEP_3)
	v_lshrrev_b32_e32 v22, 31, v17
	v_ashrrev_i32_e32 v17, 2, v17
	v_lshrrev_b32_e32 v23, 31, v18
	v_ashrrev_i32_e32 v18, 2, v18
	s_delay_alu instid0(VALU_DEP_3) | instskip(NEXT) | instid1(VALU_DEP_2)
	v_add_nc_u32_e32 v17, v17, v22
	v_add_nc_u32_e32 v18, v18, v23
	s_delay_alu instid0(VALU_DEP_1)
	v_cmp_ne_u32_e32 vcc_lo, v17, v18
	s_and_b32 s7, vcc_lo, exec_lo
; %bb.57:
	s_or_b32 exec_lo, exec_lo, s12
	v_or_b32_e32 v17, 2, v19
	s_mov_b32 s12, exec_lo
	s_delay_alu instid0(VALU_DEP_1)
	v_cmpx_gt_u32_e64 s19, v17
; %bb.58:
	v_mul_hi_i32 v17, 0x66666667, v16
	v_mul_hi_i32 v18, 0x66666667, v13
	s_delay_alu instid0(VALU_DEP_2) | instskip(SKIP_1) | instid1(VALU_DEP_3)
	v_lshrrev_b32_e32 v22, 31, v17
	v_ashrrev_i32_e32 v17, 2, v17
	v_lshrrev_b32_e32 v23, 31, v18
	v_ashrrev_i32_e32 v18, 2, v18
	s_delay_alu instid0(VALU_DEP_3) | instskip(NEXT) | instid1(VALU_DEP_2)
	v_add_nc_u32_e32 v17, v17, v22
	v_add_nc_u32_e32 v18, v18, v23
	s_delay_alu instid0(VALU_DEP_1)
	v_cmp_ne_u32_e32 vcc_lo, v17, v18
	s_and_b32 s9, vcc_lo, exec_lo
; %bb.59:
	s_or_b32 exec_lo, exec_lo, s12
	v_or_b32_e32 v17, 1, v19
	s_mov_b32 s12, 0
	s_mov_b32 s13, exec_lo
	s_delay_alu instid0(VALU_DEP_1)
	v_cmpx_gt_u32_e64 s19, v17
; %bb.60:
	v_mul_hi_i32 v17, 0x66666667, v15
	v_mul_hi_i32 v18, 0x66666667, v16
	s_delay_alu instid0(VALU_DEP_2) | instskip(SKIP_1) | instid1(VALU_DEP_3)
	v_lshrrev_b32_e32 v22, 31, v17
	v_ashrrev_i32_e32 v17, 2, v17
	v_lshrrev_b32_e32 v23, 31, v18
	v_ashrrev_i32_e32 v18, 2, v18
	s_delay_alu instid0(VALU_DEP_3) | instskip(NEXT) | instid1(VALU_DEP_2)
	v_add_nc_u32_e32 v17, v17, v22
	v_add_nc_u32_e32 v18, v18, v23
	s_delay_alu instid0(VALU_DEP_1)
	v_cmp_ne_u32_e32 vcc_lo, v17, v18
	s_and_b32 s12, vcc_lo, exec_lo
; %bb.61:
	s_or_b32 exec_lo, exec_lo, s13
	s_delay_alu instid0(SALU_CYCLE_1)
	s_mov_b32 s13, exec_lo
	s_waitcnt vmcnt(0) lgkmcnt(0)
	s_barrier
	buffer_gl0_inv
	v_cmpx_ne_u32_e32 0, v0
	s_cbranch_execz .LBB458_63
; %bb.62:
	v_add_nc_u32_e32 v17, -4, v21
	ds_load_b32 v20, v17
.LBB458_63:
	s_or_b32 exec_lo, exec_lo, s13
	v_cndmask_b32_e64 v18, 0, 1, s7
	v_cndmask_b32_e64 v22, 0, 1, s5
	;; [unrolled: 1-line block ×7, first 2 shown]
	v_lshlrev_b16 v18, 8, v18
	v_lshlrev_b16 v22, 8, v22
	;; [unrolled: 1-line block ×3, first 2 shown]
	s_mov_b32 s4, 0
	v_lshlrev_b16 v25, 8, v25
	v_or_b32_e32 v18, v17, v18
	v_or_b32_e32 v21, v21, v22
	;; [unrolled: 1-line block ×3, first 2 shown]
	s_mov_b32 s2, exec_lo
	v_and_b32_e32 v17, 0xffff, v25
	v_lshlrev_b32_e32 v18, 16, v18
	v_and_b32_e32 v21, 0xffff, v21
	v_lshlrev_b32_e32 v22, 16, v22
	v_cmpx_gt_u32_e64 s19, v19
	s_cbranch_execz .LBB458_65
; %bb.64:
	s_waitcnt lgkmcnt(0)
	v_mul_hi_i32 v20, 0x66666667, v20
	v_mul_hi_i32 v23, 0x66666667, v15
	s_delay_alu instid0(VALU_DEP_2) | instskip(SKIP_1) | instid1(VALU_DEP_3)
	v_lshrrev_b32_e32 v24, 31, v20
	v_ashrrev_i32_e32 v20, 2, v20
	v_lshrrev_b32_e32 v25, 31, v23
	v_ashrrev_i32_e32 v23, 2, v23
	s_delay_alu instid0(VALU_DEP_3) | instskip(NEXT) | instid1(VALU_DEP_2)
	v_add_nc_u32_e32 v20, v20, v24
	v_add_nc_u32_e32 v23, v23, v25
	s_delay_alu instid0(VALU_DEP_1)
	v_cmp_ne_u32_e32 vcc_lo, v20, v23
	s_and_b32 s4, vcc_lo, exec_lo
.LBB458_65:
	s_or_b32 exec_lo, exec_lo, s2
	v_or_b32_e32 v17, v17, v18
	v_or_b32_e32 v18, v21, v22
.LBB458_66:
	s_mov_b32 s2, -1
	s_cbranch_execnz .LBB458_91
.LBB458_67:
	v_mul_hi_i32 v26, 0x66666667, v9
	v_mul_hi_i32 v25, 0x66666667, v12
	;; [unrolled: 1-line block ×6, first 2 shown]
	s_waitcnt vmcnt(0) lgkmcnt(0)
	v_lshlrev_b32_e32 v20, 2, v0
	s_and_b32 vcc_lo, exec_lo, s18
	ds_store_b32 v20, v10
	s_cbranch_vccz .LBB458_71
; %bb.68:
	v_mul_hi_i32 v17, 0x66666667, v10
	v_lshrrev_b32_e32 v18, 31, v26
	v_ashrrev_i32_e32 v27, 2, v26
	v_lshrrev_b32_e32 v28, 31, v25
	v_ashrrev_i32_e32 v29, 2, v25
	;; [unrolled: 2-line block ×3, first 2 shown]
	v_add_nc_u32_e32 v18, v27, v18
	v_lshrrev_b32_e32 v31, 31, v17
	v_ashrrev_i32_e32 v17, 2, v17
	v_add_nc_u32_e32 v27, v29, v28
	v_lshrrev_b32_e32 v28, 31, v23
	v_ashrrev_i32_e32 v29, 2, v23
	v_ashrrev_i32_e32 v34, 2, v21
	v_add_nc_u32_e32 v17, v17, v31
	v_cmp_ne_u32_e32 vcc_lo, v27, v18
	v_mul_hi_i32 v31, 0x66666667, v15
	v_add_nc_u32_e32 v28, v29, v28
	v_lshrrev_b32_e32 v29, 31, v22
	s_mov_b32 s5, 0
	v_cndmask_b32_e64 v33, 0, 1, vcc_lo
	v_cmp_ne_u32_e32 vcc_lo, v18, v17
	v_add_nc_u32_e32 v18, v32, v30
	v_ashrrev_i32_e32 v30, 2, v22
	v_lshrrev_b32_e32 v32, 31, v21
	v_lshrrev_b32_e32 v35, 31, v31
	v_cndmask_b32_e64 v17, 0, 1, vcc_lo
	v_cmp_ne_u32_e32 vcc_lo, v18, v27
	v_ashrrev_i32_e32 v31, 2, v31
	v_add_nc_u32_e32 v29, v30, v29
	v_add_nc_u32_e32 v30, v34, v32
	v_lshlrev_b16 v17, 8, v17
	v_cndmask_b32_e64 v36, 0, 1, vcc_lo
	v_cmp_ne_u32_e32 vcc_lo, v28, v18
	v_add_nc_u32_e32 v27, v31, v35
	s_mov_b32 s6, exec_lo
	v_or_b32_e32 v17, v33, v17
	s_waitcnt lgkmcnt(0)
	v_cndmask_b32_e64 v18, 0, 1, vcc_lo
	v_cmp_ne_u32_e32 vcc_lo, v29, v28
	s_barrier
	v_lshlrev_b32_e32 v17, 16, v17
	buffer_gl0_inv
                                        ; implicit-def: $sgpr4
	v_cndmask_b32_e64 v28, 0, 1, vcc_lo
	v_cmp_ne_u32_e32 vcc_lo, v27, v30
	s_delay_alu instid0(VALU_DEP_2) | instskip(SKIP_3) | instid1(VALU_DEP_3)
	v_lshlrev_b16 v28, 8, v28
	v_cndmask_b32_e64 v31, 0, 1, vcc_lo
	v_cmp_ne_u32_e32 vcc_lo, v30, v29
	v_lshlrev_b16 v30, 8, v36
	v_lshlrev_b16 v31, 8, v31
	v_cndmask_b32_e64 v29, 0, 1, vcc_lo
	s_delay_alu instid0(VALU_DEP_3) | instskip(NEXT) | instid1(VALU_DEP_2)
	v_or_b32_e32 v18, v18, v30
	v_or_b32_e32 v28, v29, v28
	s_delay_alu instid0(VALU_DEP_4) | instskip(NEXT) | instid1(VALU_DEP_3)
	v_or_b32_e32 v29, 1, v31
	v_and_b32_e32 v18, 0xffff, v18
	s_delay_alu instid0(VALU_DEP_3) | instskip(NEXT) | instid1(VALU_DEP_3)
	v_lshlrev_b32_e32 v28, 16, v28
	v_and_b32_e32 v29, 0xffff, v29
	s_delay_alu instid0(VALU_DEP_3) | instskip(NEXT) | instid1(VALU_DEP_2)
	v_or_b32_e32 v18, v18, v17
	v_or_b32_e32 v17, v29, v28
	v_cmpx_ne_u32_e32 0, v0
	s_xor_b32 s6, exec_lo, s6
	s_cbranch_execz .LBB458_70
; %bb.69:
	v_add_nc_u32_e32 v28, -4, v20
	s_or_b32 s2, s2, exec_lo
	ds_load_b32 v28, v28
	s_waitcnt lgkmcnt(0)
	v_mul_hi_i32 v28, 0x66666667, v28
	s_delay_alu instid0(VALU_DEP_1) | instskip(SKIP_1) | instid1(VALU_DEP_1)
	v_lshrrev_b32_e32 v29, 31, v28
	v_ashrrev_i32_e32 v28, 2, v28
	v_add_nc_u32_e32 v28, v28, v29
	s_delay_alu instid0(VALU_DEP_1)
	v_cmp_ne_u32_e32 vcc_lo, v28, v27
	s_and_b32 s4, vcc_lo, exec_lo
.LBB458_70:
	s_or_b32 exec_lo, exec_lo, s6
	s_delay_alu instid0(SALU_CYCLE_1)
	s_and_b32 vcc_lo, exec_lo, s5
	s_cbranch_vccnz .LBB458_72
	s_branch .LBB458_91
.LBB458_71:
                                        ; implicit-def: $sgpr4
                                        ; implicit-def: $vgpr18
	s_cbranch_execz .LBB458_91
.LBB458_72:
	v_or_b32_e32 v17, 7, v19
	s_mov_b32 s4, 0
	s_mov_b32 s5, 0
	s_mov_b32 s6, exec_lo
	s_delay_alu instid0(VALU_DEP_1)
	v_cmpx_gt_u32_e64 s19, v17
; %bb.73:
	v_mul_hi_i32 v17, 0x66666667, v10
	v_lshrrev_b32_e32 v18, 31, v26
	v_ashrrev_i32_e32 v27, 2, v26
	s_delay_alu instid0(VALU_DEP_1) | instskip(NEXT) | instid1(VALU_DEP_4)
	v_add_nc_u32_e32 v18, v27, v18
	v_lshrrev_b32_e32 v28, 31, v17
	v_ashrrev_i32_e32 v17, 2, v17
	s_delay_alu instid0(VALU_DEP_1) | instskip(NEXT) | instid1(VALU_DEP_1)
	v_add_nc_u32_e32 v17, v17, v28
	v_cmp_ne_u32_e32 vcc_lo, v18, v17
	s_and_b32 s5, vcc_lo, exec_lo
; %bb.74:
	s_or_b32 exec_lo, exec_lo, s6
	v_or_b32_e32 v17, 6, v19
	s_mov_b32 s6, exec_lo
	s_delay_alu instid0(VALU_DEP_1)
	v_cmpx_gt_u32_e64 s19, v17
; %bb.75:
	v_lshrrev_b32_e32 v17, 31, v25
	v_ashrrev_i32_e32 v18, 2, v25
	v_lshrrev_b32_e32 v27, 31, v26
	v_ashrrev_i32_e32 v26, 2, v26
	s_delay_alu instid0(VALU_DEP_3) | instskip(NEXT) | instid1(VALU_DEP_2)
	v_add_nc_u32_e32 v17, v18, v17
	v_add_nc_u32_e32 v18, v26, v27
	s_delay_alu instid0(VALU_DEP_1)
	v_cmp_ne_u32_e32 vcc_lo, v17, v18
	s_and_b32 s4, vcc_lo, exec_lo
; %bb.76:
	s_or_b32 exec_lo, exec_lo, s6
	v_or_b32_e32 v17, 5, v19
	s_mov_b32 s6, 0
	s_mov_b32 s7, 0
	s_mov_b32 s9, exec_lo
	s_delay_alu instid0(VALU_DEP_1)
	v_cmpx_gt_u32_e64 s19, v17
; %bb.77:
	v_lshrrev_b32_e32 v17, 31, v24
	v_ashrrev_i32_e32 v18, 2, v24
	v_lshrrev_b32_e32 v26, 31, v25
	v_ashrrev_i32_e32 v25, 2, v25
	s_delay_alu instid0(VALU_DEP_3) | instskip(NEXT) | instid1(VALU_DEP_2)
	v_add_nc_u32_e32 v17, v18, v17
	v_add_nc_u32_e32 v18, v25, v26
	s_delay_alu instid0(VALU_DEP_1)
	v_cmp_ne_u32_e32 vcc_lo, v17, v18
	s_and_b32 s7, vcc_lo, exec_lo
; %bb.78:
	s_or_b32 exec_lo, exec_lo, s9
	v_or_b32_e32 v17, 4, v19
	s_mov_b32 s9, exec_lo
	s_delay_alu instid0(VALU_DEP_1)
	v_cmpx_gt_u32_e64 s19, v17
; %bb.79:
	v_lshrrev_b32_e32 v17, 31, v23
	v_ashrrev_i32_e32 v18, 2, v23
	v_lshrrev_b32_e32 v25, 31, v24
	v_ashrrev_i32_e32 v24, 2, v24
	s_delay_alu instid0(VALU_DEP_3) | instskip(NEXT) | instid1(VALU_DEP_2)
	v_add_nc_u32_e32 v17, v18, v17
	v_add_nc_u32_e32 v18, v24, v25
	s_delay_alu instid0(VALU_DEP_1)
	v_cmp_ne_u32_e32 vcc_lo, v17, v18
	s_and_b32 s6, vcc_lo, exec_lo
; %bb.80:
	s_or_b32 exec_lo, exec_lo, s9
	v_or_b32_e32 v17, 3, v19
	s_mov_b32 s12, 0
	s_mov_b32 s9, 0
	s_mov_b32 s13, exec_lo
	s_delay_alu instid0(VALU_DEP_1)
	v_cmpx_gt_u32_e64 s19, v17
; %bb.81:
	v_lshrrev_b32_e32 v17, 31, v22
	v_ashrrev_i32_e32 v18, 2, v22
	v_lshrrev_b32_e32 v24, 31, v23
	v_ashrrev_i32_e32 v23, 2, v23
	s_delay_alu instid0(VALU_DEP_3) | instskip(NEXT) | instid1(VALU_DEP_2)
	v_add_nc_u32_e32 v17, v18, v17
	v_add_nc_u32_e32 v18, v23, v24
	s_delay_alu instid0(VALU_DEP_1)
	v_cmp_ne_u32_e32 vcc_lo, v17, v18
	s_and_b32 s9, vcc_lo, exec_lo
; %bb.82:
	s_or_b32 exec_lo, exec_lo, s13
	v_or_b32_e32 v17, 2, v19
	s_mov_b32 s13, exec_lo
	s_delay_alu instid0(VALU_DEP_1)
	v_cmpx_gt_u32_e64 s19, v17
; %bb.83:
	v_lshrrev_b32_e32 v17, 31, v21
	v_ashrrev_i32_e32 v18, 2, v21
	v_lshrrev_b32_e32 v23, 31, v22
	v_ashrrev_i32_e32 v22, 2, v22
	s_delay_alu instid0(VALU_DEP_3) | instskip(NEXT) | instid1(VALU_DEP_2)
	v_add_nc_u32_e32 v17, v18, v17
	v_add_nc_u32_e32 v18, v22, v23
	s_delay_alu instid0(VALU_DEP_1)
	v_cmp_ne_u32_e32 vcc_lo, v17, v18
	s_and_b32 s12, vcc_lo, exec_lo
; %bb.84:
	s_or_b32 exec_lo, exec_lo, s13
	v_or_b32_e32 v17, 1, v19
	s_mov_b32 s20, 0
	s_mov_b32 s13, exec_lo
	s_delay_alu instid0(VALU_DEP_1)
	v_cmpx_gt_u32_e64 s19, v17
; %bb.85:
	v_mul_hi_i32 v17, 0x66666667, v15
	v_lshrrev_b32_e32 v18, 31, v21
	v_ashrrev_i32_e32 v21, 2, v21
	s_delay_alu instid0(VALU_DEP_1) | instskip(NEXT) | instid1(VALU_DEP_4)
	v_add_nc_u32_e32 v18, v21, v18
	v_lshrrev_b32_e32 v22, 31, v17
	v_ashrrev_i32_e32 v17, 2, v17
	s_delay_alu instid0(VALU_DEP_1) | instskip(NEXT) | instid1(VALU_DEP_1)
	v_add_nc_u32_e32 v17, v17, v22
	v_cmp_ne_u32_e32 vcc_lo, v17, v18
	s_and_b32 s20, vcc_lo, exec_lo
; %bb.86:
	s_or_b32 exec_lo, exec_lo, s13
	v_cndmask_b32_e64 v18, 0, 1, s9
	v_cndmask_b32_e64 v21, 0, 1, s7
	;; [unrolled: 1-line block ×7, first 2 shown]
	v_lshlrev_b16 v21, 8, v21
	v_lshlrev_b16 v22, 8, v22
	;; [unrolled: 1-line block ×4, first 2 shown]
	s_mov_b32 s5, exec_lo
	v_or_b32_e32 v21, v24, v21
	v_or_b32_e32 v22, v25, v22
	;; [unrolled: 1-line block ×4, first 2 shown]
	s_waitcnt lgkmcnt(0)
	v_and_b32_e32 v18, 0xffff, v21
	v_lshlrev_b32_e32 v21, 16, v22
	v_and_b32_e32 v22, 0xffff, v23
	v_lshlrev_b32_e32 v17, 16, v17
	s_barrier
	buffer_gl0_inv
	v_or_b32_e32 v18, v18, v21
                                        ; implicit-def: $sgpr4
	v_or_b32_e32 v17, v22, v17
	v_cmpx_ne_u32_e32 0, v0
	s_cbranch_execz .LBB458_90
; %bb.87:
	s_mov_b32 s6, 0
	s_mov_b32 s4, exec_lo
	v_cmpx_gt_u32_e64 s19, v19
	s_cbranch_execz .LBB458_89
; %bb.88:
	v_add_nc_u32_e32 v20, -4, v20
	v_mul_hi_i32 v21, 0x66666667, v15
	ds_load_b32 v20, v20
	v_lshrrev_b32_e32 v22, 31, v21
	v_ashrrev_i32_e32 v21, 2, v21
	s_delay_alu instid0(VALU_DEP_1) | instskip(SKIP_2) | instid1(VALU_DEP_1)
	v_add_nc_u32_e32 v21, v21, v22
	s_waitcnt lgkmcnt(0)
	v_mul_hi_i32 v20, 0x66666667, v20
	v_lshrrev_b32_e32 v23, 31, v20
	v_ashrrev_i32_e32 v20, 2, v20
	s_delay_alu instid0(VALU_DEP_1) | instskip(NEXT) | instid1(VALU_DEP_1)
	v_add_nc_u32_e32 v20, v20, v23
	v_cmp_ne_u32_e32 vcc_lo, v20, v21
	s_and_b32 s6, vcc_lo, exec_lo
.LBB458_89:
	s_or_b32 exec_lo, exec_lo, s4
	s_delay_alu instid0(SALU_CYCLE_1)
	s_and_b32 s4, s6, exec_lo
	s_or_b32 s2, s2, exec_lo
.LBB458_90:
	s_or_b32 exec_lo, exec_lo, s5
.LBB458_91:
	s_and_saveexec_b32 s5, s2
	s_cbranch_execz .LBB458_93
; %bb.92:
	s_waitcnt vmcnt(0) lgkmcnt(0)
	v_and_b32_e32 v20, 0xffffff00, v17
	v_cndmask_b32_e64 v21, 0, 1, s4
	s_delay_alu instid0(VALU_DEP_1) | instskip(NEXT) | instid1(VALU_DEP_1)
	v_or_b32_e32 v20, v21, v20
	v_and_b32_e32 v20, 0xffff, v20
	s_delay_alu instid0(VALU_DEP_1)
	v_and_or_b32 v17, 0xffff0000, v17, v20
.LBB458_93:
	s_or_b32 exec_lo, exec_lo, s5
	s_load_b64 s[12:13], s[0:1], 0x60
	s_and_not1_b32 vcc_lo, exec_lo, s3
	s_cbranch_vccnz .LBB458_95
; %bb.94:
	v_cmp_gt_u32_e32 vcc_lo, s19, v19
	v_or_b32_e32 v21, 1, v19
	v_and_b32_e32 v22, 0xffffff00, v18
	v_or_b32_e32 v23, 2, v19
	s_waitcnt vmcnt(0) lgkmcnt(0)
	v_cndmask_b32_e32 v20, 0, v17, vcc_lo
	v_cmp_gt_u32_e32 vcc_lo, s19, v21
	v_or_b32_e32 v21, 4, v19
	v_cmp_gt_u32_e64 s2, s19, v23
	v_or_b32_e32 v23, 3, v19
	v_and_b32_e32 v20, 0xff, v20
	s_delay_alu instid0(VALU_DEP_2) | instskip(NEXT) | instid1(VALU_DEP_2)
	v_cmp_gt_u32_e64 s3, s19, v23
	v_cndmask_b32_e32 v20, v20, v17, vcc_lo
	v_cmp_gt_u32_e32 vcc_lo, s19, v21
	s_delay_alu instid0(VALU_DEP_2) | instskip(SKIP_1) | instid1(VALU_DEP_2)
	v_dual_cndmask_b32 v21, v22, v18 :: v_dual_and_b32 v20, 0xffff, v20
	v_or_b32_e32 v22, 5, v19
	v_cndmask_b32_e64 v20, v20, v17, s2
	s_delay_alu instid0(VALU_DEP_3) | instskip(NEXT) | instid1(VALU_DEP_3)
	v_and_b32_e32 v21, 0xffff00ff, v21
	v_cmp_gt_u32_e64 s2, s19, v22
	v_or_b32_e32 v22, 6, v19
	v_or_b32_e32 v19, 7, v19
	v_and_b32_e32 v20, 0xffffff, v20
	s_delay_alu instid0(VALU_DEP_4) | instskip(NEXT) | instid1(VALU_DEP_2)
	v_cndmask_b32_e64 v21, v21, v18, s2
	v_cndmask_b32_e64 v20, v20, v17, s3
	s_delay_alu instid0(VALU_DEP_2) | instskip(NEXT) | instid1(VALU_DEP_2)
	v_and_b32_e32 v21, 0xff00ffff, v21
	v_cndmask_b32_e32 v20, v20, v17, vcc_lo
	v_cmp_gt_u32_e32 vcc_lo, s19, v22
	s_delay_alu instid0(VALU_DEP_2) | instskip(NEXT) | instid1(VALU_DEP_1)
	v_cndmask_b32_e64 v20, v20, v17, s2
	v_dual_cndmask_b32 v21, v21, v18 :: v_dual_cndmask_b32 v20, v20, v17
	s_delay_alu instid0(VALU_DEP_1) | instskip(SKIP_1) | instid1(VALU_DEP_2)
	v_and_b32_e32 v21, 0xffffff, v21
	v_cmp_gt_u32_e32 vcc_lo, s19, v19
	v_dual_cndmask_b32 v18, v21, v18 :: v_dual_cndmask_b32 v17, v20, v17
.LBB458_95:
	s_delay_alu instid0(VALU_DEP_1) | instskip(NEXT) | instid1(VALU_DEP_2)
	v_and_b32_e32 v28, 0xff, v17
	v_alignbit_b32 v19, v18, v17, 24
	v_bfe_u32 v30, v17, 8, 8
	v_bfe_u32 v32, v17, 16, 8
	v_and_b32_e32 v36, 0xff, v18
	v_bfe_u32 v38, v18, 8, 8
	v_and_b32_e32 v34, 0xff, v19
	v_add_nc_u32_e32 v19, v30, v28
	s_waitcnt vmcnt(0) lgkmcnt(0)
	v_and_b32_e32 v20, 0x1e0, v0
	v_mbcnt_lo_u32_b32 v41, -1, 0
	v_bfe_u32 v40, v18, 16, 8
	v_lshrrev_b32_e32 v39, 24, v18
	v_add3_u32 v19, v19, v32, v34
	v_min_u32_e32 v20, 0x160, v20
	v_and_b32_e32 v21, 15, v41
	v_lshrrev_b32_e32 v42, 5, v0
	s_and_b32 vcc_lo, exec_lo, s8
	v_add3_u32 v19, v19, v36, v38
	v_or_b32_e32 v20, 31, v20
	v_cmp_eq_u32_e64 s4, 0, v21
	v_cmp_lt_u32_e64 s5, 1, v21
	v_cmp_lt_u32_e64 s3, 3, v21
	v_add3_u32 v43, v19, v40, v39
	v_and_b32_e32 v19, 16, v41
	v_cmp_lt_u32_e64 s2, 7, v21
	v_cmp_eq_u32_e64 s6, v20, v0
	s_mov_b32 s8, -1
	s_delay_alu instid0(VALU_DEP_3)
	v_cmp_eq_u32_e64 s7, 0, v19
	s_barrier
	buffer_gl0_inv
	s_cbranch_vccz .LBB458_126
; %bb.96:
	v_mov_b32_dpp v19, v43 row_shr:1 row_mask:0xf bank_mask:0xf
	s_delay_alu instid0(VALU_DEP_1) | instskip(NEXT) | instid1(VALU_DEP_1)
	v_cndmask_b32_e64 v19, v19, 0, s4
	v_add_nc_u32_e32 v19, v19, v43
	s_delay_alu instid0(VALU_DEP_1) | instskip(NEXT) | instid1(VALU_DEP_1)
	v_mov_b32_dpp v20, v19 row_shr:2 row_mask:0xf bank_mask:0xf
	v_cndmask_b32_e64 v20, 0, v20, s5
	s_delay_alu instid0(VALU_DEP_1) | instskip(NEXT) | instid1(VALU_DEP_1)
	v_add_nc_u32_e32 v19, v19, v20
	v_mov_b32_dpp v20, v19 row_shr:4 row_mask:0xf bank_mask:0xf
	s_delay_alu instid0(VALU_DEP_1) | instskip(NEXT) | instid1(VALU_DEP_1)
	v_cndmask_b32_e64 v20, 0, v20, s3
	v_add_nc_u32_e32 v19, v19, v20
	s_delay_alu instid0(VALU_DEP_1) | instskip(NEXT) | instid1(VALU_DEP_1)
	v_mov_b32_dpp v20, v19 row_shr:8 row_mask:0xf bank_mask:0xf
	v_cndmask_b32_e64 v20, 0, v20, s2
	s_delay_alu instid0(VALU_DEP_1) | instskip(SKIP_3) | instid1(VALU_DEP_1)
	v_add_nc_u32_e32 v19, v19, v20
	ds_swizzle_b32 v20, v19 offset:swizzle(BROADCAST,32,15)
	s_waitcnt lgkmcnt(0)
	v_cndmask_b32_e64 v20, v20, 0, s7
	v_add_nc_u32_e32 v19, v19, v20
	s_and_saveexec_b32 s8, s6
	s_cbranch_execz .LBB458_98
; %bb.97:
	v_lshlrev_b32_e32 v20, 2, v42
	ds_store_b32 v20, v19
.LBB458_98:
	s_or_b32 exec_lo, exec_lo, s8
	s_delay_alu instid0(SALU_CYCLE_1)
	s_mov_b32 s8, exec_lo
	s_waitcnt lgkmcnt(0)
	s_barrier
	buffer_gl0_inv
	v_cmpx_gt_u32_e32 12, v0
	s_cbranch_execz .LBB458_100
; %bb.99:
	v_lshlrev_b32_e32 v20, 2, v0
	ds_load_b32 v21, v20
	s_waitcnt lgkmcnt(0)
	v_mov_b32_dpp v22, v21 row_shr:1 row_mask:0xf bank_mask:0xf
	s_delay_alu instid0(VALU_DEP_1) | instskip(NEXT) | instid1(VALU_DEP_1)
	v_cndmask_b32_e64 v22, v22, 0, s4
	v_add_nc_u32_e32 v21, v22, v21
	s_delay_alu instid0(VALU_DEP_1) | instskip(NEXT) | instid1(VALU_DEP_1)
	v_mov_b32_dpp v22, v21 row_shr:2 row_mask:0xf bank_mask:0xf
	v_cndmask_b32_e64 v22, 0, v22, s5
	s_delay_alu instid0(VALU_DEP_1) | instskip(NEXT) | instid1(VALU_DEP_1)
	v_add_nc_u32_e32 v21, v21, v22
	v_mov_b32_dpp v22, v21 row_shr:4 row_mask:0xf bank_mask:0xf
	s_delay_alu instid0(VALU_DEP_1) | instskip(NEXT) | instid1(VALU_DEP_1)
	v_cndmask_b32_e64 v22, 0, v22, s3
	v_add_nc_u32_e32 v21, v21, v22
	s_delay_alu instid0(VALU_DEP_1) | instskip(NEXT) | instid1(VALU_DEP_1)
	v_mov_b32_dpp v22, v21 row_shr:8 row_mask:0xf bank_mask:0xf
	v_cndmask_b32_e64 v22, 0, v22, s2
	s_delay_alu instid0(VALU_DEP_1)
	v_add_nc_u32_e32 v21, v21, v22
	ds_store_b32 v20, v21
.LBB458_100:
	s_or_b32 exec_lo, exec_lo, s8
	v_cmp_gt_u32_e32 vcc_lo, 32, v0
	s_mov_b32 s9, exec_lo
	s_waitcnt lgkmcnt(0)
	s_barrier
	buffer_gl0_inv
                                        ; implicit-def: $vgpr27
	v_cmpx_lt_u32_e32 31, v0
	s_cbranch_execz .LBB458_102
; %bb.101:
	v_lshl_add_u32 v20, v42, 2, -4
	ds_load_b32 v27, v20
	s_waitcnt lgkmcnt(0)
	v_add_nc_u32_e32 v19, v27, v19
.LBB458_102:
	s_or_b32 exec_lo, exec_lo, s9
	v_add_nc_u32_e32 v20, -1, v41
	s_delay_alu instid0(VALU_DEP_1) | instskip(NEXT) | instid1(VALU_DEP_1)
	v_cmp_gt_i32_e64 s8, 0, v20
	v_cndmask_b32_e64 v20, v20, v41, s8
	v_cmp_eq_u32_e64 s8, 0, v41
	s_delay_alu instid0(VALU_DEP_2)
	v_lshlrev_b32_e32 v20, 2, v20
	ds_bpermute_b32 v29, v20, v19
	s_and_saveexec_b32 s9, vcc_lo
	s_cbranch_execz .LBB458_125
; %bb.103:
	v_mov_b32_e32 v23, 0
	ds_load_b32 v19, v23 offset:44
	s_and_saveexec_b32 s19, s8
	s_cbranch_execz .LBB458_105
; %bb.104:
	s_add_i32 s20, s15, 32
	s_mov_b32 s21, 0
	v_mov_b32_e32 v20, 1
	s_lshl_b64 s[20:21], s[20:21], 3
	s_delay_alu instid0(SALU_CYCLE_1)
	s_add_u32 s20, s12, s20
	s_addc_u32 s21, s13, s21
	s_waitcnt lgkmcnt(0)
	global_store_b64 v23, v[19:20], s[20:21]
.LBB458_105:
	s_or_b32 exec_lo, exec_lo, s19
	v_xad_u32 v21, v41, -1, s15
	s_mov_b32 s20, 0
	s_mov_b32 s19, exec_lo
	s_delay_alu instid0(VALU_DEP_1) | instskip(NEXT) | instid1(VALU_DEP_1)
	v_add_nc_u32_e32 v22, 32, v21
	v_lshlrev_b64 v[22:23], 3, v[22:23]
	s_delay_alu instid0(VALU_DEP_1) | instskip(NEXT) | instid1(VALU_DEP_2)
	v_add_co_u32 v25, vcc_lo, s12, v22
	v_add_co_ci_u32_e32 v26, vcc_lo, s13, v23, vcc_lo
	global_load_b64 v[23:24], v[25:26], off glc
	s_waitcnt vmcnt(0)
	v_and_b32_e32 v20, 0xff, v24
	s_delay_alu instid0(VALU_DEP_1)
	v_cmpx_eq_u16_e32 0, v20
	s_cbranch_execz .LBB458_111
; %bb.106:
	s_mov_b32 s21, 1
	.p2align	6
.LBB458_107:                            ; =>This Loop Header: Depth=1
                                        ;     Child Loop BB458_108 Depth 2
	s_delay_alu instid0(SALU_CYCLE_1)
	s_max_u32 s22, s21, 1
.LBB458_108:                            ;   Parent Loop BB458_107 Depth=1
                                        ; =>  This Inner Loop Header: Depth=2
	s_delay_alu instid0(SALU_CYCLE_1)
	s_add_i32 s22, s22, -1
	s_sleep 1
	s_cmp_eq_u32 s22, 0
	s_cbranch_scc0 .LBB458_108
; %bb.109:                              ;   in Loop: Header=BB458_107 Depth=1
	global_load_b64 v[23:24], v[25:26], off glc
	s_cmp_lt_u32 s21, 32
	s_cselect_b32 s22, -1, 0
	s_delay_alu instid0(SALU_CYCLE_1) | instskip(SKIP_3) | instid1(VALU_DEP_1)
	s_cmp_lg_u32 s22, 0
	s_addc_u32 s21, s21, 0
	s_waitcnt vmcnt(0)
	v_and_b32_e32 v20, 0xff, v24
	v_cmp_ne_u16_e32 vcc_lo, 0, v20
	s_or_b32 s20, vcc_lo, s20
	s_delay_alu instid0(SALU_CYCLE_1)
	s_and_not1_b32 exec_lo, exec_lo, s20
	s_cbranch_execnz .LBB458_107
; %bb.110:
	s_or_b32 exec_lo, exec_lo, s20
.LBB458_111:
	s_delay_alu instid0(SALU_CYCLE_1)
	s_or_b32 exec_lo, exec_lo, s19
	v_cmp_ne_u32_e32 vcc_lo, 31, v41
	v_lshlrev_b32_e64 v33, v41, -1
	v_add_nc_u32_e32 v37, 2, v41
	v_add_nc_u32_e32 v45, 4, v41
	;; [unrolled: 1-line block ×3, first 2 shown]
	v_add_co_ci_u32_e32 v20, vcc_lo, 0, v41, vcc_lo
	v_add_nc_u32_e32 v49, 16, v41
	s_delay_alu instid0(VALU_DEP_2)
	v_lshlrev_b32_e32 v31, 2, v20
	v_and_b32_e32 v20, 0xff, v24
	ds_bpermute_b32 v22, v31, v23
	v_cmp_eq_u16_e32 vcc_lo, 2, v20
	v_and_or_b32 v20, vcc_lo, v33, 0x80000000
	v_cmp_gt_u32_e32 vcc_lo, 30, v41
	s_delay_alu instid0(VALU_DEP_2) | instskip(SKIP_1) | instid1(VALU_DEP_2)
	v_ctz_i32_b32_e32 v20, v20
	v_cndmask_b32_e64 v25, 0, 1, vcc_lo
	v_cmp_lt_u32_e32 vcc_lo, v41, v20
	s_waitcnt lgkmcnt(0)
	s_delay_alu instid0(VALU_DEP_2) | instskip(NEXT) | instid1(VALU_DEP_1)
	v_dual_cndmask_b32 v22, 0, v22 :: v_dual_lshlrev_b32 v25, 1, v25
	v_add_lshl_u32 v35, v25, v41, 2
	v_cmp_gt_u32_e32 vcc_lo, 28, v41
	s_delay_alu instid0(VALU_DEP_3) | instskip(SKIP_4) | instid1(VALU_DEP_1)
	v_add_nc_u32_e32 v22, v22, v23
	v_cndmask_b32_e64 v25, 0, 1, vcc_lo
	v_cmp_le_u32_e32 vcc_lo, v37, v20
	ds_bpermute_b32 v23, v35, v22
	v_lshlrev_b32_e32 v25, 2, v25
	v_add_lshl_u32 v44, v25, v41, 2
	s_waitcnt lgkmcnt(0)
	v_cndmask_b32_e32 v23, 0, v23, vcc_lo
	v_cmp_gt_u32_e32 vcc_lo, 24, v41
	s_delay_alu instid0(VALU_DEP_2) | instskip(SKIP_4) | instid1(VALU_DEP_1)
	v_add_nc_u32_e32 v22, v22, v23
	v_cndmask_b32_e64 v25, 0, 1, vcc_lo
	v_cmp_le_u32_e32 vcc_lo, v45, v20
	ds_bpermute_b32 v23, v44, v22
	v_lshlrev_b32_e32 v25, 3, v25
	v_add_lshl_u32 v46, v25, v41, 2
	s_waitcnt lgkmcnt(0)
	v_cndmask_b32_e32 v23, 0, v23, vcc_lo
	v_cmp_gt_u32_e32 vcc_lo, 16, v41
	s_delay_alu instid0(VALU_DEP_2) | instskip(SKIP_4) | instid1(VALU_DEP_1)
	v_add_nc_u32_e32 v22, v22, v23
	v_cndmask_b32_e64 v25, 0, 1, vcc_lo
	v_cmp_le_u32_e32 vcc_lo, v47, v20
	ds_bpermute_b32 v23, v46, v22
	v_lshlrev_b32_e32 v25, 4, v25
	v_add_lshl_u32 v48, v25, v41, 2
	s_waitcnt lgkmcnt(0)
	v_cndmask_b32_e32 v23, 0, v23, vcc_lo
	v_cmp_le_u32_e32 vcc_lo, v49, v20
	s_delay_alu instid0(VALU_DEP_2) | instskip(SKIP_3) | instid1(VALU_DEP_1)
	v_add_nc_u32_e32 v22, v22, v23
	ds_bpermute_b32 v23, v48, v22
	s_waitcnt lgkmcnt(0)
	v_cndmask_b32_e32 v20, 0, v23, vcc_lo
	v_dual_mov_b32 v22, 0 :: v_dual_add_nc_u32 v23, v22, v20
	s_branch .LBB458_113
.LBB458_112:                            ;   in Loop: Header=BB458_113 Depth=1
	s_or_b32 exec_lo, exec_lo, s19
	ds_bpermute_b32 v26, v31, v23
	v_and_b32_e32 v25, 0xff, v24
	v_subrev_nc_u32_e32 v21, 32, v21
	s_delay_alu instid0(VALU_DEP_2) | instskip(SKIP_1) | instid1(VALU_DEP_1)
	v_cmp_eq_u16_e32 vcc_lo, 2, v25
	v_and_or_b32 v25, vcc_lo, v33, 0x80000000
	v_ctz_i32_b32_e32 v25, v25
	s_delay_alu instid0(VALU_DEP_1) | instskip(SKIP_3) | instid1(VALU_DEP_2)
	v_cmp_lt_u32_e32 vcc_lo, v41, v25
	s_waitcnt lgkmcnt(0)
	v_cndmask_b32_e32 v26, 0, v26, vcc_lo
	v_cmp_le_u32_e32 vcc_lo, v37, v25
	v_add_nc_u32_e32 v23, v26, v23
	ds_bpermute_b32 v26, v35, v23
	s_waitcnt lgkmcnt(0)
	v_cndmask_b32_e32 v26, 0, v26, vcc_lo
	v_cmp_le_u32_e32 vcc_lo, v45, v25
	s_delay_alu instid0(VALU_DEP_2) | instskip(SKIP_4) | instid1(VALU_DEP_2)
	v_add_nc_u32_e32 v23, v23, v26
	ds_bpermute_b32 v26, v44, v23
	s_waitcnt lgkmcnt(0)
	v_cndmask_b32_e32 v26, 0, v26, vcc_lo
	v_cmp_le_u32_e32 vcc_lo, v47, v25
	v_add_nc_u32_e32 v23, v23, v26
	ds_bpermute_b32 v26, v46, v23
	s_waitcnt lgkmcnt(0)
	v_cndmask_b32_e32 v26, 0, v26, vcc_lo
	v_cmp_le_u32_e32 vcc_lo, v49, v25
	s_delay_alu instid0(VALU_DEP_2) | instskip(SKIP_3) | instid1(VALU_DEP_1)
	v_add_nc_u32_e32 v23, v23, v26
	ds_bpermute_b32 v26, v48, v23
	s_waitcnt lgkmcnt(0)
	v_cndmask_b32_e32 v25, 0, v26, vcc_lo
	v_add3_u32 v23, v25, v20, v23
.LBB458_113:                            ; =>This Loop Header: Depth=1
                                        ;     Child Loop BB458_116 Depth 2
                                        ;       Child Loop BB458_117 Depth 3
	v_and_b32_e32 v20, 0xff, v24
	s_delay_alu instid0(VALU_DEP_1) | instskip(SKIP_2) | instid1(VALU_DEP_1)
	v_cmp_ne_u16_e32 vcc_lo, 2, v20
	v_cndmask_b32_e64 v20, 0, 1, vcc_lo
	;;#ASMSTART
	;;#ASMEND
	v_cmp_ne_u32_e32 vcc_lo, 0, v20
	v_mov_b32_e32 v20, v23
	s_cmp_lg_u32 vcc_lo, exec_lo
	s_cbranch_scc1 .LBB458_120
; %bb.114:                              ;   in Loop: Header=BB458_113 Depth=1
	v_lshlrev_b64 v[23:24], 3, v[21:22]
	s_mov_b32 s19, exec_lo
	s_delay_alu instid0(VALU_DEP_1) | instskip(NEXT) | instid1(VALU_DEP_2)
	v_add_co_u32 v25, vcc_lo, s12, v23
	v_add_co_ci_u32_e32 v26, vcc_lo, s13, v24, vcc_lo
	global_load_b64 v[23:24], v[25:26], off glc
	s_waitcnt vmcnt(0)
	v_and_b32_e32 v50, 0xff, v24
	s_delay_alu instid0(VALU_DEP_1)
	v_cmpx_eq_u16_e32 0, v50
	s_cbranch_execz .LBB458_112
; %bb.115:                              ;   in Loop: Header=BB458_113 Depth=1
	s_mov_b32 s21, 1
	s_mov_b32 s20, 0
	.p2align	6
.LBB458_116:                            ;   Parent Loop BB458_113 Depth=1
                                        ; =>  This Loop Header: Depth=2
                                        ;       Child Loop BB458_117 Depth 3
	s_max_u32 s22, s21, 1
.LBB458_117:                            ;   Parent Loop BB458_113 Depth=1
                                        ;     Parent Loop BB458_116 Depth=2
                                        ; =>    This Inner Loop Header: Depth=3
	s_delay_alu instid0(SALU_CYCLE_1)
	s_add_i32 s22, s22, -1
	s_sleep 1
	s_cmp_eq_u32 s22, 0
	s_cbranch_scc0 .LBB458_117
; %bb.118:                              ;   in Loop: Header=BB458_116 Depth=2
	global_load_b64 v[23:24], v[25:26], off glc
	s_cmp_lt_u32 s21, 32
	s_cselect_b32 s22, -1, 0
	s_delay_alu instid0(SALU_CYCLE_1) | instskip(SKIP_3) | instid1(VALU_DEP_1)
	s_cmp_lg_u32 s22, 0
	s_addc_u32 s21, s21, 0
	s_waitcnt vmcnt(0)
	v_and_b32_e32 v50, 0xff, v24
	v_cmp_ne_u16_e32 vcc_lo, 0, v50
	s_or_b32 s20, vcc_lo, s20
	s_delay_alu instid0(SALU_CYCLE_1)
	s_and_not1_b32 exec_lo, exec_lo, s20
	s_cbranch_execnz .LBB458_116
; %bb.119:                              ;   in Loop: Header=BB458_113 Depth=1
	s_or_b32 exec_lo, exec_lo, s20
	s_branch .LBB458_112
.LBB458_120:                            ;   in Loop: Header=BB458_113 Depth=1
                                        ; implicit-def: $vgpr23
                                        ; implicit-def: $vgpr24
	s_cbranch_execz .LBB458_113
; %bb.121:
	s_and_saveexec_b32 s19, s8
	s_cbranch_execz .LBB458_123
; %bb.122:
	s_add_i32 s20, s15, 32
	s_mov_b32 s21, 0
	v_dual_mov_b32 v22, 2 :: v_dual_add_nc_u32 v21, v20, v19
	s_lshl_b64 s[20:21], s[20:21], 3
	v_mov_b32_e32 v23, 0
	s_add_u32 s20, s12, s20
	s_addc_u32 s21, s13, s21
	global_store_b64 v23, v[21:22], s[20:21]
	ds_store_b64 v23, v[19:20] offset:12672
.LBB458_123:
	s_or_b32 exec_lo, exec_lo, s19
	v_cmp_eq_u32_e32 vcc_lo, 0, v0
	s_and_b32 exec_lo, exec_lo, vcc_lo
	s_cbranch_execz .LBB458_125
; %bb.124:
	v_mov_b32_e32 v19, 0
	ds_store_b32 v19, v20 offset:44
.LBB458_125:
	s_or_b32 exec_lo, exec_lo, s9
	v_mov_b32_e32 v19, 0
	s_waitcnt lgkmcnt(0)
	s_waitcnt_vscnt null, 0x0
	s_barrier
	buffer_gl0_inv
	v_cndmask_b32_e64 v21, v29, v27, s8
	ds_load_b32 v20, v19 offset:44
	v_cmp_ne_u32_e32 vcc_lo, 0, v0
	s_waitcnt lgkmcnt(0)
	s_barrier
	buffer_gl0_inv
	v_cndmask_b32_e32 v21, 0, v21, vcc_lo
	s_delay_alu instid0(VALU_DEP_1) | instskip(SKIP_2) | instid1(VALU_DEP_1)
	v_add_nc_u32_e32 v37, v20, v21
	ds_load_b64 v[19:20], v19 offset:12672
	v_add_nc_u32_e32 v35, v37, v28
	v_add_nc_u32_e32 v33, v35, v30
	s_delay_alu instid0(VALU_DEP_1) | instskip(NEXT) | instid1(VALU_DEP_1)
	v_add_nc_u32_e32 v31, v33, v32
	v_add_nc_u32_e32 v29, v31, v34
	s_delay_alu instid0(VALU_DEP_1) | instskip(NEXT) | instid1(VALU_DEP_1)
	v_add_nc_u32_e32 v27, v29, v36
	v_add_nc_u32_e32 v25, v27, v38
	s_delay_alu instid0(VALU_DEP_1)
	v_add_nc_u32_e32 v23, v25, v40
	v_lshrrev_b64 v[21:22], 24, v[17:18]
	s_branch .LBB458_136
.LBB458_126:
                                        ; implicit-def: $vgpr23
                                        ; implicit-def: $vgpr25
                                        ; implicit-def: $vgpr27
                                        ; implicit-def: $vgpr29
                                        ; implicit-def: $vgpr31
                                        ; implicit-def: $vgpr33
                                        ; implicit-def: $vgpr35
                                        ; implicit-def: $vgpr37
                                        ; implicit-def: $vgpr20
	v_lshrrev_b64 v[21:22], 24, v[17:18]
	s_and_b32 vcc_lo, exec_lo, s8
	s_cbranch_vccz .LBB458_136
; %bb.127:
	s_waitcnt lgkmcnt(0)
	v_mov_b32_dpp v19, v43 row_shr:1 row_mask:0xf bank_mask:0xf
	s_delay_alu instid0(VALU_DEP_1) | instskip(NEXT) | instid1(VALU_DEP_1)
	v_cndmask_b32_e64 v19, v19, 0, s4
	v_add_nc_u32_e32 v19, v19, v43
	s_delay_alu instid0(VALU_DEP_1) | instskip(NEXT) | instid1(VALU_DEP_1)
	v_mov_b32_dpp v20, v19 row_shr:2 row_mask:0xf bank_mask:0xf
	v_cndmask_b32_e64 v20, 0, v20, s5
	s_delay_alu instid0(VALU_DEP_1) | instskip(NEXT) | instid1(VALU_DEP_1)
	v_add_nc_u32_e32 v19, v19, v20
	v_mov_b32_dpp v20, v19 row_shr:4 row_mask:0xf bank_mask:0xf
	s_delay_alu instid0(VALU_DEP_1) | instskip(NEXT) | instid1(VALU_DEP_1)
	v_cndmask_b32_e64 v20, 0, v20, s3
	v_add_nc_u32_e32 v19, v19, v20
	s_delay_alu instid0(VALU_DEP_1) | instskip(NEXT) | instid1(VALU_DEP_1)
	v_mov_b32_dpp v20, v19 row_shr:8 row_mask:0xf bank_mask:0xf
	v_cndmask_b32_e64 v20, 0, v20, s2
	s_delay_alu instid0(VALU_DEP_1) | instskip(SKIP_3) | instid1(VALU_DEP_1)
	v_add_nc_u32_e32 v19, v19, v20
	ds_swizzle_b32 v20, v19 offset:swizzle(BROADCAST,32,15)
	s_waitcnt lgkmcnt(0)
	v_cndmask_b32_e64 v20, v20, 0, s7
	v_add_nc_u32_e32 v19, v19, v20
	s_and_saveexec_b32 s7, s6
	s_cbranch_execz .LBB458_129
; %bb.128:
	v_lshlrev_b32_e32 v20, 2, v42
	ds_store_b32 v20, v19
.LBB458_129:
	s_or_b32 exec_lo, exec_lo, s7
	s_delay_alu instid0(SALU_CYCLE_1)
	s_mov_b32 s6, exec_lo
	s_waitcnt lgkmcnt(0)
	s_barrier
	buffer_gl0_inv
	v_cmpx_gt_u32_e32 12, v0
	s_cbranch_execz .LBB458_131
; %bb.130:
	v_lshlrev_b32_e32 v20, 2, v0
	ds_load_b32 v22, v20
	s_waitcnt lgkmcnt(0)
	v_mov_b32_dpp v23, v22 row_shr:1 row_mask:0xf bank_mask:0xf
	s_delay_alu instid0(VALU_DEP_1) | instskip(NEXT) | instid1(VALU_DEP_1)
	v_cndmask_b32_e64 v23, v23, 0, s4
	v_add_nc_u32_e32 v22, v23, v22
	s_delay_alu instid0(VALU_DEP_1) | instskip(NEXT) | instid1(VALU_DEP_1)
	v_mov_b32_dpp v23, v22 row_shr:2 row_mask:0xf bank_mask:0xf
	v_cndmask_b32_e64 v23, 0, v23, s5
	s_delay_alu instid0(VALU_DEP_1) | instskip(NEXT) | instid1(VALU_DEP_1)
	v_add_nc_u32_e32 v22, v22, v23
	v_mov_b32_dpp v23, v22 row_shr:4 row_mask:0xf bank_mask:0xf
	s_delay_alu instid0(VALU_DEP_1) | instskip(NEXT) | instid1(VALU_DEP_1)
	v_cndmask_b32_e64 v23, 0, v23, s3
	v_add_nc_u32_e32 v22, v22, v23
	s_delay_alu instid0(VALU_DEP_1) | instskip(NEXT) | instid1(VALU_DEP_1)
	v_mov_b32_dpp v23, v22 row_shr:8 row_mask:0xf bank_mask:0xf
	v_cndmask_b32_e64 v23, 0, v23, s2
	s_delay_alu instid0(VALU_DEP_1)
	v_add_nc_u32_e32 v22, v22, v23
	ds_store_b32 v20, v22
.LBB458_131:
	s_or_b32 exec_lo, exec_lo, s6
	v_mov_b32_e32 v20, 0
	v_mov_b32_e32 v22, 0
	s_mov_b32 s2, exec_lo
	s_waitcnt lgkmcnt(0)
	s_barrier
	buffer_gl0_inv
	v_cmpx_lt_u32_e32 31, v0
	s_cbranch_execz .LBB458_133
; %bb.132:
	v_lshl_add_u32 v22, v42, 2, -4
	ds_load_b32 v22, v22
.LBB458_133:
	s_or_b32 exec_lo, exec_lo, s2
	v_add_nc_u32_e32 v23, -1, v41
	s_waitcnt lgkmcnt(0)
	v_add_nc_u32_e32 v19, v22, v19
	s_delay_alu instid0(VALU_DEP_2) | instskip(SKIP_2) | instid1(VALU_DEP_2)
	v_cmp_gt_i32_e32 vcc_lo, 0, v23
	v_cndmask_b32_e32 v23, v23, v41, vcc_lo
	v_cmp_eq_u32_e32 vcc_lo, 0, v0
	v_lshlrev_b32_e32 v23, 2, v23
	ds_bpermute_b32 v23, v23, v19
	ds_load_b32 v19, v20 offset:44
	s_and_saveexec_b32 s2, vcc_lo
	s_cbranch_execz .LBB458_135
; %bb.134:
	v_mov_b32_e32 v24, 0
	v_mov_b32_e32 v20, 2
	s_waitcnt lgkmcnt(0)
	global_store_b64 v24, v[19:20], s[12:13] offset:256
.LBB458_135:
	s_or_b32 exec_lo, exec_lo, s2
	v_cmp_eq_u32_e64 s2, 0, v41
	s_waitcnt lgkmcnt(0)
	s_waitcnt_vscnt null, 0x0
	s_barrier
	buffer_gl0_inv
	v_cndmask_b32_e64 v20, v23, v22, s2
	s_delay_alu instid0(VALU_DEP_1) | instskip(NEXT) | instid1(VALU_DEP_1)
	v_cndmask_b32_e64 v37, v20, 0, vcc_lo
	v_dual_mov_b32 v20, 0 :: v_dual_add_nc_u32 v35, v37, v28
	s_delay_alu instid0(VALU_DEP_1) | instskip(NEXT) | instid1(VALU_DEP_1)
	v_add_nc_u32_e32 v33, v35, v30
	v_add_nc_u32_e32 v31, v33, v32
	s_delay_alu instid0(VALU_DEP_1) | instskip(NEXT) | instid1(VALU_DEP_1)
	v_add_nc_u32_e32 v29, v31, v34
	v_add_nc_u32_e32 v27, v29, v36
	s_delay_alu instid0(VALU_DEP_1) | instskip(NEXT) | instid1(VALU_DEP_1)
	v_add_nc_u32_e32 v25, v27, v38
	v_add_nc_u32_e32 v23, v25, v40
.LBB458_136:
	s_load_b128 s[4:7], s[0:1], 0x28
	s_waitcnt lgkmcnt(0)
	v_add_nc_u32_e32 v43, v20, v19
	v_cmp_gt_u32_e64 s0, 0x181, v19
	v_lshrrev_b32_e32 v42, 8, v17
	v_lshrrev_b32_e32 v41, 16, v17
	;; [unrolled: 1-line block ×4, first 2 shown]
	v_cmp_lt_u32_e64 s1, v37, v43
	s_and_b32 vcc_lo, exec_lo, s0
	s_mov_b32 s2, -1
	s_cbranch_vccz .LBB458_162
; %bb.137:
	s_lshl_b64 s[2:3], s[10:11], 2
	s_delay_alu instid0(SALU_CYCLE_1) | instskip(SKIP_2) | instid1(SALU_CYCLE_1)
	s_add_u32 s2, s4, s2
	s_addc_u32 s3, s5, s3
	s_or_b32 s8, s18, s1
	s_and_saveexec_b32 s1, s8
	s_cbranch_execz .LBB458_140
; %bb.138:
	v_and_b32_e32 v24, 1, v17
	s_delay_alu instid0(VALU_DEP_1)
	v_cmp_eq_u32_e32 vcc_lo, 1, v24
	s_and_b32 exec_lo, exec_lo, vcc_lo
	s_cbranch_execz .LBB458_140
; %bb.139:
	v_mov_b32_e32 v38, 0
	s_delay_alu instid0(VALU_DEP_1) | instskip(NEXT) | instid1(VALU_DEP_1)
	v_lshlrev_b64 v[44:45], 2, v[37:38]
	v_add_co_u32 v44, vcc_lo, s2, v44
	s_delay_alu instid0(VALU_DEP_2)
	v_add_co_ci_u32_e32 v45, vcc_lo, s3, v45, vcc_lo
	global_store_b32 v[44:45], v15, off
.LBB458_140:
	s_or_b32 exec_lo, exec_lo, s1
	v_cmp_lt_u32_e32 vcc_lo, v35, v43
	s_or_b32 s8, s18, vcc_lo
	s_delay_alu instid0(SALU_CYCLE_1)
	s_and_saveexec_b32 s1, s8
	s_cbranch_execz .LBB458_143
; %bb.141:
	v_and_b32_e32 v24, 1, v42
	s_delay_alu instid0(VALU_DEP_1)
	v_cmp_eq_u32_e32 vcc_lo, 1, v24
	s_and_b32 exec_lo, exec_lo, vcc_lo
	s_cbranch_execz .LBB458_143
; %bb.142:
	v_mov_b32_e32 v36, 0
	s_delay_alu instid0(VALU_DEP_1) | instskip(NEXT) | instid1(VALU_DEP_1)
	v_lshlrev_b64 v[44:45], 2, v[35:36]
	v_add_co_u32 v44, vcc_lo, s2, v44
	s_delay_alu instid0(VALU_DEP_2)
	v_add_co_ci_u32_e32 v45, vcc_lo, s3, v45, vcc_lo
	global_store_b32 v[44:45], v16, off
.LBB458_143:
	s_or_b32 exec_lo, exec_lo, s1
	v_cmp_lt_u32_e32 vcc_lo, v33, v43
	s_or_b32 s8, s18, vcc_lo
	s_delay_alu instid0(SALU_CYCLE_1)
	;; [unrolled: 21-line block ×7, first 2 shown]
	s_and_saveexec_b32 s1, s8
	s_cbranch_execz .LBB458_161
; %bb.159:
	v_and_b32_e32 v24, 1, v39
	s_delay_alu instid0(VALU_DEP_1)
	v_cmp_eq_u32_e32 vcc_lo, 1, v24
	s_and_b32 exec_lo, exec_lo, vcc_lo
	s_cbranch_execz .LBB458_161
; %bb.160:
	v_mov_b32_e32 v24, 0
	s_delay_alu instid0(VALU_DEP_1) | instskip(NEXT) | instid1(VALU_DEP_1)
	v_lshlrev_b64 v[44:45], 2, v[23:24]
	v_add_co_u32 v44, vcc_lo, s2, v44
	s_delay_alu instid0(VALU_DEP_2)
	v_add_co_ci_u32_e32 v45, vcc_lo, s3, v45, vcc_lo
	global_store_b32 v[44:45], v10, off
.LBB458_161:
	s_or_b32 exec_lo, exec_lo, s1
	s_mov_b32 s2, 0
.LBB458_162:
	v_and_b32_e32 v17, 1, v17
	s_and_b32 vcc_lo, exec_lo, s2
	s_delay_alu instid0(VALU_DEP_1)
	v_cmp_eq_u32_e64 s1, 1, v17
	s_cbranch_vccz .LBB458_183
; %bb.163:
	s_delay_alu instid0(VALU_DEP_1)
	s_and_saveexec_b32 s2, s1
	s_cbranch_execz .LBB458_165
; %bb.164:
	v_sub_nc_u32_e32 v24, v37, v20
	s_delay_alu instid0(VALU_DEP_1)
	v_lshlrev_b32_e32 v24, 2, v24
	ds_store_b32 v24, v15
.LBB458_165:
	s_or_b32 exec_lo, exec_lo, s2
	v_and_b32_e32 v15, 1, v42
	s_mov_b32 s1, exec_lo
	s_delay_alu instid0(VALU_DEP_1)
	v_cmpx_eq_u32_e32 1, v15
	s_cbranch_execz .LBB458_167
; %bb.166:
	v_sub_nc_u32_e32 v15, v35, v20
	s_delay_alu instid0(VALU_DEP_1)
	v_lshlrev_b32_e32 v15, 2, v15
	ds_store_b32 v15, v16
.LBB458_167:
	s_or_b32 exec_lo, exec_lo, s1
	v_and_b32_e32 v15, 1, v41
	s_mov_b32 s1, exec_lo
	s_delay_alu instid0(VALU_DEP_1)
	v_cmpx_eq_u32_e32 1, v15
	;; [unrolled: 12-line block ×7, first 2 shown]
	s_cbranch_execz .LBB458_179
; %bb.178:
	v_sub_nc_u32_e32 v9, v23, v20
	s_delay_alu instid0(VALU_DEP_1)
	v_lshlrev_b32_e32 v9, 2, v9
	ds_store_b32 v9, v10
.LBB458_179:
	s_or_b32 exec_lo, exec_lo, s1
	s_delay_alu instid0(SALU_CYCLE_1)
	s_mov_b32 s2, exec_lo
	s_waitcnt lgkmcnt(0)
	s_waitcnt_vscnt null, 0x0
	s_barrier
	buffer_gl0_inv
	v_cmpx_lt_u32_e64 v0, v19
	s_cbranch_execz .LBB458_182
; %bb.180:
	v_dual_mov_b32 v10, 0 :: v_dual_mov_b32 v9, v20
	s_lshl_b64 s[8:9], s[10:11], 2
	v_lshlrev_b32_e32 v11, 2, v0
	s_add_u32 s1, s4, s8
	s_addc_u32 s3, s5, s9
	v_lshlrev_b64 v[12:13], 2, v[9:10]
	v_mov_b32_e32 v9, v0
	s_delay_alu instid0(VALU_DEP_2) | instskip(NEXT) | instid1(VALU_DEP_3)
	v_add_co_u32 v12, vcc_lo, s1, v12
	v_add_co_ci_u32_e32 v13, vcc_lo, s3, v13, vcc_lo
	s_mov_b32 s3, 0
	.p2align	6
.LBB458_181:                            ; =>This Inner Loop Header: Depth=1
	ds_load_b32 v16, v11
	v_lshlrev_b64 v[14:15], 2, v[9:10]
	v_add_nc_u32_e32 v9, 0x180, v9
	v_add_nc_u32_e32 v11, 0x600, v11
	s_delay_alu instid0(VALU_DEP_2) | instskip(NEXT) | instid1(VALU_DEP_4)
	v_cmp_ge_u32_e32 vcc_lo, v9, v19
	v_add_co_u32 v14, s1, v12, v14
	s_delay_alu instid0(VALU_DEP_1)
	v_add_co_ci_u32_e64 v15, s1, v13, v15, s1
	s_or_b32 s3, vcc_lo, s3
	s_waitcnt lgkmcnt(0)
	global_store_b32 v[14:15], v16, off
	s_and_not1_b32 exec_lo, exec_lo, s3
	s_cbranch_execnz .LBB458_181
.LBB458_182:
	s_or_b32 exec_lo, exec_lo, s2
.LBB458_183:
	s_delay_alu instid0(SALU_CYCLE_1)
	s_and_b32 vcc_lo, exec_lo, s0
	s_mov_b32 s0, -1
	s_waitcnt_vscnt null, 0x0
	s_barrier
	buffer_gl0_inv
	s_cbranch_vccz .LBB458_211
; %bb.184:
	v_cmp_lt_u32_e32 vcc_lo, v37, v43
	s_lshl_b64 s[0:1], s[10:11], 2
	s_delay_alu instid0(SALU_CYCLE_1) | instskip(SKIP_2) | instid1(SALU_CYCLE_1)
	s_add_u32 s0, s6, s0
	s_addc_u32 s1, s7, s1
	s_or_b32 s3, s18, vcc_lo
	s_and_saveexec_b32 s2, s3
	s_cbranch_execz .LBB458_187
; %bb.185:
	v_cmp_eq_u32_e32 vcc_lo, 1, v17
	s_and_b32 exec_lo, exec_lo, vcc_lo
	s_cbranch_execz .LBB458_187
; %bb.186:
	v_mov_b32_e32 v38, 0
	s_delay_alu instid0(VALU_DEP_1) | instskip(NEXT) | instid1(VALU_DEP_1)
	v_lshlrev_b64 v[9:10], 2, v[37:38]
	v_add_co_u32 v9, vcc_lo, s0, v9
	s_delay_alu instid0(VALU_DEP_2)
	v_add_co_ci_u32_e32 v10, vcc_lo, s1, v10, vcc_lo
	global_store_b32 v[9:10], v7, off
.LBB458_187:
	s_or_b32 exec_lo, exec_lo, s2
	v_cmp_lt_u32_e32 vcc_lo, v35, v43
	s_or_b32 s3, s18, vcc_lo
	s_delay_alu instid0(SALU_CYCLE_1)
	s_and_saveexec_b32 s2, s3
	s_cbranch_execz .LBB458_190
; %bb.188:
	v_and_b32_e32 v9, 1, v42
	s_delay_alu instid0(VALU_DEP_1)
	v_cmp_eq_u32_e32 vcc_lo, 1, v9
	s_and_b32 exec_lo, exec_lo, vcc_lo
	s_cbranch_execz .LBB458_190
; %bb.189:
	v_mov_b32_e32 v36, 0
	s_delay_alu instid0(VALU_DEP_1) | instskip(NEXT) | instid1(VALU_DEP_1)
	v_lshlrev_b64 v[9:10], 2, v[35:36]
	v_add_co_u32 v9, vcc_lo, s0, v9
	s_delay_alu instid0(VALU_DEP_2)
	v_add_co_ci_u32_e32 v10, vcc_lo, s1, v10, vcc_lo
	global_store_b32 v[9:10], v8, off
.LBB458_190:
	s_or_b32 exec_lo, exec_lo, s2
	v_cmp_lt_u32_e32 vcc_lo, v33, v43
	s_or_b32 s3, s18, vcc_lo
	s_delay_alu instid0(SALU_CYCLE_1)
	s_and_saveexec_b32 s2, s3
	s_cbranch_execz .LBB458_193
; %bb.191:
	v_and_b32_e32 v9, 1, v41
	s_delay_alu instid0(VALU_DEP_1)
	v_cmp_eq_u32_e32 vcc_lo, 1, v9
	s_and_b32 exec_lo, exec_lo, vcc_lo
	s_cbranch_execz .LBB458_193
; %bb.192:
	v_mov_b32_e32 v34, 0
	s_delay_alu instid0(VALU_DEP_1) | instskip(NEXT) | instid1(VALU_DEP_1)
	v_lshlrev_b64 v[9:10], 2, v[33:34]
	v_add_co_u32 v9, vcc_lo, s0, v9
	s_delay_alu instid0(VALU_DEP_2)
	v_add_co_ci_u32_e32 v10, vcc_lo, s1, v10, vcc_lo
	global_store_b32 v[9:10], v5, off
.LBB458_193:
	s_or_b32 exec_lo, exec_lo, s2
	v_cmp_lt_u32_e32 vcc_lo, v31, v43
	s_or_b32 s3, s18, vcc_lo
	s_delay_alu instid0(SALU_CYCLE_1)
	s_and_saveexec_b32 s2, s3
	s_cbranch_execz .LBB458_196
; %bb.194:
	v_and_b32_e32 v9, 1, v21
	s_delay_alu instid0(VALU_DEP_1)
	v_cmp_eq_u32_e32 vcc_lo, 1, v9
	s_and_b32 exec_lo, exec_lo, vcc_lo
	s_cbranch_execz .LBB458_196
; %bb.195:
	v_mov_b32_e32 v32, 0
	s_delay_alu instid0(VALU_DEP_1) | instskip(NEXT) | instid1(VALU_DEP_1)
	v_lshlrev_b64 v[9:10], 2, v[31:32]
	v_add_co_u32 v9, vcc_lo, s0, v9
	s_delay_alu instid0(VALU_DEP_2)
	v_add_co_ci_u32_e32 v10, vcc_lo, s1, v10, vcc_lo
	global_store_b32 v[9:10], v6, off
.LBB458_196:
	s_or_b32 exec_lo, exec_lo, s2
	v_cmp_lt_u32_e32 vcc_lo, v29, v43
	s_or_b32 s3, s18, vcc_lo
	s_delay_alu instid0(SALU_CYCLE_1)
	s_and_saveexec_b32 s2, s3
	s_cbranch_execz .LBB458_199
; %bb.197:
	v_and_b32_e32 v9, 1, v18
	s_delay_alu instid0(VALU_DEP_1)
	v_cmp_eq_u32_e32 vcc_lo, 1, v9
	s_and_b32 exec_lo, exec_lo, vcc_lo
	s_cbranch_execz .LBB458_199
; %bb.198:
	v_mov_b32_e32 v30, 0
	s_delay_alu instid0(VALU_DEP_1) | instskip(NEXT) | instid1(VALU_DEP_1)
	v_lshlrev_b64 v[9:10], 2, v[29:30]
	v_add_co_u32 v9, vcc_lo, s0, v9
	s_delay_alu instid0(VALU_DEP_2)
	v_add_co_ci_u32_e32 v10, vcc_lo, s1, v10, vcc_lo
	global_store_b32 v[9:10], v3, off
.LBB458_199:
	s_or_b32 exec_lo, exec_lo, s2
	v_cmp_lt_u32_e32 vcc_lo, v27, v43
	s_or_b32 s3, s18, vcc_lo
	s_delay_alu instid0(SALU_CYCLE_1)
	s_and_saveexec_b32 s2, s3
	s_cbranch_execz .LBB458_202
; %bb.200:
	v_and_b32_e32 v9, 1, v40
	s_delay_alu instid0(VALU_DEP_1)
	v_cmp_eq_u32_e32 vcc_lo, 1, v9
	s_and_b32 exec_lo, exec_lo, vcc_lo
	s_cbranch_execz .LBB458_202
; %bb.201:
	v_mov_b32_e32 v28, 0
	s_delay_alu instid0(VALU_DEP_1) | instskip(NEXT) | instid1(VALU_DEP_1)
	v_lshlrev_b64 v[9:10], 2, v[27:28]
	v_add_co_u32 v9, vcc_lo, s0, v9
	s_delay_alu instid0(VALU_DEP_2)
	v_add_co_ci_u32_e32 v10, vcc_lo, s1, v10, vcc_lo
	global_store_b32 v[9:10], v4, off
.LBB458_202:
	s_or_b32 exec_lo, exec_lo, s2
	v_cmp_lt_u32_e32 vcc_lo, v25, v43
	s_or_b32 s3, s18, vcc_lo
	s_delay_alu instid0(SALU_CYCLE_1)
	s_and_saveexec_b32 s2, s3
	s_cbranch_execz .LBB458_205
; %bb.203:
	v_and_b32_e32 v9, 1, v22
	s_delay_alu instid0(VALU_DEP_1)
	v_cmp_eq_u32_e32 vcc_lo, 1, v9
	s_and_b32 exec_lo, exec_lo, vcc_lo
	s_cbranch_execz .LBB458_205
; %bb.204:
	v_mov_b32_e32 v26, 0
	s_delay_alu instid0(VALU_DEP_1) | instskip(NEXT) | instid1(VALU_DEP_1)
	v_lshlrev_b64 v[9:10], 2, v[25:26]
	v_add_co_u32 v9, vcc_lo, s0, v9
	s_delay_alu instid0(VALU_DEP_2)
	v_add_co_ci_u32_e32 v10, vcc_lo, s1, v10, vcc_lo
	global_store_b32 v[9:10], v1, off
.LBB458_205:
	s_or_b32 exec_lo, exec_lo, s2
	v_cmp_lt_u32_e32 vcc_lo, v23, v43
	s_or_b32 s3, s18, vcc_lo
	s_delay_alu instid0(SALU_CYCLE_1)
	s_and_saveexec_b32 s2, s3
	s_cbranch_execz .LBB458_208
; %bb.206:
	v_and_b32_e32 v9, 1, v39
	s_delay_alu instid0(VALU_DEP_1)
	v_cmp_eq_u32_e32 vcc_lo, 1, v9
	s_and_b32 exec_lo, exec_lo, vcc_lo
	s_cbranch_execz .LBB458_208
; %bb.207:
	v_mov_b32_e32 v24, 0
	s_delay_alu instid0(VALU_DEP_1) | instskip(NEXT) | instid1(VALU_DEP_1)
	v_lshlrev_b64 v[9:10], 2, v[23:24]
	v_add_co_u32 v9, vcc_lo, s0, v9
	s_delay_alu instid0(VALU_DEP_2)
	v_add_co_ci_u32_e32 v10, vcc_lo, s1, v10, vcc_lo
	global_store_b32 v[9:10], v2, off
.LBB458_208:
	s_or_b32 exec_lo, exec_lo, s2
.LBB458_209:
	v_cmp_eq_u32_e32 vcc_lo, 0, v0
	s_and_b32 s0, vcc_lo, s14
	s_delay_alu instid0(SALU_CYCLE_1)
	s_and_saveexec_b32 s1, s0
	s_cbranch_execz .LBB458_232
.LBB458_210:
	v_add_co_u32 v0, s0, s10, v19
	s_delay_alu instid0(VALU_DEP_1) | instskip(SKIP_1) | instid1(VALU_DEP_3)
	v_add_co_ci_u32_e64 v1, null, s11, 0, s0
	v_mov_b32_e32 v2, 0
	v_add_co_u32 v0, vcc_lo, v0, v20
	s_delay_alu instid0(VALU_DEP_3)
	v_add_co_ci_u32_e32 v1, vcc_lo, 0, v1, vcc_lo
	global_store_b64 v2, v[0:1], s[16:17]
	s_nop 0
	s_sendmsg sendmsg(MSG_DEALLOC_VGPRS)
	s_endpgm
.LBB458_211:
	s_and_b32 vcc_lo, exec_lo, s0
	s_cbranch_vccz .LBB458_209
; %bb.212:
	s_mov_b32 s0, exec_lo
	v_cmpx_eq_u32_e32 1, v17
	s_cbranch_execz .LBB458_214
; %bb.213:
	v_sub_nc_u32_e32 v9, v37, v20
	s_delay_alu instid0(VALU_DEP_1)
	v_lshlrev_b32_e32 v9, 2, v9
	ds_store_b32 v9, v7
.LBB458_214:
	s_or_b32 exec_lo, exec_lo, s0
	v_and_b32_e32 v7, 1, v42
	s_mov_b32 s0, exec_lo
	s_delay_alu instid0(VALU_DEP_1)
	v_cmpx_eq_u32_e32 1, v7
	s_cbranch_execz .LBB458_216
; %bb.215:
	v_sub_nc_u32_e32 v7, v35, v20
	s_delay_alu instid0(VALU_DEP_1)
	v_lshlrev_b32_e32 v7, 2, v7
	ds_store_b32 v7, v8
.LBB458_216:
	s_or_b32 exec_lo, exec_lo, s0
	v_and_b32_e32 v7, 1, v41
	s_mov_b32 s0, exec_lo
	s_delay_alu instid0(VALU_DEP_1)
	;; [unrolled: 12-line block ×7, first 2 shown]
	v_cmpx_eq_u32_e32 1, v1
	s_cbranch_execz .LBB458_228
; %bb.227:
	v_sub_nc_u32_e32 v1, v23, v20
	s_delay_alu instid0(VALU_DEP_1)
	v_lshlrev_b32_e32 v1, 2, v1
	ds_store_b32 v1, v2
.LBB458_228:
	s_or_b32 exec_lo, exec_lo, s0
	s_delay_alu instid0(SALU_CYCLE_1)
	s_mov_b32 s1, exec_lo
	s_waitcnt lgkmcnt(0)
	s_waitcnt_vscnt null, 0x0
	s_barrier
	buffer_gl0_inv
	v_cmpx_lt_u32_e64 v0, v19
	s_cbranch_execz .LBB458_231
; %bb.229:
	v_dual_mov_b32 v2, 0 :: v_dual_mov_b32 v1, v20
	s_lshl_b64 s[2:3], s[10:11], 2
	v_lshlrev_b32_e32 v3, 2, v0
	s_add_u32 s0, s6, s2
	s_addc_u32 s2, s7, s3
	v_lshlrev_b64 v[4:5], 2, v[1:2]
	v_mov_b32_e32 v1, v0
	s_delay_alu instid0(VALU_DEP_2) | instskip(NEXT) | instid1(VALU_DEP_3)
	v_add_co_u32 v4, vcc_lo, s0, v4
	v_add_co_ci_u32_e32 v5, vcc_lo, s2, v5, vcc_lo
	s_mov_b32 s2, 0
	.p2align	6
.LBB458_230:                            ; =>This Inner Loop Header: Depth=1
	ds_load_b32 v8, v3
	v_lshlrev_b64 v[6:7], 2, v[1:2]
	v_add_nc_u32_e32 v1, 0x180, v1
	v_add_nc_u32_e32 v3, 0x600, v3
	s_delay_alu instid0(VALU_DEP_2) | instskip(NEXT) | instid1(VALU_DEP_4)
	v_cmp_ge_u32_e32 vcc_lo, v1, v19
	v_add_co_u32 v6, s0, v4, v6
	s_delay_alu instid0(VALU_DEP_1)
	v_add_co_ci_u32_e64 v7, s0, v5, v7, s0
	s_or_b32 s2, vcc_lo, s2
	s_waitcnt lgkmcnt(0)
	global_store_b32 v[6:7], v8, off
	s_and_not1_b32 exec_lo, exec_lo, s2
	s_cbranch_execnz .LBB458_230
.LBB458_231:
	s_or_b32 exec_lo, exec_lo, s1
	v_cmp_eq_u32_e32 vcc_lo, 0, v0
	s_and_b32 s0, vcc_lo, s14
	s_delay_alu instid0(SALU_CYCLE_1)
	s_and_saveexec_b32 s1, s0
	s_cbranch_execnz .LBB458_210
.LBB458_232:
	s_nop 0
	s_sendmsg sendmsg(MSG_DEALLOC_VGPRS)
	s_endpgm
	.section	.rodata,"a",@progbits
	.p2align	6, 0x0
	.amdhsa_kernel _ZN7rocprim17ROCPRIM_400000_NS6detail17trampoline_kernelINS0_14default_configENS1_25partition_config_selectorILNS1_17partition_subalgoE9EiibEEZZNS1_14partition_implILS5_9ELb0ES3_jN6thrust23THRUST_200600_302600_NS6detail15normal_iteratorINS9_10device_ptrIiEEEESE_PNS0_10empty_typeENS0_5tupleIJSE_SF_EEENSH_IJSE_SG_EEENS0_18inequality_wrapperI22is_equal_div_10_uniqueIiEEEPmJSF_EEE10hipError_tPvRmT3_T4_T5_T6_T7_T9_mT8_P12ihipStream_tbDpT10_ENKUlT_T0_E_clISt17integral_constantIbLb1EES17_IbLb0EEEEDaS13_S14_EUlS13_E_NS1_11comp_targetILNS1_3genE9ELNS1_11target_archE1100ELNS1_3gpuE3ELNS1_3repE0EEENS1_30default_config_static_selectorELNS0_4arch9wavefront6targetE0EEEvT1_
		.amdhsa_group_segment_fixed_size 12680
		.amdhsa_private_segment_fixed_size 0
		.amdhsa_kernarg_size 112
		.amdhsa_user_sgpr_count 15
		.amdhsa_user_sgpr_dispatch_ptr 0
		.amdhsa_user_sgpr_queue_ptr 0
		.amdhsa_user_sgpr_kernarg_segment_ptr 1
		.amdhsa_user_sgpr_dispatch_id 0
		.amdhsa_user_sgpr_private_segment_size 0
		.amdhsa_wavefront_size32 1
		.amdhsa_uses_dynamic_stack 0
		.amdhsa_enable_private_segment 0
		.amdhsa_system_sgpr_workgroup_id_x 1
		.amdhsa_system_sgpr_workgroup_id_y 0
		.amdhsa_system_sgpr_workgroup_id_z 0
		.amdhsa_system_sgpr_workgroup_info 0
		.amdhsa_system_vgpr_workitem_id 0
		.amdhsa_next_free_vgpr 51
		.amdhsa_next_free_sgpr 25
		.amdhsa_reserve_vcc 1
		.amdhsa_float_round_mode_32 0
		.amdhsa_float_round_mode_16_64 0
		.amdhsa_float_denorm_mode_32 3
		.amdhsa_float_denorm_mode_16_64 3
		.amdhsa_dx10_clamp 1
		.amdhsa_ieee_mode 1
		.amdhsa_fp16_overflow 0
		.amdhsa_workgroup_processor_mode 1
		.amdhsa_memory_ordered 1
		.amdhsa_forward_progress 0
		.amdhsa_shared_vgpr_count 0
		.amdhsa_exception_fp_ieee_invalid_op 0
		.amdhsa_exception_fp_denorm_src 0
		.amdhsa_exception_fp_ieee_div_zero 0
		.amdhsa_exception_fp_ieee_overflow 0
		.amdhsa_exception_fp_ieee_underflow 0
		.amdhsa_exception_fp_ieee_inexact 0
		.amdhsa_exception_int_div_zero 0
	.end_amdhsa_kernel
	.section	.text._ZN7rocprim17ROCPRIM_400000_NS6detail17trampoline_kernelINS0_14default_configENS1_25partition_config_selectorILNS1_17partition_subalgoE9EiibEEZZNS1_14partition_implILS5_9ELb0ES3_jN6thrust23THRUST_200600_302600_NS6detail15normal_iteratorINS9_10device_ptrIiEEEESE_PNS0_10empty_typeENS0_5tupleIJSE_SF_EEENSH_IJSE_SG_EEENS0_18inequality_wrapperI22is_equal_div_10_uniqueIiEEEPmJSF_EEE10hipError_tPvRmT3_T4_T5_T6_T7_T9_mT8_P12ihipStream_tbDpT10_ENKUlT_T0_E_clISt17integral_constantIbLb1EES17_IbLb0EEEEDaS13_S14_EUlS13_E_NS1_11comp_targetILNS1_3genE9ELNS1_11target_archE1100ELNS1_3gpuE3ELNS1_3repE0EEENS1_30default_config_static_selectorELNS0_4arch9wavefront6targetE0EEEvT1_,"axG",@progbits,_ZN7rocprim17ROCPRIM_400000_NS6detail17trampoline_kernelINS0_14default_configENS1_25partition_config_selectorILNS1_17partition_subalgoE9EiibEEZZNS1_14partition_implILS5_9ELb0ES3_jN6thrust23THRUST_200600_302600_NS6detail15normal_iteratorINS9_10device_ptrIiEEEESE_PNS0_10empty_typeENS0_5tupleIJSE_SF_EEENSH_IJSE_SG_EEENS0_18inequality_wrapperI22is_equal_div_10_uniqueIiEEEPmJSF_EEE10hipError_tPvRmT3_T4_T5_T6_T7_T9_mT8_P12ihipStream_tbDpT10_ENKUlT_T0_E_clISt17integral_constantIbLb1EES17_IbLb0EEEEDaS13_S14_EUlS13_E_NS1_11comp_targetILNS1_3genE9ELNS1_11target_archE1100ELNS1_3gpuE3ELNS1_3repE0EEENS1_30default_config_static_selectorELNS0_4arch9wavefront6targetE0EEEvT1_,comdat
.Lfunc_end458:
	.size	_ZN7rocprim17ROCPRIM_400000_NS6detail17trampoline_kernelINS0_14default_configENS1_25partition_config_selectorILNS1_17partition_subalgoE9EiibEEZZNS1_14partition_implILS5_9ELb0ES3_jN6thrust23THRUST_200600_302600_NS6detail15normal_iteratorINS9_10device_ptrIiEEEESE_PNS0_10empty_typeENS0_5tupleIJSE_SF_EEENSH_IJSE_SG_EEENS0_18inequality_wrapperI22is_equal_div_10_uniqueIiEEEPmJSF_EEE10hipError_tPvRmT3_T4_T5_T6_T7_T9_mT8_P12ihipStream_tbDpT10_ENKUlT_T0_E_clISt17integral_constantIbLb1EES17_IbLb0EEEEDaS13_S14_EUlS13_E_NS1_11comp_targetILNS1_3genE9ELNS1_11target_archE1100ELNS1_3gpuE3ELNS1_3repE0EEENS1_30default_config_static_selectorELNS0_4arch9wavefront6targetE0EEEvT1_, .Lfunc_end458-_ZN7rocprim17ROCPRIM_400000_NS6detail17trampoline_kernelINS0_14default_configENS1_25partition_config_selectorILNS1_17partition_subalgoE9EiibEEZZNS1_14partition_implILS5_9ELb0ES3_jN6thrust23THRUST_200600_302600_NS6detail15normal_iteratorINS9_10device_ptrIiEEEESE_PNS0_10empty_typeENS0_5tupleIJSE_SF_EEENSH_IJSE_SG_EEENS0_18inequality_wrapperI22is_equal_div_10_uniqueIiEEEPmJSF_EEE10hipError_tPvRmT3_T4_T5_T6_T7_T9_mT8_P12ihipStream_tbDpT10_ENKUlT_T0_E_clISt17integral_constantIbLb1EES17_IbLb0EEEEDaS13_S14_EUlS13_E_NS1_11comp_targetILNS1_3genE9ELNS1_11target_archE1100ELNS1_3gpuE3ELNS1_3repE0EEENS1_30default_config_static_selectorELNS0_4arch9wavefront6targetE0EEEvT1_
                                        ; -- End function
	.section	.AMDGPU.csdata,"",@progbits
; Kernel info:
; codeLenInByte = 10744
; NumSgprs: 27
; NumVgprs: 51
; ScratchSize: 0
; MemoryBound: 0
; FloatMode: 240
; IeeeMode: 1
; LDSByteSize: 12680 bytes/workgroup (compile time only)
; SGPRBlocks: 3
; VGPRBlocks: 6
; NumSGPRsForWavesPerEU: 27
; NumVGPRsForWavesPerEU: 51
; Occupancy: 15
; WaveLimiterHint : 1
; COMPUTE_PGM_RSRC2:SCRATCH_EN: 0
; COMPUTE_PGM_RSRC2:USER_SGPR: 15
; COMPUTE_PGM_RSRC2:TRAP_HANDLER: 0
; COMPUTE_PGM_RSRC2:TGID_X_EN: 1
; COMPUTE_PGM_RSRC2:TGID_Y_EN: 0
; COMPUTE_PGM_RSRC2:TGID_Z_EN: 0
; COMPUTE_PGM_RSRC2:TIDIG_COMP_CNT: 0
	.section	.text._ZN7rocprim17ROCPRIM_400000_NS6detail17trampoline_kernelINS0_14default_configENS1_25partition_config_selectorILNS1_17partition_subalgoE9EiibEEZZNS1_14partition_implILS5_9ELb0ES3_jN6thrust23THRUST_200600_302600_NS6detail15normal_iteratorINS9_10device_ptrIiEEEESE_PNS0_10empty_typeENS0_5tupleIJSE_SF_EEENSH_IJSE_SG_EEENS0_18inequality_wrapperI22is_equal_div_10_uniqueIiEEEPmJSF_EEE10hipError_tPvRmT3_T4_T5_T6_T7_T9_mT8_P12ihipStream_tbDpT10_ENKUlT_T0_E_clISt17integral_constantIbLb1EES17_IbLb0EEEEDaS13_S14_EUlS13_E_NS1_11comp_targetILNS1_3genE8ELNS1_11target_archE1030ELNS1_3gpuE2ELNS1_3repE0EEENS1_30default_config_static_selectorELNS0_4arch9wavefront6targetE0EEEvT1_,"axG",@progbits,_ZN7rocprim17ROCPRIM_400000_NS6detail17trampoline_kernelINS0_14default_configENS1_25partition_config_selectorILNS1_17partition_subalgoE9EiibEEZZNS1_14partition_implILS5_9ELb0ES3_jN6thrust23THRUST_200600_302600_NS6detail15normal_iteratorINS9_10device_ptrIiEEEESE_PNS0_10empty_typeENS0_5tupleIJSE_SF_EEENSH_IJSE_SG_EEENS0_18inequality_wrapperI22is_equal_div_10_uniqueIiEEEPmJSF_EEE10hipError_tPvRmT3_T4_T5_T6_T7_T9_mT8_P12ihipStream_tbDpT10_ENKUlT_T0_E_clISt17integral_constantIbLb1EES17_IbLb0EEEEDaS13_S14_EUlS13_E_NS1_11comp_targetILNS1_3genE8ELNS1_11target_archE1030ELNS1_3gpuE2ELNS1_3repE0EEENS1_30default_config_static_selectorELNS0_4arch9wavefront6targetE0EEEvT1_,comdat
	.protected	_ZN7rocprim17ROCPRIM_400000_NS6detail17trampoline_kernelINS0_14default_configENS1_25partition_config_selectorILNS1_17partition_subalgoE9EiibEEZZNS1_14partition_implILS5_9ELb0ES3_jN6thrust23THRUST_200600_302600_NS6detail15normal_iteratorINS9_10device_ptrIiEEEESE_PNS0_10empty_typeENS0_5tupleIJSE_SF_EEENSH_IJSE_SG_EEENS0_18inequality_wrapperI22is_equal_div_10_uniqueIiEEEPmJSF_EEE10hipError_tPvRmT3_T4_T5_T6_T7_T9_mT8_P12ihipStream_tbDpT10_ENKUlT_T0_E_clISt17integral_constantIbLb1EES17_IbLb0EEEEDaS13_S14_EUlS13_E_NS1_11comp_targetILNS1_3genE8ELNS1_11target_archE1030ELNS1_3gpuE2ELNS1_3repE0EEENS1_30default_config_static_selectorELNS0_4arch9wavefront6targetE0EEEvT1_ ; -- Begin function _ZN7rocprim17ROCPRIM_400000_NS6detail17trampoline_kernelINS0_14default_configENS1_25partition_config_selectorILNS1_17partition_subalgoE9EiibEEZZNS1_14partition_implILS5_9ELb0ES3_jN6thrust23THRUST_200600_302600_NS6detail15normal_iteratorINS9_10device_ptrIiEEEESE_PNS0_10empty_typeENS0_5tupleIJSE_SF_EEENSH_IJSE_SG_EEENS0_18inequality_wrapperI22is_equal_div_10_uniqueIiEEEPmJSF_EEE10hipError_tPvRmT3_T4_T5_T6_T7_T9_mT8_P12ihipStream_tbDpT10_ENKUlT_T0_E_clISt17integral_constantIbLb1EES17_IbLb0EEEEDaS13_S14_EUlS13_E_NS1_11comp_targetILNS1_3genE8ELNS1_11target_archE1030ELNS1_3gpuE2ELNS1_3repE0EEENS1_30default_config_static_selectorELNS0_4arch9wavefront6targetE0EEEvT1_
	.globl	_ZN7rocprim17ROCPRIM_400000_NS6detail17trampoline_kernelINS0_14default_configENS1_25partition_config_selectorILNS1_17partition_subalgoE9EiibEEZZNS1_14partition_implILS5_9ELb0ES3_jN6thrust23THRUST_200600_302600_NS6detail15normal_iteratorINS9_10device_ptrIiEEEESE_PNS0_10empty_typeENS0_5tupleIJSE_SF_EEENSH_IJSE_SG_EEENS0_18inequality_wrapperI22is_equal_div_10_uniqueIiEEEPmJSF_EEE10hipError_tPvRmT3_T4_T5_T6_T7_T9_mT8_P12ihipStream_tbDpT10_ENKUlT_T0_E_clISt17integral_constantIbLb1EES17_IbLb0EEEEDaS13_S14_EUlS13_E_NS1_11comp_targetILNS1_3genE8ELNS1_11target_archE1030ELNS1_3gpuE2ELNS1_3repE0EEENS1_30default_config_static_selectorELNS0_4arch9wavefront6targetE0EEEvT1_
	.p2align	8
	.type	_ZN7rocprim17ROCPRIM_400000_NS6detail17trampoline_kernelINS0_14default_configENS1_25partition_config_selectorILNS1_17partition_subalgoE9EiibEEZZNS1_14partition_implILS5_9ELb0ES3_jN6thrust23THRUST_200600_302600_NS6detail15normal_iteratorINS9_10device_ptrIiEEEESE_PNS0_10empty_typeENS0_5tupleIJSE_SF_EEENSH_IJSE_SG_EEENS0_18inequality_wrapperI22is_equal_div_10_uniqueIiEEEPmJSF_EEE10hipError_tPvRmT3_T4_T5_T6_T7_T9_mT8_P12ihipStream_tbDpT10_ENKUlT_T0_E_clISt17integral_constantIbLb1EES17_IbLb0EEEEDaS13_S14_EUlS13_E_NS1_11comp_targetILNS1_3genE8ELNS1_11target_archE1030ELNS1_3gpuE2ELNS1_3repE0EEENS1_30default_config_static_selectorELNS0_4arch9wavefront6targetE0EEEvT1_,@function
_ZN7rocprim17ROCPRIM_400000_NS6detail17trampoline_kernelINS0_14default_configENS1_25partition_config_selectorILNS1_17partition_subalgoE9EiibEEZZNS1_14partition_implILS5_9ELb0ES3_jN6thrust23THRUST_200600_302600_NS6detail15normal_iteratorINS9_10device_ptrIiEEEESE_PNS0_10empty_typeENS0_5tupleIJSE_SF_EEENSH_IJSE_SG_EEENS0_18inequality_wrapperI22is_equal_div_10_uniqueIiEEEPmJSF_EEE10hipError_tPvRmT3_T4_T5_T6_T7_T9_mT8_P12ihipStream_tbDpT10_ENKUlT_T0_E_clISt17integral_constantIbLb1EES17_IbLb0EEEEDaS13_S14_EUlS13_E_NS1_11comp_targetILNS1_3genE8ELNS1_11target_archE1030ELNS1_3gpuE2ELNS1_3repE0EEENS1_30default_config_static_selectorELNS0_4arch9wavefront6targetE0EEEvT1_: ; @_ZN7rocprim17ROCPRIM_400000_NS6detail17trampoline_kernelINS0_14default_configENS1_25partition_config_selectorILNS1_17partition_subalgoE9EiibEEZZNS1_14partition_implILS5_9ELb0ES3_jN6thrust23THRUST_200600_302600_NS6detail15normal_iteratorINS9_10device_ptrIiEEEESE_PNS0_10empty_typeENS0_5tupleIJSE_SF_EEENSH_IJSE_SG_EEENS0_18inequality_wrapperI22is_equal_div_10_uniqueIiEEEPmJSF_EEE10hipError_tPvRmT3_T4_T5_T6_T7_T9_mT8_P12ihipStream_tbDpT10_ENKUlT_T0_E_clISt17integral_constantIbLb1EES17_IbLb0EEEEDaS13_S14_EUlS13_E_NS1_11comp_targetILNS1_3genE8ELNS1_11target_archE1030ELNS1_3gpuE2ELNS1_3repE0EEENS1_30default_config_static_selectorELNS0_4arch9wavefront6targetE0EEEvT1_
; %bb.0:
	.section	.rodata,"a",@progbits
	.p2align	6, 0x0
	.amdhsa_kernel _ZN7rocprim17ROCPRIM_400000_NS6detail17trampoline_kernelINS0_14default_configENS1_25partition_config_selectorILNS1_17partition_subalgoE9EiibEEZZNS1_14partition_implILS5_9ELb0ES3_jN6thrust23THRUST_200600_302600_NS6detail15normal_iteratorINS9_10device_ptrIiEEEESE_PNS0_10empty_typeENS0_5tupleIJSE_SF_EEENSH_IJSE_SG_EEENS0_18inequality_wrapperI22is_equal_div_10_uniqueIiEEEPmJSF_EEE10hipError_tPvRmT3_T4_T5_T6_T7_T9_mT8_P12ihipStream_tbDpT10_ENKUlT_T0_E_clISt17integral_constantIbLb1EES17_IbLb0EEEEDaS13_S14_EUlS13_E_NS1_11comp_targetILNS1_3genE8ELNS1_11target_archE1030ELNS1_3gpuE2ELNS1_3repE0EEENS1_30default_config_static_selectorELNS0_4arch9wavefront6targetE0EEEvT1_
		.amdhsa_group_segment_fixed_size 0
		.amdhsa_private_segment_fixed_size 0
		.amdhsa_kernarg_size 112
		.amdhsa_user_sgpr_count 15
		.amdhsa_user_sgpr_dispatch_ptr 0
		.amdhsa_user_sgpr_queue_ptr 0
		.amdhsa_user_sgpr_kernarg_segment_ptr 1
		.amdhsa_user_sgpr_dispatch_id 0
		.amdhsa_user_sgpr_private_segment_size 0
		.amdhsa_wavefront_size32 1
		.amdhsa_uses_dynamic_stack 0
		.amdhsa_enable_private_segment 0
		.amdhsa_system_sgpr_workgroup_id_x 1
		.amdhsa_system_sgpr_workgroup_id_y 0
		.amdhsa_system_sgpr_workgroup_id_z 0
		.amdhsa_system_sgpr_workgroup_info 0
		.amdhsa_system_vgpr_workitem_id 0
		.amdhsa_next_free_vgpr 1
		.amdhsa_next_free_sgpr 1
		.amdhsa_reserve_vcc 0
		.amdhsa_float_round_mode_32 0
		.amdhsa_float_round_mode_16_64 0
		.amdhsa_float_denorm_mode_32 3
		.amdhsa_float_denorm_mode_16_64 3
		.amdhsa_dx10_clamp 1
		.amdhsa_ieee_mode 1
		.amdhsa_fp16_overflow 0
		.amdhsa_workgroup_processor_mode 1
		.amdhsa_memory_ordered 1
		.amdhsa_forward_progress 0
		.amdhsa_shared_vgpr_count 0
		.amdhsa_exception_fp_ieee_invalid_op 0
		.amdhsa_exception_fp_denorm_src 0
		.amdhsa_exception_fp_ieee_div_zero 0
		.amdhsa_exception_fp_ieee_overflow 0
		.amdhsa_exception_fp_ieee_underflow 0
		.amdhsa_exception_fp_ieee_inexact 0
		.amdhsa_exception_int_div_zero 0
	.end_amdhsa_kernel
	.section	.text._ZN7rocprim17ROCPRIM_400000_NS6detail17trampoline_kernelINS0_14default_configENS1_25partition_config_selectorILNS1_17partition_subalgoE9EiibEEZZNS1_14partition_implILS5_9ELb0ES3_jN6thrust23THRUST_200600_302600_NS6detail15normal_iteratorINS9_10device_ptrIiEEEESE_PNS0_10empty_typeENS0_5tupleIJSE_SF_EEENSH_IJSE_SG_EEENS0_18inequality_wrapperI22is_equal_div_10_uniqueIiEEEPmJSF_EEE10hipError_tPvRmT3_T4_T5_T6_T7_T9_mT8_P12ihipStream_tbDpT10_ENKUlT_T0_E_clISt17integral_constantIbLb1EES17_IbLb0EEEEDaS13_S14_EUlS13_E_NS1_11comp_targetILNS1_3genE8ELNS1_11target_archE1030ELNS1_3gpuE2ELNS1_3repE0EEENS1_30default_config_static_selectorELNS0_4arch9wavefront6targetE0EEEvT1_,"axG",@progbits,_ZN7rocprim17ROCPRIM_400000_NS6detail17trampoline_kernelINS0_14default_configENS1_25partition_config_selectorILNS1_17partition_subalgoE9EiibEEZZNS1_14partition_implILS5_9ELb0ES3_jN6thrust23THRUST_200600_302600_NS6detail15normal_iteratorINS9_10device_ptrIiEEEESE_PNS0_10empty_typeENS0_5tupleIJSE_SF_EEENSH_IJSE_SG_EEENS0_18inequality_wrapperI22is_equal_div_10_uniqueIiEEEPmJSF_EEE10hipError_tPvRmT3_T4_T5_T6_T7_T9_mT8_P12ihipStream_tbDpT10_ENKUlT_T0_E_clISt17integral_constantIbLb1EES17_IbLb0EEEEDaS13_S14_EUlS13_E_NS1_11comp_targetILNS1_3genE8ELNS1_11target_archE1030ELNS1_3gpuE2ELNS1_3repE0EEENS1_30default_config_static_selectorELNS0_4arch9wavefront6targetE0EEEvT1_,comdat
.Lfunc_end459:
	.size	_ZN7rocprim17ROCPRIM_400000_NS6detail17trampoline_kernelINS0_14default_configENS1_25partition_config_selectorILNS1_17partition_subalgoE9EiibEEZZNS1_14partition_implILS5_9ELb0ES3_jN6thrust23THRUST_200600_302600_NS6detail15normal_iteratorINS9_10device_ptrIiEEEESE_PNS0_10empty_typeENS0_5tupleIJSE_SF_EEENSH_IJSE_SG_EEENS0_18inequality_wrapperI22is_equal_div_10_uniqueIiEEEPmJSF_EEE10hipError_tPvRmT3_T4_T5_T6_T7_T9_mT8_P12ihipStream_tbDpT10_ENKUlT_T0_E_clISt17integral_constantIbLb1EES17_IbLb0EEEEDaS13_S14_EUlS13_E_NS1_11comp_targetILNS1_3genE8ELNS1_11target_archE1030ELNS1_3gpuE2ELNS1_3repE0EEENS1_30default_config_static_selectorELNS0_4arch9wavefront6targetE0EEEvT1_, .Lfunc_end459-_ZN7rocprim17ROCPRIM_400000_NS6detail17trampoline_kernelINS0_14default_configENS1_25partition_config_selectorILNS1_17partition_subalgoE9EiibEEZZNS1_14partition_implILS5_9ELb0ES3_jN6thrust23THRUST_200600_302600_NS6detail15normal_iteratorINS9_10device_ptrIiEEEESE_PNS0_10empty_typeENS0_5tupleIJSE_SF_EEENSH_IJSE_SG_EEENS0_18inequality_wrapperI22is_equal_div_10_uniqueIiEEEPmJSF_EEE10hipError_tPvRmT3_T4_T5_T6_T7_T9_mT8_P12ihipStream_tbDpT10_ENKUlT_T0_E_clISt17integral_constantIbLb1EES17_IbLb0EEEEDaS13_S14_EUlS13_E_NS1_11comp_targetILNS1_3genE8ELNS1_11target_archE1030ELNS1_3gpuE2ELNS1_3repE0EEENS1_30default_config_static_selectorELNS0_4arch9wavefront6targetE0EEEvT1_
                                        ; -- End function
	.section	.AMDGPU.csdata,"",@progbits
; Kernel info:
; codeLenInByte = 0
; NumSgprs: 0
; NumVgprs: 0
; ScratchSize: 0
; MemoryBound: 0
; FloatMode: 240
; IeeeMode: 1
; LDSByteSize: 0 bytes/workgroup (compile time only)
; SGPRBlocks: 0
; VGPRBlocks: 0
; NumSGPRsForWavesPerEU: 1
; NumVGPRsForWavesPerEU: 1
; Occupancy: 16
; WaveLimiterHint : 0
; COMPUTE_PGM_RSRC2:SCRATCH_EN: 0
; COMPUTE_PGM_RSRC2:USER_SGPR: 15
; COMPUTE_PGM_RSRC2:TRAP_HANDLER: 0
; COMPUTE_PGM_RSRC2:TGID_X_EN: 1
; COMPUTE_PGM_RSRC2:TGID_Y_EN: 0
; COMPUTE_PGM_RSRC2:TGID_Z_EN: 0
; COMPUTE_PGM_RSRC2:TIDIG_COMP_CNT: 0
	.section	.text._ZN7rocprim17ROCPRIM_400000_NS6detail17trampoline_kernelINS0_14default_configENS1_25partition_config_selectorILNS1_17partition_subalgoE9EiibEEZZNS1_14partition_implILS5_9ELb0ES3_jN6thrust23THRUST_200600_302600_NS6detail15normal_iteratorINS9_10device_ptrIiEEEESE_PNS0_10empty_typeENS0_5tupleIJSE_SF_EEENSH_IJSE_SG_EEENS0_18inequality_wrapperI22is_equal_div_10_uniqueIiEEEPmJSF_EEE10hipError_tPvRmT3_T4_T5_T6_T7_T9_mT8_P12ihipStream_tbDpT10_ENKUlT_T0_E_clISt17integral_constantIbLb0EES17_IbLb1EEEEDaS13_S14_EUlS13_E_NS1_11comp_targetILNS1_3genE0ELNS1_11target_archE4294967295ELNS1_3gpuE0ELNS1_3repE0EEENS1_30default_config_static_selectorELNS0_4arch9wavefront6targetE0EEEvT1_,"axG",@progbits,_ZN7rocprim17ROCPRIM_400000_NS6detail17trampoline_kernelINS0_14default_configENS1_25partition_config_selectorILNS1_17partition_subalgoE9EiibEEZZNS1_14partition_implILS5_9ELb0ES3_jN6thrust23THRUST_200600_302600_NS6detail15normal_iteratorINS9_10device_ptrIiEEEESE_PNS0_10empty_typeENS0_5tupleIJSE_SF_EEENSH_IJSE_SG_EEENS0_18inequality_wrapperI22is_equal_div_10_uniqueIiEEEPmJSF_EEE10hipError_tPvRmT3_T4_T5_T6_T7_T9_mT8_P12ihipStream_tbDpT10_ENKUlT_T0_E_clISt17integral_constantIbLb0EES17_IbLb1EEEEDaS13_S14_EUlS13_E_NS1_11comp_targetILNS1_3genE0ELNS1_11target_archE4294967295ELNS1_3gpuE0ELNS1_3repE0EEENS1_30default_config_static_selectorELNS0_4arch9wavefront6targetE0EEEvT1_,comdat
	.protected	_ZN7rocprim17ROCPRIM_400000_NS6detail17trampoline_kernelINS0_14default_configENS1_25partition_config_selectorILNS1_17partition_subalgoE9EiibEEZZNS1_14partition_implILS5_9ELb0ES3_jN6thrust23THRUST_200600_302600_NS6detail15normal_iteratorINS9_10device_ptrIiEEEESE_PNS0_10empty_typeENS0_5tupleIJSE_SF_EEENSH_IJSE_SG_EEENS0_18inequality_wrapperI22is_equal_div_10_uniqueIiEEEPmJSF_EEE10hipError_tPvRmT3_T4_T5_T6_T7_T9_mT8_P12ihipStream_tbDpT10_ENKUlT_T0_E_clISt17integral_constantIbLb0EES17_IbLb1EEEEDaS13_S14_EUlS13_E_NS1_11comp_targetILNS1_3genE0ELNS1_11target_archE4294967295ELNS1_3gpuE0ELNS1_3repE0EEENS1_30default_config_static_selectorELNS0_4arch9wavefront6targetE0EEEvT1_ ; -- Begin function _ZN7rocprim17ROCPRIM_400000_NS6detail17trampoline_kernelINS0_14default_configENS1_25partition_config_selectorILNS1_17partition_subalgoE9EiibEEZZNS1_14partition_implILS5_9ELb0ES3_jN6thrust23THRUST_200600_302600_NS6detail15normal_iteratorINS9_10device_ptrIiEEEESE_PNS0_10empty_typeENS0_5tupleIJSE_SF_EEENSH_IJSE_SG_EEENS0_18inequality_wrapperI22is_equal_div_10_uniqueIiEEEPmJSF_EEE10hipError_tPvRmT3_T4_T5_T6_T7_T9_mT8_P12ihipStream_tbDpT10_ENKUlT_T0_E_clISt17integral_constantIbLb0EES17_IbLb1EEEEDaS13_S14_EUlS13_E_NS1_11comp_targetILNS1_3genE0ELNS1_11target_archE4294967295ELNS1_3gpuE0ELNS1_3repE0EEENS1_30default_config_static_selectorELNS0_4arch9wavefront6targetE0EEEvT1_
	.globl	_ZN7rocprim17ROCPRIM_400000_NS6detail17trampoline_kernelINS0_14default_configENS1_25partition_config_selectorILNS1_17partition_subalgoE9EiibEEZZNS1_14partition_implILS5_9ELb0ES3_jN6thrust23THRUST_200600_302600_NS6detail15normal_iteratorINS9_10device_ptrIiEEEESE_PNS0_10empty_typeENS0_5tupleIJSE_SF_EEENSH_IJSE_SG_EEENS0_18inequality_wrapperI22is_equal_div_10_uniqueIiEEEPmJSF_EEE10hipError_tPvRmT3_T4_T5_T6_T7_T9_mT8_P12ihipStream_tbDpT10_ENKUlT_T0_E_clISt17integral_constantIbLb0EES17_IbLb1EEEEDaS13_S14_EUlS13_E_NS1_11comp_targetILNS1_3genE0ELNS1_11target_archE4294967295ELNS1_3gpuE0ELNS1_3repE0EEENS1_30default_config_static_selectorELNS0_4arch9wavefront6targetE0EEEvT1_
	.p2align	8
	.type	_ZN7rocprim17ROCPRIM_400000_NS6detail17trampoline_kernelINS0_14default_configENS1_25partition_config_selectorILNS1_17partition_subalgoE9EiibEEZZNS1_14partition_implILS5_9ELb0ES3_jN6thrust23THRUST_200600_302600_NS6detail15normal_iteratorINS9_10device_ptrIiEEEESE_PNS0_10empty_typeENS0_5tupleIJSE_SF_EEENSH_IJSE_SG_EEENS0_18inequality_wrapperI22is_equal_div_10_uniqueIiEEEPmJSF_EEE10hipError_tPvRmT3_T4_T5_T6_T7_T9_mT8_P12ihipStream_tbDpT10_ENKUlT_T0_E_clISt17integral_constantIbLb0EES17_IbLb1EEEEDaS13_S14_EUlS13_E_NS1_11comp_targetILNS1_3genE0ELNS1_11target_archE4294967295ELNS1_3gpuE0ELNS1_3repE0EEENS1_30default_config_static_selectorELNS0_4arch9wavefront6targetE0EEEvT1_,@function
_ZN7rocprim17ROCPRIM_400000_NS6detail17trampoline_kernelINS0_14default_configENS1_25partition_config_selectorILNS1_17partition_subalgoE9EiibEEZZNS1_14partition_implILS5_9ELb0ES3_jN6thrust23THRUST_200600_302600_NS6detail15normal_iteratorINS9_10device_ptrIiEEEESE_PNS0_10empty_typeENS0_5tupleIJSE_SF_EEENSH_IJSE_SG_EEENS0_18inequality_wrapperI22is_equal_div_10_uniqueIiEEEPmJSF_EEE10hipError_tPvRmT3_T4_T5_T6_T7_T9_mT8_P12ihipStream_tbDpT10_ENKUlT_T0_E_clISt17integral_constantIbLb0EES17_IbLb1EEEEDaS13_S14_EUlS13_E_NS1_11comp_targetILNS1_3genE0ELNS1_11target_archE4294967295ELNS1_3gpuE0ELNS1_3repE0EEENS1_30default_config_static_selectorELNS0_4arch9wavefront6targetE0EEEvT1_: ; @_ZN7rocprim17ROCPRIM_400000_NS6detail17trampoline_kernelINS0_14default_configENS1_25partition_config_selectorILNS1_17partition_subalgoE9EiibEEZZNS1_14partition_implILS5_9ELb0ES3_jN6thrust23THRUST_200600_302600_NS6detail15normal_iteratorINS9_10device_ptrIiEEEESE_PNS0_10empty_typeENS0_5tupleIJSE_SF_EEENSH_IJSE_SG_EEENS0_18inequality_wrapperI22is_equal_div_10_uniqueIiEEEPmJSF_EEE10hipError_tPvRmT3_T4_T5_T6_T7_T9_mT8_P12ihipStream_tbDpT10_ENKUlT_T0_E_clISt17integral_constantIbLb0EES17_IbLb1EEEEDaS13_S14_EUlS13_E_NS1_11comp_targetILNS1_3genE0ELNS1_11target_archE4294967295ELNS1_3gpuE0ELNS1_3repE0EEENS1_30default_config_static_selectorELNS0_4arch9wavefront6targetE0EEEvT1_
; %bb.0:
	.section	.rodata,"a",@progbits
	.p2align	6, 0x0
	.amdhsa_kernel _ZN7rocprim17ROCPRIM_400000_NS6detail17trampoline_kernelINS0_14default_configENS1_25partition_config_selectorILNS1_17partition_subalgoE9EiibEEZZNS1_14partition_implILS5_9ELb0ES3_jN6thrust23THRUST_200600_302600_NS6detail15normal_iteratorINS9_10device_ptrIiEEEESE_PNS0_10empty_typeENS0_5tupleIJSE_SF_EEENSH_IJSE_SG_EEENS0_18inequality_wrapperI22is_equal_div_10_uniqueIiEEEPmJSF_EEE10hipError_tPvRmT3_T4_T5_T6_T7_T9_mT8_P12ihipStream_tbDpT10_ENKUlT_T0_E_clISt17integral_constantIbLb0EES17_IbLb1EEEEDaS13_S14_EUlS13_E_NS1_11comp_targetILNS1_3genE0ELNS1_11target_archE4294967295ELNS1_3gpuE0ELNS1_3repE0EEENS1_30default_config_static_selectorELNS0_4arch9wavefront6targetE0EEEvT1_
		.amdhsa_group_segment_fixed_size 0
		.amdhsa_private_segment_fixed_size 0
		.amdhsa_kernarg_size 128
		.amdhsa_user_sgpr_count 15
		.amdhsa_user_sgpr_dispatch_ptr 0
		.amdhsa_user_sgpr_queue_ptr 0
		.amdhsa_user_sgpr_kernarg_segment_ptr 1
		.amdhsa_user_sgpr_dispatch_id 0
		.amdhsa_user_sgpr_private_segment_size 0
		.amdhsa_wavefront_size32 1
		.amdhsa_uses_dynamic_stack 0
		.amdhsa_enable_private_segment 0
		.amdhsa_system_sgpr_workgroup_id_x 1
		.amdhsa_system_sgpr_workgroup_id_y 0
		.amdhsa_system_sgpr_workgroup_id_z 0
		.amdhsa_system_sgpr_workgroup_info 0
		.amdhsa_system_vgpr_workitem_id 0
		.amdhsa_next_free_vgpr 1
		.amdhsa_next_free_sgpr 1
		.amdhsa_reserve_vcc 0
		.amdhsa_float_round_mode_32 0
		.amdhsa_float_round_mode_16_64 0
		.amdhsa_float_denorm_mode_32 3
		.amdhsa_float_denorm_mode_16_64 3
		.amdhsa_dx10_clamp 1
		.amdhsa_ieee_mode 1
		.amdhsa_fp16_overflow 0
		.amdhsa_workgroup_processor_mode 1
		.amdhsa_memory_ordered 1
		.amdhsa_forward_progress 0
		.amdhsa_shared_vgpr_count 0
		.amdhsa_exception_fp_ieee_invalid_op 0
		.amdhsa_exception_fp_denorm_src 0
		.amdhsa_exception_fp_ieee_div_zero 0
		.amdhsa_exception_fp_ieee_overflow 0
		.amdhsa_exception_fp_ieee_underflow 0
		.amdhsa_exception_fp_ieee_inexact 0
		.amdhsa_exception_int_div_zero 0
	.end_amdhsa_kernel
	.section	.text._ZN7rocprim17ROCPRIM_400000_NS6detail17trampoline_kernelINS0_14default_configENS1_25partition_config_selectorILNS1_17partition_subalgoE9EiibEEZZNS1_14partition_implILS5_9ELb0ES3_jN6thrust23THRUST_200600_302600_NS6detail15normal_iteratorINS9_10device_ptrIiEEEESE_PNS0_10empty_typeENS0_5tupleIJSE_SF_EEENSH_IJSE_SG_EEENS0_18inequality_wrapperI22is_equal_div_10_uniqueIiEEEPmJSF_EEE10hipError_tPvRmT3_T4_T5_T6_T7_T9_mT8_P12ihipStream_tbDpT10_ENKUlT_T0_E_clISt17integral_constantIbLb0EES17_IbLb1EEEEDaS13_S14_EUlS13_E_NS1_11comp_targetILNS1_3genE0ELNS1_11target_archE4294967295ELNS1_3gpuE0ELNS1_3repE0EEENS1_30default_config_static_selectorELNS0_4arch9wavefront6targetE0EEEvT1_,"axG",@progbits,_ZN7rocprim17ROCPRIM_400000_NS6detail17trampoline_kernelINS0_14default_configENS1_25partition_config_selectorILNS1_17partition_subalgoE9EiibEEZZNS1_14partition_implILS5_9ELb0ES3_jN6thrust23THRUST_200600_302600_NS6detail15normal_iteratorINS9_10device_ptrIiEEEESE_PNS0_10empty_typeENS0_5tupleIJSE_SF_EEENSH_IJSE_SG_EEENS0_18inequality_wrapperI22is_equal_div_10_uniqueIiEEEPmJSF_EEE10hipError_tPvRmT3_T4_T5_T6_T7_T9_mT8_P12ihipStream_tbDpT10_ENKUlT_T0_E_clISt17integral_constantIbLb0EES17_IbLb1EEEEDaS13_S14_EUlS13_E_NS1_11comp_targetILNS1_3genE0ELNS1_11target_archE4294967295ELNS1_3gpuE0ELNS1_3repE0EEENS1_30default_config_static_selectorELNS0_4arch9wavefront6targetE0EEEvT1_,comdat
.Lfunc_end460:
	.size	_ZN7rocprim17ROCPRIM_400000_NS6detail17trampoline_kernelINS0_14default_configENS1_25partition_config_selectorILNS1_17partition_subalgoE9EiibEEZZNS1_14partition_implILS5_9ELb0ES3_jN6thrust23THRUST_200600_302600_NS6detail15normal_iteratorINS9_10device_ptrIiEEEESE_PNS0_10empty_typeENS0_5tupleIJSE_SF_EEENSH_IJSE_SG_EEENS0_18inequality_wrapperI22is_equal_div_10_uniqueIiEEEPmJSF_EEE10hipError_tPvRmT3_T4_T5_T6_T7_T9_mT8_P12ihipStream_tbDpT10_ENKUlT_T0_E_clISt17integral_constantIbLb0EES17_IbLb1EEEEDaS13_S14_EUlS13_E_NS1_11comp_targetILNS1_3genE0ELNS1_11target_archE4294967295ELNS1_3gpuE0ELNS1_3repE0EEENS1_30default_config_static_selectorELNS0_4arch9wavefront6targetE0EEEvT1_, .Lfunc_end460-_ZN7rocprim17ROCPRIM_400000_NS6detail17trampoline_kernelINS0_14default_configENS1_25partition_config_selectorILNS1_17partition_subalgoE9EiibEEZZNS1_14partition_implILS5_9ELb0ES3_jN6thrust23THRUST_200600_302600_NS6detail15normal_iteratorINS9_10device_ptrIiEEEESE_PNS0_10empty_typeENS0_5tupleIJSE_SF_EEENSH_IJSE_SG_EEENS0_18inequality_wrapperI22is_equal_div_10_uniqueIiEEEPmJSF_EEE10hipError_tPvRmT3_T4_T5_T6_T7_T9_mT8_P12ihipStream_tbDpT10_ENKUlT_T0_E_clISt17integral_constantIbLb0EES17_IbLb1EEEEDaS13_S14_EUlS13_E_NS1_11comp_targetILNS1_3genE0ELNS1_11target_archE4294967295ELNS1_3gpuE0ELNS1_3repE0EEENS1_30default_config_static_selectorELNS0_4arch9wavefront6targetE0EEEvT1_
                                        ; -- End function
	.section	.AMDGPU.csdata,"",@progbits
; Kernel info:
; codeLenInByte = 0
; NumSgprs: 0
; NumVgprs: 0
; ScratchSize: 0
; MemoryBound: 0
; FloatMode: 240
; IeeeMode: 1
; LDSByteSize: 0 bytes/workgroup (compile time only)
; SGPRBlocks: 0
; VGPRBlocks: 0
; NumSGPRsForWavesPerEU: 1
; NumVGPRsForWavesPerEU: 1
; Occupancy: 16
; WaveLimiterHint : 0
; COMPUTE_PGM_RSRC2:SCRATCH_EN: 0
; COMPUTE_PGM_RSRC2:USER_SGPR: 15
; COMPUTE_PGM_RSRC2:TRAP_HANDLER: 0
; COMPUTE_PGM_RSRC2:TGID_X_EN: 1
; COMPUTE_PGM_RSRC2:TGID_Y_EN: 0
; COMPUTE_PGM_RSRC2:TGID_Z_EN: 0
; COMPUTE_PGM_RSRC2:TIDIG_COMP_CNT: 0
	.section	.text._ZN7rocprim17ROCPRIM_400000_NS6detail17trampoline_kernelINS0_14default_configENS1_25partition_config_selectorILNS1_17partition_subalgoE9EiibEEZZNS1_14partition_implILS5_9ELb0ES3_jN6thrust23THRUST_200600_302600_NS6detail15normal_iteratorINS9_10device_ptrIiEEEESE_PNS0_10empty_typeENS0_5tupleIJSE_SF_EEENSH_IJSE_SG_EEENS0_18inequality_wrapperI22is_equal_div_10_uniqueIiEEEPmJSF_EEE10hipError_tPvRmT3_T4_T5_T6_T7_T9_mT8_P12ihipStream_tbDpT10_ENKUlT_T0_E_clISt17integral_constantIbLb0EES17_IbLb1EEEEDaS13_S14_EUlS13_E_NS1_11comp_targetILNS1_3genE5ELNS1_11target_archE942ELNS1_3gpuE9ELNS1_3repE0EEENS1_30default_config_static_selectorELNS0_4arch9wavefront6targetE0EEEvT1_,"axG",@progbits,_ZN7rocprim17ROCPRIM_400000_NS6detail17trampoline_kernelINS0_14default_configENS1_25partition_config_selectorILNS1_17partition_subalgoE9EiibEEZZNS1_14partition_implILS5_9ELb0ES3_jN6thrust23THRUST_200600_302600_NS6detail15normal_iteratorINS9_10device_ptrIiEEEESE_PNS0_10empty_typeENS0_5tupleIJSE_SF_EEENSH_IJSE_SG_EEENS0_18inequality_wrapperI22is_equal_div_10_uniqueIiEEEPmJSF_EEE10hipError_tPvRmT3_T4_T5_T6_T7_T9_mT8_P12ihipStream_tbDpT10_ENKUlT_T0_E_clISt17integral_constantIbLb0EES17_IbLb1EEEEDaS13_S14_EUlS13_E_NS1_11comp_targetILNS1_3genE5ELNS1_11target_archE942ELNS1_3gpuE9ELNS1_3repE0EEENS1_30default_config_static_selectorELNS0_4arch9wavefront6targetE0EEEvT1_,comdat
	.protected	_ZN7rocprim17ROCPRIM_400000_NS6detail17trampoline_kernelINS0_14default_configENS1_25partition_config_selectorILNS1_17partition_subalgoE9EiibEEZZNS1_14partition_implILS5_9ELb0ES3_jN6thrust23THRUST_200600_302600_NS6detail15normal_iteratorINS9_10device_ptrIiEEEESE_PNS0_10empty_typeENS0_5tupleIJSE_SF_EEENSH_IJSE_SG_EEENS0_18inequality_wrapperI22is_equal_div_10_uniqueIiEEEPmJSF_EEE10hipError_tPvRmT3_T4_T5_T6_T7_T9_mT8_P12ihipStream_tbDpT10_ENKUlT_T0_E_clISt17integral_constantIbLb0EES17_IbLb1EEEEDaS13_S14_EUlS13_E_NS1_11comp_targetILNS1_3genE5ELNS1_11target_archE942ELNS1_3gpuE9ELNS1_3repE0EEENS1_30default_config_static_selectorELNS0_4arch9wavefront6targetE0EEEvT1_ ; -- Begin function _ZN7rocprim17ROCPRIM_400000_NS6detail17trampoline_kernelINS0_14default_configENS1_25partition_config_selectorILNS1_17partition_subalgoE9EiibEEZZNS1_14partition_implILS5_9ELb0ES3_jN6thrust23THRUST_200600_302600_NS6detail15normal_iteratorINS9_10device_ptrIiEEEESE_PNS0_10empty_typeENS0_5tupleIJSE_SF_EEENSH_IJSE_SG_EEENS0_18inequality_wrapperI22is_equal_div_10_uniqueIiEEEPmJSF_EEE10hipError_tPvRmT3_T4_T5_T6_T7_T9_mT8_P12ihipStream_tbDpT10_ENKUlT_T0_E_clISt17integral_constantIbLb0EES17_IbLb1EEEEDaS13_S14_EUlS13_E_NS1_11comp_targetILNS1_3genE5ELNS1_11target_archE942ELNS1_3gpuE9ELNS1_3repE0EEENS1_30default_config_static_selectorELNS0_4arch9wavefront6targetE0EEEvT1_
	.globl	_ZN7rocprim17ROCPRIM_400000_NS6detail17trampoline_kernelINS0_14default_configENS1_25partition_config_selectorILNS1_17partition_subalgoE9EiibEEZZNS1_14partition_implILS5_9ELb0ES3_jN6thrust23THRUST_200600_302600_NS6detail15normal_iteratorINS9_10device_ptrIiEEEESE_PNS0_10empty_typeENS0_5tupleIJSE_SF_EEENSH_IJSE_SG_EEENS0_18inequality_wrapperI22is_equal_div_10_uniqueIiEEEPmJSF_EEE10hipError_tPvRmT3_T4_T5_T6_T7_T9_mT8_P12ihipStream_tbDpT10_ENKUlT_T0_E_clISt17integral_constantIbLb0EES17_IbLb1EEEEDaS13_S14_EUlS13_E_NS1_11comp_targetILNS1_3genE5ELNS1_11target_archE942ELNS1_3gpuE9ELNS1_3repE0EEENS1_30default_config_static_selectorELNS0_4arch9wavefront6targetE0EEEvT1_
	.p2align	8
	.type	_ZN7rocprim17ROCPRIM_400000_NS6detail17trampoline_kernelINS0_14default_configENS1_25partition_config_selectorILNS1_17partition_subalgoE9EiibEEZZNS1_14partition_implILS5_9ELb0ES3_jN6thrust23THRUST_200600_302600_NS6detail15normal_iteratorINS9_10device_ptrIiEEEESE_PNS0_10empty_typeENS0_5tupleIJSE_SF_EEENSH_IJSE_SG_EEENS0_18inequality_wrapperI22is_equal_div_10_uniqueIiEEEPmJSF_EEE10hipError_tPvRmT3_T4_T5_T6_T7_T9_mT8_P12ihipStream_tbDpT10_ENKUlT_T0_E_clISt17integral_constantIbLb0EES17_IbLb1EEEEDaS13_S14_EUlS13_E_NS1_11comp_targetILNS1_3genE5ELNS1_11target_archE942ELNS1_3gpuE9ELNS1_3repE0EEENS1_30default_config_static_selectorELNS0_4arch9wavefront6targetE0EEEvT1_,@function
_ZN7rocprim17ROCPRIM_400000_NS6detail17trampoline_kernelINS0_14default_configENS1_25partition_config_selectorILNS1_17partition_subalgoE9EiibEEZZNS1_14partition_implILS5_9ELb0ES3_jN6thrust23THRUST_200600_302600_NS6detail15normal_iteratorINS9_10device_ptrIiEEEESE_PNS0_10empty_typeENS0_5tupleIJSE_SF_EEENSH_IJSE_SG_EEENS0_18inequality_wrapperI22is_equal_div_10_uniqueIiEEEPmJSF_EEE10hipError_tPvRmT3_T4_T5_T6_T7_T9_mT8_P12ihipStream_tbDpT10_ENKUlT_T0_E_clISt17integral_constantIbLb0EES17_IbLb1EEEEDaS13_S14_EUlS13_E_NS1_11comp_targetILNS1_3genE5ELNS1_11target_archE942ELNS1_3gpuE9ELNS1_3repE0EEENS1_30default_config_static_selectorELNS0_4arch9wavefront6targetE0EEEvT1_: ; @_ZN7rocprim17ROCPRIM_400000_NS6detail17trampoline_kernelINS0_14default_configENS1_25partition_config_selectorILNS1_17partition_subalgoE9EiibEEZZNS1_14partition_implILS5_9ELb0ES3_jN6thrust23THRUST_200600_302600_NS6detail15normal_iteratorINS9_10device_ptrIiEEEESE_PNS0_10empty_typeENS0_5tupleIJSE_SF_EEENSH_IJSE_SG_EEENS0_18inequality_wrapperI22is_equal_div_10_uniqueIiEEEPmJSF_EEE10hipError_tPvRmT3_T4_T5_T6_T7_T9_mT8_P12ihipStream_tbDpT10_ENKUlT_T0_E_clISt17integral_constantIbLb0EES17_IbLb1EEEEDaS13_S14_EUlS13_E_NS1_11comp_targetILNS1_3genE5ELNS1_11target_archE942ELNS1_3gpuE9ELNS1_3repE0EEENS1_30default_config_static_selectorELNS0_4arch9wavefront6targetE0EEEvT1_
; %bb.0:
	.section	.rodata,"a",@progbits
	.p2align	6, 0x0
	.amdhsa_kernel _ZN7rocprim17ROCPRIM_400000_NS6detail17trampoline_kernelINS0_14default_configENS1_25partition_config_selectorILNS1_17partition_subalgoE9EiibEEZZNS1_14partition_implILS5_9ELb0ES3_jN6thrust23THRUST_200600_302600_NS6detail15normal_iteratorINS9_10device_ptrIiEEEESE_PNS0_10empty_typeENS0_5tupleIJSE_SF_EEENSH_IJSE_SG_EEENS0_18inequality_wrapperI22is_equal_div_10_uniqueIiEEEPmJSF_EEE10hipError_tPvRmT3_T4_T5_T6_T7_T9_mT8_P12ihipStream_tbDpT10_ENKUlT_T0_E_clISt17integral_constantIbLb0EES17_IbLb1EEEEDaS13_S14_EUlS13_E_NS1_11comp_targetILNS1_3genE5ELNS1_11target_archE942ELNS1_3gpuE9ELNS1_3repE0EEENS1_30default_config_static_selectorELNS0_4arch9wavefront6targetE0EEEvT1_
		.amdhsa_group_segment_fixed_size 0
		.amdhsa_private_segment_fixed_size 0
		.amdhsa_kernarg_size 128
		.amdhsa_user_sgpr_count 15
		.amdhsa_user_sgpr_dispatch_ptr 0
		.amdhsa_user_sgpr_queue_ptr 0
		.amdhsa_user_sgpr_kernarg_segment_ptr 1
		.amdhsa_user_sgpr_dispatch_id 0
		.amdhsa_user_sgpr_private_segment_size 0
		.amdhsa_wavefront_size32 1
		.amdhsa_uses_dynamic_stack 0
		.amdhsa_enable_private_segment 0
		.amdhsa_system_sgpr_workgroup_id_x 1
		.amdhsa_system_sgpr_workgroup_id_y 0
		.amdhsa_system_sgpr_workgroup_id_z 0
		.amdhsa_system_sgpr_workgroup_info 0
		.amdhsa_system_vgpr_workitem_id 0
		.amdhsa_next_free_vgpr 1
		.amdhsa_next_free_sgpr 1
		.amdhsa_reserve_vcc 0
		.amdhsa_float_round_mode_32 0
		.amdhsa_float_round_mode_16_64 0
		.amdhsa_float_denorm_mode_32 3
		.amdhsa_float_denorm_mode_16_64 3
		.amdhsa_dx10_clamp 1
		.amdhsa_ieee_mode 1
		.amdhsa_fp16_overflow 0
		.amdhsa_workgroup_processor_mode 1
		.amdhsa_memory_ordered 1
		.amdhsa_forward_progress 0
		.amdhsa_shared_vgpr_count 0
		.amdhsa_exception_fp_ieee_invalid_op 0
		.amdhsa_exception_fp_denorm_src 0
		.amdhsa_exception_fp_ieee_div_zero 0
		.amdhsa_exception_fp_ieee_overflow 0
		.amdhsa_exception_fp_ieee_underflow 0
		.amdhsa_exception_fp_ieee_inexact 0
		.amdhsa_exception_int_div_zero 0
	.end_amdhsa_kernel
	.section	.text._ZN7rocprim17ROCPRIM_400000_NS6detail17trampoline_kernelINS0_14default_configENS1_25partition_config_selectorILNS1_17partition_subalgoE9EiibEEZZNS1_14partition_implILS5_9ELb0ES3_jN6thrust23THRUST_200600_302600_NS6detail15normal_iteratorINS9_10device_ptrIiEEEESE_PNS0_10empty_typeENS0_5tupleIJSE_SF_EEENSH_IJSE_SG_EEENS0_18inequality_wrapperI22is_equal_div_10_uniqueIiEEEPmJSF_EEE10hipError_tPvRmT3_T4_T5_T6_T7_T9_mT8_P12ihipStream_tbDpT10_ENKUlT_T0_E_clISt17integral_constantIbLb0EES17_IbLb1EEEEDaS13_S14_EUlS13_E_NS1_11comp_targetILNS1_3genE5ELNS1_11target_archE942ELNS1_3gpuE9ELNS1_3repE0EEENS1_30default_config_static_selectorELNS0_4arch9wavefront6targetE0EEEvT1_,"axG",@progbits,_ZN7rocprim17ROCPRIM_400000_NS6detail17trampoline_kernelINS0_14default_configENS1_25partition_config_selectorILNS1_17partition_subalgoE9EiibEEZZNS1_14partition_implILS5_9ELb0ES3_jN6thrust23THRUST_200600_302600_NS6detail15normal_iteratorINS9_10device_ptrIiEEEESE_PNS0_10empty_typeENS0_5tupleIJSE_SF_EEENSH_IJSE_SG_EEENS0_18inequality_wrapperI22is_equal_div_10_uniqueIiEEEPmJSF_EEE10hipError_tPvRmT3_T4_T5_T6_T7_T9_mT8_P12ihipStream_tbDpT10_ENKUlT_T0_E_clISt17integral_constantIbLb0EES17_IbLb1EEEEDaS13_S14_EUlS13_E_NS1_11comp_targetILNS1_3genE5ELNS1_11target_archE942ELNS1_3gpuE9ELNS1_3repE0EEENS1_30default_config_static_selectorELNS0_4arch9wavefront6targetE0EEEvT1_,comdat
.Lfunc_end461:
	.size	_ZN7rocprim17ROCPRIM_400000_NS6detail17trampoline_kernelINS0_14default_configENS1_25partition_config_selectorILNS1_17partition_subalgoE9EiibEEZZNS1_14partition_implILS5_9ELb0ES3_jN6thrust23THRUST_200600_302600_NS6detail15normal_iteratorINS9_10device_ptrIiEEEESE_PNS0_10empty_typeENS0_5tupleIJSE_SF_EEENSH_IJSE_SG_EEENS0_18inequality_wrapperI22is_equal_div_10_uniqueIiEEEPmJSF_EEE10hipError_tPvRmT3_T4_T5_T6_T7_T9_mT8_P12ihipStream_tbDpT10_ENKUlT_T0_E_clISt17integral_constantIbLb0EES17_IbLb1EEEEDaS13_S14_EUlS13_E_NS1_11comp_targetILNS1_3genE5ELNS1_11target_archE942ELNS1_3gpuE9ELNS1_3repE0EEENS1_30default_config_static_selectorELNS0_4arch9wavefront6targetE0EEEvT1_, .Lfunc_end461-_ZN7rocprim17ROCPRIM_400000_NS6detail17trampoline_kernelINS0_14default_configENS1_25partition_config_selectorILNS1_17partition_subalgoE9EiibEEZZNS1_14partition_implILS5_9ELb0ES3_jN6thrust23THRUST_200600_302600_NS6detail15normal_iteratorINS9_10device_ptrIiEEEESE_PNS0_10empty_typeENS0_5tupleIJSE_SF_EEENSH_IJSE_SG_EEENS0_18inequality_wrapperI22is_equal_div_10_uniqueIiEEEPmJSF_EEE10hipError_tPvRmT3_T4_T5_T6_T7_T9_mT8_P12ihipStream_tbDpT10_ENKUlT_T0_E_clISt17integral_constantIbLb0EES17_IbLb1EEEEDaS13_S14_EUlS13_E_NS1_11comp_targetILNS1_3genE5ELNS1_11target_archE942ELNS1_3gpuE9ELNS1_3repE0EEENS1_30default_config_static_selectorELNS0_4arch9wavefront6targetE0EEEvT1_
                                        ; -- End function
	.section	.AMDGPU.csdata,"",@progbits
; Kernel info:
; codeLenInByte = 0
; NumSgprs: 0
; NumVgprs: 0
; ScratchSize: 0
; MemoryBound: 0
; FloatMode: 240
; IeeeMode: 1
; LDSByteSize: 0 bytes/workgroup (compile time only)
; SGPRBlocks: 0
; VGPRBlocks: 0
; NumSGPRsForWavesPerEU: 1
; NumVGPRsForWavesPerEU: 1
; Occupancy: 16
; WaveLimiterHint : 0
; COMPUTE_PGM_RSRC2:SCRATCH_EN: 0
; COMPUTE_PGM_RSRC2:USER_SGPR: 15
; COMPUTE_PGM_RSRC2:TRAP_HANDLER: 0
; COMPUTE_PGM_RSRC2:TGID_X_EN: 1
; COMPUTE_PGM_RSRC2:TGID_Y_EN: 0
; COMPUTE_PGM_RSRC2:TGID_Z_EN: 0
; COMPUTE_PGM_RSRC2:TIDIG_COMP_CNT: 0
	.section	.text._ZN7rocprim17ROCPRIM_400000_NS6detail17trampoline_kernelINS0_14default_configENS1_25partition_config_selectorILNS1_17partition_subalgoE9EiibEEZZNS1_14partition_implILS5_9ELb0ES3_jN6thrust23THRUST_200600_302600_NS6detail15normal_iteratorINS9_10device_ptrIiEEEESE_PNS0_10empty_typeENS0_5tupleIJSE_SF_EEENSH_IJSE_SG_EEENS0_18inequality_wrapperI22is_equal_div_10_uniqueIiEEEPmJSF_EEE10hipError_tPvRmT3_T4_T5_T6_T7_T9_mT8_P12ihipStream_tbDpT10_ENKUlT_T0_E_clISt17integral_constantIbLb0EES17_IbLb1EEEEDaS13_S14_EUlS13_E_NS1_11comp_targetILNS1_3genE4ELNS1_11target_archE910ELNS1_3gpuE8ELNS1_3repE0EEENS1_30default_config_static_selectorELNS0_4arch9wavefront6targetE0EEEvT1_,"axG",@progbits,_ZN7rocprim17ROCPRIM_400000_NS6detail17trampoline_kernelINS0_14default_configENS1_25partition_config_selectorILNS1_17partition_subalgoE9EiibEEZZNS1_14partition_implILS5_9ELb0ES3_jN6thrust23THRUST_200600_302600_NS6detail15normal_iteratorINS9_10device_ptrIiEEEESE_PNS0_10empty_typeENS0_5tupleIJSE_SF_EEENSH_IJSE_SG_EEENS0_18inequality_wrapperI22is_equal_div_10_uniqueIiEEEPmJSF_EEE10hipError_tPvRmT3_T4_T5_T6_T7_T9_mT8_P12ihipStream_tbDpT10_ENKUlT_T0_E_clISt17integral_constantIbLb0EES17_IbLb1EEEEDaS13_S14_EUlS13_E_NS1_11comp_targetILNS1_3genE4ELNS1_11target_archE910ELNS1_3gpuE8ELNS1_3repE0EEENS1_30default_config_static_selectorELNS0_4arch9wavefront6targetE0EEEvT1_,comdat
	.protected	_ZN7rocprim17ROCPRIM_400000_NS6detail17trampoline_kernelINS0_14default_configENS1_25partition_config_selectorILNS1_17partition_subalgoE9EiibEEZZNS1_14partition_implILS5_9ELb0ES3_jN6thrust23THRUST_200600_302600_NS6detail15normal_iteratorINS9_10device_ptrIiEEEESE_PNS0_10empty_typeENS0_5tupleIJSE_SF_EEENSH_IJSE_SG_EEENS0_18inequality_wrapperI22is_equal_div_10_uniqueIiEEEPmJSF_EEE10hipError_tPvRmT3_T4_T5_T6_T7_T9_mT8_P12ihipStream_tbDpT10_ENKUlT_T0_E_clISt17integral_constantIbLb0EES17_IbLb1EEEEDaS13_S14_EUlS13_E_NS1_11comp_targetILNS1_3genE4ELNS1_11target_archE910ELNS1_3gpuE8ELNS1_3repE0EEENS1_30default_config_static_selectorELNS0_4arch9wavefront6targetE0EEEvT1_ ; -- Begin function _ZN7rocprim17ROCPRIM_400000_NS6detail17trampoline_kernelINS0_14default_configENS1_25partition_config_selectorILNS1_17partition_subalgoE9EiibEEZZNS1_14partition_implILS5_9ELb0ES3_jN6thrust23THRUST_200600_302600_NS6detail15normal_iteratorINS9_10device_ptrIiEEEESE_PNS0_10empty_typeENS0_5tupleIJSE_SF_EEENSH_IJSE_SG_EEENS0_18inequality_wrapperI22is_equal_div_10_uniqueIiEEEPmJSF_EEE10hipError_tPvRmT3_T4_T5_T6_T7_T9_mT8_P12ihipStream_tbDpT10_ENKUlT_T0_E_clISt17integral_constantIbLb0EES17_IbLb1EEEEDaS13_S14_EUlS13_E_NS1_11comp_targetILNS1_3genE4ELNS1_11target_archE910ELNS1_3gpuE8ELNS1_3repE0EEENS1_30default_config_static_selectorELNS0_4arch9wavefront6targetE0EEEvT1_
	.globl	_ZN7rocprim17ROCPRIM_400000_NS6detail17trampoline_kernelINS0_14default_configENS1_25partition_config_selectorILNS1_17partition_subalgoE9EiibEEZZNS1_14partition_implILS5_9ELb0ES3_jN6thrust23THRUST_200600_302600_NS6detail15normal_iteratorINS9_10device_ptrIiEEEESE_PNS0_10empty_typeENS0_5tupleIJSE_SF_EEENSH_IJSE_SG_EEENS0_18inequality_wrapperI22is_equal_div_10_uniqueIiEEEPmJSF_EEE10hipError_tPvRmT3_T4_T5_T6_T7_T9_mT8_P12ihipStream_tbDpT10_ENKUlT_T0_E_clISt17integral_constantIbLb0EES17_IbLb1EEEEDaS13_S14_EUlS13_E_NS1_11comp_targetILNS1_3genE4ELNS1_11target_archE910ELNS1_3gpuE8ELNS1_3repE0EEENS1_30default_config_static_selectorELNS0_4arch9wavefront6targetE0EEEvT1_
	.p2align	8
	.type	_ZN7rocprim17ROCPRIM_400000_NS6detail17trampoline_kernelINS0_14default_configENS1_25partition_config_selectorILNS1_17partition_subalgoE9EiibEEZZNS1_14partition_implILS5_9ELb0ES3_jN6thrust23THRUST_200600_302600_NS6detail15normal_iteratorINS9_10device_ptrIiEEEESE_PNS0_10empty_typeENS0_5tupleIJSE_SF_EEENSH_IJSE_SG_EEENS0_18inequality_wrapperI22is_equal_div_10_uniqueIiEEEPmJSF_EEE10hipError_tPvRmT3_T4_T5_T6_T7_T9_mT8_P12ihipStream_tbDpT10_ENKUlT_T0_E_clISt17integral_constantIbLb0EES17_IbLb1EEEEDaS13_S14_EUlS13_E_NS1_11comp_targetILNS1_3genE4ELNS1_11target_archE910ELNS1_3gpuE8ELNS1_3repE0EEENS1_30default_config_static_selectorELNS0_4arch9wavefront6targetE0EEEvT1_,@function
_ZN7rocprim17ROCPRIM_400000_NS6detail17trampoline_kernelINS0_14default_configENS1_25partition_config_selectorILNS1_17partition_subalgoE9EiibEEZZNS1_14partition_implILS5_9ELb0ES3_jN6thrust23THRUST_200600_302600_NS6detail15normal_iteratorINS9_10device_ptrIiEEEESE_PNS0_10empty_typeENS0_5tupleIJSE_SF_EEENSH_IJSE_SG_EEENS0_18inequality_wrapperI22is_equal_div_10_uniqueIiEEEPmJSF_EEE10hipError_tPvRmT3_T4_T5_T6_T7_T9_mT8_P12ihipStream_tbDpT10_ENKUlT_T0_E_clISt17integral_constantIbLb0EES17_IbLb1EEEEDaS13_S14_EUlS13_E_NS1_11comp_targetILNS1_3genE4ELNS1_11target_archE910ELNS1_3gpuE8ELNS1_3repE0EEENS1_30default_config_static_selectorELNS0_4arch9wavefront6targetE0EEEvT1_: ; @_ZN7rocprim17ROCPRIM_400000_NS6detail17trampoline_kernelINS0_14default_configENS1_25partition_config_selectorILNS1_17partition_subalgoE9EiibEEZZNS1_14partition_implILS5_9ELb0ES3_jN6thrust23THRUST_200600_302600_NS6detail15normal_iteratorINS9_10device_ptrIiEEEESE_PNS0_10empty_typeENS0_5tupleIJSE_SF_EEENSH_IJSE_SG_EEENS0_18inequality_wrapperI22is_equal_div_10_uniqueIiEEEPmJSF_EEE10hipError_tPvRmT3_T4_T5_T6_T7_T9_mT8_P12ihipStream_tbDpT10_ENKUlT_T0_E_clISt17integral_constantIbLb0EES17_IbLb1EEEEDaS13_S14_EUlS13_E_NS1_11comp_targetILNS1_3genE4ELNS1_11target_archE910ELNS1_3gpuE8ELNS1_3repE0EEENS1_30default_config_static_selectorELNS0_4arch9wavefront6targetE0EEEvT1_
; %bb.0:
	.section	.rodata,"a",@progbits
	.p2align	6, 0x0
	.amdhsa_kernel _ZN7rocprim17ROCPRIM_400000_NS6detail17trampoline_kernelINS0_14default_configENS1_25partition_config_selectorILNS1_17partition_subalgoE9EiibEEZZNS1_14partition_implILS5_9ELb0ES3_jN6thrust23THRUST_200600_302600_NS6detail15normal_iteratorINS9_10device_ptrIiEEEESE_PNS0_10empty_typeENS0_5tupleIJSE_SF_EEENSH_IJSE_SG_EEENS0_18inequality_wrapperI22is_equal_div_10_uniqueIiEEEPmJSF_EEE10hipError_tPvRmT3_T4_T5_T6_T7_T9_mT8_P12ihipStream_tbDpT10_ENKUlT_T0_E_clISt17integral_constantIbLb0EES17_IbLb1EEEEDaS13_S14_EUlS13_E_NS1_11comp_targetILNS1_3genE4ELNS1_11target_archE910ELNS1_3gpuE8ELNS1_3repE0EEENS1_30default_config_static_selectorELNS0_4arch9wavefront6targetE0EEEvT1_
		.amdhsa_group_segment_fixed_size 0
		.amdhsa_private_segment_fixed_size 0
		.amdhsa_kernarg_size 128
		.amdhsa_user_sgpr_count 15
		.amdhsa_user_sgpr_dispatch_ptr 0
		.amdhsa_user_sgpr_queue_ptr 0
		.amdhsa_user_sgpr_kernarg_segment_ptr 1
		.amdhsa_user_sgpr_dispatch_id 0
		.amdhsa_user_sgpr_private_segment_size 0
		.amdhsa_wavefront_size32 1
		.amdhsa_uses_dynamic_stack 0
		.amdhsa_enable_private_segment 0
		.amdhsa_system_sgpr_workgroup_id_x 1
		.amdhsa_system_sgpr_workgroup_id_y 0
		.amdhsa_system_sgpr_workgroup_id_z 0
		.amdhsa_system_sgpr_workgroup_info 0
		.amdhsa_system_vgpr_workitem_id 0
		.amdhsa_next_free_vgpr 1
		.amdhsa_next_free_sgpr 1
		.amdhsa_reserve_vcc 0
		.amdhsa_float_round_mode_32 0
		.amdhsa_float_round_mode_16_64 0
		.amdhsa_float_denorm_mode_32 3
		.amdhsa_float_denorm_mode_16_64 3
		.amdhsa_dx10_clamp 1
		.amdhsa_ieee_mode 1
		.amdhsa_fp16_overflow 0
		.amdhsa_workgroup_processor_mode 1
		.amdhsa_memory_ordered 1
		.amdhsa_forward_progress 0
		.amdhsa_shared_vgpr_count 0
		.amdhsa_exception_fp_ieee_invalid_op 0
		.amdhsa_exception_fp_denorm_src 0
		.amdhsa_exception_fp_ieee_div_zero 0
		.amdhsa_exception_fp_ieee_overflow 0
		.amdhsa_exception_fp_ieee_underflow 0
		.amdhsa_exception_fp_ieee_inexact 0
		.amdhsa_exception_int_div_zero 0
	.end_amdhsa_kernel
	.section	.text._ZN7rocprim17ROCPRIM_400000_NS6detail17trampoline_kernelINS0_14default_configENS1_25partition_config_selectorILNS1_17partition_subalgoE9EiibEEZZNS1_14partition_implILS5_9ELb0ES3_jN6thrust23THRUST_200600_302600_NS6detail15normal_iteratorINS9_10device_ptrIiEEEESE_PNS0_10empty_typeENS0_5tupleIJSE_SF_EEENSH_IJSE_SG_EEENS0_18inequality_wrapperI22is_equal_div_10_uniqueIiEEEPmJSF_EEE10hipError_tPvRmT3_T4_T5_T6_T7_T9_mT8_P12ihipStream_tbDpT10_ENKUlT_T0_E_clISt17integral_constantIbLb0EES17_IbLb1EEEEDaS13_S14_EUlS13_E_NS1_11comp_targetILNS1_3genE4ELNS1_11target_archE910ELNS1_3gpuE8ELNS1_3repE0EEENS1_30default_config_static_selectorELNS0_4arch9wavefront6targetE0EEEvT1_,"axG",@progbits,_ZN7rocprim17ROCPRIM_400000_NS6detail17trampoline_kernelINS0_14default_configENS1_25partition_config_selectorILNS1_17partition_subalgoE9EiibEEZZNS1_14partition_implILS5_9ELb0ES3_jN6thrust23THRUST_200600_302600_NS6detail15normal_iteratorINS9_10device_ptrIiEEEESE_PNS0_10empty_typeENS0_5tupleIJSE_SF_EEENSH_IJSE_SG_EEENS0_18inequality_wrapperI22is_equal_div_10_uniqueIiEEEPmJSF_EEE10hipError_tPvRmT3_T4_T5_T6_T7_T9_mT8_P12ihipStream_tbDpT10_ENKUlT_T0_E_clISt17integral_constantIbLb0EES17_IbLb1EEEEDaS13_S14_EUlS13_E_NS1_11comp_targetILNS1_3genE4ELNS1_11target_archE910ELNS1_3gpuE8ELNS1_3repE0EEENS1_30default_config_static_selectorELNS0_4arch9wavefront6targetE0EEEvT1_,comdat
.Lfunc_end462:
	.size	_ZN7rocprim17ROCPRIM_400000_NS6detail17trampoline_kernelINS0_14default_configENS1_25partition_config_selectorILNS1_17partition_subalgoE9EiibEEZZNS1_14partition_implILS5_9ELb0ES3_jN6thrust23THRUST_200600_302600_NS6detail15normal_iteratorINS9_10device_ptrIiEEEESE_PNS0_10empty_typeENS0_5tupleIJSE_SF_EEENSH_IJSE_SG_EEENS0_18inequality_wrapperI22is_equal_div_10_uniqueIiEEEPmJSF_EEE10hipError_tPvRmT3_T4_T5_T6_T7_T9_mT8_P12ihipStream_tbDpT10_ENKUlT_T0_E_clISt17integral_constantIbLb0EES17_IbLb1EEEEDaS13_S14_EUlS13_E_NS1_11comp_targetILNS1_3genE4ELNS1_11target_archE910ELNS1_3gpuE8ELNS1_3repE0EEENS1_30default_config_static_selectorELNS0_4arch9wavefront6targetE0EEEvT1_, .Lfunc_end462-_ZN7rocprim17ROCPRIM_400000_NS6detail17trampoline_kernelINS0_14default_configENS1_25partition_config_selectorILNS1_17partition_subalgoE9EiibEEZZNS1_14partition_implILS5_9ELb0ES3_jN6thrust23THRUST_200600_302600_NS6detail15normal_iteratorINS9_10device_ptrIiEEEESE_PNS0_10empty_typeENS0_5tupleIJSE_SF_EEENSH_IJSE_SG_EEENS0_18inequality_wrapperI22is_equal_div_10_uniqueIiEEEPmJSF_EEE10hipError_tPvRmT3_T4_T5_T6_T7_T9_mT8_P12ihipStream_tbDpT10_ENKUlT_T0_E_clISt17integral_constantIbLb0EES17_IbLb1EEEEDaS13_S14_EUlS13_E_NS1_11comp_targetILNS1_3genE4ELNS1_11target_archE910ELNS1_3gpuE8ELNS1_3repE0EEENS1_30default_config_static_selectorELNS0_4arch9wavefront6targetE0EEEvT1_
                                        ; -- End function
	.section	.AMDGPU.csdata,"",@progbits
; Kernel info:
; codeLenInByte = 0
; NumSgprs: 0
; NumVgprs: 0
; ScratchSize: 0
; MemoryBound: 0
; FloatMode: 240
; IeeeMode: 1
; LDSByteSize: 0 bytes/workgroup (compile time only)
; SGPRBlocks: 0
; VGPRBlocks: 0
; NumSGPRsForWavesPerEU: 1
; NumVGPRsForWavesPerEU: 1
; Occupancy: 15
; WaveLimiterHint : 0
; COMPUTE_PGM_RSRC2:SCRATCH_EN: 0
; COMPUTE_PGM_RSRC2:USER_SGPR: 15
; COMPUTE_PGM_RSRC2:TRAP_HANDLER: 0
; COMPUTE_PGM_RSRC2:TGID_X_EN: 1
; COMPUTE_PGM_RSRC2:TGID_Y_EN: 0
; COMPUTE_PGM_RSRC2:TGID_Z_EN: 0
; COMPUTE_PGM_RSRC2:TIDIG_COMP_CNT: 0
	.section	.text._ZN7rocprim17ROCPRIM_400000_NS6detail17trampoline_kernelINS0_14default_configENS1_25partition_config_selectorILNS1_17partition_subalgoE9EiibEEZZNS1_14partition_implILS5_9ELb0ES3_jN6thrust23THRUST_200600_302600_NS6detail15normal_iteratorINS9_10device_ptrIiEEEESE_PNS0_10empty_typeENS0_5tupleIJSE_SF_EEENSH_IJSE_SG_EEENS0_18inequality_wrapperI22is_equal_div_10_uniqueIiEEEPmJSF_EEE10hipError_tPvRmT3_T4_T5_T6_T7_T9_mT8_P12ihipStream_tbDpT10_ENKUlT_T0_E_clISt17integral_constantIbLb0EES17_IbLb1EEEEDaS13_S14_EUlS13_E_NS1_11comp_targetILNS1_3genE3ELNS1_11target_archE908ELNS1_3gpuE7ELNS1_3repE0EEENS1_30default_config_static_selectorELNS0_4arch9wavefront6targetE0EEEvT1_,"axG",@progbits,_ZN7rocprim17ROCPRIM_400000_NS6detail17trampoline_kernelINS0_14default_configENS1_25partition_config_selectorILNS1_17partition_subalgoE9EiibEEZZNS1_14partition_implILS5_9ELb0ES3_jN6thrust23THRUST_200600_302600_NS6detail15normal_iteratorINS9_10device_ptrIiEEEESE_PNS0_10empty_typeENS0_5tupleIJSE_SF_EEENSH_IJSE_SG_EEENS0_18inequality_wrapperI22is_equal_div_10_uniqueIiEEEPmJSF_EEE10hipError_tPvRmT3_T4_T5_T6_T7_T9_mT8_P12ihipStream_tbDpT10_ENKUlT_T0_E_clISt17integral_constantIbLb0EES17_IbLb1EEEEDaS13_S14_EUlS13_E_NS1_11comp_targetILNS1_3genE3ELNS1_11target_archE908ELNS1_3gpuE7ELNS1_3repE0EEENS1_30default_config_static_selectorELNS0_4arch9wavefront6targetE0EEEvT1_,comdat
	.protected	_ZN7rocprim17ROCPRIM_400000_NS6detail17trampoline_kernelINS0_14default_configENS1_25partition_config_selectorILNS1_17partition_subalgoE9EiibEEZZNS1_14partition_implILS5_9ELb0ES3_jN6thrust23THRUST_200600_302600_NS6detail15normal_iteratorINS9_10device_ptrIiEEEESE_PNS0_10empty_typeENS0_5tupleIJSE_SF_EEENSH_IJSE_SG_EEENS0_18inequality_wrapperI22is_equal_div_10_uniqueIiEEEPmJSF_EEE10hipError_tPvRmT3_T4_T5_T6_T7_T9_mT8_P12ihipStream_tbDpT10_ENKUlT_T0_E_clISt17integral_constantIbLb0EES17_IbLb1EEEEDaS13_S14_EUlS13_E_NS1_11comp_targetILNS1_3genE3ELNS1_11target_archE908ELNS1_3gpuE7ELNS1_3repE0EEENS1_30default_config_static_selectorELNS0_4arch9wavefront6targetE0EEEvT1_ ; -- Begin function _ZN7rocprim17ROCPRIM_400000_NS6detail17trampoline_kernelINS0_14default_configENS1_25partition_config_selectorILNS1_17partition_subalgoE9EiibEEZZNS1_14partition_implILS5_9ELb0ES3_jN6thrust23THRUST_200600_302600_NS6detail15normal_iteratorINS9_10device_ptrIiEEEESE_PNS0_10empty_typeENS0_5tupleIJSE_SF_EEENSH_IJSE_SG_EEENS0_18inequality_wrapperI22is_equal_div_10_uniqueIiEEEPmJSF_EEE10hipError_tPvRmT3_T4_T5_T6_T7_T9_mT8_P12ihipStream_tbDpT10_ENKUlT_T0_E_clISt17integral_constantIbLb0EES17_IbLb1EEEEDaS13_S14_EUlS13_E_NS1_11comp_targetILNS1_3genE3ELNS1_11target_archE908ELNS1_3gpuE7ELNS1_3repE0EEENS1_30default_config_static_selectorELNS0_4arch9wavefront6targetE0EEEvT1_
	.globl	_ZN7rocprim17ROCPRIM_400000_NS6detail17trampoline_kernelINS0_14default_configENS1_25partition_config_selectorILNS1_17partition_subalgoE9EiibEEZZNS1_14partition_implILS5_9ELb0ES3_jN6thrust23THRUST_200600_302600_NS6detail15normal_iteratorINS9_10device_ptrIiEEEESE_PNS0_10empty_typeENS0_5tupleIJSE_SF_EEENSH_IJSE_SG_EEENS0_18inequality_wrapperI22is_equal_div_10_uniqueIiEEEPmJSF_EEE10hipError_tPvRmT3_T4_T5_T6_T7_T9_mT8_P12ihipStream_tbDpT10_ENKUlT_T0_E_clISt17integral_constantIbLb0EES17_IbLb1EEEEDaS13_S14_EUlS13_E_NS1_11comp_targetILNS1_3genE3ELNS1_11target_archE908ELNS1_3gpuE7ELNS1_3repE0EEENS1_30default_config_static_selectorELNS0_4arch9wavefront6targetE0EEEvT1_
	.p2align	8
	.type	_ZN7rocprim17ROCPRIM_400000_NS6detail17trampoline_kernelINS0_14default_configENS1_25partition_config_selectorILNS1_17partition_subalgoE9EiibEEZZNS1_14partition_implILS5_9ELb0ES3_jN6thrust23THRUST_200600_302600_NS6detail15normal_iteratorINS9_10device_ptrIiEEEESE_PNS0_10empty_typeENS0_5tupleIJSE_SF_EEENSH_IJSE_SG_EEENS0_18inequality_wrapperI22is_equal_div_10_uniqueIiEEEPmJSF_EEE10hipError_tPvRmT3_T4_T5_T6_T7_T9_mT8_P12ihipStream_tbDpT10_ENKUlT_T0_E_clISt17integral_constantIbLb0EES17_IbLb1EEEEDaS13_S14_EUlS13_E_NS1_11comp_targetILNS1_3genE3ELNS1_11target_archE908ELNS1_3gpuE7ELNS1_3repE0EEENS1_30default_config_static_selectorELNS0_4arch9wavefront6targetE0EEEvT1_,@function
_ZN7rocprim17ROCPRIM_400000_NS6detail17trampoline_kernelINS0_14default_configENS1_25partition_config_selectorILNS1_17partition_subalgoE9EiibEEZZNS1_14partition_implILS5_9ELb0ES3_jN6thrust23THRUST_200600_302600_NS6detail15normal_iteratorINS9_10device_ptrIiEEEESE_PNS0_10empty_typeENS0_5tupleIJSE_SF_EEENSH_IJSE_SG_EEENS0_18inequality_wrapperI22is_equal_div_10_uniqueIiEEEPmJSF_EEE10hipError_tPvRmT3_T4_T5_T6_T7_T9_mT8_P12ihipStream_tbDpT10_ENKUlT_T0_E_clISt17integral_constantIbLb0EES17_IbLb1EEEEDaS13_S14_EUlS13_E_NS1_11comp_targetILNS1_3genE3ELNS1_11target_archE908ELNS1_3gpuE7ELNS1_3repE0EEENS1_30default_config_static_selectorELNS0_4arch9wavefront6targetE0EEEvT1_: ; @_ZN7rocprim17ROCPRIM_400000_NS6detail17trampoline_kernelINS0_14default_configENS1_25partition_config_selectorILNS1_17partition_subalgoE9EiibEEZZNS1_14partition_implILS5_9ELb0ES3_jN6thrust23THRUST_200600_302600_NS6detail15normal_iteratorINS9_10device_ptrIiEEEESE_PNS0_10empty_typeENS0_5tupleIJSE_SF_EEENSH_IJSE_SG_EEENS0_18inequality_wrapperI22is_equal_div_10_uniqueIiEEEPmJSF_EEE10hipError_tPvRmT3_T4_T5_T6_T7_T9_mT8_P12ihipStream_tbDpT10_ENKUlT_T0_E_clISt17integral_constantIbLb0EES17_IbLb1EEEEDaS13_S14_EUlS13_E_NS1_11comp_targetILNS1_3genE3ELNS1_11target_archE908ELNS1_3gpuE7ELNS1_3repE0EEENS1_30default_config_static_selectorELNS0_4arch9wavefront6targetE0EEEvT1_
; %bb.0:
	.section	.rodata,"a",@progbits
	.p2align	6, 0x0
	.amdhsa_kernel _ZN7rocprim17ROCPRIM_400000_NS6detail17trampoline_kernelINS0_14default_configENS1_25partition_config_selectorILNS1_17partition_subalgoE9EiibEEZZNS1_14partition_implILS5_9ELb0ES3_jN6thrust23THRUST_200600_302600_NS6detail15normal_iteratorINS9_10device_ptrIiEEEESE_PNS0_10empty_typeENS0_5tupleIJSE_SF_EEENSH_IJSE_SG_EEENS0_18inequality_wrapperI22is_equal_div_10_uniqueIiEEEPmJSF_EEE10hipError_tPvRmT3_T4_T5_T6_T7_T9_mT8_P12ihipStream_tbDpT10_ENKUlT_T0_E_clISt17integral_constantIbLb0EES17_IbLb1EEEEDaS13_S14_EUlS13_E_NS1_11comp_targetILNS1_3genE3ELNS1_11target_archE908ELNS1_3gpuE7ELNS1_3repE0EEENS1_30default_config_static_selectorELNS0_4arch9wavefront6targetE0EEEvT1_
		.amdhsa_group_segment_fixed_size 0
		.amdhsa_private_segment_fixed_size 0
		.amdhsa_kernarg_size 128
		.amdhsa_user_sgpr_count 15
		.amdhsa_user_sgpr_dispatch_ptr 0
		.amdhsa_user_sgpr_queue_ptr 0
		.amdhsa_user_sgpr_kernarg_segment_ptr 1
		.amdhsa_user_sgpr_dispatch_id 0
		.amdhsa_user_sgpr_private_segment_size 0
		.amdhsa_wavefront_size32 1
		.amdhsa_uses_dynamic_stack 0
		.amdhsa_enable_private_segment 0
		.amdhsa_system_sgpr_workgroup_id_x 1
		.amdhsa_system_sgpr_workgroup_id_y 0
		.amdhsa_system_sgpr_workgroup_id_z 0
		.amdhsa_system_sgpr_workgroup_info 0
		.amdhsa_system_vgpr_workitem_id 0
		.amdhsa_next_free_vgpr 1
		.amdhsa_next_free_sgpr 1
		.amdhsa_reserve_vcc 0
		.amdhsa_float_round_mode_32 0
		.amdhsa_float_round_mode_16_64 0
		.amdhsa_float_denorm_mode_32 3
		.amdhsa_float_denorm_mode_16_64 3
		.amdhsa_dx10_clamp 1
		.amdhsa_ieee_mode 1
		.amdhsa_fp16_overflow 0
		.amdhsa_workgroup_processor_mode 1
		.amdhsa_memory_ordered 1
		.amdhsa_forward_progress 0
		.amdhsa_shared_vgpr_count 0
		.amdhsa_exception_fp_ieee_invalid_op 0
		.amdhsa_exception_fp_denorm_src 0
		.amdhsa_exception_fp_ieee_div_zero 0
		.amdhsa_exception_fp_ieee_overflow 0
		.amdhsa_exception_fp_ieee_underflow 0
		.amdhsa_exception_fp_ieee_inexact 0
		.amdhsa_exception_int_div_zero 0
	.end_amdhsa_kernel
	.section	.text._ZN7rocprim17ROCPRIM_400000_NS6detail17trampoline_kernelINS0_14default_configENS1_25partition_config_selectorILNS1_17partition_subalgoE9EiibEEZZNS1_14partition_implILS5_9ELb0ES3_jN6thrust23THRUST_200600_302600_NS6detail15normal_iteratorINS9_10device_ptrIiEEEESE_PNS0_10empty_typeENS0_5tupleIJSE_SF_EEENSH_IJSE_SG_EEENS0_18inequality_wrapperI22is_equal_div_10_uniqueIiEEEPmJSF_EEE10hipError_tPvRmT3_T4_T5_T6_T7_T9_mT8_P12ihipStream_tbDpT10_ENKUlT_T0_E_clISt17integral_constantIbLb0EES17_IbLb1EEEEDaS13_S14_EUlS13_E_NS1_11comp_targetILNS1_3genE3ELNS1_11target_archE908ELNS1_3gpuE7ELNS1_3repE0EEENS1_30default_config_static_selectorELNS0_4arch9wavefront6targetE0EEEvT1_,"axG",@progbits,_ZN7rocprim17ROCPRIM_400000_NS6detail17trampoline_kernelINS0_14default_configENS1_25partition_config_selectorILNS1_17partition_subalgoE9EiibEEZZNS1_14partition_implILS5_9ELb0ES3_jN6thrust23THRUST_200600_302600_NS6detail15normal_iteratorINS9_10device_ptrIiEEEESE_PNS0_10empty_typeENS0_5tupleIJSE_SF_EEENSH_IJSE_SG_EEENS0_18inequality_wrapperI22is_equal_div_10_uniqueIiEEEPmJSF_EEE10hipError_tPvRmT3_T4_T5_T6_T7_T9_mT8_P12ihipStream_tbDpT10_ENKUlT_T0_E_clISt17integral_constantIbLb0EES17_IbLb1EEEEDaS13_S14_EUlS13_E_NS1_11comp_targetILNS1_3genE3ELNS1_11target_archE908ELNS1_3gpuE7ELNS1_3repE0EEENS1_30default_config_static_selectorELNS0_4arch9wavefront6targetE0EEEvT1_,comdat
.Lfunc_end463:
	.size	_ZN7rocprim17ROCPRIM_400000_NS6detail17trampoline_kernelINS0_14default_configENS1_25partition_config_selectorILNS1_17partition_subalgoE9EiibEEZZNS1_14partition_implILS5_9ELb0ES3_jN6thrust23THRUST_200600_302600_NS6detail15normal_iteratorINS9_10device_ptrIiEEEESE_PNS0_10empty_typeENS0_5tupleIJSE_SF_EEENSH_IJSE_SG_EEENS0_18inequality_wrapperI22is_equal_div_10_uniqueIiEEEPmJSF_EEE10hipError_tPvRmT3_T4_T5_T6_T7_T9_mT8_P12ihipStream_tbDpT10_ENKUlT_T0_E_clISt17integral_constantIbLb0EES17_IbLb1EEEEDaS13_S14_EUlS13_E_NS1_11comp_targetILNS1_3genE3ELNS1_11target_archE908ELNS1_3gpuE7ELNS1_3repE0EEENS1_30default_config_static_selectorELNS0_4arch9wavefront6targetE0EEEvT1_, .Lfunc_end463-_ZN7rocprim17ROCPRIM_400000_NS6detail17trampoline_kernelINS0_14default_configENS1_25partition_config_selectorILNS1_17partition_subalgoE9EiibEEZZNS1_14partition_implILS5_9ELb0ES3_jN6thrust23THRUST_200600_302600_NS6detail15normal_iteratorINS9_10device_ptrIiEEEESE_PNS0_10empty_typeENS0_5tupleIJSE_SF_EEENSH_IJSE_SG_EEENS0_18inequality_wrapperI22is_equal_div_10_uniqueIiEEEPmJSF_EEE10hipError_tPvRmT3_T4_T5_T6_T7_T9_mT8_P12ihipStream_tbDpT10_ENKUlT_T0_E_clISt17integral_constantIbLb0EES17_IbLb1EEEEDaS13_S14_EUlS13_E_NS1_11comp_targetILNS1_3genE3ELNS1_11target_archE908ELNS1_3gpuE7ELNS1_3repE0EEENS1_30default_config_static_selectorELNS0_4arch9wavefront6targetE0EEEvT1_
                                        ; -- End function
	.section	.AMDGPU.csdata,"",@progbits
; Kernel info:
; codeLenInByte = 0
; NumSgprs: 0
; NumVgprs: 0
; ScratchSize: 0
; MemoryBound: 0
; FloatMode: 240
; IeeeMode: 1
; LDSByteSize: 0 bytes/workgroup (compile time only)
; SGPRBlocks: 0
; VGPRBlocks: 0
; NumSGPRsForWavesPerEU: 1
; NumVGPRsForWavesPerEU: 1
; Occupancy: 16
; WaveLimiterHint : 0
; COMPUTE_PGM_RSRC2:SCRATCH_EN: 0
; COMPUTE_PGM_RSRC2:USER_SGPR: 15
; COMPUTE_PGM_RSRC2:TRAP_HANDLER: 0
; COMPUTE_PGM_RSRC2:TGID_X_EN: 1
; COMPUTE_PGM_RSRC2:TGID_Y_EN: 0
; COMPUTE_PGM_RSRC2:TGID_Z_EN: 0
; COMPUTE_PGM_RSRC2:TIDIG_COMP_CNT: 0
	.section	.text._ZN7rocprim17ROCPRIM_400000_NS6detail17trampoline_kernelINS0_14default_configENS1_25partition_config_selectorILNS1_17partition_subalgoE9EiibEEZZNS1_14partition_implILS5_9ELb0ES3_jN6thrust23THRUST_200600_302600_NS6detail15normal_iteratorINS9_10device_ptrIiEEEESE_PNS0_10empty_typeENS0_5tupleIJSE_SF_EEENSH_IJSE_SG_EEENS0_18inequality_wrapperI22is_equal_div_10_uniqueIiEEEPmJSF_EEE10hipError_tPvRmT3_T4_T5_T6_T7_T9_mT8_P12ihipStream_tbDpT10_ENKUlT_T0_E_clISt17integral_constantIbLb0EES17_IbLb1EEEEDaS13_S14_EUlS13_E_NS1_11comp_targetILNS1_3genE2ELNS1_11target_archE906ELNS1_3gpuE6ELNS1_3repE0EEENS1_30default_config_static_selectorELNS0_4arch9wavefront6targetE0EEEvT1_,"axG",@progbits,_ZN7rocprim17ROCPRIM_400000_NS6detail17trampoline_kernelINS0_14default_configENS1_25partition_config_selectorILNS1_17partition_subalgoE9EiibEEZZNS1_14partition_implILS5_9ELb0ES3_jN6thrust23THRUST_200600_302600_NS6detail15normal_iteratorINS9_10device_ptrIiEEEESE_PNS0_10empty_typeENS0_5tupleIJSE_SF_EEENSH_IJSE_SG_EEENS0_18inequality_wrapperI22is_equal_div_10_uniqueIiEEEPmJSF_EEE10hipError_tPvRmT3_T4_T5_T6_T7_T9_mT8_P12ihipStream_tbDpT10_ENKUlT_T0_E_clISt17integral_constantIbLb0EES17_IbLb1EEEEDaS13_S14_EUlS13_E_NS1_11comp_targetILNS1_3genE2ELNS1_11target_archE906ELNS1_3gpuE6ELNS1_3repE0EEENS1_30default_config_static_selectorELNS0_4arch9wavefront6targetE0EEEvT1_,comdat
	.protected	_ZN7rocprim17ROCPRIM_400000_NS6detail17trampoline_kernelINS0_14default_configENS1_25partition_config_selectorILNS1_17partition_subalgoE9EiibEEZZNS1_14partition_implILS5_9ELb0ES3_jN6thrust23THRUST_200600_302600_NS6detail15normal_iteratorINS9_10device_ptrIiEEEESE_PNS0_10empty_typeENS0_5tupleIJSE_SF_EEENSH_IJSE_SG_EEENS0_18inequality_wrapperI22is_equal_div_10_uniqueIiEEEPmJSF_EEE10hipError_tPvRmT3_T4_T5_T6_T7_T9_mT8_P12ihipStream_tbDpT10_ENKUlT_T0_E_clISt17integral_constantIbLb0EES17_IbLb1EEEEDaS13_S14_EUlS13_E_NS1_11comp_targetILNS1_3genE2ELNS1_11target_archE906ELNS1_3gpuE6ELNS1_3repE0EEENS1_30default_config_static_selectorELNS0_4arch9wavefront6targetE0EEEvT1_ ; -- Begin function _ZN7rocprim17ROCPRIM_400000_NS6detail17trampoline_kernelINS0_14default_configENS1_25partition_config_selectorILNS1_17partition_subalgoE9EiibEEZZNS1_14partition_implILS5_9ELb0ES3_jN6thrust23THRUST_200600_302600_NS6detail15normal_iteratorINS9_10device_ptrIiEEEESE_PNS0_10empty_typeENS0_5tupleIJSE_SF_EEENSH_IJSE_SG_EEENS0_18inequality_wrapperI22is_equal_div_10_uniqueIiEEEPmJSF_EEE10hipError_tPvRmT3_T4_T5_T6_T7_T9_mT8_P12ihipStream_tbDpT10_ENKUlT_T0_E_clISt17integral_constantIbLb0EES17_IbLb1EEEEDaS13_S14_EUlS13_E_NS1_11comp_targetILNS1_3genE2ELNS1_11target_archE906ELNS1_3gpuE6ELNS1_3repE0EEENS1_30default_config_static_selectorELNS0_4arch9wavefront6targetE0EEEvT1_
	.globl	_ZN7rocprim17ROCPRIM_400000_NS6detail17trampoline_kernelINS0_14default_configENS1_25partition_config_selectorILNS1_17partition_subalgoE9EiibEEZZNS1_14partition_implILS5_9ELb0ES3_jN6thrust23THRUST_200600_302600_NS6detail15normal_iteratorINS9_10device_ptrIiEEEESE_PNS0_10empty_typeENS0_5tupleIJSE_SF_EEENSH_IJSE_SG_EEENS0_18inequality_wrapperI22is_equal_div_10_uniqueIiEEEPmJSF_EEE10hipError_tPvRmT3_T4_T5_T6_T7_T9_mT8_P12ihipStream_tbDpT10_ENKUlT_T0_E_clISt17integral_constantIbLb0EES17_IbLb1EEEEDaS13_S14_EUlS13_E_NS1_11comp_targetILNS1_3genE2ELNS1_11target_archE906ELNS1_3gpuE6ELNS1_3repE0EEENS1_30default_config_static_selectorELNS0_4arch9wavefront6targetE0EEEvT1_
	.p2align	8
	.type	_ZN7rocprim17ROCPRIM_400000_NS6detail17trampoline_kernelINS0_14default_configENS1_25partition_config_selectorILNS1_17partition_subalgoE9EiibEEZZNS1_14partition_implILS5_9ELb0ES3_jN6thrust23THRUST_200600_302600_NS6detail15normal_iteratorINS9_10device_ptrIiEEEESE_PNS0_10empty_typeENS0_5tupleIJSE_SF_EEENSH_IJSE_SG_EEENS0_18inequality_wrapperI22is_equal_div_10_uniqueIiEEEPmJSF_EEE10hipError_tPvRmT3_T4_T5_T6_T7_T9_mT8_P12ihipStream_tbDpT10_ENKUlT_T0_E_clISt17integral_constantIbLb0EES17_IbLb1EEEEDaS13_S14_EUlS13_E_NS1_11comp_targetILNS1_3genE2ELNS1_11target_archE906ELNS1_3gpuE6ELNS1_3repE0EEENS1_30default_config_static_selectorELNS0_4arch9wavefront6targetE0EEEvT1_,@function
_ZN7rocprim17ROCPRIM_400000_NS6detail17trampoline_kernelINS0_14default_configENS1_25partition_config_selectorILNS1_17partition_subalgoE9EiibEEZZNS1_14partition_implILS5_9ELb0ES3_jN6thrust23THRUST_200600_302600_NS6detail15normal_iteratorINS9_10device_ptrIiEEEESE_PNS0_10empty_typeENS0_5tupleIJSE_SF_EEENSH_IJSE_SG_EEENS0_18inequality_wrapperI22is_equal_div_10_uniqueIiEEEPmJSF_EEE10hipError_tPvRmT3_T4_T5_T6_T7_T9_mT8_P12ihipStream_tbDpT10_ENKUlT_T0_E_clISt17integral_constantIbLb0EES17_IbLb1EEEEDaS13_S14_EUlS13_E_NS1_11comp_targetILNS1_3genE2ELNS1_11target_archE906ELNS1_3gpuE6ELNS1_3repE0EEENS1_30default_config_static_selectorELNS0_4arch9wavefront6targetE0EEEvT1_: ; @_ZN7rocprim17ROCPRIM_400000_NS6detail17trampoline_kernelINS0_14default_configENS1_25partition_config_selectorILNS1_17partition_subalgoE9EiibEEZZNS1_14partition_implILS5_9ELb0ES3_jN6thrust23THRUST_200600_302600_NS6detail15normal_iteratorINS9_10device_ptrIiEEEESE_PNS0_10empty_typeENS0_5tupleIJSE_SF_EEENSH_IJSE_SG_EEENS0_18inequality_wrapperI22is_equal_div_10_uniqueIiEEEPmJSF_EEE10hipError_tPvRmT3_T4_T5_T6_T7_T9_mT8_P12ihipStream_tbDpT10_ENKUlT_T0_E_clISt17integral_constantIbLb0EES17_IbLb1EEEEDaS13_S14_EUlS13_E_NS1_11comp_targetILNS1_3genE2ELNS1_11target_archE906ELNS1_3gpuE6ELNS1_3repE0EEENS1_30default_config_static_selectorELNS0_4arch9wavefront6targetE0EEEvT1_
; %bb.0:
	.section	.rodata,"a",@progbits
	.p2align	6, 0x0
	.amdhsa_kernel _ZN7rocprim17ROCPRIM_400000_NS6detail17trampoline_kernelINS0_14default_configENS1_25partition_config_selectorILNS1_17partition_subalgoE9EiibEEZZNS1_14partition_implILS5_9ELb0ES3_jN6thrust23THRUST_200600_302600_NS6detail15normal_iteratorINS9_10device_ptrIiEEEESE_PNS0_10empty_typeENS0_5tupleIJSE_SF_EEENSH_IJSE_SG_EEENS0_18inequality_wrapperI22is_equal_div_10_uniqueIiEEEPmJSF_EEE10hipError_tPvRmT3_T4_T5_T6_T7_T9_mT8_P12ihipStream_tbDpT10_ENKUlT_T0_E_clISt17integral_constantIbLb0EES17_IbLb1EEEEDaS13_S14_EUlS13_E_NS1_11comp_targetILNS1_3genE2ELNS1_11target_archE906ELNS1_3gpuE6ELNS1_3repE0EEENS1_30default_config_static_selectorELNS0_4arch9wavefront6targetE0EEEvT1_
		.amdhsa_group_segment_fixed_size 0
		.amdhsa_private_segment_fixed_size 0
		.amdhsa_kernarg_size 128
		.amdhsa_user_sgpr_count 15
		.amdhsa_user_sgpr_dispatch_ptr 0
		.amdhsa_user_sgpr_queue_ptr 0
		.amdhsa_user_sgpr_kernarg_segment_ptr 1
		.amdhsa_user_sgpr_dispatch_id 0
		.amdhsa_user_sgpr_private_segment_size 0
		.amdhsa_wavefront_size32 1
		.amdhsa_uses_dynamic_stack 0
		.amdhsa_enable_private_segment 0
		.amdhsa_system_sgpr_workgroup_id_x 1
		.amdhsa_system_sgpr_workgroup_id_y 0
		.amdhsa_system_sgpr_workgroup_id_z 0
		.amdhsa_system_sgpr_workgroup_info 0
		.amdhsa_system_vgpr_workitem_id 0
		.amdhsa_next_free_vgpr 1
		.amdhsa_next_free_sgpr 1
		.amdhsa_reserve_vcc 0
		.amdhsa_float_round_mode_32 0
		.amdhsa_float_round_mode_16_64 0
		.amdhsa_float_denorm_mode_32 3
		.amdhsa_float_denorm_mode_16_64 3
		.amdhsa_dx10_clamp 1
		.amdhsa_ieee_mode 1
		.amdhsa_fp16_overflow 0
		.amdhsa_workgroup_processor_mode 1
		.amdhsa_memory_ordered 1
		.amdhsa_forward_progress 0
		.amdhsa_shared_vgpr_count 0
		.amdhsa_exception_fp_ieee_invalid_op 0
		.amdhsa_exception_fp_denorm_src 0
		.amdhsa_exception_fp_ieee_div_zero 0
		.amdhsa_exception_fp_ieee_overflow 0
		.amdhsa_exception_fp_ieee_underflow 0
		.amdhsa_exception_fp_ieee_inexact 0
		.amdhsa_exception_int_div_zero 0
	.end_amdhsa_kernel
	.section	.text._ZN7rocprim17ROCPRIM_400000_NS6detail17trampoline_kernelINS0_14default_configENS1_25partition_config_selectorILNS1_17partition_subalgoE9EiibEEZZNS1_14partition_implILS5_9ELb0ES3_jN6thrust23THRUST_200600_302600_NS6detail15normal_iteratorINS9_10device_ptrIiEEEESE_PNS0_10empty_typeENS0_5tupleIJSE_SF_EEENSH_IJSE_SG_EEENS0_18inequality_wrapperI22is_equal_div_10_uniqueIiEEEPmJSF_EEE10hipError_tPvRmT3_T4_T5_T6_T7_T9_mT8_P12ihipStream_tbDpT10_ENKUlT_T0_E_clISt17integral_constantIbLb0EES17_IbLb1EEEEDaS13_S14_EUlS13_E_NS1_11comp_targetILNS1_3genE2ELNS1_11target_archE906ELNS1_3gpuE6ELNS1_3repE0EEENS1_30default_config_static_selectorELNS0_4arch9wavefront6targetE0EEEvT1_,"axG",@progbits,_ZN7rocprim17ROCPRIM_400000_NS6detail17trampoline_kernelINS0_14default_configENS1_25partition_config_selectorILNS1_17partition_subalgoE9EiibEEZZNS1_14partition_implILS5_9ELb0ES3_jN6thrust23THRUST_200600_302600_NS6detail15normal_iteratorINS9_10device_ptrIiEEEESE_PNS0_10empty_typeENS0_5tupleIJSE_SF_EEENSH_IJSE_SG_EEENS0_18inequality_wrapperI22is_equal_div_10_uniqueIiEEEPmJSF_EEE10hipError_tPvRmT3_T4_T5_T6_T7_T9_mT8_P12ihipStream_tbDpT10_ENKUlT_T0_E_clISt17integral_constantIbLb0EES17_IbLb1EEEEDaS13_S14_EUlS13_E_NS1_11comp_targetILNS1_3genE2ELNS1_11target_archE906ELNS1_3gpuE6ELNS1_3repE0EEENS1_30default_config_static_selectorELNS0_4arch9wavefront6targetE0EEEvT1_,comdat
.Lfunc_end464:
	.size	_ZN7rocprim17ROCPRIM_400000_NS6detail17trampoline_kernelINS0_14default_configENS1_25partition_config_selectorILNS1_17partition_subalgoE9EiibEEZZNS1_14partition_implILS5_9ELb0ES3_jN6thrust23THRUST_200600_302600_NS6detail15normal_iteratorINS9_10device_ptrIiEEEESE_PNS0_10empty_typeENS0_5tupleIJSE_SF_EEENSH_IJSE_SG_EEENS0_18inequality_wrapperI22is_equal_div_10_uniqueIiEEEPmJSF_EEE10hipError_tPvRmT3_T4_T5_T6_T7_T9_mT8_P12ihipStream_tbDpT10_ENKUlT_T0_E_clISt17integral_constantIbLb0EES17_IbLb1EEEEDaS13_S14_EUlS13_E_NS1_11comp_targetILNS1_3genE2ELNS1_11target_archE906ELNS1_3gpuE6ELNS1_3repE0EEENS1_30default_config_static_selectorELNS0_4arch9wavefront6targetE0EEEvT1_, .Lfunc_end464-_ZN7rocprim17ROCPRIM_400000_NS6detail17trampoline_kernelINS0_14default_configENS1_25partition_config_selectorILNS1_17partition_subalgoE9EiibEEZZNS1_14partition_implILS5_9ELb0ES3_jN6thrust23THRUST_200600_302600_NS6detail15normal_iteratorINS9_10device_ptrIiEEEESE_PNS0_10empty_typeENS0_5tupleIJSE_SF_EEENSH_IJSE_SG_EEENS0_18inequality_wrapperI22is_equal_div_10_uniqueIiEEEPmJSF_EEE10hipError_tPvRmT3_T4_T5_T6_T7_T9_mT8_P12ihipStream_tbDpT10_ENKUlT_T0_E_clISt17integral_constantIbLb0EES17_IbLb1EEEEDaS13_S14_EUlS13_E_NS1_11comp_targetILNS1_3genE2ELNS1_11target_archE906ELNS1_3gpuE6ELNS1_3repE0EEENS1_30default_config_static_selectorELNS0_4arch9wavefront6targetE0EEEvT1_
                                        ; -- End function
	.section	.AMDGPU.csdata,"",@progbits
; Kernel info:
; codeLenInByte = 0
; NumSgprs: 0
; NumVgprs: 0
; ScratchSize: 0
; MemoryBound: 0
; FloatMode: 240
; IeeeMode: 1
; LDSByteSize: 0 bytes/workgroup (compile time only)
; SGPRBlocks: 0
; VGPRBlocks: 0
; NumSGPRsForWavesPerEU: 1
; NumVGPRsForWavesPerEU: 1
; Occupancy: 16
; WaveLimiterHint : 0
; COMPUTE_PGM_RSRC2:SCRATCH_EN: 0
; COMPUTE_PGM_RSRC2:USER_SGPR: 15
; COMPUTE_PGM_RSRC2:TRAP_HANDLER: 0
; COMPUTE_PGM_RSRC2:TGID_X_EN: 1
; COMPUTE_PGM_RSRC2:TGID_Y_EN: 0
; COMPUTE_PGM_RSRC2:TGID_Z_EN: 0
; COMPUTE_PGM_RSRC2:TIDIG_COMP_CNT: 0
	.section	.text._ZN7rocprim17ROCPRIM_400000_NS6detail17trampoline_kernelINS0_14default_configENS1_25partition_config_selectorILNS1_17partition_subalgoE9EiibEEZZNS1_14partition_implILS5_9ELb0ES3_jN6thrust23THRUST_200600_302600_NS6detail15normal_iteratorINS9_10device_ptrIiEEEESE_PNS0_10empty_typeENS0_5tupleIJSE_SF_EEENSH_IJSE_SG_EEENS0_18inequality_wrapperI22is_equal_div_10_uniqueIiEEEPmJSF_EEE10hipError_tPvRmT3_T4_T5_T6_T7_T9_mT8_P12ihipStream_tbDpT10_ENKUlT_T0_E_clISt17integral_constantIbLb0EES17_IbLb1EEEEDaS13_S14_EUlS13_E_NS1_11comp_targetILNS1_3genE10ELNS1_11target_archE1200ELNS1_3gpuE4ELNS1_3repE0EEENS1_30default_config_static_selectorELNS0_4arch9wavefront6targetE0EEEvT1_,"axG",@progbits,_ZN7rocprim17ROCPRIM_400000_NS6detail17trampoline_kernelINS0_14default_configENS1_25partition_config_selectorILNS1_17partition_subalgoE9EiibEEZZNS1_14partition_implILS5_9ELb0ES3_jN6thrust23THRUST_200600_302600_NS6detail15normal_iteratorINS9_10device_ptrIiEEEESE_PNS0_10empty_typeENS0_5tupleIJSE_SF_EEENSH_IJSE_SG_EEENS0_18inequality_wrapperI22is_equal_div_10_uniqueIiEEEPmJSF_EEE10hipError_tPvRmT3_T4_T5_T6_T7_T9_mT8_P12ihipStream_tbDpT10_ENKUlT_T0_E_clISt17integral_constantIbLb0EES17_IbLb1EEEEDaS13_S14_EUlS13_E_NS1_11comp_targetILNS1_3genE10ELNS1_11target_archE1200ELNS1_3gpuE4ELNS1_3repE0EEENS1_30default_config_static_selectorELNS0_4arch9wavefront6targetE0EEEvT1_,comdat
	.protected	_ZN7rocprim17ROCPRIM_400000_NS6detail17trampoline_kernelINS0_14default_configENS1_25partition_config_selectorILNS1_17partition_subalgoE9EiibEEZZNS1_14partition_implILS5_9ELb0ES3_jN6thrust23THRUST_200600_302600_NS6detail15normal_iteratorINS9_10device_ptrIiEEEESE_PNS0_10empty_typeENS0_5tupleIJSE_SF_EEENSH_IJSE_SG_EEENS0_18inequality_wrapperI22is_equal_div_10_uniqueIiEEEPmJSF_EEE10hipError_tPvRmT3_T4_T5_T6_T7_T9_mT8_P12ihipStream_tbDpT10_ENKUlT_T0_E_clISt17integral_constantIbLb0EES17_IbLb1EEEEDaS13_S14_EUlS13_E_NS1_11comp_targetILNS1_3genE10ELNS1_11target_archE1200ELNS1_3gpuE4ELNS1_3repE0EEENS1_30default_config_static_selectorELNS0_4arch9wavefront6targetE0EEEvT1_ ; -- Begin function _ZN7rocprim17ROCPRIM_400000_NS6detail17trampoline_kernelINS0_14default_configENS1_25partition_config_selectorILNS1_17partition_subalgoE9EiibEEZZNS1_14partition_implILS5_9ELb0ES3_jN6thrust23THRUST_200600_302600_NS6detail15normal_iteratorINS9_10device_ptrIiEEEESE_PNS0_10empty_typeENS0_5tupleIJSE_SF_EEENSH_IJSE_SG_EEENS0_18inequality_wrapperI22is_equal_div_10_uniqueIiEEEPmJSF_EEE10hipError_tPvRmT3_T4_T5_T6_T7_T9_mT8_P12ihipStream_tbDpT10_ENKUlT_T0_E_clISt17integral_constantIbLb0EES17_IbLb1EEEEDaS13_S14_EUlS13_E_NS1_11comp_targetILNS1_3genE10ELNS1_11target_archE1200ELNS1_3gpuE4ELNS1_3repE0EEENS1_30default_config_static_selectorELNS0_4arch9wavefront6targetE0EEEvT1_
	.globl	_ZN7rocprim17ROCPRIM_400000_NS6detail17trampoline_kernelINS0_14default_configENS1_25partition_config_selectorILNS1_17partition_subalgoE9EiibEEZZNS1_14partition_implILS5_9ELb0ES3_jN6thrust23THRUST_200600_302600_NS6detail15normal_iteratorINS9_10device_ptrIiEEEESE_PNS0_10empty_typeENS0_5tupleIJSE_SF_EEENSH_IJSE_SG_EEENS0_18inequality_wrapperI22is_equal_div_10_uniqueIiEEEPmJSF_EEE10hipError_tPvRmT3_T4_T5_T6_T7_T9_mT8_P12ihipStream_tbDpT10_ENKUlT_T0_E_clISt17integral_constantIbLb0EES17_IbLb1EEEEDaS13_S14_EUlS13_E_NS1_11comp_targetILNS1_3genE10ELNS1_11target_archE1200ELNS1_3gpuE4ELNS1_3repE0EEENS1_30default_config_static_selectorELNS0_4arch9wavefront6targetE0EEEvT1_
	.p2align	8
	.type	_ZN7rocprim17ROCPRIM_400000_NS6detail17trampoline_kernelINS0_14default_configENS1_25partition_config_selectorILNS1_17partition_subalgoE9EiibEEZZNS1_14partition_implILS5_9ELb0ES3_jN6thrust23THRUST_200600_302600_NS6detail15normal_iteratorINS9_10device_ptrIiEEEESE_PNS0_10empty_typeENS0_5tupleIJSE_SF_EEENSH_IJSE_SG_EEENS0_18inequality_wrapperI22is_equal_div_10_uniqueIiEEEPmJSF_EEE10hipError_tPvRmT3_T4_T5_T6_T7_T9_mT8_P12ihipStream_tbDpT10_ENKUlT_T0_E_clISt17integral_constantIbLb0EES17_IbLb1EEEEDaS13_S14_EUlS13_E_NS1_11comp_targetILNS1_3genE10ELNS1_11target_archE1200ELNS1_3gpuE4ELNS1_3repE0EEENS1_30default_config_static_selectorELNS0_4arch9wavefront6targetE0EEEvT1_,@function
_ZN7rocprim17ROCPRIM_400000_NS6detail17trampoline_kernelINS0_14default_configENS1_25partition_config_selectorILNS1_17partition_subalgoE9EiibEEZZNS1_14partition_implILS5_9ELb0ES3_jN6thrust23THRUST_200600_302600_NS6detail15normal_iteratorINS9_10device_ptrIiEEEESE_PNS0_10empty_typeENS0_5tupleIJSE_SF_EEENSH_IJSE_SG_EEENS0_18inequality_wrapperI22is_equal_div_10_uniqueIiEEEPmJSF_EEE10hipError_tPvRmT3_T4_T5_T6_T7_T9_mT8_P12ihipStream_tbDpT10_ENKUlT_T0_E_clISt17integral_constantIbLb0EES17_IbLb1EEEEDaS13_S14_EUlS13_E_NS1_11comp_targetILNS1_3genE10ELNS1_11target_archE1200ELNS1_3gpuE4ELNS1_3repE0EEENS1_30default_config_static_selectorELNS0_4arch9wavefront6targetE0EEEvT1_: ; @_ZN7rocprim17ROCPRIM_400000_NS6detail17trampoline_kernelINS0_14default_configENS1_25partition_config_selectorILNS1_17partition_subalgoE9EiibEEZZNS1_14partition_implILS5_9ELb0ES3_jN6thrust23THRUST_200600_302600_NS6detail15normal_iteratorINS9_10device_ptrIiEEEESE_PNS0_10empty_typeENS0_5tupleIJSE_SF_EEENSH_IJSE_SG_EEENS0_18inequality_wrapperI22is_equal_div_10_uniqueIiEEEPmJSF_EEE10hipError_tPvRmT3_T4_T5_T6_T7_T9_mT8_P12ihipStream_tbDpT10_ENKUlT_T0_E_clISt17integral_constantIbLb0EES17_IbLb1EEEEDaS13_S14_EUlS13_E_NS1_11comp_targetILNS1_3genE10ELNS1_11target_archE1200ELNS1_3gpuE4ELNS1_3repE0EEENS1_30default_config_static_selectorELNS0_4arch9wavefront6targetE0EEEvT1_
; %bb.0:
	.section	.rodata,"a",@progbits
	.p2align	6, 0x0
	.amdhsa_kernel _ZN7rocprim17ROCPRIM_400000_NS6detail17trampoline_kernelINS0_14default_configENS1_25partition_config_selectorILNS1_17partition_subalgoE9EiibEEZZNS1_14partition_implILS5_9ELb0ES3_jN6thrust23THRUST_200600_302600_NS6detail15normal_iteratorINS9_10device_ptrIiEEEESE_PNS0_10empty_typeENS0_5tupleIJSE_SF_EEENSH_IJSE_SG_EEENS0_18inequality_wrapperI22is_equal_div_10_uniqueIiEEEPmJSF_EEE10hipError_tPvRmT3_T4_T5_T6_T7_T9_mT8_P12ihipStream_tbDpT10_ENKUlT_T0_E_clISt17integral_constantIbLb0EES17_IbLb1EEEEDaS13_S14_EUlS13_E_NS1_11comp_targetILNS1_3genE10ELNS1_11target_archE1200ELNS1_3gpuE4ELNS1_3repE0EEENS1_30default_config_static_selectorELNS0_4arch9wavefront6targetE0EEEvT1_
		.amdhsa_group_segment_fixed_size 0
		.amdhsa_private_segment_fixed_size 0
		.amdhsa_kernarg_size 128
		.amdhsa_user_sgpr_count 15
		.amdhsa_user_sgpr_dispatch_ptr 0
		.amdhsa_user_sgpr_queue_ptr 0
		.amdhsa_user_sgpr_kernarg_segment_ptr 1
		.amdhsa_user_sgpr_dispatch_id 0
		.amdhsa_user_sgpr_private_segment_size 0
		.amdhsa_wavefront_size32 1
		.amdhsa_uses_dynamic_stack 0
		.amdhsa_enable_private_segment 0
		.amdhsa_system_sgpr_workgroup_id_x 1
		.amdhsa_system_sgpr_workgroup_id_y 0
		.amdhsa_system_sgpr_workgroup_id_z 0
		.amdhsa_system_sgpr_workgroup_info 0
		.amdhsa_system_vgpr_workitem_id 0
		.amdhsa_next_free_vgpr 1
		.amdhsa_next_free_sgpr 1
		.amdhsa_reserve_vcc 0
		.amdhsa_float_round_mode_32 0
		.amdhsa_float_round_mode_16_64 0
		.amdhsa_float_denorm_mode_32 3
		.amdhsa_float_denorm_mode_16_64 3
		.amdhsa_dx10_clamp 1
		.amdhsa_ieee_mode 1
		.amdhsa_fp16_overflow 0
		.amdhsa_workgroup_processor_mode 1
		.amdhsa_memory_ordered 1
		.amdhsa_forward_progress 0
		.amdhsa_shared_vgpr_count 0
		.amdhsa_exception_fp_ieee_invalid_op 0
		.amdhsa_exception_fp_denorm_src 0
		.amdhsa_exception_fp_ieee_div_zero 0
		.amdhsa_exception_fp_ieee_overflow 0
		.amdhsa_exception_fp_ieee_underflow 0
		.amdhsa_exception_fp_ieee_inexact 0
		.amdhsa_exception_int_div_zero 0
	.end_amdhsa_kernel
	.section	.text._ZN7rocprim17ROCPRIM_400000_NS6detail17trampoline_kernelINS0_14default_configENS1_25partition_config_selectorILNS1_17partition_subalgoE9EiibEEZZNS1_14partition_implILS5_9ELb0ES3_jN6thrust23THRUST_200600_302600_NS6detail15normal_iteratorINS9_10device_ptrIiEEEESE_PNS0_10empty_typeENS0_5tupleIJSE_SF_EEENSH_IJSE_SG_EEENS0_18inequality_wrapperI22is_equal_div_10_uniqueIiEEEPmJSF_EEE10hipError_tPvRmT3_T4_T5_T6_T7_T9_mT8_P12ihipStream_tbDpT10_ENKUlT_T0_E_clISt17integral_constantIbLb0EES17_IbLb1EEEEDaS13_S14_EUlS13_E_NS1_11comp_targetILNS1_3genE10ELNS1_11target_archE1200ELNS1_3gpuE4ELNS1_3repE0EEENS1_30default_config_static_selectorELNS0_4arch9wavefront6targetE0EEEvT1_,"axG",@progbits,_ZN7rocprim17ROCPRIM_400000_NS6detail17trampoline_kernelINS0_14default_configENS1_25partition_config_selectorILNS1_17partition_subalgoE9EiibEEZZNS1_14partition_implILS5_9ELb0ES3_jN6thrust23THRUST_200600_302600_NS6detail15normal_iteratorINS9_10device_ptrIiEEEESE_PNS0_10empty_typeENS0_5tupleIJSE_SF_EEENSH_IJSE_SG_EEENS0_18inequality_wrapperI22is_equal_div_10_uniqueIiEEEPmJSF_EEE10hipError_tPvRmT3_T4_T5_T6_T7_T9_mT8_P12ihipStream_tbDpT10_ENKUlT_T0_E_clISt17integral_constantIbLb0EES17_IbLb1EEEEDaS13_S14_EUlS13_E_NS1_11comp_targetILNS1_3genE10ELNS1_11target_archE1200ELNS1_3gpuE4ELNS1_3repE0EEENS1_30default_config_static_selectorELNS0_4arch9wavefront6targetE0EEEvT1_,comdat
.Lfunc_end465:
	.size	_ZN7rocprim17ROCPRIM_400000_NS6detail17trampoline_kernelINS0_14default_configENS1_25partition_config_selectorILNS1_17partition_subalgoE9EiibEEZZNS1_14partition_implILS5_9ELb0ES3_jN6thrust23THRUST_200600_302600_NS6detail15normal_iteratorINS9_10device_ptrIiEEEESE_PNS0_10empty_typeENS0_5tupleIJSE_SF_EEENSH_IJSE_SG_EEENS0_18inequality_wrapperI22is_equal_div_10_uniqueIiEEEPmJSF_EEE10hipError_tPvRmT3_T4_T5_T6_T7_T9_mT8_P12ihipStream_tbDpT10_ENKUlT_T0_E_clISt17integral_constantIbLb0EES17_IbLb1EEEEDaS13_S14_EUlS13_E_NS1_11comp_targetILNS1_3genE10ELNS1_11target_archE1200ELNS1_3gpuE4ELNS1_3repE0EEENS1_30default_config_static_selectorELNS0_4arch9wavefront6targetE0EEEvT1_, .Lfunc_end465-_ZN7rocprim17ROCPRIM_400000_NS6detail17trampoline_kernelINS0_14default_configENS1_25partition_config_selectorILNS1_17partition_subalgoE9EiibEEZZNS1_14partition_implILS5_9ELb0ES3_jN6thrust23THRUST_200600_302600_NS6detail15normal_iteratorINS9_10device_ptrIiEEEESE_PNS0_10empty_typeENS0_5tupleIJSE_SF_EEENSH_IJSE_SG_EEENS0_18inequality_wrapperI22is_equal_div_10_uniqueIiEEEPmJSF_EEE10hipError_tPvRmT3_T4_T5_T6_T7_T9_mT8_P12ihipStream_tbDpT10_ENKUlT_T0_E_clISt17integral_constantIbLb0EES17_IbLb1EEEEDaS13_S14_EUlS13_E_NS1_11comp_targetILNS1_3genE10ELNS1_11target_archE1200ELNS1_3gpuE4ELNS1_3repE0EEENS1_30default_config_static_selectorELNS0_4arch9wavefront6targetE0EEEvT1_
                                        ; -- End function
	.section	.AMDGPU.csdata,"",@progbits
; Kernel info:
; codeLenInByte = 0
; NumSgprs: 0
; NumVgprs: 0
; ScratchSize: 0
; MemoryBound: 0
; FloatMode: 240
; IeeeMode: 1
; LDSByteSize: 0 bytes/workgroup (compile time only)
; SGPRBlocks: 0
; VGPRBlocks: 0
; NumSGPRsForWavesPerEU: 1
; NumVGPRsForWavesPerEU: 1
; Occupancy: 15
; WaveLimiterHint : 0
; COMPUTE_PGM_RSRC2:SCRATCH_EN: 0
; COMPUTE_PGM_RSRC2:USER_SGPR: 15
; COMPUTE_PGM_RSRC2:TRAP_HANDLER: 0
; COMPUTE_PGM_RSRC2:TGID_X_EN: 1
; COMPUTE_PGM_RSRC2:TGID_Y_EN: 0
; COMPUTE_PGM_RSRC2:TGID_Z_EN: 0
; COMPUTE_PGM_RSRC2:TIDIG_COMP_CNT: 0
	.section	.text._ZN7rocprim17ROCPRIM_400000_NS6detail17trampoline_kernelINS0_14default_configENS1_25partition_config_selectorILNS1_17partition_subalgoE9EiibEEZZNS1_14partition_implILS5_9ELb0ES3_jN6thrust23THRUST_200600_302600_NS6detail15normal_iteratorINS9_10device_ptrIiEEEESE_PNS0_10empty_typeENS0_5tupleIJSE_SF_EEENSH_IJSE_SG_EEENS0_18inequality_wrapperI22is_equal_div_10_uniqueIiEEEPmJSF_EEE10hipError_tPvRmT3_T4_T5_T6_T7_T9_mT8_P12ihipStream_tbDpT10_ENKUlT_T0_E_clISt17integral_constantIbLb0EES17_IbLb1EEEEDaS13_S14_EUlS13_E_NS1_11comp_targetILNS1_3genE9ELNS1_11target_archE1100ELNS1_3gpuE3ELNS1_3repE0EEENS1_30default_config_static_selectorELNS0_4arch9wavefront6targetE0EEEvT1_,"axG",@progbits,_ZN7rocprim17ROCPRIM_400000_NS6detail17trampoline_kernelINS0_14default_configENS1_25partition_config_selectorILNS1_17partition_subalgoE9EiibEEZZNS1_14partition_implILS5_9ELb0ES3_jN6thrust23THRUST_200600_302600_NS6detail15normal_iteratorINS9_10device_ptrIiEEEESE_PNS0_10empty_typeENS0_5tupleIJSE_SF_EEENSH_IJSE_SG_EEENS0_18inequality_wrapperI22is_equal_div_10_uniqueIiEEEPmJSF_EEE10hipError_tPvRmT3_T4_T5_T6_T7_T9_mT8_P12ihipStream_tbDpT10_ENKUlT_T0_E_clISt17integral_constantIbLb0EES17_IbLb1EEEEDaS13_S14_EUlS13_E_NS1_11comp_targetILNS1_3genE9ELNS1_11target_archE1100ELNS1_3gpuE3ELNS1_3repE0EEENS1_30default_config_static_selectorELNS0_4arch9wavefront6targetE0EEEvT1_,comdat
	.protected	_ZN7rocprim17ROCPRIM_400000_NS6detail17trampoline_kernelINS0_14default_configENS1_25partition_config_selectorILNS1_17partition_subalgoE9EiibEEZZNS1_14partition_implILS5_9ELb0ES3_jN6thrust23THRUST_200600_302600_NS6detail15normal_iteratorINS9_10device_ptrIiEEEESE_PNS0_10empty_typeENS0_5tupleIJSE_SF_EEENSH_IJSE_SG_EEENS0_18inequality_wrapperI22is_equal_div_10_uniqueIiEEEPmJSF_EEE10hipError_tPvRmT3_T4_T5_T6_T7_T9_mT8_P12ihipStream_tbDpT10_ENKUlT_T0_E_clISt17integral_constantIbLb0EES17_IbLb1EEEEDaS13_S14_EUlS13_E_NS1_11comp_targetILNS1_3genE9ELNS1_11target_archE1100ELNS1_3gpuE3ELNS1_3repE0EEENS1_30default_config_static_selectorELNS0_4arch9wavefront6targetE0EEEvT1_ ; -- Begin function _ZN7rocprim17ROCPRIM_400000_NS6detail17trampoline_kernelINS0_14default_configENS1_25partition_config_selectorILNS1_17partition_subalgoE9EiibEEZZNS1_14partition_implILS5_9ELb0ES3_jN6thrust23THRUST_200600_302600_NS6detail15normal_iteratorINS9_10device_ptrIiEEEESE_PNS0_10empty_typeENS0_5tupleIJSE_SF_EEENSH_IJSE_SG_EEENS0_18inequality_wrapperI22is_equal_div_10_uniqueIiEEEPmJSF_EEE10hipError_tPvRmT3_T4_T5_T6_T7_T9_mT8_P12ihipStream_tbDpT10_ENKUlT_T0_E_clISt17integral_constantIbLb0EES17_IbLb1EEEEDaS13_S14_EUlS13_E_NS1_11comp_targetILNS1_3genE9ELNS1_11target_archE1100ELNS1_3gpuE3ELNS1_3repE0EEENS1_30default_config_static_selectorELNS0_4arch9wavefront6targetE0EEEvT1_
	.globl	_ZN7rocprim17ROCPRIM_400000_NS6detail17trampoline_kernelINS0_14default_configENS1_25partition_config_selectorILNS1_17partition_subalgoE9EiibEEZZNS1_14partition_implILS5_9ELb0ES3_jN6thrust23THRUST_200600_302600_NS6detail15normal_iteratorINS9_10device_ptrIiEEEESE_PNS0_10empty_typeENS0_5tupleIJSE_SF_EEENSH_IJSE_SG_EEENS0_18inequality_wrapperI22is_equal_div_10_uniqueIiEEEPmJSF_EEE10hipError_tPvRmT3_T4_T5_T6_T7_T9_mT8_P12ihipStream_tbDpT10_ENKUlT_T0_E_clISt17integral_constantIbLb0EES17_IbLb1EEEEDaS13_S14_EUlS13_E_NS1_11comp_targetILNS1_3genE9ELNS1_11target_archE1100ELNS1_3gpuE3ELNS1_3repE0EEENS1_30default_config_static_selectorELNS0_4arch9wavefront6targetE0EEEvT1_
	.p2align	8
	.type	_ZN7rocprim17ROCPRIM_400000_NS6detail17trampoline_kernelINS0_14default_configENS1_25partition_config_selectorILNS1_17partition_subalgoE9EiibEEZZNS1_14partition_implILS5_9ELb0ES3_jN6thrust23THRUST_200600_302600_NS6detail15normal_iteratorINS9_10device_ptrIiEEEESE_PNS0_10empty_typeENS0_5tupleIJSE_SF_EEENSH_IJSE_SG_EEENS0_18inequality_wrapperI22is_equal_div_10_uniqueIiEEEPmJSF_EEE10hipError_tPvRmT3_T4_T5_T6_T7_T9_mT8_P12ihipStream_tbDpT10_ENKUlT_T0_E_clISt17integral_constantIbLb0EES17_IbLb1EEEEDaS13_S14_EUlS13_E_NS1_11comp_targetILNS1_3genE9ELNS1_11target_archE1100ELNS1_3gpuE3ELNS1_3repE0EEENS1_30default_config_static_selectorELNS0_4arch9wavefront6targetE0EEEvT1_,@function
_ZN7rocprim17ROCPRIM_400000_NS6detail17trampoline_kernelINS0_14default_configENS1_25partition_config_selectorILNS1_17partition_subalgoE9EiibEEZZNS1_14partition_implILS5_9ELb0ES3_jN6thrust23THRUST_200600_302600_NS6detail15normal_iteratorINS9_10device_ptrIiEEEESE_PNS0_10empty_typeENS0_5tupleIJSE_SF_EEENSH_IJSE_SG_EEENS0_18inequality_wrapperI22is_equal_div_10_uniqueIiEEEPmJSF_EEE10hipError_tPvRmT3_T4_T5_T6_T7_T9_mT8_P12ihipStream_tbDpT10_ENKUlT_T0_E_clISt17integral_constantIbLb0EES17_IbLb1EEEEDaS13_S14_EUlS13_E_NS1_11comp_targetILNS1_3genE9ELNS1_11target_archE1100ELNS1_3gpuE3ELNS1_3repE0EEENS1_30default_config_static_selectorELNS0_4arch9wavefront6targetE0EEEvT1_: ; @_ZN7rocprim17ROCPRIM_400000_NS6detail17trampoline_kernelINS0_14default_configENS1_25partition_config_selectorILNS1_17partition_subalgoE9EiibEEZZNS1_14partition_implILS5_9ELb0ES3_jN6thrust23THRUST_200600_302600_NS6detail15normal_iteratorINS9_10device_ptrIiEEEESE_PNS0_10empty_typeENS0_5tupleIJSE_SF_EEENSH_IJSE_SG_EEENS0_18inequality_wrapperI22is_equal_div_10_uniqueIiEEEPmJSF_EEE10hipError_tPvRmT3_T4_T5_T6_T7_T9_mT8_P12ihipStream_tbDpT10_ENKUlT_T0_E_clISt17integral_constantIbLb0EES17_IbLb1EEEEDaS13_S14_EUlS13_E_NS1_11comp_targetILNS1_3genE9ELNS1_11target_archE1100ELNS1_3gpuE3ELNS1_3repE0EEENS1_30default_config_static_selectorELNS0_4arch9wavefront6targetE0EEEvT1_
; %bb.0:
	s_clause 0x4
	s_load_b128 s[4:7], s[0:1], 0x8
	s_load_b64 s[18:19], s[0:1], 0x18
	s_load_b128 s[8:11], s[0:1], 0x40
	s_load_b64 s[22:23], s[0:1], 0x50
	s_load_b64 s[16:17], s[0:1], 0x60
	v_cmp_ne_u32_e64 s3, 0, v0
	v_cmp_eq_u32_e64 s2, 0, v0
	s_delay_alu instid0(VALU_DEP_1)
	s_and_saveexec_b32 s12, s2
	s_cbranch_execz .LBB466_4
; %bb.1:
	s_mov_b32 s14, exec_lo
	s_mov_b32 s13, exec_lo
	v_mbcnt_lo_u32_b32 v1, s14, 0
                                        ; implicit-def: $vgpr2
	s_delay_alu instid0(VALU_DEP_1)
	v_cmpx_eq_u32_e32 0, v1
	s_cbranch_execz .LBB466_3
; %bb.2:
	s_load_b64 s[20:21], s[0:1], 0x70
	s_bcnt1_i32_b32 s14, s14
	s_delay_alu instid0(SALU_CYCLE_1)
	v_dual_mov_b32 v2, 0 :: v_dual_mov_b32 v3, s14
	s_waitcnt lgkmcnt(0)
	global_atomic_add_u32 v2, v2, v3, s[20:21] glc
.LBB466_3:
	s_or_b32 exec_lo, exec_lo, s13
	s_waitcnt vmcnt(0)
	v_readfirstlane_b32 s13, v2
	s_delay_alu instid0(VALU_DEP_1)
	v_dual_mov_b32 v2, 0 :: v_dual_add_nc_u32 v1, s13, v1
	ds_store_b32 v2, v1
.LBB466_4:
	s_or_b32 exec_lo, exec_lo, s12
	v_dual_mov_b32 v1, 0 :: v_dual_add_nc_u32 v22, 0x300, v0
	s_clause 0x1
	s_load_b128 s[12:15], s[0:1], 0x28
	s_load_b32 s0, s[0:1], 0x68
	s_waitcnt lgkmcnt(0)
	s_barrier
	buffer_gl0_inv
	ds_load_b32 v3, v1
	s_waitcnt lgkmcnt(0)
	s_barrier
	buffer_gl0_inv
	global_load_b64 v[1:2], v1, s[10:11]
	s_lshl_b64 s[20:21], s[6:7], 2
	s_mov_b32 s11, 0
	s_add_u32 s26, s4, s20
	s_addc_u32 s28, s5, s21
	v_lshrrev_b32_e32 v20, 3, v0
	v_add_nc_u32_e32 v25, 0x180, v0
	v_add_nc_u32_e32 v21, 0x480, v0
	v_or_b32_e32 v23, 0x600, v0
	v_add_nc_u32_e32 v18, 0x780, v0
	v_add_nc_u32_e32 v17, 0x900, v0
	;; [unrolled: 1-line block ×3, first 2 shown]
	s_mul_i32 s1, s0, 0xc00
	s_delay_alu instid0(SALU_CYCLE_1) | instskip(NEXT) | instid1(SALU_CYCLE_1)
	s_add_i32 s4, s1, s6
	s_sub_i32 s25, s22, s4
	s_add_i32 s4, s0, -1
	s_addk_i32 s25, 0xc00
	s_add_u32 s0, s6, s1
	v_readfirstlane_b32 s24, v3
	s_addc_u32 s1, s7, 0
	s_delay_alu instid0(SALU_CYCLE_1) | instskip(NEXT) | instid1(VALU_DEP_2)
	v_cmp_ge_u64_e64 s0, s[0:1], s[22:23]
	s_cmp_eq_u32 s24, s4
	s_mul_i32 s10, s24, 0xc00
	s_cselect_b32 s22, -1, 0
	s_lshl_b64 s[4:5], s[10:11], 2
	s_delay_alu instid0(VALU_DEP_1) | instskip(NEXT) | instid1(SALU_CYCLE_1)
	s_and_b32 s1, s0, s22
	s_xor_b32 s23, s1, -1
	s_add_u32 s27, s26, s4
	s_addc_u32 s26, s28, s5
	s_and_b32 vcc_lo, exec_lo, s23
	s_mov_b32 s28, -1
	s_waitcnt vmcnt(0)
	v_readfirstlane_b32 s10, v1
	v_readfirstlane_b32 s11, v2
	s_cbranch_vccz .LBB466_6
; %bb.5:
	v_lshlrev_b32_e32 v7, 2, v0
	v_lshrrev_b32_e32 v11, 3, v25
	v_lshrrev_b32_e32 v12, 3, v22
	v_lshrrev_b32_e32 v13, 3, v21
	v_lshrrev_b32_e32 v14, 3, v23
	v_add_co_u32 v1, s0, s27, v7
	s_delay_alu instid0(VALU_DEP_1) | instskip(SKIP_1) | instid1(VALU_DEP_3)
	v_add_co_ci_u32_e64 v2, null, s26, 0, s0
	v_lshrrev_b32_e32 v15, 3, v18
	v_add_co_u32 v3, vcc_lo, 0x1000, v1
	s_delay_alu instid0(VALU_DEP_3)
	v_add_co_ci_u32_e32 v4, vcc_lo, 0, v2, vcc_lo
	v_add_co_u32 v5, vcc_lo, 0x2000, v1
	v_add_co_ci_u32_e32 v6, vcc_lo, 0, v2, vcc_lo
	s_clause 0x7
	flat_load_b32 v8, v[1:2]
	flat_load_b32 v9, v[1:2] offset:1536
	flat_load_b32 v1, v[1:2] offset:3072
	;; [unrolled: 1-line block ×7, first 2 shown]
	v_and_b32_e32 v6, 60, v20
	v_lshrrev_b32_e32 v16, 3, v17
	v_lshrrev_b32_e32 v19, 3, v24
	v_and_b32_e32 v11, 0x7c, v11
	v_and_b32_e32 v12, 0xfc, v12
	v_and_b32_e32 v13, 0xfc, v13
	v_and_b32_e32 v14, 0xfc, v14
	v_add_nc_u32_e32 v6, v6, v7
	v_and_b32_e32 v15, 0x1fc, v15
	v_and_b32_e32 v16, 0x17c, v16
	;; [unrolled: 1-line block ×3, first 2 shown]
	v_add_nc_u32_e32 v11, v11, v7
	v_add_nc_u32_e32 v12, v12, v7
	v_add_nc_u32_e32 v13, v13, v7
	v_add_nc_u32_e32 v14, v14, v7
	s_mov_b32 s28, 0
	v_add_nc_u32_e32 v15, v15, v7
	v_add_nc_u32_e32 v16, v16, v7
	;; [unrolled: 1-line block ×3, first 2 shown]
	s_waitcnt vmcnt(7) lgkmcnt(7)
	ds_store_b32 v6, v8
	s_waitcnt vmcnt(6) lgkmcnt(7)
	ds_store_b32 v11, v9 offset:1536
	s_waitcnt vmcnt(5) lgkmcnt(7)
	ds_store_b32 v12, v1 offset:3072
	;; [unrolled: 2-line block ×7, first 2 shown]
	s_waitcnt lgkmcnt(0)
	s_barrier
.LBB466_6:
	v_cmp_gt_u32_e64 s0, s25, v0
	s_and_not1_b32 vcc_lo, exec_lo, s28
	s_cbranch_vccnz .LBB466_24
; %bb.7:
                                        ; implicit-def: $vgpr1_vgpr2_vgpr3_vgpr4_vgpr5_vgpr6_vgpr7_vgpr8
	s_delay_alu instid0(VALU_DEP_1)
	s_and_saveexec_b32 s28, s0
	s_cbranch_execz .LBB466_15
; %bb.8:
	v_lshlrev_b32_e32 v1, 2, v0
	s_delay_alu instid0(VALU_DEP_1) | instskip(NEXT) | instid1(VALU_DEP_1)
	v_add_co_u32 v1, s0, s27, v1
	v_add_co_ci_u32_e64 v2, null, s26, 0, s0
	flat_load_b32 v1, v[1:2]
	s_or_b32 exec_lo, exec_lo, s28
	s_delay_alu instid0(SALU_CYCLE_1)
	s_mov_b32 s0, exec_lo
	v_cmpx_gt_u32_e64 s25, v25
	s_cbranch_execnz .LBB466_16
.LBB466_9:
	s_or_b32 exec_lo, exec_lo, s0
	s_delay_alu instid0(SALU_CYCLE_1)
	s_mov_b32 s0, exec_lo
	v_cmpx_gt_u32_e64 s25, v22
	s_cbranch_execz .LBB466_17
.LBB466_10:
	v_lshlrev_b32_e32 v3, 2, v0
	s_delay_alu instid0(VALU_DEP_1) | instskip(NEXT) | instid1(VALU_DEP_1)
	v_add_co_u32 v9, s28, s27, v3
	v_add_co_ci_u32_e64 v10, null, s26, 0, s28
	flat_load_b32 v3, v[9:10] offset:3072
	s_or_b32 exec_lo, exec_lo, s0
	s_delay_alu instid0(SALU_CYCLE_1)
	s_mov_b32 s0, exec_lo
	v_cmpx_gt_u32_e64 s25, v21
	s_cbranch_execnz .LBB466_18
.LBB466_11:
	s_or_b32 exec_lo, exec_lo, s0
	s_delay_alu instid0(SALU_CYCLE_1)
	s_mov_b32 s0, exec_lo
	v_cmpx_gt_u32_e64 s25, v23
	s_cbranch_execz .LBB466_19
.LBB466_12:
	v_lshlrev_b32_e32 v5, 2, v23
	s_delay_alu instid0(VALU_DEP_1) | instskip(NEXT) | instid1(VALU_DEP_1)
	v_add_co_u32 v9, s28, s27, v5
	v_add_co_ci_u32_e64 v10, null, s26, 0, s28
	flat_load_b32 v5, v[9:10]
	s_or_b32 exec_lo, exec_lo, s0
	s_delay_alu instid0(SALU_CYCLE_1)
	s_mov_b32 s0, exec_lo
	v_cmpx_gt_u32_e64 s25, v18
	s_cbranch_execnz .LBB466_20
.LBB466_13:
	s_or_b32 exec_lo, exec_lo, s0
	s_delay_alu instid0(SALU_CYCLE_1)
	s_mov_b32 s0, exec_lo
	v_cmpx_gt_u32_e64 s25, v17
	s_cbranch_execz .LBB466_21
.LBB466_14:
	v_lshlrev_b32_e32 v7, 2, v17
	s_delay_alu instid0(VALU_DEP_1) | instskip(NEXT) | instid1(VALU_DEP_1)
	v_add_co_u32 v9, s28, s27, v7
	v_add_co_ci_u32_e64 v10, null, s26, 0, s28
	flat_load_b32 v7, v[9:10]
	s_or_b32 exec_lo, exec_lo, s0
	s_delay_alu instid0(SALU_CYCLE_1)
	s_mov_b32 s0, exec_lo
	v_cmpx_gt_u32_e64 s25, v24
	s_cbranch_execnz .LBB466_22
	s_branch .LBB466_23
.LBB466_15:
	s_or_b32 exec_lo, exec_lo, s28
	s_delay_alu instid0(SALU_CYCLE_1)
	s_mov_b32 s0, exec_lo
	v_cmpx_gt_u32_e64 s25, v25
	s_cbranch_execz .LBB466_9
.LBB466_16:
	v_lshlrev_b32_e32 v2, 2, v0
	s_delay_alu instid0(VALU_DEP_1) | instskip(NEXT) | instid1(VALU_DEP_1)
	v_add_co_u32 v9, s28, s27, v2
	v_add_co_ci_u32_e64 v10, null, s26, 0, s28
	flat_load_b32 v2, v[9:10] offset:1536
	s_or_b32 exec_lo, exec_lo, s0
	s_delay_alu instid0(SALU_CYCLE_1)
	s_mov_b32 s0, exec_lo
	v_cmpx_gt_u32_e64 s25, v22
	s_cbranch_execnz .LBB466_10
.LBB466_17:
	s_or_b32 exec_lo, exec_lo, s0
	s_delay_alu instid0(SALU_CYCLE_1)
	s_mov_b32 s0, exec_lo
	v_cmpx_gt_u32_e64 s25, v21
	s_cbranch_execz .LBB466_11
.LBB466_18:
	v_lshlrev_b32_e32 v4, 2, v21
	s_delay_alu instid0(VALU_DEP_1) | instskip(NEXT) | instid1(VALU_DEP_1)
	v_add_co_u32 v9, s28, s27, v4
	v_add_co_ci_u32_e64 v10, null, s26, 0, s28
	flat_load_b32 v4, v[9:10]
	s_or_b32 exec_lo, exec_lo, s0
	s_delay_alu instid0(SALU_CYCLE_1)
	s_mov_b32 s0, exec_lo
	v_cmpx_gt_u32_e64 s25, v23
	s_cbranch_execnz .LBB466_12
.LBB466_19:
	s_or_b32 exec_lo, exec_lo, s0
	s_delay_alu instid0(SALU_CYCLE_1)
	s_mov_b32 s0, exec_lo
	v_cmpx_gt_u32_e64 s25, v18
	s_cbranch_execz .LBB466_13
.LBB466_20:
	v_lshlrev_b32_e32 v6, 2, v18
	s_delay_alu instid0(VALU_DEP_1) | instskip(NEXT) | instid1(VALU_DEP_1)
	v_add_co_u32 v9, s28, s27, v6
	v_add_co_ci_u32_e64 v10, null, s26, 0, s28
	flat_load_b32 v6, v[9:10]
	s_or_b32 exec_lo, exec_lo, s0
	s_delay_alu instid0(SALU_CYCLE_1)
	s_mov_b32 s0, exec_lo
	v_cmpx_gt_u32_e64 s25, v17
	s_cbranch_execnz .LBB466_14
.LBB466_21:
	s_or_b32 exec_lo, exec_lo, s0
	s_delay_alu instid0(SALU_CYCLE_1)
	s_mov_b32 s0, exec_lo
	v_cmpx_gt_u32_e64 s25, v24
	s_cbranch_execz .LBB466_23
.LBB466_22:
	v_lshlrev_b32_e32 v8, 2, v24
	s_delay_alu instid0(VALU_DEP_1) | instskip(NEXT) | instid1(VALU_DEP_1)
	v_add_co_u32 v8, s28, s27, v8
	v_add_co_ci_u32_e64 v9, null, s26, 0, s28
	flat_load_b32 v8, v[8:9]
.LBB466_23:
	s_or_b32 exec_lo, exec_lo, s0
	v_lshrrev_b32_e32 v9, 3, v25
	v_lshrrev_b32_e32 v10, 3, v22
	v_lshrrev_b32_e32 v13, 3, v21
	v_lshrrev_b32_e32 v14, 3, v23
	v_and_b32_e32 v11, 60, v20
	v_lshlrev_b32_e32 v12, 2, v0
	v_lshrrev_b32_e32 v15, 3, v18
	v_lshrrev_b32_e32 v16, 3, v17
	;; [unrolled: 1-line block ×3, first 2 shown]
	v_and_b32_e32 v9, 0x7c, v9
	v_and_b32_e32 v10, 0xfc, v10
	;; [unrolled: 1-line block ×4, first 2 shown]
	v_add_nc_u32_e32 v11, v11, v12
	v_and_b32_e32 v15, 0x1fc, v15
	v_and_b32_e32 v16, 0x1fc, v16
	;; [unrolled: 1-line block ×3, first 2 shown]
	v_add_nc_u32_e32 v9, v9, v12
	v_add_nc_u32_e32 v10, v10, v12
	;; [unrolled: 1-line block ×7, first 2 shown]
	s_waitcnt vmcnt(0) lgkmcnt(0)
	ds_store_b32 v11, v1
	ds_store_b32 v9, v2 offset:1536
	ds_store_b32 v10, v3 offset:3072
	;; [unrolled: 1-line block ×7, first 2 shown]
	s_waitcnt lgkmcnt(0)
	s_barrier
.LBB466_24:
	v_lshlrev_b32_e32 v19, 3, v0
	v_lshrrev_b32_e32 v1, 2, v0
	buffer_gl0_inv
	s_add_u32 s0, s18, s20
	s_addc_u32 s18, s19, s21
	s_add_u32 s0, s0, s4
	v_add_lshl_u32 v1, v1, v19, 2
	s_addc_u32 s4, s18, s5
	s_and_b32 vcc_lo, exec_lo, s23
	s_mov_b32 s5, -1
	ds_load_2addr_b32 v[15:16], v1 offset1:1
	ds_load_2addr_b32 v[13:14], v1 offset0:2 offset1:3
	ds_load_2addr_b32 v[11:12], v1 offset0:4 offset1:5
	;; [unrolled: 1-line block ×3, first 2 shown]
	s_waitcnt lgkmcnt(0)
	s_barrier
	buffer_gl0_inv
	s_cbranch_vccz .LBB466_26
; %bb.25:
	v_lshlrev_b32_e32 v8, 2, v0
	v_lshrrev_b32_e32 v29, 3, v25
	v_lshrrev_b32_e32 v30, 3, v22
	;; [unrolled: 1-line block ×4, first 2 shown]
	v_add_co_u32 v2, s5, s0, v8
	s_delay_alu instid0(VALU_DEP_1) | instskip(SKIP_1) | instid1(VALU_DEP_3)
	v_add_co_ci_u32_e64 v3, null, s4, 0, s5
	v_lshrrev_b32_e32 v33, 3, v18
	v_add_co_u32 v4, vcc_lo, 0x1000, v2
	s_delay_alu instid0(VALU_DEP_3)
	v_add_co_ci_u32_e32 v5, vcc_lo, 0, v3, vcc_lo
	v_add_co_u32 v6, vcc_lo, 0x2000, v2
	v_add_co_ci_u32_e32 v7, vcc_lo, 0, v3, vcc_lo
	s_clause 0x7
	flat_load_b32 v26, v[2:3]
	flat_load_b32 v27, v[2:3] offset:1536
	flat_load_b32 v2, v[2:3] offset:3072
	flat_load_b32 v3, v[4:5] offset:512
	flat_load_b32 v28, v[4:5] offset:2048
	flat_load_b32 v4, v[4:5] offset:3584
	flat_load_b32 v5, v[6:7] offset:1024
	flat_load_b32 v6, v[6:7] offset:2560
	v_and_b32_e32 v7, 60, v20
	v_lshrrev_b32_e32 v34, 3, v17
	v_lshrrev_b32_e32 v35, 3, v24
	v_and_b32_e32 v29, 0x7c, v29
	v_and_b32_e32 v30, 0xfc, v30
	;; [unrolled: 1-line block ×4, first 2 shown]
	v_add_nc_u32_e32 v7, v7, v8
	v_and_b32_e32 v33, 0x1fc, v33
	v_and_b32_e32 v34, 0x17c, v34
	;; [unrolled: 1-line block ×3, first 2 shown]
	v_add_nc_u32_e32 v29, v29, v8
	v_add_nc_u32_e32 v30, v30, v8
	;; [unrolled: 1-line block ×4, first 2 shown]
	s_mov_b32 s5, 0
	v_add_nc_u32_e32 v33, v33, v8
	v_add_nc_u32_e32 v34, v34, v8
	;; [unrolled: 1-line block ×3, first 2 shown]
	s_waitcnt vmcnt(7) lgkmcnt(7)
	ds_store_b32 v7, v26
	s_waitcnt vmcnt(6) lgkmcnt(7)
	ds_store_b32 v29, v27 offset:1536
	s_waitcnt vmcnt(5) lgkmcnt(7)
	ds_store_b32 v30, v2 offset:3072
	;; [unrolled: 2-line block ×7, first 2 shown]
	s_waitcnt lgkmcnt(0)
	s_barrier
.LBB466_26:
	s_and_not1_b32 vcc_lo, exec_lo, s5
	s_cbranch_vccnz .LBB466_44
; %bb.27:
	s_mov_b32 s5, exec_lo
                                        ; implicit-def: $vgpr2
	v_cmpx_gt_u32_e64 s25, v0
	s_cbranch_execz .LBB466_29
; %bb.28:
	v_lshlrev_b32_e32 v2, 2, v0
	s_delay_alu instid0(VALU_DEP_1) | instskip(NEXT) | instid1(VALU_DEP_1)
	v_add_co_u32 v2, s18, s0, v2
	v_add_co_ci_u32_e64 v3, null, s4, 0, s18
	flat_load_b32 v2, v[2:3]
.LBB466_29:
	s_or_b32 exec_lo, exec_lo, s5
	s_delay_alu instid0(SALU_CYCLE_1)
	s_mov_b32 s5, exec_lo
                                        ; implicit-def: $vgpr3
	v_cmpx_gt_u32_e64 s25, v25
	s_cbranch_execz .LBB466_31
; %bb.30:
	v_lshlrev_b32_e32 v3, 2, v0
	s_delay_alu instid0(VALU_DEP_1) | instskip(NEXT) | instid1(VALU_DEP_1)
	v_add_co_u32 v3, s18, s0, v3
	v_add_co_ci_u32_e64 v4, null, s4, 0, s18
	flat_load_b32 v3, v[3:4] offset:1536
.LBB466_31:
	s_or_b32 exec_lo, exec_lo, s5
	s_delay_alu instid0(SALU_CYCLE_1)
	s_mov_b32 s5, exec_lo
                                        ; implicit-def: $vgpr4
	v_cmpx_gt_u32_e64 s25, v22
	s_cbranch_execz .LBB466_33
; %bb.32:
	v_lshlrev_b32_e32 v4, 2, v0
	s_delay_alu instid0(VALU_DEP_1) | instskip(NEXT) | instid1(VALU_DEP_1)
	v_add_co_u32 v4, s18, s0, v4
	v_add_co_ci_u32_e64 v5, null, s4, 0, s18
	flat_load_b32 v4, v[4:5] offset:3072
.LBB466_33:
	s_or_b32 exec_lo, exec_lo, s5
	s_delay_alu instid0(SALU_CYCLE_1)
	s_mov_b32 s5, exec_lo
                                        ; implicit-def: $vgpr5
	v_cmpx_gt_u32_e64 s25, v21
	s_cbranch_execz .LBB466_35
; %bb.34:
	v_lshlrev_b32_e32 v5, 2, v21
	s_delay_alu instid0(VALU_DEP_1) | instskip(NEXT) | instid1(VALU_DEP_1)
	v_add_co_u32 v5, s18, s0, v5
	v_add_co_ci_u32_e64 v6, null, s4, 0, s18
	flat_load_b32 v5, v[5:6]
.LBB466_35:
	s_or_b32 exec_lo, exec_lo, s5
	s_delay_alu instid0(SALU_CYCLE_1)
	s_mov_b32 s5, exec_lo
                                        ; implicit-def: $vgpr6
	v_cmpx_gt_u32_e64 s25, v23
	s_cbranch_execz .LBB466_37
; %bb.36:
	v_lshlrev_b32_e32 v6, 2, v23
	s_delay_alu instid0(VALU_DEP_1) | instskip(NEXT) | instid1(VALU_DEP_1)
	v_add_co_u32 v6, s18, s0, v6
	v_add_co_ci_u32_e64 v7, null, s4, 0, s18
	flat_load_b32 v6, v[6:7]
.LBB466_37:
	s_or_b32 exec_lo, exec_lo, s5
	s_delay_alu instid0(SALU_CYCLE_1)
	s_mov_b32 s5, exec_lo
                                        ; implicit-def: $vgpr7
	v_cmpx_gt_u32_e64 s25, v18
	s_cbranch_execz .LBB466_39
; %bb.38:
	v_lshlrev_b32_e32 v7, 2, v18
	s_delay_alu instid0(VALU_DEP_1) | instskip(NEXT) | instid1(VALU_DEP_1)
	v_add_co_u32 v7, s18, s0, v7
	v_add_co_ci_u32_e64 v8, null, s4, 0, s18
	flat_load_b32 v7, v[7:8]
.LBB466_39:
	s_or_b32 exec_lo, exec_lo, s5
	s_delay_alu instid0(SALU_CYCLE_1)
	s_mov_b32 s5, exec_lo
                                        ; implicit-def: $vgpr8
	v_cmpx_gt_u32_e64 s25, v17
	s_cbranch_execz .LBB466_41
; %bb.40:
	v_lshlrev_b32_e32 v8, 2, v17
	s_delay_alu instid0(VALU_DEP_1) | instskip(NEXT) | instid1(VALU_DEP_1)
	v_add_co_u32 v26, s18, s0, v8
	v_add_co_ci_u32_e64 v27, null, s4, 0, s18
	flat_load_b32 v8, v[26:27]
.LBB466_41:
	s_or_b32 exec_lo, exec_lo, s5
	s_delay_alu instid0(SALU_CYCLE_1)
	s_mov_b32 s5, exec_lo
                                        ; implicit-def: $vgpr26
	v_cmpx_gt_u32_e64 s25, v24
	s_cbranch_execz .LBB466_43
; %bb.42:
	v_lshlrev_b32_e32 v26, 2, v24
	s_delay_alu instid0(VALU_DEP_1) | instskip(NEXT) | instid1(VALU_DEP_1)
	v_add_co_u32 v26, s0, s0, v26
	v_add_co_ci_u32_e64 v27, null, s4, 0, s0
	flat_load_b32 v26, v[26:27]
.LBB466_43:
	s_or_b32 exec_lo, exec_lo, s5
	v_lshrrev_b32_e32 v25, 3, v25
	v_lshrrev_b32_e32 v22, 3, v22
	;; [unrolled: 1-line block ×4, first 2 shown]
	v_and_b32_e32 v20, 60, v20
	v_lshlrev_b32_e32 v27, 2, v0
	v_lshrrev_b32_e32 v18, 3, v18
	v_lshrrev_b32_e32 v17, 3, v17
	v_lshrrev_b32_e32 v24, 3, v24
	v_and_b32_e32 v25, 0x7c, v25
	v_and_b32_e32 v22, 0xfc, v22
	;; [unrolled: 1-line block ×4, first 2 shown]
	v_add_nc_u32_e32 v20, v20, v27
	v_and_b32_e32 v18, 0x1fc, v18
	v_and_b32_e32 v17, 0x1fc, v17
	;; [unrolled: 1-line block ×3, first 2 shown]
	v_add_nc_u32_e32 v25, v25, v27
	v_add_nc_u32_e32 v22, v22, v27
	v_add_nc_u32_e32 v21, v21, v27
	v_add_nc_u32_e32 v23, v23, v27
	v_add_nc_u32_e32 v18, v18, v27
	v_add_nc_u32_e32 v17, v17, v27
	v_add_nc_u32_e32 v24, v24, v27
	s_waitcnt vmcnt(0) lgkmcnt(0)
	ds_store_b32 v20, v2
	ds_store_b32 v25, v3 offset:1536
	ds_store_b32 v22, v4 offset:3072
	;; [unrolled: 1-line block ×7, first 2 shown]
	s_waitcnt lgkmcnt(0)
	s_barrier
.LBB466_44:
	buffer_gl0_inv
	ds_load_2addr_b32 v[7:8], v1 offset1:1
	ds_load_2addr_b32 v[5:6], v1 offset0:2 offset1:3
	ds_load_2addr_b32 v[3:4], v1 offset0:4 offset1:5
	;; [unrolled: 1-line block ×3, first 2 shown]
	s_cmp_lg_u32 s24, 0
	s_waitcnt lgkmcnt(0)
	s_cselect_b32 s18, -1, 0
	s_cmp_lg_u64 s[6:7], 0
	s_barrier
	s_cselect_b32 s0, -1, 0
	buffer_gl0_inv
	s_or_b32 s0, s0, s18
	s_delay_alu instid0(SALU_CYCLE_1)
	s_and_b32 vcc_lo, exec_lo, s0
	s_mov_b32 s0, 0
	s_cbranch_vccz .LBB466_49
; %bb.45:
	v_add_co_u32 v17, s0, -4, s27
	s_delay_alu instid0(VALU_DEP_1)
	v_add_co_ci_u32_e64 v18, null, -1, s26, s0
	v_lshlrev_b32_e32 v21, 2, v0
	s_mov_b32 s0, -1
	s_and_b32 vcc_lo, exec_lo, s23
	flat_load_b32 v20, v[17:18]
	ds_store_b32 v21, v10
	s_cbranch_vccz .LBB466_50
; %bb.46:
	s_waitcnt vmcnt(0) lgkmcnt(1)
	v_mov_b32_e32 v17, v20
	s_waitcnt lgkmcnt(0)
	s_barrier
	buffer_gl0_inv
	s_and_saveexec_b32 s0, s3
	s_cbranch_execz .LBB466_48
; %bb.47:
	v_add_nc_u32_e32 v17, -4, v21
	ds_load_b32 v17, v17
.LBB466_48:
	s_or_b32 exec_lo, exec_lo, s0
	v_mul_hi_i32 v18, 0x66666667, v9
	v_mul_hi_i32 v22, 0x66666667, v10
	;; [unrolled: 1-line block ×5, first 2 shown]
	s_waitcnt lgkmcnt(0)
	v_mul_hi_i32 v17, 0x66666667, v17
	v_lshrrev_b32_e32 v26, 31, v18
	v_ashrrev_i32_e32 v18, 2, v18
	v_lshrrev_b32_e32 v27, 31, v22
	v_ashrrev_i32_e32 v22, 2, v22
	;; [unrolled: 2-line block ×3, first 2 shown]
	v_add_nc_u32_e32 v18, v18, v26
	v_lshrrev_b32_e32 v29, 31, v24
	v_add_nc_u32_e32 v22, v22, v27
	v_ashrrev_i32_e32 v24, 2, v24
	v_add_nc_u32_e32 v23, v23, v28
	v_mul_hi_i32 v27, 0x66666667, v13
	v_lshrrev_b32_e32 v26, 31, v25
	v_cmp_ne_u32_e32 vcc_lo, v18, v22
	v_add_nc_u32_e32 v24, v24, v29
	v_ashrrev_i32_e32 v25, 2, v25
	v_mul_hi_i32 v28, 0x66666667, v16
	v_mul_hi_i32 v29, 0x66666667, v15
	v_cndmask_b32_e64 v22, 0, 1, vcc_lo
	v_cmp_ne_u32_e32 vcc_lo, v23, v18
	v_add_nc_u32_e32 v25, v25, v26
	v_lshrrev_b32_e32 v26, 31, v27
	v_ashrrev_i32_e32 v27, 2, v27
	v_lshlrev_b16 v22, 8, v22
	v_cndmask_b32_e64 v18, 0, 1, vcc_lo
	v_cmp_ne_u32_e32 vcc_lo, v24, v23
	v_lshrrev_b32_e32 v30, 31, v28
	v_ashrrev_i32_e32 v28, 2, v28
	v_add_nc_u32_e32 v26, v27, v26
	v_lshrrev_b32_e32 v31, 31, v29
	v_cndmask_b32_e64 v23, 0, 1, vcc_lo
	v_cmp_ne_u32_e32 vcc_lo, v25, v24
	v_ashrrev_i32_e32 v29, 2, v29
	v_add_nc_u32_e32 v27, v28, v30
	v_or_b32_e32 v18, v18, v22
	v_lshlrev_b16 v23, 8, v23
	v_cndmask_b32_e64 v24, 0, 1, vcc_lo
	v_cmp_ne_u32_e32 vcc_lo, v26, v25
	v_add_nc_u32_e32 v28, v29, v31
	v_lshrrev_b32_e32 v29, 31, v17
	v_ashrrev_i32_e32 v17, 2, v17
	v_or_b32_e32 v23, v24, v23
	v_cndmask_b32_e64 v25, 0, 1, vcc_lo
	v_cmp_ne_u32_e32 vcc_lo, v27, v26
	v_lshlrev_b32_e32 v18, 16, v18
	v_add_nc_u32_e32 v17, v17, v29
	v_and_b32_e32 v23, 0xffff, v23
	v_lshlrev_b16 v25, 8, v25
	v_cndmask_b32_e64 v26, 0, 1, vcc_lo
	v_cmp_ne_u32_e32 vcc_lo, v28, v27
	v_cmp_ne_u32_e64 s4, v17, v28
	v_or_b32_e32 v18, v23, v18
	s_delay_alu instid0(VALU_DEP_4) | instskip(SKIP_1) | instid1(VALU_DEP_2)
	v_or_b32_e32 v25, v26, v25
	v_cndmask_b32_e64 v27, 0, 1, vcc_lo
	v_lshlrev_b32_e32 v22, 16, v25
	s_delay_alu instid0(VALU_DEP_2) | instskip(NEXT) | instid1(VALU_DEP_1)
	v_lshlrev_b16 v26, 8, v27
	v_and_b32_e32 v24, 0xffff, v26
	s_delay_alu instid0(VALU_DEP_1)
	v_or_b32_e32 v17, v24, v22
	s_branch .LBB466_70
.LBB466_49:
                                        ; implicit-def: $sgpr4
                                        ; implicit-def: $vgpr18
	s_branch .LBB466_71
.LBB466_50:
                                        ; implicit-def: $sgpr4
                                        ; implicit-def: $vgpr18
	s_and_b32 vcc_lo, exec_lo, s0
	s_cbranch_vccz .LBB466_70
; %bb.51:
	v_or_b32_e32 v17, 7, v19
	s_mov_b32 s0, 0
	s_mov_b32 s4, 0
	s_mov_b32 s5, exec_lo
	s_delay_alu instid0(VALU_DEP_1)
	v_cmpx_gt_u32_e64 s25, v17
; %bb.52:
	v_mul_hi_i32 v17, 0x66666667, v9
	v_mul_hi_i32 v18, 0x66666667, v10
	s_delay_alu instid0(VALU_DEP_2) | instskip(SKIP_1) | instid1(VALU_DEP_3)
	v_lshrrev_b32_e32 v22, 31, v17
	v_ashrrev_i32_e32 v17, 2, v17
	v_lshrrev_b32_e32 v23, 31, v18
	v_ashrrev_i32_e32 v18, 2, v18
	s_delay_alu instid0(VALU_DEP_3) | instskip(NEXT) | instid1(VALU_DEP_2)
	v_add_nc_u32_e32 v17, v17, v22
	v_add_nc_u32_e32 v18, v18, v23
	s_delay_alu instid0(VALU_DEP_1)
	v_cmp_ne_u32_e32 vcc_lo, v17, v18
	s_and_b32 s4, vcc_lo, exec_lo
; %bb.53:
	s_or_b32 exec_lo, exec_lo, s5
	v_or_b32_e32 v17, 6, v19
	s_mov_b32 s5, exec_lo
	s_delay_alu instid0(VALU_DEP_1)
	v_cmpx_gt_u32_e64 s25, v17
; %bb.54:
	v_mul_hi_i32 v17, 0x66666667, v12
	v_mul_hi_i32 v18, 0x66666667, v9
	s_delay_alu instid0(VALU_DEP_2) | instskip(SKIP_1) | instid1(VALU_DEP_3)
	v_lshrrev_b32_e32 v22, 31, v17
	v_ashrrev_i32_e32 v17, 2, v17
	v_lshrrev_b32_e32 v23, 31, v18
	v_ashrrev_i32_e32 v18, 2, v18
	s_delay_alu instid0(VALU_DEP_3) | instskip(NEXT) | instid1(VALU_DEP_2)
	v_add_nc_u32_e32 v17, v17, v22
	v_add_nc_u32_e32 v18, v18, v23
	s_delay_alu instid0(VALU_DEP_1)
	v_cmp_ne_u32_e32 vcc_lo, v17, v18
	s_and_b32 s0, vcc_lo, exec_lo
; %bb.55:
	s_or_b32 exec_lo, exec_lo, s5
	v_or_b32_e32 v17, 5, v19
	s_mov_b32 s6, 0
	s_mov_b32 s5, 0
	s_mov_b32 s7, exec_lo
	s_delay_alu instid0(VALU_DEP_1)
	v_cmpx_gt_u32_e64 s25, v17
; %bb.56:
	v_mul_hi_i32 v17, 0x66666667, v11
	v_mul_hi_i32 v18, 0x66666667, v12
	s_delay_alu instid0(VALU_DEP_2) | instskip(SKIP_1) | instid1(VALU_DEP_3)
	v_lshrrev_b32_e32 v22, 31, v17
	v_ashrrev_i32_e32 v17, 2, v17
	v_lshrrev_b32_e32 v23, 31, v18
	v_ashrrev_i32_e32 v18, 2, v18
	s_delay_alu instid0(VALU_DEP_3) | instskip(NEXT) | instid1(VALU_DEP_2)
	v_add_nc_u32_e32 v17, v17, v22
	v_add_nc_u32_e32 v18, v18, v23
	s_delay_alu instid0(VALU_DEP_1)
	v_cmp_ne_u32_e32 vcc_lo, v17, v18
	s_and_b32 s5, vcc_lo, exec_lo
; %bb.57:
	s_or_b32 exec_lo, exec_lo, s7
	v_or_b32_e32 v17, 4, v19
	s_mov_b32 s7, exec_lo
	s_delay_alu instid0(VALU_DEP_1)
	v_cmpx_gt_u32_e64 s25, v17
; %bb.58:
	v_mul_hi_i32 v17, 0x66666667, v14
	v_mul_hi_i32 v18, 0x66666667, v11
	s_delay_alu instid0(VALU_DEP_2) | instskip(SKIP_1) | instid1(VALU_DEP_3)
	v_lshrrev_b32_e32 v22, 31, v17
	v_ashrrev_i32_e32 v17, 2, v17
	v_lshrrev_b32_e32 v23, 31, v18
	v_ashrrev_i32_e32 v18, 2, v18
	s_delay_alu instid0(VALU_DEP_3) | instskip(NEXT) | instid1(VALU_DEP_2)
	v_add_nc_u32_e32 v17, v17, v22
	v_add_nc_u32_e32 v18, v18, v23
	s_delay_alu instid0(VALU_DEP_1)
	v_cmp_ne_u32_e32 vcc_lo, v17, v18
	s_and_b32 s6, vcc_lo, exec_lo
; %bb.59:
	s_or_b32 exec_lo, exec_lo, s7
	;; [unrolled: 42-line block ×3, first 2 shown]
	v_or_b32_e32 v17, 1, v19
	s_mov_b32 s20, 0
	s_mov_b32 s21, exec_lo
	s_delay_alu instid0(VALU_DEP_1)
	v_cmpx_gt_u32_e64 s25, v17
; %bb.64:
	v_mul_hi_i32 v17, 0x66666667, v15
	v_mul_hi_i32 v18, 0x66666667, v16
	s_delay_alu instid0(VALU_DEP_2) | instskip(SKIP_1) | instid1(VALU_DEP_3)
	v_lshrrev_b32_e32 v22, 31, v17
	v_ashrrev_i32_e32 v17, 2, v17
	v_lshrrev_b32_e32 v23, 31, v18
	v_ashrrev_i32_e32 v18, 2, v18
	s_delay_alu instid0(VALU_DEP_3) | instskip(NEXT) | instid1(VALU_DEP_2)
	v_add_nc_u32_e32 v17, v17, v22
	v_add_nc_u32_e32 v18, v18, v23
	s_delay_alu instid0(VALU_DEP_1)
	v_cmp_ne_u32_e32 vcc_lo, v17, v18
	s_and_b32 s20, vcc_lo, exec_lo
; %bb.65:
	s_or_b32 exec_lo, exec_lo, s21
	s_waitcnt vmcnt(0) lgkmcnt(0)
	s_barrier
	buffer_gl0_inv
	s_and_saveexec_b32 s21, s3
	s_cbranch_execz .LBB466_67
; %bb.66:
	v_add_nc_u32_e32 v17, -4, v21
	ds_load_b32 v20, v17
.LBB466_67:
	s_or_b32 exec_lo, exec_lo, s21
	v_cndmask_b32_e64 v18, 0, 1, s7
	v_cndmask_b32_e64 v22, 0, 1, s5
	;; [unrolled: 1-line block ×7, first 2 shown]
	v_lshlrev_b16 v18, 8, v18
	v_lshlrev_b16 v22, 8, v22
	;; [unrolled: 1-line block ×3, first 2 shown]
	s_mov_b32 s4, 0
	v_lshlrev_b16 v25, 8, v25
	v_or_b32_e32 v18, v17, v18
	v_or_b32_e32 v21, v21, v22
	;; [unrolled: 1-line block ×3, first 2 shown]
	s_mov_b32 s0, exec_lo
	v_and_b32_e32 v17, 0xffff, v25
	v_lshlrev_b32_e32 v18, 16, v18
	v_and_b32_e32 v21, 0xffff, v21
	v_lshlrev_b32_e32 v22, 16, v22
	v_cmpx_gt_u32_e64 s25, v19
	s_cbranch_execz .LBB466_69
; %bb.68:
	s_waitcnt lgkmcnt(0)
	v_mul_hi_i32 v20, 0x66666667, v20
	v_mul_hi_i32 v23, 0x66666667, v15
	s_delay_alu instid0(VALU_DEP_2) | instskip(SKIP_1) | instid1(VALU_DEP_3)
	v_lshrrev_b32_e32 v24, 31, v20
	v_ashrrev_i32_e32 v20, 2, v20
	v_lshrrev_b32_e32 v25, 31, v23
	v_ashrrev_i32_e32 v23, 2, v23
	s_delay_alu instid0(VALU_DEP_3) | instskip(NEXT) | instid1(VALU_DEP_2)
	v_add_nc_u32_e32 v20, v20, v24
	v_add_nc_u32_e32 v23, v23, v25
	s_delay_alu instid0(VALU_DEP_1)
	v_cmp_ne_u32_e32 vcc_lo, v20, v23
	s_and_b32 s4, vcc_lo, exec_lo
.LBB466_69:
	s_or_b32 exec_lo, exec_lo, s0
	v_or_b32_e32 v17, v17, v18
	v_or_b32_e32 v18, v21, v22
.LBB466_70:
	s_mov_b32 s0, -1
	s_cbranch_execnz .LBB466_95
.LBB466_71:
	v_mul_hi_i32 v26, 0x66666667, v9
	v_mul_hi_i32 v25, 0x66666667, v12
	;; [unrolled: 1-line block ×6, first 2 shown]
	s_waitcnt vmcnt(0) lgkmcnt(0)
	v_lshlrev_b32_e32 v20, 2, v0
	s_and_b32 vcc_lo, exec_lo, s23
	ds_store_b32 v20, v10
	s_cbranch_vccz .LBB466_75
; %bb.72:
	v_mul_hi_i32 v17, 0x66666667, v10
	v_lshrrev_b32_e32 v18, 31, v26
	v_ashrrev_i32_e32 v27, 2, v26
	v_lshrrev_b32_e32 v28, 31, v25
	v_ashrrev_i32_e32 v29, 2, v25
	v_lshrrev_b32_e32 v30, 31, v24
	v_ashrrev_i32_e32 v32, 2, v24
	v_add_nc_u32_e32 v18, v27, v18
	v_lshrrev_b32_e32 v31, 31, v17
	v_ashrrev_i32_e32 v17, 2, v17
	v_add_nc_u32_e32 v27, v29, v28
	v_lshrrev_b32_e32 v28, 31, v23
	v_ashrrev_i32_e32 v29, 2, v23
	v_ashrrev_i32_e32 v34, 2, v21
	v_add_nc_u32_e32 v17, v17, v31
	v_cmp_ne_u32_e32 vcc_lo, v27, v18
	v_mul_hi_i32 v31, 0x66666667, v15
	v_add_nc_u32_e32 v28, v29, v28
	v_lshrrev_b32_e32 v29, 31, v22
	s_waitcnt lgkmcnt(0)
	v_cndmask_b32_e64 v33, 0, 1, vcc_lo
	v_cmp_ne_u32_e32 vcc_lo, v18, v17
	v_add_nc_u32_e32 v18, v32, v30
	v_ashrrev_i32_e32 v30, 2, v22
	v_lshrrev_b32_e32 v32, 31, v21
	v_lshrrev_b32_e32 v35, 31, v31
	v_cndmask_b32_e64 v17, 0, 1, vcc_lo
	v_cmp_ne_u32_e32 vcc_lo, v18, v27
	v_ashrrev_i32_e32 v31, 2, v31
	v_add_nc_u32_e32 v29, v30, v29
	v_add_nc_u32_e32 v30, v34, v32
	v_lshlrev_b16 v17, 8, v17
	v_cndmask_b32_e64 v36, 0, 1, vcc_lo
	v_cmp_ne_u32_e32 vcc_lo, v28, v18
	v_add_nc_u32_e32 v27, v31, v35
	s_barrier
	v_or_b32_e32 v17, v33, v17
	buffer_gl0_inv
	v_cndmask_b32_e64 v18, 0, 1, vcc_lo
	v_cmp_ne_u32_e32 vcc_lo, v29, v28
                                        ; implicit-def: $sgpr4
	v_lshlrev_b32_e32 v17, 16, v17
	v_cndmask_b32_e64 v28, 0, 1, vcc_lo
	v_cmp_ne_u32_e32 vcc_lo, v27, v30
	s_delay_alu instid0(VALU_DEP_2) | instskip(SKIP_3) | instid1(VALU_DEP_3)
	v_lshlrev_b16 v28, 8, v28
	v_cndmask_b32_e64 v31, 0, 1, vcc_lo
	v_cmp_ne_u32_e32 vcc_lo, v30, v29
	v_lshlrev_b16 v30, 8, v36
	v_lshlrev_b16 v31, 8, v31
	v_cndmask_b32_e64 v29, 0, 1, vcc_lo
	s_delay_alu instid0(VALU_DEP_3) | instskip(NEXT) | instid1(VALU_DEP_2)
	v_or_b32_e32 v18, v18, v30
	v_or_b32_e32 v28, v29, v28
	s_delay_alu instid0(VALU_DEP_4) | instskip(NEXT) | instid1(VALU_DEP_3)
	v_or_b32_e32 v29, 1, v31
	v_and_b32_e32 v18, 0xffff, v18
	s_delay_alu instid0(VALU_DEP_3) | instskip(NEXT) | instid1(VALU_DEP_3)
	v_lshlrev_b32_e32 v28, 16, v28
	v_and_b32_e32 v29, 0xffff, v29
	s_delay_alu instid0(VALU_DEP_3) | instskip(NEXT) | instid1(VALU_DEP_2)
	v_or_b32_e32 v18, v18, v17
	v_or_b32_e32 v17, v29, v28
	s_and_saveexec_b32 s5, s3
	s_delay_alu instid0(SALU_CYCLE_1)
	s_xor_b32 s5, exec_lo, s5
	s_cbranch_execz .LBB466_74
; %bb.73:
	v_add_nc_u32_e32 v28, -4, v20
	s_or_b32 s0, s0, exec_lo
	ds_load_b32 v28, v28
	s_waitcnt lgkmcnt(0)
	v_mul_hi_i32 v28, 0x66666667, v28
	s_delay_alu instid0(VALU_DEP_1) | instskip(SKIP_1) | instid1(VALU_DEP_1)
	v_lshrrev_b32_e32 v29, 31, v28
	v_ashrrev_i32_e32 v28, 2, v28
	v_add_nc_u32_e32 v28, v28, v29
	s_delay_alu instid0(VALU_DEP_1)
	v_cmp_ne_u32_e32 vcc_lo, v28, v27
	s_and_b32 s4, vcc_lo, exec_lo
.LBB466_74:
	s_or_b32 exec_lo, exec_lo, s5
	s_branch .LBB466_95
.LBB466_75:
                                        ; implicit-def: $sgpr4
                                        ; implicit-def: $vgpr18
	s_cbranch_execz .LBB466_95
; %bb.76:
	v_or_b32_e32 v17, 7, v19
	s_mov_b32 s4, 0
	s_mov_b32 s5, 0
	s_mov_b32 s6, exec_lo
	s_delay_alu instid0(VALU_DEP_1)
	v_cmpx_gt_u32_e64 s25, v17
; %bb.77:
	v_mul_hi_i32 v17, 0x66666667, v10
	v_lshrrev_b32_e32 v18, 31, v26
	v_ashrrev_i32_e32 v27, 2, v26
	s_delay_alu instid0(VALU_DEP_1) | instskip(NEXT) | instid1(VALU_DEP_4)
	v_add_nc_u32_e32 v18, v27, v18
	v_lshrrev_b32_e32 v28, 31, v17
	v_ashrrev_i32_e32 v17, 2, v17
	s_delay_alu instid0(VALU_DEP_1) | instskip(NEXT) | instid1(VALU_DEP_1)
	v_add_nc_u32_e32 v17, v17, v28
	v_cmp_ne_u32_e32 vcc_lo, v18, v17
	s_and_b32 s5, vcc_lo, exec_lo
; %bb.78:
	s_or_b32 exec_lo, exec_lo, s6
	v_or_b32_e32 v17, 6, v19
	s_mov_b32 s6, exec_lo
	s_delay_alu instid0(VALU_DEP_1)
	v_cmpx_gt_u32_e64 s25, v17
; %bb.79:
	v_lshrrev_b32_e32 v17, 31, v25
	v_ashrrev_i32_e32 v18, 2, v25
	v_lshrrev_b32_e32 v27, 31, v26
	v_ashrrev_i32_e32 v26, 2, v26
	s_delay_alu instid0(VALU_DEP_3) | instskip(NEXT) | instid1(VALU_DEP_2)
	v_add_nc_u32_e32 v17, v18, v17
	v_add_nc_u32_e32 v18, v26, v27
	s_delay_alu instid0(VALU_DEP_1)
	v_cmp_ne_u32_e32 vcc_lo, v17, v18
	s_and_b32 s4, vcc_lo, exec_lo
; %bb.80:
	s_or_b32 exec_lo, exec_lo, s6
	v_or_b32_e32 v17, 5, v19
	s_mov_b32 s6, 0
	s_mov_b32 s7, 0
	s_mov_b32 s19, exec_lo
	s_delay_alu instid0(VALU_DEP_1)
	v_cmpx_gt_u32_e64 s25, v17
; %bb.81:
	v_lshrrev_b32_e32 v17, 31, v24
	v_ashrrev_i32_e32 v18, 2, v24
	v_lshrrev_b32_e32 v26, 31, v25
	v_ashrrev_i32_e32 v25, 2, v25
	s_delay_alu instid0(VALU_DEP_3) | instskip(NEXT) | instid1(VALU_DEP_2)
	v_add_nc_u32_e32 v17, v18, v17
	v_add_nc_u32_e32 v18, v25, v26
	s_delay_alu instid0(VALU_DEP_1)
	v_cmp_ne_u32_e32 vcc_lo, v17, v18
	s_and_b32 s7, vcc_lo, exec_lo
; %bb.82:
	s_or_b32 exec_lo, exec_lo, s19
	v_or_b32_e32 v17, 4, v19
	s_mov_b32 s19, exec_lo
	s_delay_alu instid0(VALU_DEP_1)
	v_cmpx_gt_u32_e64 s25, v17
; %bb.83:
	v_lshrrev_b32_e32 v17, 31, v23
	v_ashrrev_i32_e32 v18, 2, v23
	v_lshrrev_b32_e32 v25, 31, v24
	v_ashrrev_i32_e32 v24, 2, v24
	s_delay_alu instid0(VALU_DEP_3) | instskip(NEXT) | instid1(VALU_DEP_2)
	v_add_nc_u32_e32 v17, v18, v17
	v_add_nc_u32_e32 v18, v24, v25
	s_delay_alu instid0(VALU_DEP_1)
	v_cmp_ne_u32_e32 vcc_lo, v17, v18
	s_and_b32 s6, vcc_lo, exec_lo
; %bb.84:
	s_or_b32 exec_lo, exec_lo, s19
	v_or_b32_e32 v17, 3, v19
	s_mov_b32 s20, 0
	s_mov_b32 s19, 0
	s_mov_b32 s21, exec_lo
	s_delay_alu instid0(VALU_DEP_1)
	v_cmpx_gt_u32_e64 s25, v17
; %bb.85:
	v_lshrrev_b32_e32 v17, 31, v22
	v_ashrrev_i32_e32 v18, 2, v22
	v_lshrrev_b32_e32 v24, 31, v23
	v_ashrrev_i32_e32 v23, 2, v23
	s_delay_alu instid0(VALU_DEP_3) | instskip(NEXT) | instid1(VALU_DEP_2)
	v_add_nc_u32_e32 v17, v18, v17
	v_add_nc_u32_e32 v18, v23, v24
	s_delay_alu instid0(VALU_DEP_1)
	v_cmp_ne_u32_e32 vcc_lo, v17, v18
	s_and_b32 s19, vcc_lo, exec_lo
; %bb.86:
	s_or_b32 exec_lo, exec_lo, s21
	v_or_b32_e32 v17, 2, v19
	s_mov_b32 s21, exec_lo
	s_delay_alu instid0(VALU_DEP_1)
	v_cmpx_gt_u32_e64 s25, v17
; %bb.87:
	v_lshrrev_b32_e32 v17, 31, v21
	v_ashrrev_i32_e32 v18, 2, v21
	v_lshrrev_b32_e32 v23, 31, v22
	v_ashrrev_i32_e32 v22, 2, v22
	s_delay_alu instid0(VALU_DEP_3) | instskip(NEXT) | instid1(VALU_DEP_2)
	v_add_nc_u32_e32 v17, v18, v17
	v_add_nc_u32_e32 v18, v22, v23
	s_delay_alu instid0(VALU_DEP_1)
	v_cmp_ne_u32_e32 vcc_lo, v17, v18
	s_and_b32 s20, vcc_lo, exec_lo
; %bb.88:
	s_or_b32 exec_lo, exec_lo, s21
	v_or_b32_e32 v17, 1, v19
	s_mov_b32 s26, 0
	s_mov_b32 s21, exec_lo
	s_delay_alu instid0(VALU_DEP_1)
	v_cmpx_gt_u32_e64 s25, v17
; %bb.89:
	v_mul_hi_i32 v17, 0x66666667, v15
	v_lshrrev_b32_e32 v18, 31, v21
	v_ashrrev_i32_e32 v21, 2, v21
	s_delay_alu instid0(VALU_DEP_1) | instskip(NEXT) | instid1(VALU_DEP_4)
	v_add_nc_u32_e32 v18, v21, v18
	v_lshrrev_b32_e32 v22, 31, v17
	v_ashrrev_i32_e32 v17, 2, v17
	s_delay_alu instid0(VALU_DEP_1) | instskip(NEXT) | instid1(VALU_DEP_1)
	v_add_nc_u32_e32 v17, v17, v22
	v_cmp_ne_u32_e32 vcc_lo, v17, v18
	s_and_b32 s26, vcc_lo, exec_lo
; %bb.90:
	s_or_b32 exec_lo, exec_lo, s21
	v_cndmask_b32_e64 v18, 0, 1, s19
	v_cndmask_b32_e64 v21, 0, 1, s7
	;; [unrolled: 1-line block ×7, first 2 shown]
	v_lshlrev_b16 v21, 8, v21
	v_lshlrev_b16 v22, 8, v22
	;; [unrolled: 1-line block ×4, first 2 shown]
	s_waitcnt lgkmcnt(0)
	v_or_b32_e32 v21, v24, v21
	v_or_b32_e32 v22, v25, v22
	;; [unrolled: 1-line block ×4, first 2 shown]
	s_barrier
	v_and_b32_e32 v18, 0xffff, v21
	v_lshlrev_b32_e32 v21, 16, v22
	v_and_b32_e32 v22, 0xffff, v23
	v_lshlrev_b32_e32 v17, 16, v17
	buffer_gl0_inv
                                        ; implicit-def: $sgpr4
	v_or_b32_e32 v18, v18, v21
	v_or_b32_e32 v17, v22, v17
	s_and_saveexec_b32 s5, s3
	s_cbranch_execz .LBB466_94
; %bb.91:
	s_mov_b32 s4, 0
	s_mov_b32 s3, exec_lo
	v_cmpx_gt_u32_e64 s25, v19
	s_cbranch_execz .LBB466_93
; %bb.92:
	v_add_nc_u32_e32 v20, -4, v20
	v_mul_hi_i32 v21, 0x66666667, v15
	ds_load_b32 v20, v20
	v_lshrrev_b32_e32 v22, 31, v21
	v_ashrrev_i32_e32 v21, 2, v21
	s_delay_alu instid0(VALU_DEP_1) | instskip(SKIP_2) | instid1(VALU_DEP_1)
	v_add_nc_u32_e32 v21, v21, v22
	s_waitcnt lgkmcnt(0)
	v_mul_hi_i32 v20, 0x66666667, v20
	v_lshrrev_b32_e32 v23, 31, v20
	v_ashrrev_i32_e32 v20, 2, v20
	s_delay_alu instid0(VALU_DEP_1) | instskip(NEXT) | instid1(VALU_DEP_1)
	v_add_nc_u32_e32 v20, v20, v23
	v_cmp_ne_u32_e32 vcc_lo, v20, v21
	s_and_b32 s4, vcc_lo, exec_lo
.LBB466_93:
	s_or_b32 exec_lo, exec_lo, s3
	s_delay_alu instid0(SALU_CYCLE_1)
	s_and_b32 s4, s4, exec_lo
	s_or_b32 s0, s0, exec_lo
.LBB466_94:
	s_or_b32 exec_lo, exec_lo, s5
.LBB466_95:
	s_and_saveexec_b32 s3, s0
	s_cbranch_execz .LBB466_97
; %bb.96:
	s_waitcnt vmcnt(0) lgkmcnt(0)
	v_and_b32_e32 v20, 0xffffff00, v17
	v_cndmask_b32_e64 v21, 0, 1, s4
	s_delay_alu instid0(VALU_DEP_1) | instskip(NEXT) | instid1(VALU_DEP_1)
	v_or_b32_e32 v20, v21, v20
	v_and_b32_e32 v20, 0xffff, v20
	s_delay_alu instid0(VALU_DEP_1)
	v_and_or_b32 v17, 0xffff0000, v17, v20
.LBB466_97:
	s_or_b32 exec_lo, exec_lo, s3
	s_delay_alu instid0(SALU_CYCLE_1)
	s_and_not1_b32 vcc_lo, exec_lo, s1
	s_cbranch_vccnz .LBB466_99
; %bb.98:
	v_cmp_gt_u32_e32 vcc_lo, s25, v19
	v_or_b32_e32 v21, 1, v19
	v_and_b32_e32 v22, 0xffffff00, v18
	v_or_b32_e32 v23, 2, v19
	s_waitcnt vmcnt(0) lgkmcnt(0)
	v_cndmask_b32_e32 v20, 0, v17, vcc_lo
	v_cmp_gt_u32_e32 vcc_lo, s25, v21
	v_or_b32_e32 v21, 4, v19
	v_cmp_gt_u32_e64 s0, s25, v23
	v_or_b32_e32 v23, 3, v19
	v_and_b32_e32 v20, 0xff, v20
	s_delay_alu instid0(VALU_DEP_2) | instskip(NEXT) | instid1(VALU_DEP_2)
	v_cmp_gt_u32_e64 s1, s25, v23
	v_cndmask_b32_e32 v20, v20, v17, vcc_lo
	v_cmp_gt_u32_e32 vcc_lo, s25, v21
	s_delay_alu instid0(VALU_DEP_2) | instskip(SKIP_1) | instid1(VALU_DEP_2)
	v_dual_cndmask_b32 v21, v22, v18 :: v_dual_and_b32 v20, 0xffff, v20
	v_or_b32_e32 v22, 5, v19
	v_cndmask_b32_e64 v20, v20, v17, s0
	s_delay_alu instid0(VALU_DEP_3) | instskip(NEXT) | instid1(VALU_DEP_3)
	v_and_b32_e32 v21, 0xffff00ff, v21
	v_cmp_gt_u32_e64 s0, s25, v22
	v_or_b32_e32 v22, 6, v19
	v_or_b32_e32 v19, 7, v19
	v_and_b32_e32 v20, 0xffffff, v20
	s_delay_alu instid0(VALU_DEP_4) | instskip(NEXT) | instid1(VALU_DEP_2)
	v_cndmask_b32_e64 v21, v21, v18, s0
	v_cndmask_b32_e64 v20, v20, v17, s1
	s_delay_alu instid0(VALU_DEP_2) | instskip(NEXT) | instid1(VALU_DEP_2)
	v_and_b32_e32 v21, 0xff00ffff, v21
	v_cndmask_b32_e32 v20, v20, v17, vcc_lo
	v_cmp_gt_u32_e32 vcc_lo, s25, v22
	s_delay_alu instid0(VALU_DEP_2) | instskip(NEXT) | instid1(VALU_DEP_1)
	v_cndmask_b32_e64 v20, v20, v17, s0
	v_dual_cndmask_b32 v21, v21, v18 :: v_dual_cndmask_b32 v20, v20, v17
	s_delay_alu instid0(VALU_DEP_1) | instskip(SKIP_1) | instid1(VALU_DEP_2)
	v_and_b32_e32 v21, 0xffffff, v21
	v_cmp_gt_u32_e32 vcc_lo, s25, v19
	v_dual_cndmask_b32 v18, v21, v18 :: v_dual_cndmask_b32 v17, v20, v17
.LBB466_99:
	s_delay_alu instid0(VALU_DEP_1) | instskip(NEXT) | instid1(VALU_DEP_2)
	v_and_b32_e32 v28, 0xff, v17
	v_alignbit_b32 v19, v18, v17, 24
	v_bfe_u32 v30, v17, 8, 8
	v_bfe_u32 v32, v17, 16, 8
	v_and_b32_e32 v36, 0xff, v18
	v_bfe_u32 v38, v18, 8, 8
	v_and_b32_e32 v34, 0xff, v19
	v_add_nc_u32_e32 v19, v30, v28
	s_waitcnt vmcnt(0) lgkmcnt(0)
	v_and_b32_e32 v20, 0x1e0, v0
	v_mbcnt_lo_u32_b32 v41, -1, 0
	v_bfe_u32 v40, v18, 16, 8
	v_lshrrev_b32_e32 v39, 24, v18
	v_add3_u32 v19, v19, v32, v34
	v_min_u32_e32 v20, 0x160, v20
	v_and_b32_e32 v21, 15, v41
	v_lshrrev_b32_e32 v42, 5, v0
	s_and_b32 vcc_lo, exec_lo, s18
	v_add3_u32 v19, v19, v36, v38
	v_or_b32_e32 v20, 31, v20
	v_cmp_eq_u32_e64 s3, 0, v21
	v_cmp_lt_u32_e64 s4, 1, v21
	v_cmp_lt_u32_e64 s1, 3, v21
	v_add3_u32 v43, v19, v40, v39
	v_and_b32_e32 v19, 16, v41
	v_cmp_lt_u32_e64 s0, 7, v21
	v_cmp_eq_u32_e64 s5, v20, v0
	s_mov_b32 s7, -1
	s_delay_alu instid0(VALU_DEP_3)
	v_cmp_eq_u32_e64 s6, 0, v19
	s_barrier
	buffer_gl0_inv
	s_cbranch_vccz .LBB466_125
; %bb.100:
	v_mov_b32_dpp v19, v43 row_shr:1 row_mask:0xf bank_mask:0xf
	s_delay_alu instid0(VALU_DEP_1) | instskip(NEXT) | instid1(VALU_DEP_1)
	v_cndmask_b32_e64 v19, v19, 0, s3
	v_add_nc_u32_e32 v19, v19, v43
	s_delay_alu instid0(VALU_DEP_1) | instskip(NEXT) | instid1(VALU_DEP_1)
	v_mov_b32_dpp v20, v19 row_shr:2 row_mask:0xf bank_mask:0xf
	v_cndmask_b32_e64 v20, 0, v20, s4
	s_delay_alu instid0(VALU_DEP_1) | instskip(NEXT) | instid1(VALU_DEP_1)
	v_add_nc_u32_e32 v19, v19, v20
	v_mov_b32_dpp v20, v19 row_shr:4 row_mask:0xf bank_mask:0xf
	s_delay_alu instid0(VALU_DEP_1) | instskip(NEXT) | instid1(VALU_DEP_1)
	v_cndmask_b32_e64 v20, 0, v20, s1
	v_add_nc_u32_e32 v19, v19, v20
	s_delay_alu instid0(VALU_DEP_1) | instskip(NEXT) | instid1(VALU_DEP_1)
	v_mov_b32_dpp v20, v19 row_shr:8 row_mask:0xf bank_mask:0xf
	v_cndmask_b32_e64 v20, 0, v20, s0
	s_delay_alu instid0(VALU_DEP_1) | instskip(SKIP_3) | instid1(VALU_DEP_1)
	v_add_nc_u32_e32 v19, v19, v20
	ds_swizzle_b32 v20, v19 offset:swizzle(BROADCAST,32,15)
	s_waitcnt lgkmcnt(0)
	v_cndmask_b32_e64 v20, v20, 0, s6
	v_add_nc_u32_e32 v19, v19, v20
	s_and_saveexec_b32 s7, s5
	s_cbranch_execz .LBB466_102
; %bb.101:
	v_lshlrev_b32_e32 v20, 2, v42
	ds_store_b32 v20, v19
.LBB466_102:
	s_or_b32 exec_lo, exec_lo, s7
	s_delay_alu instid0(SALU_CYCLE_1)
	s_mov_b32 s7, exec_lo
	s_waitcnt lgkmcnt(0)
	s_barrier
	buffer_gl0_inv
	v_cmpx_gt_u32_e32 12, v0
	s_cbranch_execz .LBB466_104
; %bb.103:
	v_lshlrev_b32_e32 v20, 2, v0
	ds_load_b32 v21, v20
	s_waitcnt lgkmcnt(0)
	v_mov_b32_dpp v22, v21 row_shr:1 row_mask:0xf bank_mask:0xf
	s_delay_alu instid0(VALU_DEP_1) | instskip(NEXT) | instid1(VALU_DEP_1)
	v_cndmask_b32_e64 v22, v22, 0, s3
	v_add_nc_u32_e32 v21, v22, v21
	s_delay_alu instid0(VALU_DEP_1) | instskip(NEXT) | instid1(VALU_DEP_1)
	v_mov_b32_dpp v22, v21 row_shr:2 row_mask:0xf bank_mask:0xf
	v_cndmask_b32_e64 v22, 0, v22, s4
	s_delay_alu instid0(VALU_DEP_1) | instskip(NEXT) | instid1(VALU_DEP_1)
	v_add_nc_u32_e32 v21, v21, v22
	v_mov_b32_dpp v22, v21 row_shr:4 row_mask:0xf bank_mask:0xf
	s_delay_alu instid0(VALU_DEP_1) | instskip(NEXT) | instid1(VALU_DEP_1)
	v_cndmask_b32_e64 v22, 0, v22, s1
	v_add_nc_u32_e32 v21, v21, v22
	s_delay_alu instid0(VALU_DEP_1) | instskip(NEXT) | instid1(VALU_DEP_1)
	v_mov_b32_dpp v22, v21 row_shr:8 row_mask:0xf bank_mask:0xf
	v_cndmask_b32_e64 v22, 0, v22, s0
	s_delay_alu instid0(VALU_DEP_1)
	v_add_nc_u32_e32 v21, v21, v22
	ds_store_b32 v20, v21
.LBB466_104:
	s_or_b32 exec_lo, exec_lo, s7
	v_cmp_gt_u32_e32 vcc_lo, 32, v0
	s_mov_b32 s18, exec_lo
	s_waitcnt lgkmcnt(0)
	s_barrier
	buffer_gl0_inv
                                        ; implicit-def: $vgpr27
	v_cmpx_lt_u32_e32 31, v0
	s_cbranch_execz .LBB466_106
; %bb.105:
	v_lshl_add_u32 v20, v42, 2, -4
	ds_load_b32 v27, v20
	s_waitcnt lgkmcnt(0)
	v_add_nc_u32_e32 v19, v27, v19
.LBB466_106:
	s_or_b32 exec_lo, exec_lo, s18
	v_add_nc_u32_e32 v20, -1, v41
	s_delay_alu instid0(VALU_DEP_1) | instskip(NEXT) | instid1(VALU_DEP_1)
	v_cmp_gt_i32_e64 s7, 0, v20
	v_cndmask_b32_e64 v20, v20, v41, s7
	v_cmp_eq_u32_e64 s7, 0, v41
	s_delay_alu instid0(VALU_DEP_2)
	v_lshlrev_b32_e32 v20, 2, v20
	ds_bpermute_b32 v29, v20, v19
	s_and_saveexec_b32 s18, vcc_lo
	s_cbranch_execz .LBB466_124
; %bb.107:
	v_mov_b32_e32 v23, 0
	ds_load_b32 v19, v23 offset:44
	s_and_saveexec_b32 s19, s7
	s_cbranch_execz .LBB466_109
; %bb.108:
	s_add_i32 s20, s24, 32
	s_mov_b32 s21, 0
	v_mov_b32_e32 v20, 1
	s_lshl_b64 s[20:21], s[20:21], 3
	s_delay_alu instid0(SALU_CYCLE_1)
	s_add_u32 s20, s16, s20
	s_addc_u32 s21, s17, s21
	s_waitcnt lgkmcnt(0)
	global_store_b64 v23, v[19:20], s[20:21]
.LBB466_109:
	s_or_b32 exec_lo, exec_lo, s19
	v_xad_u32 v21, v41, -1, s24
	s_mov_b32 s20, 0
	s_mov_b32 s19, exec_lo
	s_delay_alu instid0(VALU_DEP_1) | instskip(NEXT) | instid1(VALU_DEP_1)
	v_add_nc_u32_e32 v22, 32, v21
	v_lshlrev_b64 v[22:23], 3, v[22:23]
	s_delay_alu instid0(VALU_DEP_1) | instskip(NEXT) | instid1(VALU_DEP_2)
	v_add_co_u32 v25, vcc_lo, s16, v22
	v_add_co_ci_u32_e32 v26, vcc_lo, s17, v23, vcc_lo
	global_load_b64 v[23:24], v[25:26], off glc
	s_waitcnt vmcnt(0)
	v_and_b32_e32 v20, 0xff, v24
	s_delay_alu instid0(VALU_DEP_1)
	v_cmpx_eq_u16_e32 0, v20
	s_cbranch_execz .LBB466_112
.LBB466_110:                            ; =>This Inner Loop Header: Depth=1
	global_load_b64 v[23:24], v[25:26], off glc
	s_waitcnt vmcnt(0)
	v_and_b32_e32 v20, 0xff, v24
	s_delay_alu instid0(VALU_DEP_1) | instskip(SKIP_1) | instid1(SALU_CYCLE_1)
	v_cmp_ne_u16_e32 vcc_lo, 0, v20
	s_or_b32 s20, vcc_lo, s20
	s_and_not1_b32 exec_lo, exec_lo, s20
	s_cbranch_execnz .LBB466_110
; %bb.111:
	s_or_b32 exec_lo, exec_lo, s20
.LBB466_112:
	s_delay_alu instid0(SALU_CYCLE_1)
	s_or_b32 exec_lo, exec_lo, s19
	v_cmp_ne_u32_e32 vcc_lo, 31, v41
	v_lshlrev_b32_e64 v33, v41, -1
	v_add_nc_u32_e32 v37, 2, v41
	v_add_nc_u32_e32 v45, 4, v41
	;; [unrolled: 1-line block ×3, first 2 shown]
	v_add_co_ci_u32_e32 v20, vcc_lo, 0, v41, vcc_lo
	v_add_nc_u32_e32 v49, 16, v41
	s_delay_alu instid0(VALU_DEP_2)
	v_lshlrev_b32_e32 v31, 2, v20
	v_and_b32_e32 v20, 0xff, v24
	ds_bpermute_b32 v22, v31, v23
	v_cmp_eq_u16_e32 vcc_lo, 2, v20
	v_and_or_b32 v20, vcc_lo, v33, 0x80000000
	v_cmp_gt_u32_e32 vcc_lo, 30, v41
	s_delay_alu instid0(VALU_DEP_2) | instskip(SKIP_1) | instid1(VALU_DEP_2)
	v_ctz_i32_b32_e32 v20, v20
	v_cndmask_b32_e64 v25, 0, 1, vcc_lo
	v_cmp_lt_u32_e32 vcc_lo, v41, v20
	s_waitcnt lgkmcnt(0)
	s_delay_alu instid0(VALU_DEP_2) | instskip(NEXT) | instid1(VALU_DEP_1)
	v_dual_cndmask_b32 v22, 0, v22 :: v_dual_lshlrev_b32 v25, 1, v25
	v_add_lshl_u32 v35, v25, v41, 2
	v_cmp_gt_u32_e32 vcc_lo, 28, v41
	s_delay_alu instid0(VALU_DEP_3) | instskip(SKIP_4) | instid1(VALU_DEP_1)
	v_add_nc_u32_e32 v22, v22, v23
	v_cndmask_b32_e64 v25, 0, 1, vcc_lo
	v_cmp_le_u32_e32 vcc_lo, v37, v20
	ds_bpermute_b32 v23, v35, v22
	v_lshlrev_b32_e32 v25, 2, v25
	v_add_lshl_u32 v44, v25, v41, 2
	s_waitcnt lgkmcnt(0)
	v_cndmask_b32_e32 v23, 0, v23, vcc_lo
	v_cmp_gt_u32_e32 vcc_lo, 24, v41
	s_delay_alu instid0(VALU_DEP_2) | instskip(SKIP_4) | instid1(VALU_DEP_1)
	v_add_nc_u32_e32 v22, v22, v23
	v_cndmask_b32_e64 v25, 0, 1, vcc_lo
	v_cmp_le_u32_e32 vcc_lo, v45, v20
	ds_bpermute_b32 v23, v44, v22
	v_lshlrev_b32_e32 v25, 3, v25
	v_add_lshl_u32 v46, v25, v41, 2
	s_waitcnt lgkmcnt(0)
	v_cndmask_b32_e32 v23, 0, v23, vcc_lo
	v_cmp_gt_u32_e32 vcc_lo, 16, v41
	s_delay_alu instid0(VALU_DEP_2) | instskip(SKIP_4) | instid1(VALU_DEP_1)
	v_add_nc_u32_e32 v22, v22, v23
	v_cndmask_b32_e64 v25, 0, 1, vcc_lo
	v_cmp_le_u32_e32 vcc_lo, v47, v20
	ds_bpermute_b32 v23, v46, v22
	v_lshlrev_b32_e32 v25, 4, v25
	v_add_lshl_u32 v48, v25, v41, 2
	s_waitcnt lgkmcnt(0)
	v_cndmask_b32_e32 v23, 0, v23, vcc_lo
	v_cmp_le_u32_e32 vcc_lo, v49, v20
	s_delay_alu instid0(VALU_DEP_2) | instskip(SKIP_3) | instid1(VALU_DEP_1)
	v_add_nc_u32_e32 v22, v22, v23
	ds_bpermute_b32 v23, v48, v22
	s_waitcnt lgkmcnt(0)
	v_cndmask_b32_e32 v20, 0, v23, vcc_lo
	v_dual_mov_b32 v22, 0 :: v_dual_add_nc_u32 v23, v22, v20
	s_branch .LBB466_114
.LBB466_113:                            ;   in Loop: Header=BB466_114 Depth=1
	s_or_b32 exec_lo, exec_lo, s19
	ds_bpermute_b32 v26, v31, v23
	v_and_b32_e32 v25, 0xff, v24
	v_subrev_nc_u32_e32 v21, 32, v21
	s_delay_alu instid0(VALU_DEP_2) | instskip(SKIP_1) | instid1(VALU_DEP_1)
	v_cmp_eq_u16_e32 vcc_lo, 2, v25
	v_and_or_b32 v25, vcc_lo, v33, 0x80000000
	v_ctz_i32_b32_e32 v25, v25
	s_delay_alu instid0(VALU_DEP_1) | instskip(SKIP_3) | instid1(VALU_DEP_2)
	v_cmp_lt_u32_e32 vcc_lo, v41, v25
	s_waitcnt lgkmcnt(0)
	v_cndmask_b32_e32 v26, 0, v26, vcc_lo
	v_cmp_le_u32_e32 vcc_lo, v37, v25
	v_add_nc_u32_e32 v23, v26, v23
	ds_bpermute_b32 v26, v35, v23
	s_waitcnt lgkmcnt(0)
	v_cndmask_b32_e32 v26, 0, v26, vcc_lo
	v_cmp_le_u32_e32 vcc_lo, v45, v25
	s_delay_alu instid0(VALU_DEP_2) | instskip(SKIP_4) | instid1(VALU_DEP_2)
	v_add_nc_u32_e32 v23, v23, v26
	ds_bpermute_b32 v26, v44, v23
	s_waitcnt lgkmcnt(0)
	v_cndmask_b32_e32 v26, 0, v26, vcc_lo
	v_cmp_le_u32_e32 vcc_lo, v47, v25
	v_add_nc_u32_e32 v23, v23, v26
	ds_bpermute_b32 v26, v46, v23
	s_waitcnt lgkmcnt(0)
	v_cndmask_b32_e32 v26, 0, v26, vcc_lo
	v_cmp_le_u32_e32 vcc_lo, v49, v25
	s_delay_alu instid0(VALU_DEP_2) | instskip(SKIP_3) | instid1(VALU_DEP_1)
	v_add_nc_u32_e32 v23, v23, v26
	ds_bpermute_b32 v26, v48, v23
	s_waitcnt lgkmcnt(0)
	v_cndmask_b32_e32 v25, 0, v26, vcc_lo
	v_add3_u32 v23, v25, v20, v23
.LBB466_114:                            ; =>This Loop Header: Depth=1
                                        ;     Child Loop BB466_117 Depth 2
	v_and_b32_e32 v20, 0xff, v24
	s_delay_alu instid0(VALU_DEP_1) | instskip(SKIP_2) | instid1(VALU_DEP_1)
	v_cmp_ne_u16_e32 vcc_lo, 2, v20
	v_cndmask_b32_e64 v20, 0, 1, vcc_lo
	;;#ASMSTART
	;;#ASMEND
	v_cmp_ne_u32_e32 vcc_lo, 0, v20
	v_mov_b32_e32 v20, v23
	s_cmp_lg_u32 vcc_lo, exec_lo
	s_cbranch_scc1 .LBB466_119
; %bb.115:                              ;   in Loop: Header=BB466_114 Depth=1
	v_lshlrev_b64 v[23:24], 3, v[21:22]
	s_mov_b32 s19, exec_lo
	s_delay_alu instid0(VALU_DEP_1) | instskip(NEXT) | instid1(VALU_DEP_2)
	v_add_co_u32 v25, vcc_lo, s16, v23
	v_add_co_ci_u32_e32 v26, vcc_lo, s17, v24, vcc_lo
	global_load_b64 v[23:24], v[25:26], off glc
	s_waitcnt vmcnt(0)
	v_and_b32_e32 v50, 0xff, v24
	s_delay_alu instid0(VALU_DEP_1)
	v_cmpx_eq_u16_e32 0, v50
	s_cbranch_execz .LBB466_113
; %bb.116:                              ;   in Loop: Header=BB466_114 Depth=1
	s_mov_b32 s20, 0
.LBB466_117:                            ;   Parent Loop BB466_114 Depth=1
                                        ; =>  This Inner Loop Header: Depth=2
	global_load_b64 v[23:24], v[25:26], off glc
	s_waitcnt vmcnt(0)
	v_and_b32_e32 v50, 0xff, v24
	s_delay_alu instid0(VALU_DEP_1) | instskip(SKIP_1) | instid1(SALU_CYCLE_1)
	v_cmp_ne_u16_e32 vcc_lo, 0, v50
	s_or_b32 s20, vcc_lo, s20
	s_and_not1_b32 exec_lo, exec_lo, s20
	s_cbranch_execnz .LBB466_117
; %bb.118:                              ;   in Loop: Header=BB466_114 Depth=1
	s_or_b32 exec_lo, exec_lo, s20
	s_branch .LBB466_113
.LBB466_119:                            ;   in Loop: Header=BB466_114 Depth=1
                                        ; implicit-def: $vgpr23
                                        ; implicit-def: $vgpr24
	s_cbranch_execz .LBB466_114
; %bb.120:
	s_and_saveexec_b32 s19, s7
	s_cbranch_execz .LBB466_122
; %bb.121:
	s_add_i32 s20, s24, 32
	s_mov_b32 s21, 0
	v_dual_mov_b32 v22, 2 :: v_dual_add_nc_u32 v21, v20, v19
	s_lshl_b64 s[20:21], s[20:21], 3
	v_mov_b32_e32 v23, 0
	s_add_u32 s20, s16, s20
	s_addc_u32 s21, s17, s21
	global_store_b64 v23, v[21:22], s[20:21]
	ds_store_b64 v23, v[19:20] offset:12672
.LBB466_122:
	s_or_b32 exec_lo, exec_lo, s19
	s_delay_alu instid0(SALU_CYCLE_1)
	s_and_b32 exec_lo, exec_lo, s2
	s_cbranch_execz .LBB466_124
; %bb.123:
	v_mov_b32_e32 v19, 0
	ds_store_b32 v19, v20 offset:44
.LBB466_124:
	s_or_b32 exec_lo, exec_lo, s18
	v_mov_b32_e32 v19, 0
	s_waitcnt lgkmcnt(0)
	s_waitcnt_vscnt null, 0x0
	s_barrier
	buffer_gl0_inv
	v_cndmask_b32_e64 v21, v29, v27, s7
	ds_load_b32 v20, v19 offset:44
	s_waitcnt lgkmcnt(0)
	s_barrier
	buffer_gl0_inv
	v_cndmask_b32_e64 v21, v21, 0, s2
	s_delay_alu instid0(VALU_DEP_1) | instskip(SKIP_2) | instid1(VALU_DEP_1)
	v_add_nc_u32_e32 v37, v20, v21
	ds_load_b64 v[19:20], v19 offset:12672
	v_add_nc_u32_e32 v35, v37, v28
	v_add_nc_u32_e32 v33, v35, v30
	s_delay_alu instid0(VALU_DEP_1) | instskip(NEXT) | instid1(VALU_DEP_1)
	v_add_nc_u32_e32 v31, v33, v32
	v_add_nc_u32_e32 v29, v31, v34
	s_delay_alu instid0(VALU_DEP_1) | instskip(NEXT) | instid1(VALU_DEP_1)
	v_add_nc_u32_e32 v27, v29, v36
	v_add_nc_u32_e32 v25, v27, v38
	s_delay_alu instid0(VALU_DEP_1)
	v_add_nc_u32_e32 v23, v25, v40
	v_lshrrev_b64 v[21:22], 24, v[17:18]
	s_branch .LBB466_135
.LBB466_125:
                                        ; implicit-def: $vgpr23
                                        ; implicit-def: $vgpr25
                                        ; implicit-def: $vgpr27
                                        ; implicit-def: $vgpr29
                                        ; implicit-def: $vgpr31
                                        ; implicit-def: $vgpr33
                                        ; implicit-def: $vgpr35
                                        ; implicit-def: $vgpr37
                                        ; implicit-def: $vgpr20
	v_lshrrev_b64 v[21:22], 24, v[17:18]
	s_and_b32 vcc_lo, exec_lo, s7
	s_cbranch_vccz .LBB466_135
; %bb.126:
	s_waitcnt lgkmcnt(0)
	v_mov_b32_dpp v19, v43 row_shr:1 row_mask:0xf bank_mask:0xf
	s_delay_alu instid0(VALU_DEP_1) | instskip(NEXT) | instid1(VALU_DEP_1)
	v_cndmask_b32_e64 v19, v19, 0, s3
	v_add_nc_u32_e32 v19, v19, v43
	s_delay_alu instid0(VALU_DEP_1) | instskip(NEXT) | instid1(VALU_DEP_1)
	v_mov_b32_dpp v20, v19 row_shr:2 row_mask:0xf bank_mask:0xf
	v_cndmask_b32_e64 v20, 0, v20, s4
	s_delay_alu instid0(VALU_DEP_1) | instskip(NEXT) | instid1(VALU_DEP_1)
	v_add_nc_u32_e32 v19, v19, v20
	v_mov_b32_dpp v20, v19 row_shr:4 row_mask:0xf bank_mask:0xf
	s_delay_alu instid0(VALU_DEP_1) | instskip(NEXT) | instid1(VALU_DEP_1)
	v_cndmask_b32_e64 v20, 0, v20, s1
	v_add_nc_u32_e32 v19, v19, v20
	s_delay_alu instid0(VALU_DEP_1) | instskip(NEXT) | instid1(VALU_DEP_1)
	v_mov_b32_dpp v20, v19 row_shr:8 row_mask:0xf bank_mask:0xf
	v_cndmask_b32_e64 v20, 0, v20, s0
	s_delay_alu instid0(VALU_DEP_1) | instskip(SKIP_3) | instid1(VALU_DEP_1)
	v_add_nc_u32_e32 v19, v19, v20
	ds_swizzle_b32 v20, v19 offset:swizzle(BROADCAST,32,15)
	s_waitcnt lgkmcnt(0)
	v_cndmask_b32_e64 v20, v20, 0, s6
	v_add_nc_u32_e32 v19, v19, v20
	s_and_saveexec_b32 s6, s5
	s_cbranch_execz .LBB466_128
; %bb.127:
	v_lshlrev_b32_e32 v20, 2, v42
	ds_store_b32 v20, v19
.LBB466_128:
	s_or_b32 exec_lo, exec_lo, s6
	s_delay_alu instid0(SALU_CYCLE_1)
	s_mov_b32 s5, exec_lo
	s_waitcnt lgkmcnt(0)
	s_barrier
	buffer_gl0_inv
	v_cmpx_gt_u32_e32 12, v0
	s_cbranch_execz .LBB466_130
; %bb.129:
	v_lshlrev_b32_e32 v20, 2, v0
	ds_load_b32 v22, v20
	s_waitcnt lgkmcnt(0)
	v_mov_b32_dpp v23, v22 row_shr:1 row_mask:0xf bank_mask:0xf
	s_delay_alu instid0(VALU_DEP_1) | instskip(NEXT) | instid1(VALU_DEP_1)
	v_cndmask_b32_e64 v23, v23, 0, s3
	v_add_nc_u32_e32 v22, v23, v22
	s_delay_alu instid0(VALU_DEP_1) | instskip(NEXT) | instid1(VALU_DEP_1)
	v_mov_b32_dpp v23, v22 row_shr:2 row_mask:0xf bank_mask:0xf
	v_cndmask_b32_e64 v23, 0, v23, s4
	s_delay_alu instid0(VALU_DEP_1) | instskip(NEXT) | instid1(VALU_DEP_1)
	v_add_nc_u32_e32 v22, v22, v23
	v_mov_b32_dpp v23, v22 row_shr:4 row_mask:0xf bank_mask:0xf
	s_delay_alu instid0(VALU_DEP_1) | instskip(NEXT) | instid1(VALU_DEP_1)
	v_cndmask_b32_e64 v23, 0, v23, s1
	v_add_nc_u32_e32 v22, v22, v23
	s_delay_alu instid0(VALU_DEP_1) | instskip(NEXT) | instid1(VALU_DEP_1)
	v_mov_b32_dpp v23, v22 row_shr:8 row_mask:0xf bank_mask:0xf
	v_cndmask_b32_e64 v23, 0, v23, s0
	s_delay_alu instid0(VALU_DEP_1)
	v_add_nc_u32_e32 v22, v22, v23
	ds_store_b32 v20, v22
.LBB466_130:
	s_or_b32 exec_lo, exec_lo, s5
	v_mov_b32_e32 v20, 0
	v_mov_b32_e32 v22, 0
	s_mov_b32 s0, exec_lo
	s_waitcnt lgkmcnt(0)
	s_barrier
	buffer_gl0_inv
	v_cmpx_lt_u32_e32 31, v0
	s_cbranch_execz .LBB466_132
; %bb.131:
	v_lshl_add_u32 v22, v42, 2, -4
	ds_load_b32 v22, v22
.LBB466_132:
	s_or_b32 exec_lo, exec_lo, s0
	v_add_nc_u32_e32 v23, -1, v41
	s_waitcnt lgkmcnt(0)
	v_add_nc_u32_e32 v19, v22, v19
	s_delay_alu instid0(VALU_DEP_2) | instskip(SKIP_1) | instid1(VALU_DEP_1)
	v_cmp_gt_i32_e32 vcc_lo, 0, v23
	v_cndmask_b32_e32 v23, v23, v41, vcc_lo
	v_lshlrev_b32_e32 v23, 2, v23
	ds_bpermute_b32 v23, v23, v19
	ds_load_b32 v19, v20 offset:44
	s_and_saveexec_b32 s0, s2
	s_cbranch_execz .LBB466_134
; %bb.133:
	v_mov_b32_e32 v24, 0
	v_mov_b32_e32 v20, 2
	s_waitcnt lgkmcnt(0)
	global_store_b64 v24, v[19:20], s[16:17] offset:256
.LBB466_134:
	s_or_b32 exec_lo, exec_lo, s0
	v_cmp_eq_u32_e32 vcc_lo, 0, v41
	s_waitcnt lgkmcnt(0)
	s_waitcnt_vscnt null, 0x0
	s_barrier
	buffer_gl0_inv
	v_cndmask_b32_e32 v20, v23, v22, vcc_lo
	s_delay_alu instid0(VALU_DEP_1) | instskip(NEXT) | instid1(VALU_DEP_1)
	v_cndmask_b32_e64 v37, v20, 0, s2
	v_dual_mov_b32 v20, 0 :: v_dual_add_nc_u32 v35, v37, v28
	s_delay_alu instid0(VALU_DEP_1) | instskip(NEXT) | instid1(VALU_DEP_1)
	v_add_nc_u32_e32 v33, v35, v30
	v_add_nc_u32_e32 v31, v33, v32
	s_delay_alu instid0(VALU_DEP_1) | instskip(NEXT) | instid1(VALU_DEP_1)
	v_add_nc_u32_e32 v29, v31, v34
	v_add_nc_u32_e32 v27, v29, v36
	s_delay_alu instid0(VALU_DEP_1) | instskip(NEXT) | instid1(VALU_DEP_1)
	v_add_nc_u32_e32 v25, v27, v38
	v_add_nc_u32_e32 v23, v25, v40
.LBB466_135:
	s_waitcnt lgkmcnt(0)
	v_add_nc_u32_e32 v43, v20, v19
	v_cmp_gt_u32_e64 s0, 0x181, v19
	v_lshrrev_b32_e32 v42, 8, v17
	v_lshrrev_b32_e32 v41, 16, v17
	;; [unrolled: 1-line block ×4, first 2 shown]
	v_cmp_lt_u32_e64 s1, v37, v43
	s_and_b32 vcc_lo, exec_lo, s0
	s_mov_b32 s3, -1
	s_cbranch_vccz .LBB466_161
; %bb.136:
	s_lshl_b64 s[4:5], s[10:11], 2
	s_delay_alu instid0(SALU_CYCLE_1) | instskip(SKIP_2) | instid1(SALU_CYCLE_1)
	s_add_u32 s3, s12, s4
	s_addc_u32 s4, s13, s5
	s_or_b32 s5, s23, s1
	s_and_saveexec_b32 s1, s5
	s_cbranch_execz .LBB466_139
; %bb.137:
	v_and_b32_e32 v24, 1, v17
	s_delay_alu instid0(VALU_DEP_1)
	v_cmp_eq_u32_e32 vcc_lo, 1, v24
	s_and_b32 exec_lo, exec_lo, vcc_lo
	s_cbranch_execz .LBB466_139
; %bb.138:
	v_mov_b32_e32 v38, 0
	s_delay_alu instid0(VALU_DEP_1) | instskip(NEXT) | instid1(VALU_DEP_1)
	v_lshlrev_b64 v[44:45], 2, v[37:38]
	v_add_co_u32 v44, vcc_lo, s3, v44
	s_delay_alu instid0(VALU_DEP_2)
	v_add_co_ci_u32_e32 v45, vcc_lo, s4, v45, vcc_lo
	global_store_b32 v[44:45], v15, off
.LBB466_139:
	s_or_b32 exec_lo, exec_lo, s1
	v_cmp_lt_u32_e32 vcc_lo, v35, v43
	s_or_b32 s5, s23, vcc_lo
	s_delay_alu instid0(SALU_CYCLE_1)
	s_and_saveexec_b32 s1, s5
	s_cbranch_execz .LBB466_142
; %bb.140:
	v_and_b32_e32 v24, 1, v42
	s_delay_alu instid0(VALU_DEP_1)
	v_cmp_eq_u32_e32 vcc_lo, 1, v24
	s_and_b32 exec_lo, exec_lo, vcc_lo
	s_cbranch_execz .LBB466_142
; %bb.141:
	v_mov_b32_e32 v36, 0
	s_delay_alu instid0(VALU_DEP_1) | instskip(NEXT) | instid1(VALU_DEP_1)
	v_lshlrev_b64 v[44:45], 2, v[35:36]
	v_add_co_u32 v44, vcc_lo, s3, v44
	s_delay_alu instid0(VALU_DEP_2)
	v_add_co_ci_u32_e32 v45, vcc_lo, s4, v45, vcc_lo
	global_store_b32 v[44:45], v16, off
.LBB466_142:
	s_or_b32 exec_lo, exec_lo, s1
	v_cmp_lt_u32_e32 vcc_lo, v33, v43
	s_or_b32 s5, s23, vcc_lo
	s_delay_alu instid0(SALU_CYCLE_1)
	;; [unrolled: 21-line block ×7, first 2 shown]
	s_and_saveexec_b32 s1, s5
	s_cbranch_execz .LBB466_160
; %bb.158:
	v_and_b32_e32 v24, 1, v39
	s_delay_alu instid0(VALU_DEP_1)
	v_cmp_eq_u32_e32 vcc_lo, 1, v24
	s_and_b32 exec_lo, exec_lo, vcc_lo
	s_cbranch_execz .LBB466_160
; %bb.159:
	v_mov_b32_e32 v24, 0
	s_delay_alu instid0(VALU_DEP_1) | instskip(NEXT) | instid1(VALU_DEP_1)
	v_lshlrev_b64 v[44:45], 2, v[23:24]
	v_add_co_u32 v44, vcc_lo, s3, v44
	s_delay_alu instid0(VALU_DEP_2)
	v_add_co_ci_u32_e32 v45, vcc_lo, s4, v45, vcc_lo
	global_store_b32 v[44:45], v10, off
.LBB466_160:
	s_or_b32 exec_lo, exec_lo, s1
	s_mov_b32 s3, 0
.LBB466_161:
	v_and_b32_e32 v17, 1, v17
	s_and_b32 vcc_lo, exec_lo, s3
	s_delay_alu instid0(VALU_DEP_1)
	v_cmp_eq_u32_e64 s1, 1, v17
	s_cbranch_vccz .LBB466_182
; %bb.162:
	s_delay_alu instid0(VALU_DEP_1)
	s_and_saveexec_b32 s3, s1
	s_cbranch_execz .LBB466_164
; %bb.163:
	v_sub_nc_u32_e32 v24, v37, v20
	s_delay_alu instid0(VALU_DEP_1)
	v_lshlrev_b32_e32 v24, 2, v24
	ds_store_b32 v24, v15
.LBB466_164:
	s_or_b32 exec_lo, exec_lo, s3
	v_and_b32_e32 v15, 1, v42
	s_mov_b32 s1, exec_lo
	s_delay_alu instid0(VALU_DEP_1)
	v_cmpx_eq_u32_e32 1, v15
	s_cbranch_execz .LBB466_166
; %bb.165:
	v_sub_nc_u32_e32 v15, v35, v20
	s_delay_alu instid0(VALU_DEP_1)
	v_lshlrev_b32_e32 v15, 2, v15
	ds_store_b32 v15, v16
.LBB466_166:
	s_or_b32 exec_lo, exec_lo, s1
	v_and_b32_e32 v15, 1, v41
	s_mov_b32 s1, exec_lo
	s_delay_alu instid0(VALU_DEP_1)
	v_cmpx_eq_u32_e32 1, v15
	;; [unrolled: 12-line block ×7, first 2 shown]
	s_cbranch_execz .LBB466_178
; %bb.177:
	v_sub_nc_u32_e32 v9, v23, v20
	s_delay_alu instid0(VALU_DEP_1)
	v_lshlrev_b32_e32 v9, 2, v9
	ds_store_b32 v9, v10
.LBB466_178:
	s_or_b32 exec_lo, exec_lo, s1
	s_delay_alu instid0(SALU_CYCLE_1)
	s_mov_b32 s3, exec_lo
	s_waitcnt lgkmcnt(0)
	s_waitcnt_vscnt null, 0x0
	s_barrier
	buffer_gl0_inv
	v_cmpx_lt_u32_e64 v0, v19
	s_cbranch_execz .LBB466_181
; %bb.179:
	v_dual_mov_b32 v10, 0 :: v_dual_mov_b32 v9, v20
	s_lshl_b64 s[4:5], s[10:11], 2
	v_lshlrev_b32_e32 v11, 2, v0
	s_add_u32 s1, s12, s4
	s_addc_u32 s4, s13, s5
	v_lshlrev_b64 v[12:13], 2, v[9:10]
	v_mov_b32_e32 v9, v0
	s_delay_alu instid0(VALU_DEP_2) | instskip(NEXT) | instid1(VALU_DEP_3)
	v_add_co_u32 v12, vcc_lo, s1, v12
	v_add_co_ci_u32_e32 v13, vcc_lo, s4, v13, vcc_lo
	s_mov_b32 s4, 0
	.p2align	6
.LBB466_180:                            ; =>This Inner Loop Header: Depth=1
	ds_load_b32 v16, v11
	v_lshlrev_b64 v[14:15], 2, v[9:10]
	v_add_nc_u32_e32 v9, 0x180, v9
	v_add_nc_u32_e32 v11, 0x600, v11
	s_delay_alu instid0(VALU_DEP_2) | instskip(NEXT) | instid1(VALU_DEP_4)
	v_cmp_ge_u32_e32 vcc_lo, v9, v19
	v_add_co_u32 v14, s1, v12, v14
	s_delay_alu instid0(VALU_DEP_1)
	v_add_co_ci_u32_e64 v15, s1, v13, v15, s1
	s_or_b32 s4, vcc_lo, s4
	s_waitcnt lgkmcnt(0)
	global_store_b32 v[14:15], v16, off
	s_and_not1_b32 exec_lo, exec_lo, s4
	s_cbranch_execnz .LBB466_180
.LBB466_181:
	s_or_b32 exec_lo, exec_lo, s3
.LBB466_182:
	s_delay_alu instid0(SALU_CYCLE_1)
	s_and_b32 vcc_lo, exec_lo, s0
	s_mov_b32 s0, -1
	s_waitcnt_vscnt null, 0x0
	s_barrier
	buffer_gl0_inv
	s_cbranch_vccz .LBB466_210
; %bb.183:
	v_cmp_lt_u32_e32 vcc_lo, v37, v43
	s_lshl_b64 s[0:1], s[10:11], 2
	s_delay_alu instid0(SALU_CYCLE_1) | instskip(SKIP_2) | instid1(SALU_CYCLE_1)
	s_add_u32 s0, s14, s0
	s_addc_u32 s1, s15, s1
	s_or_b32 s4, s23, vcc_lo
	s_and_saveexec_b32 s3, s4
	s_cbranch_execz .LBB466_186
; %bb.184:
	v_cmp_eq_u32_e32 vcc_lo, 1, v17
	s_and_b32 exec_lo, exec_lo, vcc_lo
	s_cbranch_execz .LBB466_186
; %bb.185:
	v_mov_b32_e32 v38, 0
	s_delay_alu instid0(VALU_DEP_1) | instskip(NEXT) | instid1(VALU_DEP_1)
	v_lshlrev_b64 v[9:10], 2, v[37:38]
	v_add_co_u32 v9, vcc_lo, s0, v9
	s_delay_alu instid0(VALU_DEP_2)
	v_add_co_ci_u32_e32 v10, vcc_lo, s1, v10, vcc_lo
	global_store_b32 v[9:10], v7, off
.LBB466_186:
	s_or_b32 exec_lo, exec_lo, s3
	v_cmp_lt_u32_e32 vcc_lo, v35, v43
	s_or_b32 s4, s23, vcc_lo
	s_delay_alu instid0(SALU_CYCLE_1)
	s_and_saveexec_b32 s3, s4
	s_cbranch_execz .LBB466_189
; %bb.187:
	v_and_b32_e32 v9, 1, v42
	s_delay_alu instid0(VALU_DEP_1)
	v_cmp_eq_u32_e32 vcc_lo, 1, v9
	s_and_b32 exec_lo, exec_lo, vcc_lo
	s_cbranch_execz .LBB466_189
; %bb.188:
	v_mov_b32_e32 v36, 0
	s_delay_alu instid0(VALU_DEP_1) | instskip(NEXT) | instid1(VALU_DEP_1)
	v_lshlrev_b64 v[9:10], 2, v[35:36]
	v_add_co_u32 v9, vcc_lo, s0, v9
	s_delay_alu instid0(VALU_DEP_2)
	v_add_co_ci_u32_e32 v10, vcc_lo, s1, v10, vcc_lo
	global_store_b32 v[9:10], v8, off
.LBB466_189:
	s_or_b32 exec_lo, exec_lo, s3
	v_cmp_lt_u32_e32 vcc_lo, v33, v43
	s_or_b32 s4, s23, vcc_lo
	s_delay_alu instid0(SALU_CYCLE_1)
	s_and_saveexec_b32 s3, s4
	s_cbranch_execz .LBB466_192
; %bb.190:
	v_and_b32_e32 v9, 1, v41
	s_delay_alu instid0(VALU_DEP_1)
	v_cmp_eq_u32_e32 vcc_lo, 1, v9
	s_and_b32 exec_lo, exec_lo, vcc_lo
	s_cbranch_execz .LBB466_192
; %bb.191:
	v_mov_b32_e32 v34, 0
	s_delay_alu instid0(VALU_DEP_1) | instskip(NEXT) | instid1(VALU_DEP_1)
	v_lshlrev_b64 v[9:10], 2, v[33:34]
	v_add_co_u32 v9, vcc_lo, s0, v9
	s_delay_alu instid0(VALU_DEP_2)
	v_add_co_ci_u32_e32 v10, vcc_lo, s1, v10, vcc_lo
	global_store_b32 v[9:10], v5, off
.LBB466_192:
	;; [unrolled: 21-line block ×7, first 2 shown]
	s_or_b32 exec_lo, exec_lo, s3
.LBB466_208:
	s_and_b32 s0, s2, s22
	s_delay_alu instid0(SALU_CYCLE_1)
	s_and_saveexec_b32 s1, s0
	s_cbranch_execz .LBB466_231
.LBB466_209:
	v_add_co_u32 v0, s0, s10, v19
	s_delay_alu instid0(VALU_DEP_1) | instskip(SKIP_1) | instid1(VALU_DEP_3)
	v_add_co_ci_u32_e64 v1, null, s11, 0, s0
	v_mov_b32_e32 v2, 0
	v_add_co_u32 v0, vcc_lo, v0, v20
	s_delay_alu instid0(VALU_DEP_3)
	v_add_co_ci_u32_e32 v1, vcc_lo, 0, v1, vcc_lo
	global_store_b64 v2, v[0:1], s[8:9]
	s_nop 0
	s_sendmsg sendmsg(MSG_DEALLOC_VGPRS)
	s_endpgm
.LBB466_210:
	s_and_b32 vcc_lo, exec_lo, s0
	s_cbranch_vccz .LBB466_208
; %bb.211:
	s_mov_b32 s0, exec_lo
	v_cmpx_eq_u32_e32 1, v17
	s_cbranch_execz .LBB466_213
; %bb.212:
	v_sub_nc_u32_e32 v9, v37, v20
	s_delay_alu instid0(VALU_DEP_1)
	v_lshlrev_b32_e32 v9, 2, v9
	ds_store_b32 v9, v7
.LBB466_213:
	s_or_b32 exec_lo, exec_lo, s0
	v_and_b32_e32 v7, 1, v42
	s_mov_b32 s0, exec_lo
	s_delay_alu instid0(VALU_DEP_1)
	v_cmpx_eq_u32_e32 1, v7
	s_cbranch_execz .LBB466_215
; %bb.214:
	v_sub_nc_u32_e32 v7, v35, v20
	s_delay_alu instid0(VALU_DEP_1)
	v_lshlrev_b32_e32 v7, 2, v7
	ds_store_b32 v7, v8
.LBB466_215:
	s_or_b32 exec_lo, exec_lo, s0
	v_and_b32_e32 v7, 1, v41
	s_mov_b32 s0, exec_lo
	s_delay_alu instid0(VALU_DEP_1)
	;; [unrolled: 12-line block ×7, first 2 shown]
	v_cmpx_eq_u32_e32 1, v1
	s_cbranch_execz .LBB466_227
; %bb.226:
	v_sub_nc_u32_e32 v1, v23, v20
	s_delay_alu instid0(VALU_DEP_1)
	v_lshlrev_b32_e32 v1, 2, v1
	ds_store_b32 v1, v2
.LBB466_227:
	s_or_b32 exec_lo, exec_lo, s0
	s_delay_alu instid0(SALU_CYCLE_1)
	s_mov_b32 s1, exec_lo
	s_waitcnt lgkmcnt(0)
	s_waitcnt_vscnt null, 0x0
	s_barrier
	buffer_gl0_inv
	v_cmpx_lt_u32_e64 v0, v19
	s_cbranch_execz .LBB466_230
; %bb.228:
	v_dual_mov_b32 v1, 0 :: v_dual_mov_b32 v2, v20
	s_lshl_b64 s[4:5], s[10:11], 2
	v_lshlrev_b32_e32 v4, 2, v0
	s_add_u32 s0, s14, s4
	s_delay_alu instid0(VALU_DEP_2) | instskip(SKIP_1) | instid1(VALU_DEP_1)
	v_mov_b32_e32 v3, v1
	s_addc_u32 s3, s15, s5
	v_lshlrev_b64 v[2:3], 2, v[2:3]
	s_delay_alu instid0(VALU_DEP_1) | instskip(NEXT) | instid1(VALU_DEP_2)
	v_add_co_u32 v2, vcc_lo, s0, v2
	v_add_co_ci_u32_e32 v3, vcc_lo, s3, v3, vcc_lo
	s_mov_b32 s3, 0
	.p2align	6
.LBB466_229:                            ; =>This Inner Loop Header: Depth=1
	ds_load_b32 v7, v4
	v_lshlrev_b64 v[5:6], 2, v[0:1]
	v_add_nc_u32_e32 v0, 0x180, v0
	v_add_nc_u32_e32 v4, 0x600, v4
	s_delay_alu instid0(VALU_DEP_2) | instskip(NEXT) | instid1(VALU_DEP_4)
	v_cmp_ge_u32_e32 vcc_lo, v0, v19
	v_add_co_u32 v5, s0, v2, v5
	s_delay_alu instid0(VALU_DEP_1)
	v_add_co_ci_u32_e64 v6, s0, v3, v6, s0
	s_or_b32 s3, vcc_lo, s3
	s_waitcnt lgkmcnt(0)
	global_store_b32 v[5:6], v7, off
	s_and_not1_b32 exec_lo, exec_lo, s3
	s_cbranch_execnz .LBB466_229
.LBB466_230:
	s_or_b32 exec_lo, exec_lo, s1
	s_and_b32 s0, s2, s22
	s_delay_alu instid0(SALU_CYCLE_1)
	s_and_saveexec_b32 s1, s0
	s_cbranch_execnz .LBB466_209
.LBB466_231:
	s_nop 0
	s_sendmsg sendmsg(MSG_DEALLOC_VGPRS)
	s_endpgm
	.section	.rodata,"a",@progbits
	.p2align	6, 0x0
	.amdhsa_kernel _ZN7rocprim17ROCPRIM_400000_NS6detail17trampoline_kernelINS0_14default_configENS1_25partition_config_selectorILNS1_17partition_subalgoE9EiibEEZZNS1_14partition_implILS5_9ELb0ES3_jN6thrust23THRUST_200600_302600_NS6detail15normal_iteratorINS9_10device_ptrIiEEEESE_PNS0_10empty_typeENS0_5tupleIJSE_SF_EEENSH_IJSE_SG_EEENS0_18inequality_wrapperI22is_equal_div_10_uniqueIiEEEPmJSF_EEE10hipError_tPvRmT3_T4_T5_T6_T7_T9_mT8_P12ihipStream_tbDpT10_ENKUlT_T0_E_clISt17integral_constantIbLb0EES17_IbLb1EEEEDaS13_S14_EUlS13_E_NS1_11comp_targetILNS1_3genE9ELNS1_11target_archE1100ELNS1_3gpuE3ELNS1_3repE0EEENS1_30default_config_static_selectorELNS0_4arch9wavefront6targetE0EEEvT1_
		.amdhsa_group_segment_fixed_size 12680
		.amdhsa_private_segment_fixed_size 0
		.amdhsa_kernarg_size 128
		.amdhsa_user_sgpr_count 15
		.amdhsa_user_sgpr_dispatch_ptr 0
		.amdhsa_user_sgpr_queue_ptr 0
		.amdhsa_user_sgpr_kernarg_segment_ptr 1
		.amdhsa_user_sgpr_dispatch_id 0
		.amdhsa_user_sgpr_private_segment_size 0
		.amdhsa_wavefront_size32 1
		.amdhsa_uses_dynamic_stack 0
		.amdhsa_enable_private_segment 0
		.amdhsa_system_sgpr_workgroup_id_x 1
		.amdhsa_system_sgpr_workgroup_id_y 0
		.amdhsa_system_sgpr_workgroup_id_z 0
		.amdhsa_system_sgpr_workgroup_info 0
		.amdhsa_system_vgpr_workitem_id 0
		.amdhsa_next_free_vgpr 51
		.amdhsa_next_free_sgpr 29
		.amdhsa_reserve_vcc 1
		.amdhsa_float_round_mode_32 0
		.amdhsa_float_round_mode_16_64 0
		.amdhsa_float_denorm_mode_32 3
		.amdhsa_float_denorm_mode_16_64 3
		.amdhsa_dx10_clamp 1
		.amdhsa_ieee_mode 1
		.amdhsa_fp16_overflow 0
		.amdhsa_workgroup_processor_mode 1
		.amdhsa_memory_ordered 1
		.amdhsa_forward_progress 0
		.amdhsa_shared_vgpr_count 0
		.amdhsa_exception_fp_ieee_invalid_op 0
		.amdhsa_exception_fp_denorm_src 0
		.amdhsa_exception_fp_ieee_div_zero 0
		.amdhsa_exception_fp_ieee_overflow 0
		.amdhsa_exception_fp_ieee_underflow 0
		.amdhsa_exception_fp_ieee_inexact 0
		.amdhsa_exception_int_div_zero 0
	.end_amdhsa_kernel
	.section	.text._ZN7rocprim17ROCPRIM_400000_NS6detail17trampoline_kernelINS0_14default_configENS1_25partition_config_selectorILNS1_17partition_subalgoE9EiibEEZZNS1_14partition_implILS5_9ELb0ES3_jN6thrust23THRUST_200600_302600_NS6detail15normal_iteratorINS9_10device_ptrIiEEEESE_PNS0_10empty_typeENS0_5tupleIJSE_SF_EEENSH_IJSE_SG_EEENS0_18inequality_wrapperI22is_equal_div_10_uniqueIiEEEPmJSF_EEE10hipError_tPvRmT3_T4_T5_T6_T7_T9_mT8_P12ihipStream_tbDpT10_ENKUlT_T0_E_clISt17integral_constantIbLb0EES17_IbLb1EEEEDaS13_S14_EUlS13_E_NS1_11comp_targetILNS1_3genE9ELNS1_11target_archE1100ELNS1_3gpuE3ELNS1_3repE0EEENS1_30default_config_static_selectorELNS0_4arch9wavefront6targetE0EEEvT1_,"axG",@progbits,_ZN7rocprim17ROCPRIM_400000_NS6detail17trampoline_kernelINS0_14default_configENS1_25partition_config_selectorILNS1_17partition_subalgoE9EiibEEZZNS1_14partition_implILS5_9ELb0ES3_jN6thrust23THRUST_200600_302600_NS6detail15normal_iteratorINS9_10device_ptrIiEEEESE_PNS0_10empty_typeENS0_5tupleIJSE_SF_EEENSH_IJSE_SG_EEENS0_18inequality_wrapperI22is_equal_div_10_uniqueIiEEEPmJSF_EEE10hipError_tPvRmT3_T4_T5_T6_T7_T9_mT8_P12ihipStream_tbDpT10_ENKUlT_T0_E_clISt17integral_constantIbLb0EES17_IbLb1EEEEDaS13_S14_EUlS13_E_NS1_11comp_targetILNS1_3genE9ELNS1_11target_archE1100ELNS1_3gpuE3ELNS1_3repE0EEENS1_30default_config_static_selectorELNS0_4arch9wavefront6targetE0EEEvT1_,comdat
.Lfunc_end466:
	.size	_ZN7rocprim17ROCPRIM_400000_NS6detail17trampoline_kernelINS0_14default_configENS1_25partition_config_selectorILNS1_17partition_subalgoE9EiibEEZZNS1_14partition_implILS5_9ELb0ES3_jN6thrust23THRUST_200600_302600_NS6detail15normal_iteratorINS9_10device_ptrIiEEEESE_PNS0_10empty_typeENS0_5tupleIJSE_SF_EEENSH_IJSE_SG_EEENS0_18inequality_wrapperI22is_equal_div_10_uniqueIiEEEPmJSF_EEE10hipError_tPvRmT3_T4_T5_T6_T7_T9_mT8_P12ihipStream_tbDpT10_ENKUlT_T0_E_clISt17integral_constantIbLb0EES17_IbLb1EEEEDaS13_S14_EUlS13_E_NS1_11comp_targetILNS1_3genE9ELNS1_11target_archE1100ELNS1_3gpuE3ELNS1_3repE0EEENS1_30default_config_static_selectorELNS0_4arch9wavefront6targetE0EEEvT1_, .Lfunc_end466-_ZN7rocprim17ROCPRIM_400000_NS6detail17trampoline_kernelINS0_14default_configENS1_25partition_config_selectorILNS1_17partition_subalgoE9EiibEEZZNS1_14partition_implILS5_9ELb0ES3_jN6thrust23THRUST_200600_302600_NS6detail15normal_iteratorINS9_10device_ptrIiEEEESE_PNS0_10empty_typeENS0_5tupleIJSE_SF_EEENSH_IJSE_SG_EEENS0_18inequality_wrapperI22is_equal_div_10_uniqueIiEEEPmJSF_EEE10hipError_tPvRmT3_T4_T5_T6_T7_T9_mT8_P12ihipStream_tbDpT10_ENKUlT_T0_E_clISt17integral_constantIbLb0EES17_IbLb1EEEEDaS13_S14_EUlS13_E_NS1_11comp_targetILNS1_3genE9ELNS1_11target_archE1100ELNS1_3gpuE3ELNS1_3repE0EEENS1_30default_config_static_selectorELNS0_4arch9wavefront6targetE0EEEvT1_
                                        ; -- End function
	.section	.AMDGPU.csdata,"",@progbits
; Kernel info:
; codeLenInByte = 10780
; NumSgprs: 31
; NumVgprs: 51
; ScratchSize: 0
; MemoryBound: 0
; FloatMode: 240
; IeeeMode: 1
; LDSByteSize: 12680 bytes/workgroup (compile time only)
; SGPRBlocks: 3
; VGPRBlocks: 6
; NumSGPRsForWavesPerEU: 31
; NumVGPRsForWavesPerEU: 51
; Occupancy: 15
; WaveLimiterHint : 1
; COMPUTE_PGM_RSRC2:SCRATCH_EN: 0
; COMPUTE_PGM_RSRC2:USER_SGPR: 15
; COMPUTE_PGM_RSRC2:TRAP_HANDLER: 0
; COMPUTE_PGM_RSRC2:TGID_X_EN: 1
; COMPUTE_PGM_RSRC2:TGID_Y_EN: 0
; COMPUTE_PGM_RSRC2:TGID_Z_EN: 0
; COMPUTE_PGM_RSRC2:TIDIG_COMP_CNT: 0
	.section	.text._ZN7rocprim17ROCPRIM_400000_NS6detail17trampoline_kernelINS0_14default_configENS1_25partition_config_selectorILNS1_17partition_subalgoE9EiibEEZZNS1_14partition_implILS5_9ELb0ES3_jN6thrust23THRUST_200600_302600_NS6detail15normal_iteratorINS9_10device_ptrIiEEEESE_PNS0_10empty_typeENS0_5tupleIJSE_SF_EEENSH_IJSE_SG_EEENS0_18inequality_wrapperI22is_equal_div_10_uniqueIiEEEPmJSF_EEE10hipError_tPvRmT3_T4_T5_T6_T7_T9_mT8_P12ihipStream_tbDpT10_ENKUlT_T0_E_clISt17integral_constantIbLb0EES17_IbLb1EEEEDaS13_S14_EUlS13_E_NS1_11comp_targetILNS1_3genE8ELNS1_11target_archE1030ELNS1_3gpuE2ELNS1_3repE0EEENS1_30default_config_static_selectorELNS0_4arch9wavefront6targetE0EEEvT1_,"axG",@progbits,_ZN7rocprim17ROCPRIM_400000_NS6detail17trampoline_kernelINS0_14default_configENS1_25partition_config_selectorILNS1_17partition_subalgoE9EiibEEZZNS1_14partition_implILS5_9ELb0ES3_jN6thrust23THRUST_200600_302600_NS6detail15normal_iteratorINS9_10device_ptrIiEEEESE_PNS0_10empty_typeENS0_5tupleIJSE_SF_EEENSH_IJSE_SG_EEENS0_18inequality_wrapperI22is_equal_div_10_uniqueIiEEEPmJSF_EEE10hipError_tPvRmT3_T4_T5_T6_T7_T9_mT8_P12ihipStream_tbDpT10_ENKUlT_T0_E_clISt17integral_constantIbLb0EES17_IbLb1EEEEDaS13_S14_EUlS13_E_NS1_11comp_targetILNS1_3genE8ELNS1_11target_archE1030ELNS1_3gpuE2ELNS1_3repE0EEENS1_30default_config_static_selectorELNS0_4arch9wavefront6targetE0EEEvT1_,comdat
	.protected	_ZN7rocprim17ROCPRIM_400000_NS6detail17trampoline_kernelINS0_14default_configENS1_25partition_config_selectorILNS1_17partition_subalgoE9EiibEEZZNS1_14partition_implILS5_9ELb0ES3_jN6thrust23THRUST_200600_302600_NS6detail15normal_iteratorINS9_10device_ptrIiEEEESE_PNS0_10empty_typeENS0_5tupleIJSE_SF_EEENSH_IJSE_SG_EEENS0_18inequality_wrapperI22is_equal_div_10_uniqueIiEEEPmJSF_EEE10hipError_tPvRmT3_T4_T5_T6_T7_T9_mT8_P12ihipStream_tbDpT10_ENKUlT_T0_E_clISt17integral_constantIbLb0EES17_IbLb1EEEEDaS13_S14_EUlS13_E_NS1_11comp_targetILNS1_3genE8ELNS1_11target_archE1030ELNS1_3gpuE2ELNS1_3repE0EEENS1_30default_config_static_selectorELNS0_4arch9wavefront6targetE0EEEvT1_ ; -- Begin function _ZN7rocprim17ROCPRIM_400000_NS6detail17trampoline_kernelINS0_14default_configENS1_25partition_config_selectorILNS1_17partition_subalgoE9EiibEEZZNS1_14partition_implILS5_9ELb0ES3_jN6thrust23THRUST_200600_302600_NS6detail15normal_iteratorINS9_10device_ptrIiEEEESE_PNS0_10empty_typeENS0_5tupleIJSE_SF_EEENSH_IJSE_SG_EEENS0_18inequality_wrapperI22is_equal_div_10_uniqueIiEEEPmJSF_EEE10hipError_tPvRmT3_T4_T5_T6_T7_T9_mT8_P12ihipStream_tbDpT10_ENKUlT_T0_E_clISt17integral_constantIbLb0EES17_IbLb1EEEEDaS13_S14_EUlS13_E_NS1_11comp_targetILNS1_3genE8ELNS1_11target_archE1030ELNS1_3gpuE2ELNS1_3repE0EEENS1_30default_config_static_selectorELNS0_4arch9wavefront6targetE0EEEvT1_
	.globl	_ZN7rocprim17ROCPRIM_400000_NS6detail17trampoline_kernelINS0_14default_configENS1_25partition_config_selectorILNS1_17partition_subalgoE9EiibEEZZNS1_14partition_implILS5_9ELb0ES3_jN6thrust23THRUST_200600_302600_NS6detail15normal_iteratorINS9_10device_ptrIiEEEESE_PNS0_10empty_typeENS0_5tupleIJSE_SF_EEENSH_IJSE_SG_EEENS0_18inequality_wrapperI22is_equal_div_10_uniqueIiEEEPmJSF_EEE10hipError_tPvRmT3_T4_T5_T6_T7_T9_mT8_P12ihipStream_tbDpT10_ENKUlT_T0_E_clISt17integral_constantIbLb0EES17_IbLb1EEEEDaS13_S14_EUlS13_E_NS1_11comp_targetILNS1_3genE8ELNS1_11target_archE1030ELNS1_3gpuE2ELNS1_3repE0EEENS1_30default_config_static_selectorELNS0_4arch9wavefront6targetE0EEEvT1_
	.p2align	8
	.type	_ZN7rocprim17ROCPRIM_400000_NS6detail17trampoline_kernelINS0_14default_configENS1_25partition_config_selectorILNS1_17partition_subalgoE9EiibEEZZNS1_14partition_implILS5_9ELb0ES3_jN6thrust23THRUST_200600_302600_NS6detail15normal_iteratorINS9_10device_ptrIiEEEESE_PNS0_10empty_typeENS0_5tupleIJSE_SF_EEENSH_IJSE_SG_EEENS0_18inequality_wrapperI22is_equal_div_10_uniqueIiEEEPmJSF_EEE10hipError_tPvRmT3_T4_T5_T6_T7_T9_mT8_P12ihipStream_tbDpT10_ENKUlT_T0_E_clISt17integral_constantIbLb0EES17_IbLb1EEEEDaS13_S14_EUlS13_E_NS1_11comp_targetILNS1_3genE8ELNS1_11target_archE1030ELNS1_3gpuE2ELNS1_3repE0EEENS1_30default_config_static_selectorELNS0_4arch9wavefront6targetE0EEEvT1_,@function
_ZN7rocprim17ROCPRIM_400000_NS6detail17trampoline_kernelINS0_14default_configENS1_25partition_config_selectorILNS1_17partition_subalgoE9EiibEEZZNS1_14partition_implILS5_9ELb0ES3_jN6thrust23THRUST_200600_302600_NS6detail15normal_iteratorINS9_10device_ptrIiEEEESE_PNS0_10empty_typeENS0_5tupleIJSE_SF_EEENSH_IJSE_SG_EEENS0_18inequality_wrapperI22is_equal_div_10_uniqueIiEEEPmJSF_EEE10hipError_tPvRmT3_T4_T5_T6_T7_T9_mT8_P12ihipStream_tbDpT10_ENKUlT_T0_E_clISt17integral_constantIbLb0EES17_IbLb1EEEEDaS13_S14_EUlS13_E_NS1_11comp_targetILNS1_3genE8ELNS1_11target_archE1030ELNS1_3gpuE2ELNS1_3repE0EEENS1_30default_config_static_selectorELNS0_4arch9wavefront6targetE0EEEvT1_: ; @_ZN7rocprim17ROCPRIM_400000_NS6detail17trampoline_kernelINS0_14default_configENS1_25partition_config_selectorILNS1_17partition_subalgoE9EiibEEZZNS1_14partition_implILS5_9ELb0ES3_jN6thrust23THRUST_200600_302600_NS6detail15normal_iteratorINS9_10device_ptrIiEEEESE_PNS0_10empty_typeENS0_5tupleIJSE_SF_EEENSH_IJSE_SG_EEENS0_18inequality_wrapperI22is_equal_div_10_uniqueIiEEEPmJSF_EEE10hipError_tPvRmT3_T4_T5_T6_T7_T9_mT8_P12ihipStream_tbDpT10_ENKUlT_T0_E_clISt17integral_constantIbLb0EES17_IbLb1EEEEDaS13_S14_EUlS13_E_NS1_11comp_targetILNS1_3genE8ELNS1_11target_archE1030ELNS1_3gpuE2ELNS1_3repE0EEENS1_30default_config_static_selectorELNS0_4arch9wavefront6targetE0EEEvT1_
; %bb.0:
	.section	.rodata,"a",@progbits
	.p2align	6, 0x0
	.amdhsa_kernel _ZN7rocprim17ROCPRIM_400000_NS6detail17trampoline_kernelINS0_14default_configENS1_25partition_config_selectorILNS1_17partition_subalgoE9EiibEEZZNS1_14partition_implILS5_9ELb0ES3_jN6thrust23THRUST_200600_302600_NS6detail15normal_iteratorINS9_10device_ptrIiEEEESE_PNS0_10empty_typeENS0_5tupleIJSE_SF_EEENSH_IJSE_SG_EEENS0_18inequality_wrapperI22is_equal_div_10_uniqueIiEEEPmJSF_EEE10hipError_tPvRmT3_T4_T5_T6_T7_T9_mT8_P12ihipStream_tbDpT10_ENKUlT_T0_E_clISt17integral_constantIbLb0EES17_IbLb1EEEEDaS13_S14_EUlS13_E_NS1_11comp_targetILNS1_3genE8ELNS1_11target_archE1030ELNS1_3gpuE2ELNS1_3repE0EEENS1_30default_config_static_selectorELNS0_4arch9wavefront6targetE0EEEvT1_
		.amdhsa_group_segment_fixed_size 0
		.amdhsa_private_segment_fixed_size 0
		.amdhsa_kernarg_size 128
		.amdhsa_user_sgpr_count 15
		.amdhsa_user_sgpr_dispatch_ptr 0
		.amdhsa_user_sgpr_queue_ptr 0
		.amdhsa_user_sgpr_kernarg_segment_ptr 1
		.amdhsa_user_sgpr_dispatch_id 0
		.amdhsa_user_sgpr_private_segment_size 0
		.amdhsa_wavefront_size32 1
		.amdhsa_uses_dynamic_stack 0
		.amdhsa_enable_private_segment 0
		.amdhsa_system_sgpr_workgroup_id_x 1
		.amdhsa_system_sgpr_workgroup_id_y 0
		.amdhsa_system_sgpr_workgroup_id_z 0
		.amdhsa_system_sgpr_workgroup_info 0
		.amdhsa_system_vgpr_workitem_id 0
		.amdhsa_next_free_vgpr 1
		.amdhsa_next_free_sgpr 1
		.amdhsa_reserve_vcc 0
		.amdhsa_float_round_mode_32 0
		.amdhsa_float_round_mode_16_64 0
		.amdhsa_float_denorm_mode_32 3
		.amdhsa_float_denorm_mode_16_64 3
		.amdhsa_dx10_clamp 1
		.amdhsa_ieee_mode 1
		.amdhsa_fp16_overflow 0
		.amdhsa_workgroup_processor_mode 1
		.amdhsa_memory_ordered 1
		.amdhsa_forward_progress 0
		.amdhsa_shared_vgpr_count 0
		.amdhsa_exception_fp_ieee_invalid_op 0
		.amdhsa_exception_fp_denorm_src 0
		.amdhsa_exception_fp_ieee_div_zero 0
		.amdhsa_exception_fp_ieee_overflow 0
		.amdhsa_exception_fp_ieee_underflow 0
		.amdhsa_exception_fp_ieee_inexact 0
		.amdhsa_exception_int_div_zero 0
	.end_amdhsa_kernel
	.section	.text._ZN7rocprim17ROCPRIM_400000_NS6detail17trampoline_kernelINS0_14default_configENS1_25partition_config_selectorILNS1_17partition_subalgoE9EiibEEZZNS1_14partition_implILS5_9ELb0ES3_jN6thrust23THRUST_200600_302600_NS6detail15normal_iteratorINS9_10device_ptrIiEEEESE_PNS0_10empty_typeENS0_5tupleIJSE_SF_EEENSH_IJSE_SG_EEENS0_18inequality_wrapperI22is_equal_div_10_uniqueIiEEEPmJSF_EEE10hipError_tPvRmT3_T4_T5_T6_T7_T9_mT8_P12ihipStream_tbDpT10_ENKUlT_T0_E_clISt17integral_constantIbLb0EES17_IbLb1EEEEDaS13_S14_EUlS13_E_NS1_11comp_targetILNS1_3genE8ELNS1_11target_archE1030ELNS1_3gpuE2ELNS1_3repE0EEENS1_30default_config_static_selectorELNS0_4arch9wavefront6targetE0EEEvT1_,"axG",@progbits,_ZN7rocprim17ROCPRIM_400000_NS6detail17trampoline_kernelINS0_14default_configENS1_25partition_config_selectorILNS1_17partition_subalgoE9EiibEEZZNS1_14partition_implILS5_9ELb0ES3_jN6thrust23THRUST_200600_302600_NS6detail15normal_iteratorINS9_10device_ptrIiEEEESE_PNS0_10empty_typeENS0_5tupleIJSE_SF_EEENSH_IJSE_SG_EEENS0_18inequality_wrapperI22is_equal_div_10_uniqueIiEEEPmJSF_EEE10hipError_tPvRmT3_T4_T5_T6_T7_T9_mT8_P12ihipStream_tbDpT10_ENKUlT_T0_E_clISt17integral_constantIbLb0EES17_IbLb1EEEEDaS13_S14_EUlS13_E_NS1_11comp_targetILNS1_3genE8ELNS1_11target_archE1030ELNS1_3gpuE2ELNS1_3repE0EEENS1_30default_config_static_selectorELNS0_4arch9wavefront6targetE0EEEvT1_,comdat
.Lfunc_end467:
	.size	_ZN7rocprim17ROCPRIM_400000_NS6detail17trampoline_kernelINS0_14default_configENS1_25partition_config_selectorILNS1_17partition_subalgoE9EiibEEZZNS1_14partition_implILS5_9ELb0ES3_jN6thrust23THRUST_200600_302600_NS6detail15normal_iteratorINS9_10device_ptrIiEEEESE_PNS0_10empty_typeENS0_5tupleIJSE_SF_EEENSH_IJSE_SG_EEENS0_18inequality_wrapperI22is_equal_div_10_uniqueIiEEEPmJSF_EEE10hipError_tPvRmT3_T4_T5_T6_T7_T9_mT8_P12ihipStream_tbDpT10_ENKUlT_T0_E_clISt17integral_constantIbLb0EES17_IbLb1EEEEDaS13_S14_EUlS13_E_NS1_11comp_targetILNS1_3genE8ELNS1_11target_archE1030ELNS1_3gpuE2ELNS1_3repE0EEENS1_30default_config_static_selectorELNS0_4arch9wavefront6targetE0EEEvT1_, .Lfunc_end467-_ZN7rocprim17ROCPRIM_400000_NS6detail17trampoline_kernelINS0_14default_configENS1_25partition_config_selectorILNS1_17partition_subalgoE9EiibEEZZNS1_14partition_implILS5_9ELb0ES3_jN6thrust23THRUST_200600_302600_NS6detail15normal_iteratorINS9_10device_ptrIiEEEESE_PNS0_10empty_typeENS0_5tupleIJSE_SF_EEENSH_IJSE_SG_EEENS0_18inequality_wrapperI22is_equal_div_10_uniqueIiEEEPmJSF_EEE10hipError_tPvRmT3_T4_T5_T6_T7_T9_mT8_P12ihipStream_tbDpT10_ENKUlT_T0_E_clISt17integral_constantIbLb0EES17_IbLb1EEEEDaS13_S14_EUlS13_E_NS1_11comp_targetILNS1_3genE8ELNS1_11target_archE1030ELNS1_3gpuE2ELNS1_3repE0EEENS1_30default_config_static_selectorELNS0_4arch9wavefront6targetE0EEEvT1_
                                        ; -- End function
	.section	.AMDGPU.csdata,"",@progbits
; Kernel info:
; codeLenInByte = 0
; NumSgprs: 0
; NumVgprs: 0
; ScratchSize: 0
; MemoryBound: 0
; FloatMode: 240
; IeeeMode: 1
; LDSByteSize: 0 bytes/workgroup (compile time only)
; SGPRBlocks: 0
; VGPRBlocks: 0
; NumSGPRsForWavesPerEU: 1
; NumVGPRsForWavesPerEU: 1
; Occupancy: 16
; WaveLimiterHint : 0
; COMPUTE_PGM_RSRC2:SCRATCH_EN: 0
; COMPUTE_PGM_RSRC2:USER_SGPR: 15
; COMPUTE_PGM_RSRC2:TRAP_HANDLER: 0
; COMPUTE_PGM_RSRC2:TGID_X_EN: 1
; COMPUTE_PGM_RSRC2:TGID_Y_EN: 0
; COMPUTE_PGM_RSRC2:TGID_Z_EN: 0
; COMPUTE_PGM_RSRC2:TIDIG_COMP_CNT: 0
	.section	.text._ZN6thrust23THRUST_200600_302600_NS11hip_rocprim14__parallel_for6kernelILj256ENS1_20__uninitialized_fill7functorINS0_10device_ptrIsEEsEEmLj1EEEvT0_T1_SA_,"axG",@progbits,_ZN6thrust23THRUST_200600_302600_NS11hip_rocprim14__parallel_for6kernelILj256ENS1_20__uninitialized_fill7functorINS0_10device_ptrIsEEsEEmLj1EEEvT0_T1_SA_,comdat
	.protected	_ZN6thrust23THRUST_200600_302600_NS11hip_rocprim14__parallel_for6kernelILj256ENS1_20__uninitialized_fill7functorINS0_10device_ptrIsEEsEEmLj1EEEvT0_T1_SA_ ; -- Begin function _ZN6thrust23THRUST_200600_302600_NS11hip_rocprim14__parallel_for6kernelILj256ENS1_20__uninitialized_fill7functorINS0_10device_ptrIsEEsEEmLj1EEEvT0_T1_SA_
	.globl	_ZN6thrust23THRUST_200600_302600_NS11hip_rocprim14__parallel_for6kernelILj256ENS1_20__uninitialized_fill7functorINS0_10device_ptrIsEEsEEmLj1EEEvT0_T1_SA_
	.p2align	8
	.type	_ZN6thrust23THRUST_200600_302600_NS11hip_rocprim14__parallel_for6kernelILj256ENS1_20__uninitialized_fill7functorINS0_10device_ptrIsEEsEEmLj1EEEvT0_T1_SA_,@function
_ZN6thrust23THRUST_200600_302600_NS11hip_rocprim14__parallel_for6kernelILj256ENS1_20__uninitialized_fill7functorINS0_10device_ptrIsEEsEEmLj1EEEvT0_T1_SA_: ; @_ZN6thrust23THRUST_200600_302600_NS11hip_rocprim14__parallel_for6kernelILj256ENS1_20__uninitialized_fill7functorINS0_10device_ptrIsEEsEEmLj1EEEvT0_T1_SA_
; %bb.0:
	s_load_b128 s[4:7], s[0:1], 0x10
	s_lshl_b32 s2, s15, 8
	s_waitcnt lgkmcnt(0)
	s_add_u32 s2, s2, s6
	s_addc_u32 s3, 0, s7
	s_sub_u32 s4, s4, s2
	s_subb_u32 s5, s5, s3
	s_delay_alu instid0(SALU_CYCLE_1) | instskip(NEXT) | instid1(VALU_DEP_1)
	v_cmp_gt_u64_e64 s5, 0x100, s[4:5]
	s_and_b32 vcc_lo, exec_lo, s5
	s_mov_b32 s5, 0
	s_cbranch_vccz .LBB468_2
; %bb.1:
	v_cmp_gt_u32_e32 vcc_lo, s4, v0
	s_and_b32 s5, vcc_lo, exec_lo
	s_cbranch_execz .LBB468_3
	s_branch .LBB468_4
.LBB468_2:
.LBB468_3:
	s_or_b32 s5, s5, exec_lo
.LBB468_4:
	s_delay_alu instid0(SALU_CYCLE_1)
	s_and_saveexec_b32 s4, s5
	s_cbranch_execnz .LBB468_6
; %bb.5:
	s_endpgm
.LBB468_6:
	s_clause 0x1
	s_load_b64 s[4:5], s[0:1], 0x0
	s_load_b32 s6, s[0:1], 0x8
	v_mov_b32_e32 v1, 0
	s_lshl_b64 s[0:1], s[2:3], 1
	s_waitcnt lgkmcnt(0)
	s_add_u32 s0, s4, s0
	v_mov_b32_e32 v2, s6
	v_lshlrev_b64 v[0:1], 1, v[0:1]
	s_addc_u32 s1, s5, s1
	s_delay_alu instid0(VALU_DEP_1) | instskip(NEXT) | instid1(VALU_DEP_2)
	v_add_co_u32 v0, vcc_lo, s0, v0
	v_add_co_ci_u32_e32 v1, vcc_lo, s1, v1, vcc_lo
	flat_store_b16 v[0:1], v2
	s_endpgm
	.section	.rodata,"a",@progbits
	.p2align	6, 0x0
	.amdhsa_kernel _ZN6thrust23THRUST_200600_302600_NS11hip_rocprim14__parallel_for6kernelILj256ENS1_20__uninitialized_fill7functorINS0_10device_ptrIsEEsEEmLj1EEEvT0_T1_SA_
		.amdhsa_group_segment_fixed_size 0
		.amdhsa_private_segment_fixed_size 0
		.amdhsa_kernarg_size 32
		.amdhsa_user_sgpr_count 15
		.amdhsa_user_sgpr_dispatch_ptr 0
		.amdhsa_user_sgpr_queue_ptr 0
		.amdhsa_user_sgpr_kernarg_segment_ptr 1
		.amdhsa_user_sgpr_dispatch_id 0
		.amdhsa_user_sgpr_private_segment_size 0
		.amdhsa_wavefront_size32 1
		.amdhsa_uses_dynamic_stack 0
		.amdhsa_enable_private_segment 0
		.amdhsa_system_sgpr_workgroup_id_x 1
		.amdhsa_system_sgpr_workgroup_id_y 0
		.amdhsa_system_sgpr_workgroup_id_z 0
		.amdhsa_system_sgpr_workgroup_info 0
		.amdhsa_system_vgpr_workitem_id 0
		.amdhsa_next_free_vgpr 3
		.amdhsa_next_free_sgpr 16
		.amdhsa_reserve_vcc 1
		.amdhsa_float_round_mode_32 0
		.amdhsa_float_round_mode_16_64 0
		.amdhsa_float_denorm_mode_32 3
		.amdhsa_float_denorm_mode_16_64 3
		.amdhsa_dx10_clamp 1
		.amdhsa_ieee_mode 1
		.amdhsa_fp16_overflow 0
		.amdhsa_workgroup_processor_mode 1
		.amdhsa_memory_ordered 1
		.amdhsa_forward_progress 0
		.amdhsa_shared_vgpr_count 0
		.amdhsa_exception_fp_ieee_invalid_op 0
		.amdhsa_exception_fp_denorm_src 0
		.amdhsa_exception_fp_ieee_div_zero 0
		.amdhsa_exception_fp_ieee_overflow 0
		.amdhsa_exception_fp_ieee_underflow 0
		.amdhsa_exception_fp_ieee_inexact 0
		.amdhsa_exception_int_div_zero 0
	.end_amdhsa_kernel
	.section	.text._ZN6thrust23THRUST_200600_302600_NS11hip_rocprim14__parallel_for6kernelILj256ENS1_20__uninitialized_fill7functorINS0_10device_ptrIsEEsEEmLj1EEEvT0_T1_SA_,"axG",@progbits,_ZN6thrust23THRUST_200600_302600_NS11hip_rocprim14__parallel_for6kernelILj256ENS1_20__uninitialized_fill7functorINS0_10device_ptrIsEEsEEmLj1EEEvT0_T1_SA_,comdat
.Lfunc_end468:
	.size	_ZN6thrust23THRUST_200600_302600_NS11hip_rocprim14__parallel_for6kernelILj256ENS1_20__uninitialized_fill7functorINS0_10device_ptrIsEEsEEmLj1EEEvT0_T1_SA_, .Lfunc_end468-_ZN6thrust23THRUST_200600_302600_NS11hip_rocprim14__parallel_for6kernelILj256ENS1_20__uninitialized_fill7functorINS0_10device_ptrIsEEsEEmLj1EEEvT0_T1_SA_
                                        ; -- End function
	.section	.AMDGPU.csdata,"",@progbits
; Kernel info:
; codeLenInByte = 176
; NumSgprs: 18
; NumVgprs: 3
; ScratchSize: 0
; MemoryBound: 0
; FloatMode: 240
; IeeeMode: 1
; LDSByteSize: 0 bytes/workgroup (compile time only)
; SGPRBlocks: 2
; VGPRBlocks: 0
; NumSGPRsForWavesPerEU: 18
; NumVGPRsForWavesPerEU: 3
; Occupancy: 16
; WaveLimiterHint : 0
; COMPUTE_PGM_RSRC2:SCRATCH_EN: 0
; COMPUTE_PGM_RSRC2:USER_SGPR: 15
; COMPUTE_PGM_RSRC2:TRAP_HANDLER: 0
; COMPUTE_PGM_RSRC2:TGID_X_EN: 1
; COMPUTE_PGM_RSRC2:TGID_Y_EN: 0
; COMPUTE_PGM_RSRC2:TGID_Z_EN: 0
; COMPUTE_PGM_RSRC2:TIDIG_COMP_CNT: 0
	.section	.text._ZN7rocprim17ROCPRIM_400000_NS6detail17trampoline_kernelINS0_14default_configENS1_25partition_config_selectorILNS1_17partition_subalgoE9EssbEEZZNS1_14partition_implILS5_9ELb0ES3_jN6thrust23THRUST_200600_302600_NS6detail15normal_iteratorINS9_10device_ptrIsEEEESE_PNS0_10empty_typeENS0_5tupleIJSE_SF_EEENSH_IJSE_SG_EEENS0_18inequality_wrapperINS9_8equal_toIsEEEEPmJSF_EEE10hipError_tPvRmT3_T4_T5_T6_T7_T9_mT8_P12ihipStream_tbDpT10_ENKUlT_T0_E_clISt17integral_constantIbLb0EES18_EEDaS13_S14_EUlS13_E_NS1_11comp_targetILNS1_3genE0ELNS1_11target_archE4294967295ELNS1_3gpuE0ELNS1_3repE0EEENS1_30default_config_static_selectorELNS0_4arch9wavefront6targetE0EEEvT1_,"axG",@progbits,_ZN7rocprim17ROCPRIM_400000_NS6detail17trampoline_kernelINS0_14default_configENS1_25partition_config_selectorILNS1_17partition_subalgoE9EssbEEZZNS1_14partition_implILS5_9ELb0ES3_jN6thrust23THRUST_200600_302600_NS6detail15normal_iteratorINS9_10device_ptrIsEEEESE_PNS0_10empty_typeENS0_5tupleIJSE_SF_EEENSH_IJSE_SG_EEENS0_18inequality_wrapperINS9_8equal_toIsEEEEPmJSF_EEE10hipError_tPvRmT3_T4_T5_T6_T7_T9_mT8_P12ihipStream_tbDpT10_ENKUlT_T0_E_clISt17integral_constantIbLb0EES18_EEDaS13_S14_EUlS13_E_NS1_11comp_targetILNS1_3genE0ELNS1_11target_archE4294967295ELNS1_3gpuE0ELNS1_3repE0EEENS1_30default_config_static_selectorELNS0_4arch9wavefront6targetE0EEEvT1_,comdat
	.protected	_ZN7rocprim17ROCPRIM_400000_NS6detail17trampoline_kernelINS0_14default_configENS1_25partition_config_selectorILNS1_17partition_subalgoE9EssbEEZZNS1_14partition_implILS5_9ELb0ES3_jN6thrust23THRUST_200600_302600_NS6detail15normal_iteratorINS9_10device_ptrIsEEEESE_PNS0_10empty_typeENS0_5tupleIJSE_SF_EEENSH_IJSE_SG_EEENS0_18inequality_wrapperINS9_8equal_toIsEEEEPmJSF_EEE10hipError_tPvRmT3_T4_T5_T6_T7_T9_mT8_P12ihipStream_tbDpT10_ENKUlT_T0_E_clISt17integral_constantIbLb0EES18_EEDaS13_S14_EUlS13_E_NS1_11comp_targetILNS1_3genE0ELNS1_11target_archE4294967295ELNS1_3gpuE0ELNS1_3repE0EEENS1_30default_config_static_selectorELNS0_4arch9wavefront6targetE0EEEvT1_ ; -- Begin function _ZN7rocprim17ROCPRIM_400000_NS6detail17trampoline_kernelINS0_14default_configENS1_25partition_config_selectorILNS1_17partition_subalgoE9EssbEEZZNS1_14partition_implILS5_9ELb0ES3_jN6thrust23THRUST_200600_302600_NS6detail15normal_iteratorINS9_10device_ptrIsEEEESE_PNS0_10empty_typeENS0_5tupleIJSE_SF_EEENSH_IJSE_SG_EEENS0_18inequality_wrapperINS9_8equal_toIsEEEEPmJSF_EEE10hipError_tPvRmT3_T4_T5_T6_T7_T9_mT8_P12ihipStream_tbDpT10_ENKUlT_T0_E_clISt17integral_constantIbLb0EES18_EEDaS13_S14_EUlS13_E_NS1_11comp_targetILNS1_3genE0ELNS1_11target_archE4294967295ELNS1_3gpuE0ELNS1_3repE0EEENS1_30default_config_static_selectorELNS0_4arch9wavefront6targetE0EEEvT1_
	.globl	_ZN7rocprim17ROCPRIM_400000_NS6detail17trampoline_kernelINS0_14default_configENS1_25partition_config_selectorILNS1_17partition_subalgoE9EssbEEZZNS1_14partition_implILS5_9ELb0ES3_jN6thrust23THRUST_200600_302600_NS6detail15normal_iteratorINS9_10device_ptrIsEEEESE_PNS0_10empty_typeENS0_5tupleIJSE_SF_EEENSH_IJSE_SG_EEENS0_18inequality_wrapperINS9_8equal_toIsEEEEPmJSF_EEE10hipError_tPvRmT3_T4_T5_T6_T7_T9_mT8_P12ihipStream_tbDpT10_ENKUlT_T0_E_clISt17integral_constantIbLb0EES18_EEDaS13_S14_EUlS13_E_NS1_11comp_targetILNS1_3genE0ELNS1_11target_archE4294967295ELNS1_3gpuE0ELNS1_3repE0EEENS1_30default_config_static_selectorELNS0_4arch9wavefront6targetE0EEEvT1_
	.p2align	8
	.type	_ZN7rocprim17ROCPRIM_400000_NS6detail17trampoline_kernelINS0_14default_configENS1_25partition_config_selectorILNS1_17partition_subalgoE9EssbEEZZNS1_14partition_implILS5_9ELb0ES3_jN6thrust23THRUST_200600_302600_NS6detail15normal_iteratorINS9_10device_ptrIsEEEESE_PNS0_10empty_typeENS0_5tupleIJSE_SF_EEENSH_IJSE_SG_EEENS0_18inequality_wrapperINS9_8equal_toIsEEEEPmJSF_EEE10hipError_tPvRmT3_T4_T5_T6_T7_T9_mT8_P12ihipStream_tbDpT10_ENKUlT_T0_E_clISt17integral_constantIbLb0EES18_EEDaS13_S14_EUlS13_E_NS1_11comp_targetILNS1_3genE0ELNS1_11target_archE4294967295ELNS1_3gpuE0ELNS1_3repE0EEENS1_30default_config_static_selectorELNS0_4arch9wavefront6targetE0EEEvT1_,@function
_ZN7rocprim17ROCPRIM_400000_NS6detail17trampoline_kernelINS0_14default_configENS1_25partition_config_selectorILNS1_17partition_subalgoE9EssbEEZZNS1_14partition_implILS5_9ELb0ES3_jN6thrust23THRUST_200600_302600_NS6detail15normal_iteratorINS9_10device_ptrIsEEEESE_PNS0_10empty_typeENS0_5tupleIJSE_SF_EEENSH_IJSE_SG_EEENS0_18inequality_wrapperINS9_8equal_toIsEEEEPmJSF_EEE10hipError_tPvRmT3_T4_T5_T6_T7_T9_mT8_P12ihipStream_tbDpT10_ENKUlT_T0_E_clISt17integral_constantIbLb0EES18_EEDaS13_S14_EUlS13_E_NS1_11comp_targetILNS1_3genE0ELNS1_11target_archE4294967295ELNS1_3gpuE0ELNS1_3repE0EEENS1_30default_config_static_selectorELNS0_4arch9wavefront6targetE0EEEvT1_: ; @_ZN7rocprim17ROCPRIM_400000_NS6detail17trampoline_kernelINS0_14default_configENS1_25partition_config_selectorILNS1_17partition_subalgoE9EssbEEZZNS1_14partition_implILS5_9ELb0ES3_jN6thrust23THRUST_200600_302600_NS6detail15normal_iteratorINS9_10device_ptrIsEEEESE_PNS0_10empty_typeENS0_5tupleIJSE_SF_EEENSH_IJSE_SG_EEENS0_18inequality_wrapperINS9_8equal_toIsEEEEPmJSF_EEE10hipError_tPvRmT3_T4_T5_T6_T7_T9_mT8_P12ihipStream_tbDpT10_ENKUlT_T0_E_clISt17integral_constantIbLb0EES18_EEDaS13_S14_EUlS13_E_NS1_11comp_targetILNS1_3genE0ELNS1_11target_archE4294967295ELNS1_3gpuE0ELNS1_3repE0EEENS1_30default_config_static_selectorELNS0_4arch9wavefront6targetE0EEEvT1_
; %bb.0:
	.section	.rodata,"a",@progbits
	.p2align	6, 0x0
	.amdhsa_kernel _ZN7rocprim17ROCPRIM_400000_NS6detail17trampoline_kernelINS0_14default_configENS1_25partition_config_selectorILNS1_17partition_subalgoE9EssbEEZZNS1_14partition_implILS5_9ELb0ES3_jN6thrust23THRUST_200600_302600_NS6detail15normal_iteratorINS9_10device_ptrIsEEEESE_PNS0_10empty_typeENS0_5tupleIJSE_SF_EEENSH_IJSE_SG_EEENS0_18inequality_wrapperINS9_8equal_toIsEEEEPmJSF_EEE10hipError_tPvRmT3_T4_T5_T6_T7_T9_mT8_P12ihipStream_tbDpT10_ENKUlT_T0_E_clISt17integral_constantIbLb0EES18_EEDaS13_S14_EUlS13_E_NS1_11comp_targetILNS1_3genE0ELNS1_11target_archE4294967295ELNS1_3gpuE0ELNS1_3repE0EEENS1_30default_config_static_selectorELNS0_4arch9wavefront6targetE0EEEvT1_
		.amdhsa_group_segment_fixed_size 0
		.amdhsa_private_segment_fixed_size 0
		.amdhsa_kernarg_size 112
		.amdhsa_user_sgpr_count 15
		.amdhsa_user_sgpr_dispatch_ptr 0
		.amdhsa_user_sgpr_queue_ptr 0
		.amdhsa_user_sgpr_kernarg_segment_ptr 1
		.amdhsa_user_sgpr_dispatch_id 0
		.amdhsa_user_sgpr_private_segment_size 0
		.amdhsa_wavefront_size32 1
		.amdhsa_uses_dynamic_stack 0
		.amdhsa_enable_private_segment 0
		.amdhsa_system_sgpr_workgroup_id_x 1
		.amdhsa_system_sgpr_workgroup_id_y 0
		.amdhsa_system_sgpr_workgroup_id_z 0
		.amdhsa_system_sgpr_workgroup_info 0
		.amdhsa_system_vgpr_workitem_id 0
		.amdhsa_next_free_vgpr 1
		.amdhsa_next_free_sgpr 1
		.amdhsa_reserve_vcc 0
		.amdhsa_float_round_mode_32 0
		.amdhsa_float_round_mode_16_64 0
		.amdhsa_float_denorm_mode_32 3
		.amdhsa_float_denorm_mode_16_64 3
		.amdhsa_dx10_clamp 1
		.amdhsa_ieee_mode 1
		.amdhsa_fp16_overflow 0
		.amdhsa_workgroup_processor_mode 1
		.amdhsa_memory_ordered 1
		.amdhsa_forward_progress 0
		.amdhsa_shared_vgpr_count 0
		.amdhsa_exception_fp_ieee_invalid_op 0
		.amdhsa_exception_fp_denorm_src 0
		.amdhsa_exception_fp_ieee_div_zero 0
		.amdhsa_exception_fp_ieee_overflow 0
		.amdhsa_exception_fp_ieee_underflow 0
		.amdhsa_exception_fp_ieee_inexact 0
		.amdhsa_exception_int_div_zero 0
	.end_amdhsa_kernel
	.section	.text._ZN7rocprim17ROCPRIM_400000_NS6detail17trampoline_kernelINS0_14default_configENS1_25partition_config_selectorILNS1_17partition_subalgoE9EssbEEZZNS1_14partition_implILS5_9ELb0ES3_jN6thrust23THRUST_200600_302600_NS6detail15normal_iteratorINS9_10device_ptrIsEEEESE_PNS0_10empty_typeENS0_5tupleIJSE_SF_EEENSH_IJSE_SG_EEENS0_18inequality_wrapperINS9_8equal_toIsEEEEPmJSF_EEE10hipError_tPvRmT3_T4_T5_T6_T7_T9_mT8_P12ihipStream_tbDpT10_ENKUlT_T0_E_clISt17integral_constantIbLb0EES18_EEDaS13_S14_EUlS13_E_NS1_11comp_targetILNS1_3genE0ELNS1_11target_archE4294967295ELNS1_3gpuE0ELNS1_3repE0EEENS1_30default_config_static_selectorELNS0_4arch9wavefront6targetE0EEEvT1_,"axG",@progbits,_ZN7rocprim17ROCPRIM_400000_NS6detail17trampoline_kernelINS0_14default_configENS1_25partition_config_selectorILNS1_17partition_subalgoE9EssbEEZZNS1_14partition_implILS5_9ELb0ES3_jN6thrust23THRUST_200600_302600_NS6detail15normal_iteratorINS9_10device_ptrIsEEEESE_PNS0_10empty_typeENS0_5tupleIJSE_SF_EEENSH_IJSE_SG_EEENS0_18inequality_wrapperINS9_8equal_toIsEEEEPmJSF_EEE10hipError_tPvRmT3_T4_T5_T6_T7_T9_mT8_P12ihipStream_tbDpT10_ENKUlT_T0_E_clISt17integral_constantIbLb0EES18_EEDaS13_S14_EUlS13_E_NS1_11comp_targetILNS1_3genE0ELNS1_11target_archE4294967295ELNS1_3gpuE0ELNS1_3repE0EEENS1_30default_config_static_selectorELNS0_4arch9wavefront6targetE0EEEvT1_,comdat
.Lfunc_end469:
	.size	_ZN7rocprim17ROCPRIM_400000_NS6detail17trampoline_kernelINS0_14default_configENS1_25partition_config_selectorILNS1_17partition_subalgoE9EssbEEZZNS1_14partition_implILS5_9ELb0ES3_jN6thrust23THRUST_200600_302600_NS6detail15normal_iteratorINS9_10device_ptrIsEEEESE_PNS0_10empty_typeENS0_5tupleIJSE_SF_EEENSH_IJSE_SG_EEENS0_18inequality_wrapperINS9_8equal_toIsEEEEPmJSF_EEE10hipError_tPvRmT3_T4_T5_T6_T7_T9_mT8_P12ihipStream_tbDpT10_ENKUlT_T0_E_clISt17integral_constantIbLb0EES18_EEDaS13_S14_EUlS13_E_NS1_11comp_targetILNS1_3genE0ELNS1_11target_archE4294967295ELNS1_3gpuE0ELNS1_3repE0EEENS1_30default_config_static_selectorELNS0_4arch9wavefront6targetE0EEEvT1_, .Lfunc_end469-_ZN7rocprim17ROCPRIM_400000_NS6detail17trampoline_kernelINS0_14default_configENS1_25partition_config_selectorILNS1_17partition_subalgoE9EssbEEZZNS1_14partition_implILS5_9ELb0ES3_jN6thrust23THRUST_200600_302600_NS6detail15normal_iteratorINS9_10device_ptrIsEEEESE_PNS0_10empty_typeENS0_5tupleIJSE_SF_EEENSH_IJSE_SG_EEENS0_18inequality_wrapperINS9_8equal_toIsEEEEPmJSF_EEE10hipError_tPvRmT3_T4_T5_T6_T7_T9_mT8_P12ihipStream_tbDpT10_ENKUlT_T0_E_clISt17integral_constantIbLb0EES18_EEDaS13_S14_EUlS13_E_NS1_11comp_targetILNS1_3genE0ELNS1_11target_archE4294967295ELNS1_3gpuE0ELNS1_3repE0EEENS1_30default_config_static_selectorELNS0_4arch9wavefront6targetE0EEEvT1_
                                        ; -- End function
	.section	.AMDGPU.csdata,"",@progbits
; Kernel info:
; codeLenInByte = 0
; NumSgprs: 0
; NumVgprs: 0
; ScratchSize: 0
; MemoryBound: 0
; FloatMode: 240
; IeeeMode: 1
; LDSByteSize: 0 bytes/workgroup (compile time only)
; SGPRBlocks: 0
; VGPRBlocks: 0
; NumSGPRsForWavesPerEU: 1
; NumVGPRsForWavesPerEU: 1
; Occupancy: 16
; WaveLimiterHint : 0
; COMPUTE_PGM_RSRC2:SCRATCH_EN: 0
; COMPUTE_PGM_RSRC2:USER_SGPR: 15
; COMPUTE_PGM_RSRC2:TRAP_HANDLER: 0
; COMPUTE_PGM_RSRC2:TGID_X_EN: 1
; COMPUTE_PGM_RSRC2:TGID_Y_EN: 0
; COMPUTE_PGM_RSRC2:TGID_Z_EN: 0
; COMPUTE_PGM_RSRC2:TIDIG_COMP_CNT: 0
	.section	.text._ZN7rocprim17ROCPRIM_400000_NS6detail17trampoline_kernelINS0_14default_configENS1_25partition_config_selectorILNS1_17partition_subalgoE9EssbEEZZNS1_14partition_implILS5_9ELb0ES3_jN6thrust23THRUST_200600_302600_NS6detail15normal_iteratorINS9_10device_ptrIsEEEESE_PNS0_10empty_typeENS0_5tupleIJSE_SF_EEENSH_IJSE_SG_EEENS0_18inequality_wrapperINS9_8equal_toIsEEEEPmJSF_EEE10hipError_tPvRmT3_T4_T5_T6_T7_T9_mT8_P12ihipStream_tbDpT10_ENKUlT_T0_E_clISt17integral_constantIbLb0EES18_EEDaS13_S14_EUlS13_E_NS1_11comp_targetILNS1_3genE5ELNS1_11target_archE942ELNS1_3gpuE9ELNS1_3repE0EEENS1_30default_config_static_selectorELNS0_4arch9wavefront6targetE0EEEvT1_,"axG",@progbits,_ZN7rocprim17ROCPRIM_400000_NS6detail17trampoline_kernelINS0_14default_configENS1_25partition_config_selectorILNS1_17partition_subalgoE9EssbEEZZNS1_14partition_implILS5_9ELb0ES3_jN6thrust23THRUST_200600_302600_NS6detail15normal_iteratorINS9_10device_ptrIsEEEESE_PNS0_10empty_typeENS0_5tupleIJSE_SF_EEENSH_IJSE_SG_EEENS0_18inequality_wrapperINS9_8equal_toIsEEEEPmJSF_EEE10hipError_tPvRmT3_T4_T5_T6_T7_T9_mT8_P12ihipStream_tbDpT10_ENKUlT_T0_E_clISt17integral_constantIbLb0EES18_EEDaS13_S14_EUlS13_E_NS1_11comp_targetILNS1_3genE5ELNS1_11target_archE942ELNS1_3gpuE9ELNS1_3repE0EEENS1_30default_config_static_selectorELNS0_4arch9wavefront6targetE0EEEvT1_,comdat
	.protected	_ZN7rocprim17ROCPRIM_400000_NS6detail17trampoline_kernelINS0_14default_configENS1_25partition_config_selectorILNS1_17partition_subalgoE9EssbEEZZNS1_14partition_implILS5_9ELb0ES3_jN6thrust23THRUST_200600_302600_NS6detail15normal_iteratorINS9_10device_ptrIsEEEESE_PNS0_10empty_typeENS0_5tupleIJSE_SF_EEENSH_IJSE_SG_EEENS0_18inequality_wrapperINS9_8equal_toIsEEEEPmJSF_EEE10hipError_tPvRmT3_T4_T5_T6_T7_T9_mT8_P12ihipStream_tbDpT10_ENKUlT_T0_E_clISt17integral_constantIbLb0EES18_EEDaS13_S14_EUlS13_E_NS1_11comp_targetILNS1_3genE5ELNS1_11target_archE942ELNS1_3gpuE9ELNS1_3repE0EEENS1_30default_config_static_selectorELNS0_4arch9wavefront6targetE0EEEvT1_ ; -- Begin function _ZN7rocprim17ROCPRIM_400000_NS6detail17trampoline_kernelINS0_14default_configENS1_25partition_config_selectorILNS1_17partition_subalgoE9EssbEEZZNS1_14partition_implILS5_9ELb0ES3_jN6thrust23THRUST_200600_302600_NS6detail15normal_iteratorINS9_10device_ptrIsEEEESE_PNS0_10empty_typeENS0_5tupleIJSE_SF_EEENSH_IJSE_SG_EEENS0_18inequality_wrapperINS9_8equal_toIsEEEEPmJSF_EEE10hipError_tPvRmT3_T4_T5_T6_T7_T9_mT8_P12ihipStream_tbDpT10_ENKUlT_T0_E_clISt17integral_constantIbLb0EES18_EEDaS13_S14_EUlS13_E_NS1_11comp_targetILNS1_3genE5ELNS1_11target_archE942ELNS1_3gpuE9ELNS1_3repE0EEENS1_30default_config_static_selectorELNS0_4arch9wavefront6targetE0EEEvT1_
	.globl	_ZN7rocprim17ROCPRIM_400000_NS6detail17trampoline_kernelINS0_14default_configENS1_25partition_config_selectorILNS1_17partition_subalgoE9EssbEEZZNS1_14partition_implILS5_9ELb0ES3_jN6thrust23THRUST_200600_302600_NS6detail15normal_iteratorINS9_10device_ptrIsEEEESE_PNS0_10empty_typeENS0_5tupleIJSE_SF_EEENSH_IJSE_SG_EEENS0_18inequality_wrapperINS9_8equal_toIsEEEEPmJSF_EEE10hipError_tPvRmT3_T4_T5_T6_T7_T9_mT8_P12ihipStream_tbDpT10_ENKUlT_T0_E_clISt17integral_constantIbLb0EES18_EEDaS13_S14_EUlS13_E_NS1_11comp_targetILNS1_3genE5ELNS1_11target_archE942ELNS1_3gpuE9ELNS1_3repE0EEENS1_30default_config_static_selectorELNS0_4arch9wavefront6targetE0EEEvT1_
	.p2align	8
	.type	_ZN7rocprim17ROCPRIM_400000_NS6detail17trampoline_kernelINS0_14default_configENS1_25partition_config_selectorILNS1_17partition_subalgoE9EssbEEZZNS1_14partition_implILS5_9ELb0ES3_jN6thrust23THRUST_200600_302600_NS6detail15normal_iteratorINS9_10device_ptrIsEEEESE_PNS0_10empty_typeENS0_5tupleIJSE_SF_EEENSH_IJSE_SG_EEENS0_18inequality_wrapperINS9_8equal_toIsEEEEPmJSF_EEE10hipError_tPvRmT3_T4_T5_T6_T7_T9_mT8_P12ihipStream_tbDpT10_ENKUlT_T0_E_clISt17integral_constantIbLb0EES18_EEDaS13_S14_EUlS13_E_NS1_11comp_targetILNS1_3genE5ELNS1_11target_archE942ELNS1_3gpuE9ELNS1_3repE0EEENS1_30default_config_static_selectorELNS0_4arch9wavefront6targetE0EEEvT1_,@function
_ZN7rocprim17ROCPRIM_400000_NS6detail17trampoline_kernelINS0_14default_configENS1_25partition_config_selectorILNS1_17partition_subalgoE9EssbEEZZNS1_14partition_implILS5_9ELb0ES3_jN6thrust23THRUST_200600_302600_NS6detail15normal_iteratorINS9_10device_ptrIsEEEESE_PNS0_10empty_typeENS0_5tupleIJSE_SF_EEENSH_IJSE_SG_EEENS0_18inequality_wrapperINS9_8equal_toIsEEEEPmJSF_EEE10hipError_tPvRmT3_T4_T5_T6_T7_T9_mT8_P12ihipStream_tbDpT10_ENKUlT_T0_E_clISt17integral_constantIbLb0EES18_EEDaS13_S14_EUlS13_E_NS1_11comp_targetILNS1_3genE5ELNS1_11target_archE942ELNS1_3gpuE9ELNS1_3repE0EEENS1_30default_config_static_selectorELNS0_4arch9wavefront6targetE0EEEvT1_: ; @_ZN7rocprim17ROCPRIM_400000_NS6detail17trampoline_kernelINS0_14default_configENS1_25partition_config_selectorILNS1_17partition_subalgoE9EssbEEZZNS1_14partition_implILS5_9ELb0ES3_jN6thrust23THRUST_200600_302600_NS6detail15normal_iteratorINS9_10device_ptrIsEEEESE_PNS0_10empty_typeENS0_5tupleIJSE_SF_EEENSH_IJSE_SG_EEENS0_18inequality_wrapperINS9_8equal_toIsEEEEPmJSF_EEE10hipError_tPvRmT3_T4_T5_T6_T7_T9_mT8_P12ihipStream_tbDpT10_ENKUlT_T0_E_clISt17integral_constantIbLb0EES18_EEDaS13_S14_EUlS13_E_NS1_11comp_targetILNS1_3genE5ELNS1_11target_archE942ELNS1_3gpuE9ELNS1_3repE0EEENS1_30default_config_static_selectorELNS0_4arch9wavefront6targetE0EEEvT1_
; %bb.0:
	.section	.rodata,"a",@progbits
	.p2align	6, 0x0
	.amdhsa_kernel _ZN7rocprim17ROCPRIM_400000_NS6detail17trampoline_kernelINS0_14default_configENS1_25partition_config_selectorILNS1_17partition_subalgoE9EssbEEZZNS1_14partition_implILS5_9ELb0ES3_jN6thrust23THRUST_200600_302600_NS6detail15normal_iteratorINS9_10device_ptrIsEEEESE_PNS0_10empty_typeENS0_5tupleIJSE_SF_EEENSH_IJSE_SG_EEENS0_18inequality_wrapperINS9_8equal_toIsEEEEPmJSF_EEE10hipError_tPvRmT3_T4_T5_T6_T7_T9_mT8_P12ihipStream_tbDpT10_ENKUlT_T0_E_clISt17integral_constantIbLb0EES18_EEDaS13_S14_EUlS13_E_NS1_11comp_targetILNS1_3genE5ELNS1_11target_archE942ELNS1_3gpuE9ELNS1_3repE0EEENS1_30default_config_static_selectorELNS0_4arch9wavefront6targetE0EEEvT1_
		.amdhsa_group_segment_fixed_size 0
		.amdhsa_private_segment_fixed_size 0
		.amdhsa_kernarg_size 112
		.amdhsa_user_sgpr_count 15
		.amdhsa_user_sgpr_dispatch_ptr 0
		.amdhsa_user_sgpr_queue_ptr 0
		.amdhsa_user_sgpr_kernarg_segment_ptr 1
		.amdhsa_user_sgpr_dispatch_id 0
		.amdhsa_user_sgpr_private_segment_size 0
		.amdhsa_wavefront_size32 1
		.amdhsa_uses_dynamic_stack 0
		.amdhsa_enable_private_segment 0
		.amdhsa_system_sgpr_workgroup_id_x 1
		.amdhsa_system_sgpr_workgroup_id_y 0
		.amdhsa_system_sgpr_workgroup_id_z 0
		.amdhsa_system_sgpr_workgroup_info 0
		.amdhsa_system_vgpr_workitem_id 0
		.amdhsa_next_free_vgpr 1
		.amdhsa_next_free_sgpr 1
		.amdhsa_reserve_vcc 0
		.amdhsa_float_round_mode_32 0
		.amdhsa_float_round_mode_16_64 0
		.amdhsa_float_denorm_mode_32 3
		.amdhsa_float_denorm_mode_16_64 3
		.amdhsa_dx10_clamp 1
		.amdhsa_ieee_mode 1
		.amdhsa_fp16_overflow 0
		.amdhsa_workgroup_processor_mode 1
		.amdhsa_memory_ordered 1
		.amdhsa_forward_progress 0
		.amdhsa_shared_vgpr_count 0
		.amdhsa_exception_fp_ieee_invalid_op 0
		.amdhsa_exception_fp_denorm_src 0
		.amdhsa_exception_fp_ieee_div_zero 0
		.amdhsa_exception_fp_ieee_overflow 0
		.amdhsa_exception_fp_ieee_underflow 0
		.amdhsa_exception_fp_ieee_inexact 0
		.amdhsa_exception_int_div_zero 0
	.end_amdhsa_kernel
	.section	.text._ZN7rocprim17ROCPRIM_400000_NS6detail17trampoline_kernelINS0_14default_configENS1_25partition_config_selectorILNS1_17partition_subalgoE9EssbEEZZNS1_14partition_implILS5_9ELb0ES3_jN6thrust23THRUST_200600_302600_NS6detail15normal_iteratorINS9_10device_ptrIsEEEESE_PNS0_10empty_typeENS0_5tupleIJSE_SF_EEENSH_IJSE_SG_EEENS0_18inequality_wrapperINS9_8equal_toIsEEEEPmJSF_EEE10hipError_tPvRmT3_T4_T5_T6_T7_T9_mT8_P12ihipStream_tbDpT10_ENKUlT_T0_E_clISt17integral_constantIbLb0EES18_EEDaS13_S14_EUlS13_E_NS1_11comp_targetILNS1_3genE5ELNS1_11target_archE942ELNS1_3gpuE9ELNS1_3repE0EEENS1_30default_config_static_selectorELNS0_4arch9wavefront6targetE0EEEvT1_,"axG",@progbits,_ZN7rocprim17ROCPRIM_400000_NS6detail17trampoline_kernelINS0_14default_configENS1_25partition_config_selectorILNS1_17partition_subalgoE9EssbEEZZNS1_14partition_implILS5_9ELb0ES3_jN6thrust23THRUST_200600_302600_NS6detail15normal_iteratorINS9_10device_ptrIsEEEESE_PNS0_10empty_typeENS0_5tupleIJSE_SF_EEENSH_IJSE_SG_EEENS0_18inequality_wrapperINS9_8equal_toIsEEEEPmJSF_EEE10hipError_tPvRmT3_T4_T5_T6_T7_T9_mT8_P12ihipStream_tbDpT10_ENKUlT_T0_E_clISt17integral_constantIbLb0EES18_EEDaS13_S14_EUlS13_E_NS1_11comp_targetILNS1_3genE5ELNS1_11target_archE942ELNS1_3gpuE9ELNS1_3repE0EEENS1_30default_config_static_selectorELNS0_4arch9wavefront6targetE0EEEvT1_,comdat
.Lfunc_end470:
	.size	_ZN7rocprim17ROCPRIM_400000_NS6detail17trampoline_kernelINS0_14default_configENS1_25partition_config_selectorILNS1_17partition_subalgoE9EssbEEZZNS1_14partition_implILS5_9ELb0ES3_jN6thrust23THRUST_200600_302600_NS6detail15normal_iteratorINS9_10device_ptrIsEEEESE_PNS0_10empty_typeENS0_5tupleIJSE_SF_EEENSH_IJSE_SG_EEENS0_18inequality_wrapperINS9_8equal_toIsEEEEPmJSF_EEE10hipError_tPvRmT3_T4_T5_T6_T7_T9_mT8_P12ihipStream_tbDpT10_ENKUlT_T0_E_clISt17integral_constantIbLb0EES18_EEDaS13_S14_EUlS13_E_NS1_11comp_targetILNS1_3genE5ELNS1_11target_archE942ELNS1_3gpuE9ELNS1_3repE0EEENS1_30default_config_static_selectorELNS0_4arch9wavefront6targetE0EEEvT1_, .Lfunc_end470-_ZN7rocprim17ROCPRIM_400000_NS6detail17trampoline_kernelINS0_14default_configENS1_25partition_config_selectorILNS1_17partition_subalgoE9EssbEEZZNS1_14partition_implILS5_9ELb0ES3_jN6thrust23THRUST_200600_302600_NS6detail15normal_iteratorINS9_10device_ptrIsEEEESE_PNS0_10empty_typeENS0_5tupleIJSE_SF_EEENSH_IJSE_SG_EEENS0_18inequality_wrapperINS9_8equal_toIsEEEEPmJSF_EEE10hipError_tPvRmT3_T4_T5_T6_T7_T9_mT8_P12ihipStream_tbDpT10_ENKUlT_T0_E_clISt17integral_constantIbLb0EES18_EEDaS13_S14_EUlS13_E_NS1_11comp_targetILNS1_3genE5ELNS1_11target_archE942ELNS1_3gpuE9ELNS1_3repE0EEENS1_30default_config_static_selectorELNS0_4arch9wavefront6targetE0EEEvT1_
                                        ; -- End function
	.section	.AMDGPU.csdata,"",@progbits
; Kernel info:
; codeLenInByte = 0
; NumSgprs: 0
; NumVgprs: 0
; ScratchSize: 0
; MemoryBound: 0
; FloatMode: 240
; IeeeMode: 1
; LDSByteSize: 0 bytes/workgroup (compile time only)
; SGPRBlocks: 0
; VGPRBlocks: 0
; NumSGPRsForWavesPerEU: 1
; NumVGPRsForWavesPerEU: 1
; Occupancy: 16
; WaveLimiterHint : 0
; COMPUTE_PGM_RSRC2:SCRATCH_EN: 0
; COMPUTE_PGM_RSRC2:USER_SGPR: 15
; COMPUTE_PGM_RSRC2:TRAP_HANDLER: 0
; COMPUTE_PGM_RSRC2:TGID_X_EN: 1
; COMPUTE_PGM_RSRC2:TGID_Y_EN: 0
; COMPUTE_PGM_RSRC2:TGID_Z_EN: 0
; COMPUTE_PGM_RSRC2:TIDIG_COMP_CNT: 0
	.section	.text._ZN7rocprim17ROCPRIM_400000_NS6detail17trampoline_kernelINS0_14default_configENS1_25partition_config_selectorILNS1_17partition_subalgoE9EssbEEZZNS1_14partition_implILS5_9ELb0ES3_jN6thrust23THRUST_200600_302600_NS6detail15normal_iteratorINS9_10device_ptrIsEEEESE_PNS0_10empty_typeENS0_5tupleIJSE_SF_EEENSH_IJSE_SG_EEENS0_18inequality_wrapperINS9_8equal_toIsEEEEPmJSF_EEE10hipError_tPvRmT3_T4_T5_T6_T7_T9_mT8_P12ihipStream_tbDpT10_ENKUlT_T0_E_clISt17integral_constantIbLb0EES18_EEDaS13_S14_EUlS13_E_NS1_11comp_targetILNS1_3genE4ELNS1_11target_archE910ELNS1_3gpuE8ELNS1_3repE0EEENS1_30default_config_static_selectorELNS0_4arch9wavefront6targetE0EEEvT1_,"axG",@progbits,_ZN7rocprim17ROCPRIM_400000_NS6detail17trampoline_kernelINS0_14default_configENS1_25partition_config_selectorILNS1_17partition_subalgoE9EssbEEZZNS1_14partition_implILS5_9ELb0ES3_jN6thrust23THRUST_200600_302600_NS6detail15normal_iteratorINS9_10device_ptrIsEEEESE_PNS0_10empty_typeENS0_5tupleIJSE_SF_EEENSH_IJSE_SG_EEENS0_18inequality_wrapperINS9_8equal_toIsEEEEPmJSF_EEE10hipError_tPvRmT3_T4_T5_T6_T7_T9_mT8_P12ihipStream_tbDpT10_ENKUlT_T0_E_clISt17integral_constantIbLb0EES18_EEDaS13_S14_EUlS13_E_NS1_11comp_targetILNS1_3genE4ELNS1_11target_archE910ELNS1_3gpuE8ELNS1_3repE0EEENS1_30default_config_static_selectorELNS0_4arch9wavefront6targetE0EEEvT1_,comdat
	.protected	_ZN7rocprim17ROCPRIM_400000_NS6detail17trampoline_kernelINS0_14default_configENS1_25partition_config_selectorILNS1_17partition_subalgoE9EssbEEZZNS1_14partition_implILS5_9ELb0ES3_jN6thrust23THRUST_200600_302600_NS6detail15normal_iteratorINS9_10device_ptrIsEEEESE_PNS0_10empty_typeENS0_5tupleIJSE_SF_EEENSH_IJSE_SG_EEENS0_18inequality_wrapperINS9_8equal_toIsEEEEPmJSF_EEE10hipError_tPvRmT3_T4_T5_T6_T7_T9_mT8_P12ihipStream_tbDpT10_ENKUlT_T0_E_clISt17integral_constantIbLb0EES18_EEDaS13_S14_EUlS13_E_NS1_11comp_targetILNS1_3genE4ELNS1_11target_archE910ELNS1_3gpuE8ELNS1_3repE0EEENS1_30default_config_static_selectorELNS0_4arch9wavefront6targetE0EEEvT1_ ; -- Begin function _ZN7rocprim17ROCPRIM_400000_NS6detail17trampoline_kernelINS0_14default_configENS1_25partition_config_selectorILNS1_17partition_subalgoE9EssbEEZZNS1_14partition_implILS5_9ELb0ES3_jN6thrust23THRUST_200600_302600_NS6detail15normal_iteratorINS9_10device_ptrIsEEEESE_PNS0_10empty_typeENS0_5tupleIJSE_SF_EEENSH_IJSE_SG_EEENS0_18inequality_wrapperINS9_8equal_toIsEEEEPmJSF_EEE10hipError_tPvRmT3_T4_T5_T6_T7_T9_mT8_P12ihipStream_tbDpT10_ENKUlT_T0_E_clISt17integral_constantIbLb0EES18_EEDaS13_S14_EUlS13_E_NS1_11comp_targetILNS1_3genE4ELNS1_11target_archE910ELNS1_3gpuE8ELNS1_3repE0EEENS1_30default_config_static_selectorELNS0_4arch9wavefront6targetE0EEEvT1_
	.globl	_ZN7rocprim17ROCPRIM_400000_NS6detail17trampoline_kernelINS0_14default_configENS1_25partition_config_selectorILNS1_17partition_subalgoE9EssbEEZZNS1_14partition_implILS5_9ELb0ES3_jN6thrust23THRUST_200600_302600_NS6detail15normal_iteratorINS9_10device_ptrIsEEEESE_PNS0_10empty_typeENS0_5tupleIJSE_SF_EEENSH_IJSE_SG_EEENS0_18inequality_wrapperINS9_8equal_toIsEEEEPmJSF_EEE10hipError_tPvRmT3_T4_T5_T6_T7_T9_mT8_P12ihipStream_tbDpT10_ENKUlT_T0_E_clISt17integral_constantIbLb0EES18_EEDaS13_S14_EUlS13_E_NS1_11comp_targetILNS1_3genE4ELNS1_11target_archE910ELNS1_3gpuE8ELNS1_3repE0EEENS1_30default_config_static_selectorELNS0_4arch9wavefront6targetE0EEEvT1_
	.p2align	8
	.type	_ZN7rocprim17ROCPRIM_400000_NS6detail17trampoline_kernelINS0_14default_configENS1_25partition_config_selectorILNS1_17partition_subalgoE9EssbEEZZNS1_14partition_implILS5_9ELb0ES3_jN6thrust23THRUST_200600_302600_NS6detail15normal_iteratorINS9_10device_ptrIsEEEESE_PNS0_10empty_typeENS0_5tupleIJSE_SF_EEENSH_IJSE_SG_EEENS0_18inequality_wrapperINS9_8equal_toIsEEEEPmJSF_EEE10hipError_tPvRmT3_T4_T5_T6_T7_T9_mT8_P12ihipStream_tbDpT10_ENKUlT_T0_E_clISt17integral_constantIbLb0EES18_EEDaS13_S14_EUlS13_E_NS1_11comp_targetILNS1_3genE4ELNS1_11target_archE910ELNS1_3gpuE8ELNS1_3repE0EEENS1_30default_config_static_selectorELNS0_4arch9wavefront6targetE0EEEvT1_,@function
_ZN7rocprim17ROCPRIM_400000_NS6detail17trampoline_kernelINS0_14default_configENS1_25partition_config_selectorILNS1_17partition_subalgoE9EssbEEZZNS1_14partition_implILS5_9ELb0ES3_jN6thrust23THRUST_200600_302600_NS6detail15normal_iteratorINS9_10device_ptrIsEEEESE_PNS0_10empty_typeENS0_5tupleIJSE_SF_EEENSH_IJSE_SG_EEENS0_18inequality_wrapperINS9_8equal_toIsEEEEPmJSF_EEE10hipError_tPvRmT3_T4_T5_T6_T7_T9_mT8_P12ihipStream_tbDpT10_ENKUlT_T0_E_clISt17integral_constantIbLb0EES18_EEDaS13_S14_EUlS13_E_NS1_11comp_targetILNS1_3genE4ELNS1_11target_archE910ELNS1_3gpuE8ELNS1_3repE0EEENS1_30default_config_static_selectorELNS0_4arch9wavefront6targetE0EEEvT1_: ; @_ZN7rocprim17ROCPRIM_400000_NS6detail17trampoline_kernelINS0_14default_configENS1_25partition_config_selectorILNS1_17partition_subalgoE9EssbEEZZNS1_14partition_implILS5_9ELb0ES3_jN6thrust23THRUST_200600_302600_NS6detail15normal_iteratorINS9_10device_ptrIsEEEESE_PNS0_10empty_typeENS0_5tupleIJSE_SF_EEENSH_IJSE_SG_EEENS0_18inequality_wrapperINS9_8equal_toIsEEEEPmJSF_EEE10hipError_tPvRmT3_T4_T5_T6_T7_T9_mT8_P12ihipStream_tbDpT10_ENKUlT_T0_E_clISt17integral_constantIbLb0EES18_EEDaS13_S14_EUlS13_E_NS1_11comp_targetILNS1_3genE4ELNS1_11target_archE910ELNS1_3gpuE8ELNS1_3repE0EEENS1_30default_config_static_selectorELNS0_4arch9wavefront6targetE0EEEvT1_
; %bb.0:
	.section	.rodata,"a",@progbits
	.p2align	6, 0x0
	.amdhsa_kernel _ZN7rocprim17ROCPRIM_400000_NS6detail17trampoline_kernelINS0_14default_configENS1_25partition_config_selectorILNS1_17partition_subalgoE9EssbEEZZNS1_14partition_implILS5_9ELb0ES3_jN6thrust23THRUST_200600_302600_NS6detail15normal_iteratorINS9_10device_ptrIsEEEESE_PNS0_10empty_typeENS0_5tupleIJSE_SF_EEENSH_IJSE_SG_EEENS0_18inequality_wrapperINS9_8equal_toIsEEEEPmJSF_EEE10hipError_tPvRmT3_T4_T5_T6_T7_T9_mT8_P12ihipStream_tbDpT10_ENKUlT_T0_E_clISt17integral_constantIbLb0EES18_EEDaS13_S14_EUlS13_E_NS1_11comp_targetILNS1_3genE4ELNS1_11target_archE910ELNS1_3gpuE8ELNS1_3repE0EEENS1_30default_config_static_selectorELNS0_4arch9wavefront6targetE0EEEvT1_
		.amdhsa_group_segment_fixed_size 0
		.amdhsa_private_segment_fixed_size 0
		.amdhsa_kernarg_size 112
		.amdhsa_user_sgpr_count 15
		.amdhsa_user_sgpr_dispatch_ptr 0
		.amdhsa_user_sgpr_queue_ptr 0
		.amdhsa_user_sgpr_kernarg_segment_ptr 1
		.amdhsa_user_sgpr_dispatch_id 0
		.amdhsa_user_sgpr_private_segment_size 0
		.amdhsa_wavefront_size32 1
		.amdhsa_uses_dynamic_stack 0
		.amdhsa_enable_private_segment 0
		.amdhsa_system_sgpr_workgroup_id_x 1
		.amdhsa_system_sgpr_workgroup_id_y 0
		.amdhsa_system_sgpr_workgroup_id_z 0
		.amdhsa_system_sgpr_workgroup_info 0
		.amdhsa_system_vgpr_workitem_id 0
		.amdhsa_next_free_vgpr 1
		.amdhsa_next_free_sgpr 1
		.amdhsa_reserve_vcc 0
		.amdhsa_float_round_mode_32 0
		.amdhsa_float_round_mode_16_64 0
		.amdhsa_float_denorm_mode_32 3
		.amdhsa_float_denorm_mode_16_64 3
		.amdhsa_dx10_clamp 1
		.amdhsa_ieee_mode 1
		.amdhsa_fp16_overflow 0
		.amdhsa_workgroup_processor_mode 1
		.amdhsa_memory_ordered 1
		.amdhsa_forward_progress 0
		.amdhsa_shared_vgpr_count 0
		.amdhsa_exception_fp_ieee_invalid_op 0
		.amdhsa_exception_fp_denorm_src 0
		.amdhsa_exception_fp_ieee_div_zero 0
		.amdhsa_exception_fp_ieee_overflow 0
		.amdhsa_exception_fp_ieee_underflow 0
		.amdhsa_exception_fp_ieee_inexact 0
		.amdhsa_exception_int_div_zero 0
	.end_amdhsa_kernel
	.section	.text._ZN7rocprim17ROCPRIM_400000_NS6detail17trampoline_kernelINS0_14default_configENS1_25partition_config_selectorILNS1_17partition_subalgoE9EssbEEZZNS1_14partition_implILS5_9ELb0ES3_jN6thrust23THRUST_200600_302600_NS6detail15normal_iteratorINS9_10device_ptrIsEEEESE_PNS0_10empty_typeENS0_5tupleIJSE_SF_EEENSH_IJSE_SG_EEENS0_18inequality_wrapperINS9_8equal_toIsEEEEPmJSF_EEE10hipError_tPvRmT3_T4_T5_T6_T7_T9_mT8_P12ihipStream_tbDpT10_ENKUlT_T0_E_clISt17integral_constantIbLb0EES18_EEDaS13_S14_EUlS13_E_NS1_11comp_targetILNS1_3genE4ELNS1_11target_archE910ELNS1_3gpuE8ELNS1_3repE0EEENS1_30default_config_static_selectorELNS0_4arch9wavefront6targetE0EEEvT1_,"axG",@progbits,_ZN7rocprim17ROCPRIM_400000_NS6detail17trampoline_kernelINS0_14default_configENS1_25partition_config_selectorILNS1_17partition_subalgoE9EssbEEZZNS1_14partition_implILS5_9ELb0ES3_jN6thrust23THRUST_200600_302600_NS6detail15normal_iteratorINS9_10device_ptrIsEEEESE_PNS0_10empty_typeENS0_5tupleIJSE_SF_EEENSH_IJSE_SG_EEENS0_18inequality_wrapperINS9_8equal_toIsEEEEPmJSF_EEE10hipError_tPvRmT3_T4_T5_T6_T7_T9_mT8_P12ihipStream_tbDpT10_ENKUlT_T0_E_clISt17integral_constantIbLb0EES18_EEDaS13_S14_EUlS13_E_NS1_11comp_targetILNS1_3genE4ELNS1_11target_archE910ELNS1_3gpuE8ELNS1_3repE0EEENS1_30default_config_static_selectorELNS0_4arch9wavefront6targetE0EEEvT1_,comdat
.Lfunc_end471:
	.size	_ZN7rocprim17ROCPRIM_400000_NS6detail17trampoline_kernelINS0_14default_configENS1_25partition_config_selectorILNS1_17partition_subalgoE9EssbEEZZNS1_14partition_implILS5_9ELb0ES3_jN6thrust23THRUST_200600_302600_NS6detail15normal_iteratorINS9_10device_ptrIsEEEESE_PNS0_10empty_typeENS0_5tupleIJSE_SF_EEENSH_IJSE_SG_EEENS0_18inequality_wrapperINS9_8equal_toIsEEEEPmJSF_EEE10hipError_tPvRmT3_T4_T5_T6_T7_T9_mT8_P12ihipStream_tbDpT10_ENKUlT_T0_E_clISt17integral_constantIbLb0EES18_EEDaS13_S14_EUlS13_E_NS1_11comp_targetILNS1_3genE4ELNS1_11target_archE910ELNS1_3gpuE8ELNS1_3repE0EEENS1_30default_config_static_selectorELNS0_4arch9wavefront6targetE0EEEvT1_, .Lfunc_end471-_ZN7rocprim17ROCPRIM_400000_NS6detail17trampoline_kernelINS0_14default_configENS1_25partition_config_selectorILNS1_17partition_subalgoE9EssbEEZZNS1_14partition_implILS5_9ELb0ES3_jN6thrust23THRUST_200600_302600_NS6detail15normal_iteratorINS9_10device_ptrIsEEEESE_PNS0_10empty_typeENS0_5tupleIJSE_SF_EEENSH_IJSE_SG_EEENS0_18inequality_wrapperINS9_8equal_toIsEEEEPmJSF_EEE10hipError_tPvRmT3_T4_T5_T6_T7_T9_mT8_P12ihipStream_tbDpT10_ENKUlT_T0_E_clISt17integral_constantIbLb0EES18_EEDaS13_S14_EUlS13_E_NS1_11comp_targetILNS1_3genE4ELNS1_11target_archE910ELNS1_3gpuE8ELNS1_3repE0EEENS1_30default_config_static_selectorELNS0_4arch9wavefront6targetE0EEEvT1_
                                        ; -- End function
	.section	.AMDGPU.csdata,"",@progbits
; Kernel info:
; codeLenInByte = 0
; NumSgprs: 0
; NumVgprs: 0
; ScratchSize: 0
; MemoryBound: 0
; FloatMode: 240
; IeeeMode: 1
; LDSByteSize: 0 bytes/workgroup (compile time only)
; SGPRBlocks: 0
; VGPRBlocks: 0
; NumSGPRsForWavesPerEU: 1
; NumVGPRsForWavesPerEU: 1
; Occupancy: 16
; WaveLimiterHint : 0
; COMPUTE_PGM_RSRC2:SCRATCH_EN: 0
; COMPUTE_PGM_RSRC2:USER_SGPR: 15
; COMPUTE_PGM_RSRC2:TRAP_HANDLER: 0
; COMPUTE_PGM_RSRC2:TGID_X_EN: 1
; COMPUTE_PGM_RSRC2:TGID_Y_EN: 0
; COMPUTE_PGM_RSRC2:TGID_Z_EN: 0
; COMPUTE_PGM_RSRC2:TIDIG_COMP_CNT: 0
	.section	.text._ZN7rocprim17ROCPRIM_400000_NS6detail17trampoline_kernelINS0_14default_configENS1_25partition_config_selectorILNS1_17partition_subalgoE9EssbEEZZNS1_14partition_implILS5_9ELb0ES3_jN6thrust23THRUST_200600_302600_NS6detail15normal_iteratorINS9_10device_ptrIsEEEESE_PNS0_10empty_typeENS0_5tupleIJSE_SF_EEENSH_IJSE_SG_EEENS0_18inequality_wrapperINS9_8equal_toIsEEEEPmJSF_EEE10hipError_tPvRmT3_T4_T5_T6_T7_T9_mT8_P12ihipStream_tbDpT10_ENKUlT_T0_E_clISt17integral_constantIbLb0EES18_EEDaS13_S14_EUlS13_E_NS1_11comp_targetILNS1_3genE3ELNS1_11target_archE908ELNS1_3gpuE7ELNS1_3repE0EEENS1_30default_config_static_selectorELNS0_4arch9wavefront6targetE0EEEvT1_,"axG",@progbits,_ZN7rocprim17ROCPRIM_400000_NS6detail17trampoline_kernelINS0_14default_configENS1_25partition_config_selectorILNS1_17partition_subalgoE9EssbEEZZNS1_14partition_implILS5_9ELb0ES3_jN6thrust23THRUST_200600_302600_NS6detail15normal_iteratorINS9_10device_ptrIsEEEESE_PNS0_10empty_typeENS0_5tupleIJSE_SF_EEENSH_IJSE_SG_EEENS0_18inequality_wrapperINS9_8equal_toIsEEEEPmJSF_EEE10hipError_tPvRmT3_T4_T5_T6_T7_T9_mT8_P12ihipStream_tbDpT10_ENKUlT_T0_E_clISt17integral_constantIbLb0EES18_EEDaS13_S14_EUlS13_E_NS1_11comp_targetILNS1_3genE3ELNS1_11target_archE908ELNS1_3gpuE7ELNS1_3repE0EEENS1_30default_config_static_selectorELNS0_4arch9wavefront6targetE0EEEvT1_,comdat
	.protected	_ZN7rocprim17ROCPRIM_400000_NS6detail17trampoline_kernelINS0_14default_configENS1_25partition_config_selectorILNS1_17partition_subalgoE9EssbEEZZNS1_14partition_implILS5_9ELb0ES3_jN6thrust23THRUST_200600_302600_NS6detail15normal_iteratorINS9_10device_ptrIsEEEESE_PNS0_10empty_typeENS0_5tupleIJSE_SF_EEENSH_IJSE_SG_EEENS0_18inequality_wrapperINS9_8equal_toIsEEEEPmJSF_EEE10hipError_tPvRmT3_T4_T5_T6_T7_T9_mT8_P12ihipStream_tbDpT10_ENKUlT_T0_E_clISt17integral_constantIbLb0EES18_EEDaS13_S14_EUlS13_E_NS1_11comp_targetILNS1_3genE3ELNS1_11target_archE908ELNS1_3gpuE7ELNS1_3repE0EEENS1_30default_config_static_selectorELNS0_4arch9wavefront6targetE0EEEvT1_ ; -- Begin function _ZN7rocprim17ROCPRIM_400000_NS6detail17trampoline_kernelINS0_14default_configENS1_25partition_config_selectorILNS1_17partition_subalgoE9EssbEEZZNS1_14partition_implILS5_9ELb0ES3_jN6thrust23THRUST_200600_302600_NS6detail15normal_iteratorINS9_10device_ptrIsEEEESE_PNS0_10empty_typeENS0_5tupleIJSE_SF_EEENSH_IJSE_SG_EEENS0_18inequality_wrapperINS9_8equal_toIsEEEEPmJSF_EEE10hipError_tPvRmT3_T4_T5_T6_T7_T9_mT8_P12ihipStream_tbDpT10_ENKUlT_T0_E_clISt17integral_constantIbLb0EES18_EEDaS13_S14_EUlS13_E_NS1_11comp_targetILNS1_3genE3ELNS1_11target_archE908ELNS1_3gpuE7ELNS1_3repE0EEENS1_30default_config_static_selectorELNS0_4arch9wavefront6targetE0EEEvT1_
	.globl	_ZN7rocprim17ROCPRIM_400000_NS6detail17trampoline_kernelINS0_14default_configENS1_25partition_config_selectorILNS1_17partition_subalgoE9EssbEEZZNS1_14partition_implILS5_9ELb0ES3_jN6thrust23THRUST_200600_302600_NS6detail15normal_iteratorINS9_10device_ptrIsEEEESE_PNS0_10empty_typeENS0_5tupleIJSE_SF_EEENSH_IJSE_SG_EEENS0_18inequality_wrapperINS9_8equal_toIsEEEEPmJSF_EEE10hipError_tPvRmT3_T4_T5_T6_T7_T9_mT8_P12ihipStream_tbDpT10_ENKUlT_T0_E_clISt17integral_constantIbLb0EES18_EEDaS13_S14_EUlS13_E_NS1_11comp_targetILNS1_3genE3ELNS1_11target_archE908ELNS1_3gpuE7ELNS1_3repE0EEENS1_30default_config_static_selectorELNS0_4arch9wavefront6targetE0EEEvT1_
	.p2align	8
	.type	_ZN7rocprim17ROCPRIM_400000_NS6detail17trampoline_kernelINS0_14default_configENS1_25partition_config_selectorILNS1_17partition_subalgoE9EssbEEZZNS1_14partition_implILS5_9ELb0ES3_jN6thrust23THRUST_200600_302600_NS6detail15normal_iteratorINS9_10device_ptrIsEEEESE_PNS0_10empty_typeENS0_5tupleIJSE_SF_EEENSH_IJSE_SG_EEENS0_18inequality_wrapperINS9_8equal_toIsEEEEPmJSF_EEE10hipError_tPvRmT3_T4_T5_T6_T7_T9_mT8_P12ihipStream_tbDpT10_ENKUlT_T0_E_clISt17integral_constantIbLb0EES18_EEDaS13_S14_EUlS13_E_NS1_11comp_targetILNS1_3genE3ELNS1_11target_archE908ELNS1_3gpuE7ELNS1_3repE0EEENS1_30default_config_static_selectorELNS0_4arch9wavefront6targetE0EEEvT1_,@function
_ZN7rocprim17ROCPRIM_400000_NS6detail17trampoline_kernelINS0_14default_configENS1_25partition_config_selectorILNS1_17partition_subalgoE9EssbEEZZNS1_14partition_implILS5_9ELb0ES3_jN6thrust23THRUST_200600_302600_NS6detail15normal_iteratorINS9_10device_ptrIsEEEESE_PNS0_10empty_typeENS0_5tupleIJSE_SF_EEENSH_IJSE_SG_EEENS0_18inequality_wrapperINS9_8equal_toIsEEEEPmJSF_EEE10hipError_tPvRmT3_T4_T5_T6_T7_T9_mT8_P12ihipStream_tbDpT10_ENKUlT_T0_E_clISt17integral_constantIbLb0EES18_EEDaS13_S14_EUlS13_E_NS1_11comp_targetILNS1_3genE3ELNS1_11target_archE908ELNS1_3gpuE7ELNS1_3repE0EEENS1_30default_config_static_selectorELNS0_4arch9wavefront6targetE0EEEvT1_: ; @_ZN7rocprim17ROCPRIM_400000_NS6detail17trampoline_kernelINS0_14default_configENS1_25partition_config_selectorILNS1_17partition_subalgoE9EssbEEZZNS1_14partition_implILS5_9ELb0ES3_jN6thrust23THRUST_200600_302600_NS6detail15normal_iteratorINS9_10device_ptrIsEEEESE_PNS0_10empty_typeENS0_5tupleIJSE_SF_EEENSH_IJSE_SG_EEENS0_18inequality_wrapperINS9_8equal_toIsEEEEPmJSF_EEE10hipError_tPvRmT3_T4_T5_T6_T7_T9_mT8_P12ihipStream_tbDpT10_ENKUlT_T0_E_clISt17integral_constantIbLb0EES18_EEDaS13_S14_EUlS13_E_NS1_11comp_targetILNS1_3genE3ELNS1_11target_archE908ELNS1_3gpuE7ELNS1_3repE0EEENS1_30default_config_static_selectorELNS0_4arch9wavefront6targetE0EEEvT1_
; %bb.0:
	.section	.rodata,"a",@progbits
	.p2align	6, 0x0
	.amdhsa_kernel _ZN7rocprim17ROCPRIM_400000_NS6detail17trampoline_kernelINS0_14default_configENS1_25partition_config_selectorILNS1_17partition_subalgoE9EssbEEZZNS1_14partition_implILS5_9ELb0ES3_jN6thrust23THRUST_200600_302600_NS6detail15normal_iteratorINS9_10device_ptrIsEEEESE_PNS0_10empty_typeENS0_5tupleIJSE_SF_EEENSH_IJSE_SG_EEENS0_18inequality_wrapperINS9_8equal_toIsEEEEPmJSF_EEE10hipError_tPvRmT3_T4_T5_T6_T7_T9_mT8_P12ihipStream_tbDpT10_ENKUlT_T0_E_clISt17integral_constantIbLb0EES18_EEDaS13_S14_EUlS13_E_NS1_11comp_targetILNS1_3genE3ELNS1_11target_archE908ELNS1_3gpuE7ELNS1_3repE0EEENS1_30default_config_static_selectorELNS0_4arch9wavefront6targetE0EEEvT1_
		.amdhsa_group_segment_fixed_size 0
		.amdhsa_private_segment_fixed_size 0
		.amdhsa_kernarg_size 112
		.amdhsa_user_sgpr_count 15
		.amdhsa_user_sgpr_dispatch_ptr 0
		.amdhsa_user_sgpr_queue_ptr 0
		.amdhsa_user_sgpr_kernarg_segment_ptr 1
		.amdhsa_user_sgpr_dispatch_id 0
		.amdhsa_user_sgpr_private_segment_size 0
		.amdhsa_wavefront_size32 1
		.amdhsa_uses_dynamic_stack 0
		.amdhsa_enable_private_segment 0
		.amdhsa_system_sgpr_workgroup_id_x 1
		.amdhsa_system_sgpr_workgroup_id_y 0
		.amdhsa_system_sgpr_workgroup_id_z 0
		.amdhsa_system_sgpr_workgroup_info 0
		.amdhsa_system_vgpr_workitem_id 0
		.amdhsa_next_free_vgpr 1
		.amdhsa_next_free_sgpr 1
		.amdhsa_reserve_vcc 0
		.amdhsa_float_round_mode_32 0
		.amdhsa_float_round_mode_16_64 0
		.amdhsa_float_denorm_mode_32 3
		.amdhsa_float_denorm_mode_16_64 3
		.amdhsa_dx10_clamp 1
		.amdhsa_ieee_mode 1
		.amdhsa_fp16_overflow 0
		.amdhsa_workgroup_processor_mode 1
		.amdhsa_memory_ordered 1
		.amdhsa_forward_progress 0
		.amdhsa_shared_vgpr_count 0
		.amdhsa_exception_fp_ieee_invalid_op 0
		.amdhsa_exception_fp_denorm_src 0
		.amdhsa_exception_fp_ieee_div_zero 0
		.amdhsa_exception_fp_ieee_overflow 0
		.amdhsa_exception_fp_ieee_underflow 0
		.amdhsa_exception_fp_ieee_inexact 0
		.amdhsa_exception_int_div_zero 0
	.end_amdhsa_kernel
	.section	.text._ZN7rocprim17ROCPRIM_400000_NS6detail17trampoline_kernelINS0_14default_configENS1_25partition_config_selectorILNS1_17partition_subalgoE9EssbEEZZNS1_14partition_implILS5_9ELb0ES3_jN6thrust23THRUST_200600_302600_NS6detail15normal_iteratorINS9_10device_ptrIsEEEESE_PNS0_10empty_typeENS0_5tupleIJSE_SF_EEENSH_IJSE_SG_EEENS0_18inequality_wrapperINS9_8equal_toIsEEEEPmJSF_EEE10hipError_tPvRmT3_T4_T5_T6_T7_T9_mT8_P12ihipStream_tbDpT10_ENKUlT_T0_E_clISt17integral_constantIbLb0EES18_EEDaS13_S14_EUlS13_E_NS1_11comp_targetILNS1_3genE3ELNS1_11target_archE908ELNS1_3gpuE7ELNS1_3repE0EEENS1_30default_config_static_selectorELNS0_4arch9wavefront6targetE0EEEvT1_,"axG",@progbits,_ZN7rocprim17ROCPRIM_400000_NS6detail17trampoline_kernelINS0_14default_configENS1_25partition_config_selectorILNS1_17partition_subalgoE9EssbEEZZNS1_14partition_implILS5_9ELb0ES3_jN6thrust23THRUST_200600_302600_NS6detail15normal_iteratorINS9_10device_ptrIsEEEESE_PNS0_10empty_typeENS0_5tupleIJSE_SF_EEENSH_IJSE_SG_EEENS0_18inequality_wrapperINS9_8equal_toIsEEEEPmJSF_EEE10hipError_tPvRmT3_T4_T5_T6_T7_T9_mT8_P12ihipStream_tbDpT10_ENKUlT_T0_E_clISt17integral_constantIbLb0EES18_EEDaS13_S14_EUlS13_E_NS1_11comp_targetILNS1_3genE3ELNS1_11target_archE908ELNS1_3gpuE7ELNS1_3repE0EEENS1_30default_config_static_selectorELNS0_4arch9wavefront6targetE0EEEvT1_,comdat
.Lfunc_end472:
	.size	_ZN7rocprim17ROCPRIM_400000_NS6detail17trampoline_kernelINS0_14default_configENS1_25partition_config_selectorILNS1_17partition_subalgoE9EssbEEZZNS1_14partition_implILS5_9ELb0ES3_jN6thrust23THRUST_200600_302600_NS6detail15normal_iteratorINS9_10device_ptrIsEEEESE_PNS0_10empty_typeENS0_5tupleIJSE_SF_EEENSH_IJSE_SG_EEENS0_18inequality_wrapperINS9_8equal_toIsEEEEPmJSF_EEE10hipError_tPvRmT3_T4_T5_T6_T7_T9_mT8_P12ihipStream_tbDpT10_ENKUlT_T0_E_clISt17integral_constantIbLb0EES18_EEDaS13_S14_EUlS13_E_NS1_11comp_targetILNS1_3genE3ELNS1_11target_archE908ELNS1_3gpuE7ELNS1_3repE0EEENS1_30default_config_static_selectorELNS0_4arch9wavefront6targetE0EEEvT1_, .Lfunc_end472-_ZN7rocprim17ROCPRIM_400000_NS6detail17trampoline_kernelINS0_14default_configENS1_25partition_config_selectorILNS1_17partition_subalgoE9EssbEEZZNS1_14partition_implILS5_9ELb0ES3_jN6thrust23THRUST_200600_302600_NS6detail15normal_iteratorINS9_10device_ptrIsEEEESE_PNS0_10empty_typeENS0_5tupleIJSE_SF_EEENSH_IJSE_SG_EEENS0_18inequality_wrapperINS9_8equal_toIsEEEEPmJSF_EEE10hipError_tPvRmT3_T4_T5_T6_T7_T9_mT8_P12ihipStream_tbDpT10_ENKUlT_T0_E_clISt17integral_constantIbLb0EES18_EEDaS13_S14_EUlS13_E_NS1_11comp_targetILNS1_3genE3ELNS1_11target_archE908ELNS1_3gpuE7ELNS1_3repE0EEENS1_30default_config_static_selectorELNS0_4arch9wavefront6targetE0EEEvT1_
                                        ; -- End function
	.section	.AMDGPU.csdata,"",@progbits
; Kernel info:
; codeLenInByte = 0
; NumSgprs: 0
; NumVgprs: 0
; ScratchSize: 0
; MemoryBound: 0
; FloatMode: 240
; IeeeMode: 1
; LDSByteSize: 0 bytes/workgroup (compile time only)
; SGPRBlocks: 0
; VGPRBlocks: 0
; NumSGPRsForWavesPerEU: 1
; NumVGPRsForWavesPerEU: 1
; Occupancy: 16
; WaveLimiterHint : 0
; COMPUTE_PGM_RSRC2:SCRATCH_EN: 0
; COMPUTE_PGM_RSRC2:USER_SGPR: 15
; COMPUTE_PGM_RSRC2:TRAP_HANDLER: 0
; COMPUTE_PGM_RSRC2:TGID_X_EN: 1
; COMPUTE_PGM_RSRC2:TGID_Y_EN: 0
; COMPUTE_PGM_RSRC2:TGID_Z_EN: 0
; COMPUTE_PGM_RSRC2:TIDIG_COMP_CNT: 0
	.section	.text._ZN7rocprim17ROCPRIM_400000_NS6detail17trampoline_kernelINS0_14default_configENS1_25partition_config_selectorILNS1_17partition_subalgoE9EssbEEZZNS1_14partition_implILS5_9ELb0ES3_jN6thrust23THRUST_200600_302600_NS6detail15normal_iteratorINS9_10device_ptrIsEEEESE_PNS0_10empty_typeENS0_5tupleIJSE_SF_EEENSH_IJSE_SG_EEENS0_18inequality_wrapperINS9_8equal_toIsEEEEPmJSF_EEE10hipError_tPvRmT3_T4_T5_T6_T7_T9_mT8_P12ihipStream_tbDpT10_ENKUlT_T0_E_clISt17integral_constantIbLb0EES18_EEDaS13_S14_EUlS13_E_NS1_11comp_targetILNS1_3genE2ELNS1_11target_archE906ELNS1_3gpuE6ELNS1_3repE0EEENS1_30default_config_static_selectorELNS0_4arch9wavefront6targetE0EEEvT1_,"axG",@progbits,_ZN7rocprim17ROCPRIM_400000_NS6detail17trampoline_kernelINS0_14default_configENS1_25partition_config_selectorILNS1_17partition_subalgoE9EssbEEZZNS1_14partition_implILS5_9ELb0ES3_jN6thrust23THRUST_200600_302600_NS6detail15normal_iteratorINS9_10device_ptrIsEEEESE_PNS0_10empty_typeENS0_5tupleIJSE_SF_EEENSH_IJSE_SG_EEENS0_18inequality_wrapperINS9_8equal_toIsEEEEPmJSF_EEE10hipError_tPvRmT3_T4_T5_T6_T7_T9_mT8_P12ihipStream_tbDpT10_ENKUlT_T0_E_clISt17integral_constantIbLb0EES18_EEDaS13_S14_EUlS13_E_NS1_11comp_targetILNS1_3genE2ELNS1_11target_archE906ELNS1_3gpuE6ELNS1_3repE0EEENS1_30default_config_static_selectorELNS0_4arch9wavefront6targetE0EEEvT1_,comdat
	.protected	_ZN7rocprim17ROCPRIM_400000_NS6detail17trampoline_kernelINS0_14default_configENS1_25partition_config_selectorILNS1_17partition_subalgoE9EssbEEZZNS1_14partition_implILS5_9ELb0ES3_jN6thrust23THRUST_200600_302600_NS6detail15normal_iteratorINS9_10device_ptrIsEEEESE_PNS0_10empty_typeENS0_5tupleIJSE_SF_EEENSH_IJSE_SG_EEENS0_18inequality_wrapperINS9_8equal_toIsEEEEPmJSF_EEE10hipError_tPvRmT3_T4_T5_T6_T7_T9_mT8_P12ihipStream_tbDpT10_ENKUlT_T0_E_clISt17integral_constantIbLb0EES18_EEDaS13_S14_EUlS13_E_NS1_11comp_targetILNS1_3genE2ELNS1_11target_archE906ELNS1_3gpuE6ELNS1_3repE0EEENS1_30default_config_static_selectorELNS0_4arch9wavefront6targetE0EEEvT1_ ; -- Begin function _ZN7rocprim17ROCPRIM_400000_NS6detail17trampoline_kernelINS0_14default_configENS1_25partition_config_selectorILNS1_17partition_subalgoE9EssbEEZZNS1_14partition_implILS5_9ELb0ES3_jN6thrust23THRUST_200600_302600_NS6detail15normal_iteratorINS9_10device_ptrIsEEEESE_PNS0_10empty_typeENS0_5tupleIJSE_SF_EEENSH_IJSE_SG_EEENS0_18inequality_wrapperINS9_8equal_toIsEEEEPmJSF_EEE10hipError_tPvRmT3_T4_T5_T6_T7_T9_mT8_P12ihipStream_tbDpT10_ENKUlT_T0_E_clISt17integral_constantIbLb0EES18_EEDaS13_S14_EUlS13_E_NS1_11comp_targetILNS1_3genE2ELNS1_11target_archE906ELNS1_3gpuE6ELNS1_3repE0EEENS1_30default_config_static_selectorELNS0_4arch9wavefront6targetE0EEEvT1_
	.globl	_ZN7rocprim17ROCPRIM_400000_NS6detail17trampoline_kernelINS0_14default_configENS1_25partition_config_selectorILNS1_17partition_subalgoE9EssbEEZZNS1_14partition_implILS5_9ELb0ES3_jN6thrust23THRUST_200600_302600_NS6detail15normal_iteratorINS9_10device_ptrIsEEEESE_PNS0_10empty_typeENS0_5tupleIJSE_SF_EEENSH_IJSE_SG_EEENS0_18inequality_wrapperINS9_8equal_toIsEEEEPmJSF_EEE10hipError_tPvRmT3_T4_T5_T6_T7_T9_mT8_P12ihipStream_tbDpT10_ENKUlT_T0_E_clISt17integral_constantIbLb0EES18_EEDaS13_S14_EUlS13_E_NS1_11comp_targetILNS1_3genE2ELNS1_11target_archE906ELNS1_3gpuE6ELNS1_3repE0EEENS1_30default_config_static_selectorELNS0_4arch9wavefront6targetE0EEEvT1_
	.p2align	8
	.type	_ZN7rocprim17ROCPRIM_400000_NS6detail17trampoline_kernelINS0_14default_configENS1_25partition_config_selectorILNS1_17partition_subalgoE9EssbEEZZNS1_14partition_implILS5_9ELb0ES3_jN6thrust23THRUST_200600_302600_NS6detail15normal_iteratorINS9_10device_ptrIsEEEESE_PNS0_10empty_typeENS0_5tupleIJSE_SF_EEENSH_IJSE_SG_EEENS0_18inequality_wrapperINS9_8equal_toIsEEEEPmJSF_EEE10hipError_tPvRmT3_T4_T5_T6_T7_T9_mT8_P12ihipStream_tbDpT10_ENKUlT_T0_E_clISt17integral_constantIbLb0EES18_EEDaS13_S14_EUlS13_E_NS1_11comp_targetILNS1_3genE2ELNS1_11target_archE906ELNS1_3gpuE6ELNS1_3repE0EEENS1_30default_config_static_selectorELNS0_4arch9wavefront6targetE0EEEvT1_,@function
_ZN7rocprim17ROCPRIM_400000_NS6detail17trampoline_kernelINS0_14default_configENS1_25partition_config_selectorILNS1_17partition_subalgoE9EssbEEZZNS1_14partition_implILS5_9ELb0ES3_jN6thrust23THRUST_200600_302600_NS6detail15normal_iteratorINS9_10device_ptrIsEEEESE_PNS0_10empty_typeENS0_5tupleIJSE_SF_EEENSH_IJSE_SG_EEENS0_18inequality_wrapperINS9_8equal_toIsEEEEPmJSF_EEE10hipError_tPvRmT3_T4_T5_T6_T7_T9_mT8_P12ihipStream_tbDpT10_ENKUlT_T0_E_clISt17integral_constantIbLb0EES18_EEDaS13_S14_EUlS13_E_NS1_11comp_targetILNS1_3genE2ELNS1_11target_archE906ELNS1_3gpuE6ELNS1_3repE0EEENS1_30default_config_static_selectorELNS0_4arch9wavefront6targetE0EEEvT1_: ; @_ZN7rocprim17ROCPRIM_400000_NS6detail17trampoline_kernelINS0_14default_configENS1_25partition_config_selectorILNS1_17partition_subalgoE9EssbEEZZNS1_14partition_implILS5_9ELb0ES3_jN6thrust23THRUST_200600_302600_NS6detail15normal_iteratorINS9_10device_ptrIsEEEESE_PNS0_10empty_typeENS0_5tupleIJSE_SF_EEENSH_IJSE_SG_EEENS0_18inequality_wrapperINS9_8equal_toIsEEEEPmJSF_EEE10hipError_tPvRmT3_T4_T5_T6_T7_T9_mT8_P12ihipStream_tbDpT10_ENKUlT_T0_E_clISt17integral_constantIbLb0EES18_EEDaS13_S14_EUlS13_E_NS1_11comp_targetILNS1_3genE2ELNS1_11target_archE906ELNS1_3gpuE6ELNS1_3repE0EEENS1_30default_config_static_selectorELNS0_4arch9wavefront6targetE0EEEvT1_
; %bb.0:
	.section	.rodata,"a",@progbits
	.p2align	6, 0x0
	.amdhsa_kernel _ZN7rocprim17ROCPRIM_400000_NS6detail17trampoline_kernelINS0_14default_configENS1_25partition_config_selectorILNS1_17partition_subalgoE9EssbEEZZNS1_14partition_implILS5_9ELb0ES3_jN6thrust23THRUST_200600_302600_NS6detail15normal_iteratorINS9_10device_ptrIsEEEESE_PNS0_10empty_typeENS0_5tupleIJSE_SF_EEENSH_IJSE_SG_EEENS0_18inequality_wrapperINS9_8equal_toIsEEEEPmJSF_EEE10hipError_tPvRmT3_T4_T5_T6_T7_T9_mT8_P12ihipStream_tbDpT10_ENKUlT_T0_E_clISt17integral_constantIbLb0EES18_EEDaS13_S14_EUlS13_E_NS1_11comp_targetILNS1_3genE2ELNS1_11target_archE906ELNS1_3gpuE6ELNS1_3repE0EEENS1_30default_config_static_selectorELNS0_4arch9wavefront6targetE0EEEvT1_
		.amdhsa_group_segment_fixed_size 0
		.amdhsa_private_segment_fixed_size 0
		.amdhsa_kernarg_size 112
		.amdhsa_user_sgpr_count 15
		.amdhsa_user_sgpr_dispatch_ptr 0
		.amdhsa_user_sgpr_queue_ptr 0
		.amdhsa_user_sgpr_kernarg_segment_ptr 1
		.amdhsa_user_sgpr_dispatch_id 0
		.amdhsa_user_sgpr_private_segment_size 0
		.amdhsa_wavefront_size32 1
		.amdhsa_uses_dynamic_stack 0
		.amdhsa_enable_private_segment 0
		.amdhsa_system_sgpr_workgroup_id_x 1
		.amdhsa_system_sgpr_workgroup_id_y 0
		.amdhsa_system_sgpr_workgroup_id_z 0
		.amdhsa_system_sgpr_workgroup_info 0
		.amdhsa_system_vgpr_workitem_id 0
		.amdhsa_next_free_vgpr 1
		.amdhsa_next_free_sgpr 1
		.amdhsa_reserve_vcc 0
		.amdhsa_float_round_mode_32 0
		.amdhsa_float_round_mode_16_64 0
		.amdhsa_float_denorm_mode_32 3
		.amdhsa_float_denorm_mode_16_64 3
		.amdhsa_dx10_clamp 1
		.amdhsa_ieee_mode 1
		.amdhsa_fp16_overflow 0
		.amdhsa_workgroup_processor_mode 1
		.amdhsa_memory_ordered 1
		.amdhsa_forward_progress 0
		.amdhsa_shared_vgpr_count 0
		.amdhsa_exception_fp_ieee_invalid_op 0
		.amdhsa_exception_fp_denorm_src 0
		.amdhsa_exception_fp_ieee_div_zero 0
		.amdhsa_exception_fp_ieee_overflow 0
		.amdhsa_exception_fp_ieee_underflow 0
		.amdhsa_exception_fp_ieee_inexact 0
		.amdhsa_exception_int_div_zero 0
	.end_amdhsa_kernel
	.section	.text._ZN7rocprim17ROCPRIM_400000_NS6detail17trampoline_kernelINS0_14default_configENS1_25partition_config_selectorILNS1_17partition_subalgoE9EssbEEZZNS1_14partition_implILS5_9ELb0ES3_jN6thrust23THRUST_200600_302600_NS6detail15normal_iteratorINS9_10device_ptrIsEEEESE_PNS0_10empty_typeENS0_5tupleIJSE_SF_EEENSH_IJSE_SG_EEENS0_18inequality_wrapperINS9_8equal_toIsEEEEPmJSF_EEE10hipError_tPvRmT3_T4_T5_T6_T7_T9_mT8_P12ihipStream_tbDpT10_ENKUlT_T0_E_clISt17integral_constantIbLb0EES18_EEDaS13_S14_EUlS13_E_NS1_11comp_targetILNS1_3genE2ELNS1_11target_archE906ELNS1_3gpuE6ELNS1_3repE0EEENS1_30default_config_static_selectorELNS0_4arch9wavefront6targetE0EEEvT1_,"axG",@progbits,_ZN7rocprim17ROCPRIM_400000_NS6detail17trampoline_kernelINS0_14default_configENS1_25partition_config_selectorILNS1_17partition_subalgoE9EssbEEZZNS1_14partition_implILS5_9ELb0ES3_jN6thrust23THRUST_200600_302600_NS6detail15normal_iteratorINS9_10device_ptrIsEEEESE_PNS0_10empty_typeENS0_5tupleIJSE_SF_EEENSH_IJSE_SG_EEENS0_18inequality_wrapperINS9_8equal_toIsEEEEPmJSF_EEE10hipError_tPvRmT3_T4_T5_T6_T7_T9_mT8_P12ihipStream_tbDpT10_ENKUlT_T0_E_clISt17integral_constantIbLb0EES18_EEDaS13_S14_EUlS13_E_NS1_11comp_targetILNS1_3genE2ELNS1_11target_archE906ELNS1_3gpuE6ELNS1_3repE0EEENS1_30default_config_static_selectorELNS0_4arch9wavefront6targetE0EEEvT1_,comdat
.Lfunc_end473:
	.size	_ZN7rocprim17ROCPRIM_400000_NS6detail17trampoline_kernelINS0_14default_configENS1_25partition_config_selectorILNS1_17partition_subalgoE9EssbEEZZNS1_14partition_implILS5_9ELb0ES3_jN6thrust23THRUST_200600_302600_NS6detail15normal_iteratorINS9_10device_ptrIsEEEESE_PNS0_10empty_typeENS0_5tupleIJSE_SF_EEENSH_IJSE_SG_EEENS0_18inequality_wrapperINS9_8equal_toIsEEEEPmJSF_EEE10hipError_tPvRmT3_T4_T5_T6_T7_T9_mT8_P12ihipStream_tbDpT10_ENKUlT_T0_E_clISt17integral_constantIbLb0EES18_EEDaS13_S14_EUlS13_E_NS1_11comp_targetILNS1_3genE2ELNS1_11target_archE906ELNS1_3gpuE6ELNS1_3repE0EEENS1_30default_config_static_selectorELNS0_4arch9wavefront6targetE0EEEvT1_, .Lfunc_end473-_ZN7rocprim17ROCPRIM_400000_NS6detail17trampoline_kernelINS0_14default_configENS1_25partition_config_selectorILNS1_17partition_subalgoE9EssbEEZZNS1_14partition_implILS5_9ELb0ES3_jN6thrust23THRUST_200600_302600_NS6detail15normal_iteratorINS9_10device_ptrIsEEEESE_PNS0_10empty_typeENS0_5tupleIJSE_SF_EEENSH_IJSE_SG_EEENS0_18inequality_wrapperINS9_8equal_toIsEEEEPmJSF_EEE10hipError_tPvRmT3_T4_T5_T6_T7_T9_mT8_P12ihipStream_tbDpT10_ENKUlT_T0_E_clISt17integral_constantIbLb0EES18_EEDaS13_S14_EUlS13_E_NS1_11comp_targetILNS1_3genE2ELNS1_11target_archE906ELNS1_3gpuE6ELNS1_3repE0EEENS1_30default_config_static_selectorELNS0_4arch9wavefront6targetE0EEEvT1_
                                        ; -- End function
	.section	.AMDGPU.csdata,"",@progbits
; Kernel info:
; codeLenInByte = 0
; NumSgprs: 0
; NumVgprs: 0
; ScratchSize: 0
; MemoryBound: 0
; FloatMode: 240
; IeeeMode: 1
; LDSByteSize: 0 bytes/workgroup (compile time only)
; SGPRBlocks: 0
; VGPRBlocks: 0
; NumSGPRsForWavesPerEU: 1
; NumVGPRsForWavesPerEU: 1
; Occupancy: 16
; WaveLimiterHint : 0
; COMPUTE_PGM_RSRC2:SCRATCH_EN: 0
; COMPUTE_PGM_RSRC2:USER_SGPR: 15
; COMPUTE_PGM_RSRC2:TRAP_HANDLER: 0
; COMPUTE_PGM_RSRC2:TGID_X_EN: 1
; COMPUTE_PGM_RSRC2:TGID_Y_EN: 0
; COMPUTE_PGM_RSRC2:TGID_Z_EN: 0
; COMPUTE_PGM_RSRC2:TIDIG_COMP_CNT: 0
	.section	.text._ZN7rocprim17ROCPRIM_400000_NS6detail17trampoline_kernelINS0_14default_configENS1_25partition_config_selectorILNS1_17partition_subalgoE9EssbEEZZNS1_14partition_implILS5_9ELb0ES3_jN6thrust23THRUST_200600_302600_NS6detail15normal_iteratorINS9_10device_ptrIsEEEESE_PNS0_10empty_typeENS0_5tupleIJSE_SF_EEENSH_IJSE_SG_EEENS0_18inequality_wrapperINS9_8equal_toIsEEEEPmJSF_EEE10hipError_tPvRmT3_T4_T5_T6_T7_T9_mT8_P12ihipStream_tbDpT10_ENKUlT_T0_E_clISt17integral_constantIbLb0EES18_EEDaS13_S14_EUlS13_E_NS1_11comp_targetILNS1_3genE10ELNS1_11target_archE1200ELNS1_3gpuE4ELNS1_3repE0EEENS1_30default_config_static_selectorELNS0_4arch9wavefront6targetE0EEEvT1_,"axG",@progbits,_ZN7rocprim17ROCPRIM_400000_NS6detail17trampoline_kernelINS0_14default_configENS1_25partition_config_selectorILNS1_17partition_subalgoE9EssbEEZZNS1_14partition_implILS5_9ELb0ES3_jN6thrust23THRUST_200600_302600_NS6detail15normal_iteratorINS9_10device_ptrIsEEEESE_PNS0_10empty_typeENS0_5tupleIJSE_SF_EEENSH_IJSE_SG_EEENS0_18inequality_wrapperINS9_8equal_toIsEEEEPmJSF_EEE10hipError_tPvRmT3_T4_T5_T6_T7_T9_mT8_P12ihipStream_tbDpT10_ENKUlT_T0_E_clISt17integral_constantIbLb0EES18_EEDaS13_S14_EUlS13_E_NS1_11comp_targetILNS1_3genE10ELNS1_11target_archE1200ELNS1_3gpuE4ELNS1_3repE0EEENS1_30default_config_static_selectorELNS0_4arch9wavefront6targetE0EEEvT1_,comdat
	.protected	_ZN7rocprim17ROCPRIM_400000_NS6detail17trampoline_kernelINS0_14default_configENS1_25partition_config_selectorILNS1_17partition_subalgoE9EssbEEZZNS1_14partition_implILS5_9ELb0ES3_jN6thrust23THRUST_200600_302600_NS6detail15normal_iteratorINS9_10device_ptrIsEEEESE_PNS0_10empty_typeENS0_5tupleIJSE_SF_EEENSH_IJSE_SG_EEENS0_18inequality_wrapperINS9_8equal_toIsEEEEPmJSF_EEE10hipError_tPvRmT3_T4_T5_T6_T7_T9_mT8_P12ihipStream_tbDpT10_ENKUlT_T0_E_clISt17integral_constantIbLb0EES18_EEDaS13_S14_EUlS13_E_NS1_11comp_targetILNS1_3genE10ELNS1_11target_archE1200ELNS1_3gpuE4ELNS1_3repE0EEENS1_30default_config_static_selectorELNS0_4arch9wavefront6targetE0EEEvT1_ ; -- Begin function _ZN7rocprim17ROCPRIM_400000_NS6detail17trampoline_kernelINS0_14default_configENS1_25partition_config_selectorILNS1_17partition_subalgoE9EssbEEZZNS1_14partition_implILS5_9ELb0ES3_jN6thrust23THRUST_200600_302600_NS6detail15normal_iteratorINS9_10device_ptrIsEEEESE_PNS0_10empty_typeENS0_5tupleIJSE_SF_EEENSH_IJSE_SG_EEENS0_18inequality_wrapperINS9_8equal_toIsEEEEPmJSF_EEE10hipError_tPvRmT3_T4_T5_T6_T7_T9_mT8_P12ihipStream_tbDpT10_ENKUlT_T0_E_clISt17integral_constantIbLb0EES18_EEDaS13_S14_EUlS13_E_NS1_11comp_targetILNS1_3genE10ELNS1_11target_archE1200ELNS1_3gpuE4ELNS1_3repE0EEENS1_30default_config_static_selectorELNS0_4arch9wavefront6targetE0EEEvT1_
	.globl	_ZN7rocprim17ROCPRIM_400000_NS6detail17trampoline_kernelINS0_14default_configENS1_25partition_config_selectorILNS1_17partition_subalgoE9EssbEEZZNS1_14partition_implILS5_9ELb0ES3_jN6thrust23THRUST_200600_302600_NS6detail15normal_iteratorINS9_10device_ptrIsEEEESE_PNS0_10empty_typeENS0_5tupleIJSE_SF_EEENSH_IJSE_SG_EEENS0_18inequality_wrapperINS9_8equal_toIsEEEEPmJSF_EEE10hipError_tPvRmT3_T4_T5_T6_T7_T9_mT8_P12ihipStream_tbDpT10_ENKUlT_T0_E_clISt17integral_constantIbLb0EES18_EEDaS13_S14_EUlS13_E_NS1_11comp_targetILNS1_3genE10ELNS1_11target_archE1200ELNS1_3gpuE4ELNS1_3repE0EEENS1_30default_config_static_selectorELNS0_4arch9wavefront6targetE0EEEvT1_
	.p2align	8
	.type	_ZN7rocprim17ROCPRIM_400000_NS6detail17trampoline_kernelINS0_14default_configENS1_25partition_config_selectorILNS1_17partition_subalgoE9EssbEEZZNS1_14partition_implILS5_9ELb0ES3_jN6thrust23THRUST_200600_302600_NS6detail15normal_iteratorINS9_10device_ptrIsEEEESE_PNS0_10empty_typeENS0_5tupleIJSE_SF_EEENSH_IJSE_SG_EEENS0_18inequality_wrapperINS9_8equal_toIsEEEEPmJSF_EEE10hipError_tPvRmT3_T4_T5_T6_T7_T9_mT8_P12ihipStream_tbDpT10_ENKUlT_T0_E_clISt17integral_constantIbLb0EES18_EEDaS13_S14_EUlS13_E_NS1_11comp_targetILNS1_3genE10ELNS1_11target_archE1200ELNS1_3gpuE4ELNS1_3repE0EEENS1_30default_config_static_selectorELNS0_4arch9wavefront6targetE0EEEvT1_,@function
_ZN7rocprim17ROCPRIM_400000_NS6detail17trampoline_kernelINS0_14default_configENS1_25partition_config_selectorILNS1_17partition_subalgoE9EssbEEZZNS1_14partition_implILS5_9ELb0ES3_jN6thrust23THRUST_200600_302600_NS6detail15normal_iteratorINS9_10device_ptrIsEEEESE_PNS0_10empty_typeENS0_5tupleIJSE_SF_EEENSH_IJSE_SG_EEENS0_18inequality_wrapperINS9_8equal_toIsEEEEPmJSF_EEE10hipError_tPvRmT3_T4_T5_T6_T7_T9_mT8_P12ihipStream_tbDpT10_ENKUlT_T0_E_clISt17integral_constantIbLb0EES18_EEDaS13_S14_EUlS13_E_NS1_11comp_targetILNS1_3genE10ELNS1_11target_archE1200ELNS1_3gpuE4ELNS1_3repE0EEENS1_30default_config_static_selectorELNS0_4arch9wavefront6targetE0EEEvT1_: ; @_ZN7rocprim17ROCPRIM_400000_NS6detail17trampoline_kernelINS0_14default_configENS1_25partition_config_selectorILNS1_17partition_subalgoE9EssbEEZZNS1_14partition_implILS5_9ELb0ES3_jN6thrust23THRUST_200600_302600_NS6detail15normal_iteratorINS9_10device_ptrIsEEEESE_PNS0_10empty_typeENS0_5tupleIJSE_SF_EEENSH_IJSE_SG_EEENS0_18inequality_wrapperINS9_8equal_toIsEEEEPmJSF_EEE10hipError_tPvRmT3_T4_T5_T6_T7_T9_mT8_P12ihipStream_tbDpT10_ENKUlT_T0_E_clISt17integral_constantIbLb0EES18_EEDaS13_S14_EUlS13_E_NS1_11comp_targetILNS1_3genE10ELNS1_11target_archE1200ELNS1_3gpuE4ELNS1_3repE0EEENS1_30default_config_static_selectorELNS0_4arch9wavefront6targetE0EEEvT1_
; %bb.0:
	.section	.rodata,"a",@progbits
	.p2align	6, 0x0
	.amdhsa_kernel _ZN7rocprim17ROCPRIM_400000_NS6detail17trampoline_kernelINS0_14default_configENS1_25partition_config_selectorILNS1_17partition_subalgoE9EssbEEZZNS1_14partition_implILS5_9ELb0ES3_jN6thrust23THRUST_200600_302600_NS6detail15normal_iteratorINS9_10device_ptrIsEEEESE_PNS0_10empty_typeENS0_5tupleIJSE_SF_EEENSH_IJSE_SG_EEENS0_18inequality_wrapperINS9_8equal_toIsEEEEPmJSF_EEE10hipError_tPvRmT3_T4_T5_T6_T7_T9_mT8_P12ihipStream_tbDpT10_ENKUlT_T0_E_clISt17integral_constantIbLb0EES18_EEDaS13_S14_EUlS13_E_NS1_11comp_targetILNS1_3genE10ELNS1_11target_archE1200ELNS1_3gpuE4ELNS1_3repE0EEENS1_30default_config_static_selectorELNS0_4arch9wavefront6targetE0EEEvT1_
		.amdhsa_group_segment_fixed_size 0
		.amdhsa_private_segment_fixed_size 0
		.amdhsa_kernarg_size 112
		.amdhsa_user_sgpr_count 15
		.amdhsa_user_sgpr_dispatch_ptr 0
		.amdhsa_user_sgpr_queue_ptr 0
		.amdhsa_user_sgpr_kernarg_segment_ptr 1
		.amdhsa_user_sgpr_dispatch_id 0
		.amdhsa_user_sgpr_private_segment_size 0
		.amdhsa_wavefront_size32 1
		.amdhsa_uses_dynamic_stack 0
		.amdhsa_enable_private_segment 0
		.amdhsa_system_sgpr_workgroup_id_x 1
		.amdhsa_system_sgpr_workgroup_id_y 0
		.amdhsa_system_sgpr_workgroup_id_z 0
		.amdhsa_system_sgpr_workgroup_info 0
		.amdhsa_system_vgpr_workitem_id 0
		.amdhsa_next_free_vgpr 1
		.amdhsa_next_free_sgpr 1
		.amdhsa_reserve_vcc 0
		.amdhsa_float_round_mode_32 0
		.amdhsa_float_round_mode_16_64 0
		.amdhsa_float_denorm_mode_32 3
		.amdhsa_float_denorm_mode_16_64 3
		.amdhsa_dx10_clamp 1
		.amdhsa_ieee_mode 1
		.amdhsa_fp16_overflow 0
		.amdhsa_workgroup_processor_mode 1
		.amdhsa_memory_ordered 1
		.amdhsa_forward_progress 0
		.amdhsa_shared_vgpr_count 0
		.amdhsa_exception_fp_ieee_invalid_op 0
		.amdhsa_exception_fp_denorm_src 0
		.amdhsa_exception_fp_ieee_div_zero 0
		.amdhsa_exception_fp_ieee_overflow 0
		.amdhsa_exception_fp_ieee_underflow 0
		.amdhsa_exception_fp_ieee_inexact 0
		.amdhsa_exception_int_div_zero 0
	.end_amdhsa_kernel
	.section	.text._ZN7rocprim17ROCPRIM_400000_NS6detail17trampoline_kernelINS0_14default_configENS1_25partition_config_selectorILNS1_17partition_subalgoE9EssbEEZZNS1_14partition_implILS5_9ELb0ES3_jN6thrust23THRUST_200600_302600_NS6detail15normal_iteratorINS9_10device_ptrIsEEEESE_PNS0_10empty_typeENS0_5tupleIJSE_SF_EEENSH_IJSE_SG_EEENS0_18inequality_wrapperINS9_8equal_toIsEEEEPmJSF_EEE10hipError_tPvRmT3_T4_T5_T6_T7_T9_mT8_P12ihipStream_tbDpT10_ENKUlT_T0_E_clISt17integral_constantIbLb0EES18_EEDaS13_S14_EUlS13_E_NS1_11comp_targetILNS1_3genE10ELNS1_11target_archE1200ELNS1_3gpuE4ELNS1_3repE0EEENS1_30default_config_static_selectorELNS0_4arch9wavefront6targetE0EEEvT1_,"axG",@progbits,_ZN7rocprim17ROCPRIM_400000_NS6detail17trampoline_kernelINS0_14default_configENS1_25partition_config_selectorILNS1_17partition_subalgoE9EssbEEZZNS1_14partition_implILS5_9ELb0ES3_jN6thrust23THRUST_200600_302600_NS6detail15normal_iteratorINS9_10device_ptrIsEEEESE_PNS0_10empty_typeENS0_5tupleIJSE_SF_EEENSH_IJSE_SG_EEENS0_18inequality_wrapperINS9_8equal_toIsEEEEPmJSF_EEE10hipError_tPvRmT3_T4_T5_T6_T7_T9_mT8_P12ihipStream_tbDpT10_ENKUlT_T0_E_clISt17integral_constantIbLb0EES18_EEDaS13_S14_EUlS13_E_NS1_11comp_targetILNS1_3genE10ELNS1_11target_archE1200ELNS1_3gpuE4ELNS1_3repE0EEENS1_30default_config_static_selectorELNS0_4arch9wavefront6targetE0EEEvT1_,comdat
.Lfunc_end474:
	.size	_ZN7rocprim17ROCPRIM_400000_NS6detail17trampoline_kernelINS0_14default_configENS1_25partition_config_selectorILNS1_17partition_subalgoE9EssbEEZZNS1_14partition_implILS5_9ELb0ES3_jN6thrust23THRUST_200600_302600_NS6detail15normal_iteratorINS9_10device_ptrIsEEEESE_PNS0_10empty_typeENS0_5tupleIJSE_SF_EEENSH_IJSE_SG_EEENS0_18inequality_wrapperINS9_8equal_toIsEEEEPmJSF_EEE10hipError_tPvRmT3_T4_T5_T6_T7_T9_mT8_P12ihipStream_tbDpT10_ENKUlT_T0_E_clISt17integral_constantIbLb0EES18_EEDaS13_S14_EUlS13_E_NS1_11comp_targetILNS1_3genE10ELNS1_11target_archE1200ELNS1_3gpuE4ELNS1_3repE0EEENS1_30default_config_static_selectorELNS0_4arch9wavefront6targetE0EEEvT1_, .Lfunc_end474-_ZN7rocprim17ROCPRIM_400000_NS6detail17trampoline_kernelINS0_14default_configENS1_25partition_config_selectorILNS1_17partition_subalgoE9EssbEEZZNS1_14partition_implILS5_9ELb0ES3_jN6thrust23THRUST_200600_302600_NS6detail15normal_iteratorINS9_10device_ptrIsEEEESE_PNS0_10empty_typeENS0_5tupleIJSE_SF_EEENSH_IJSE_SG_EEENS0_18inequality_wrapperINS9_8equal_toIsEEEEPmJSF_EEE10hipError_tPvRmT3_T4_T5_T6_T7_T9_mT8_P12ihipStream_tbDpT10_ENKUlT_T0_E_clISt17integral_constantIbLb0EES18_EEDaS13_S14_EUlS13_E_NS1_11comp_targetILNS1_3genE10ELNS1_11target_archE1200ELNS1_3gpuE4ELNS1_3repE0EEENS1_30default_config_static_selectorELNS0_4arch9wavefront6targetE0EEEvT1_
                                        ; -- End function
	.section	.AMDGPU.csdata,"",@progbits
; Kernel info:
; codeLenInByte = 0
; NumSgprs: 0
; NumVgprs: 0
; ScratchSize: 0
; MemoryBound: 0
; FloatMode: 240
; IeeeMode: 1
; LDSByteSize: 0 bytes/workgroup (compile time only)
; SGPRBlocks: 0
; VGPRBlocks: 0
; NumSGPRsForWavesPerEU: 1
; NumVGPRsForWavesPerEU: 1
; Occupancy: 16
; WaveLimiterHint : 0
; COMPUTE_PGM_RSRC2:SCRATCH_EN: 0
; COMPUTE_PGM_RSRC2:USER_SGPR: 15
; COMPUTE_PGM_RSRC2:TRAP_HANDLER: 0
; COMPUTE_PGM_RSRC2:TGID_X_EN: 1
; COMPUTE_PGM_RSRC2:TGID_Y_EN: 0
; COMPUTE_PGM_RSRC2:TGID_Z_EN: 0
; COMPUTE_PGM_RSRC2:TIDIG_COMP_CNT: 0
	.section	.text._ZN7rocprim17ROCPRIM_400000_NS6detail17trampoline_kernelINS0_14default_configENS1_25partition_config_selectorILNS1_17partition_subalgoE9EssbEEZZNS1_14partition_implILS5_9ELb0ES3_jN6thrust23THRUST_200600_302600_NS6detail15normal_iteratorINS9_10device_ptrIsEEEESE_PNS0_10empty_typeENS0_5tupleIJSE_SF_EEENSH_IJSE_SG_EEENS0_18inequality_wrapperINS9_8equal_toIsEEEEPmJSF_EEE10hipError_tPvRmT3_T4_T5_T6_T7_T9_mT8_P12ihipStream_tbDpT10_ENKUlT_T0_E_clISt17integral_constantIbLb0EES18_EEDaS13_S14_EUlS13_E_NS1_11comp_targetILNS1_3genE9ELNS1_11target_archE1100ELNS1_3gpuE3ELNS1_3repE0EEENS1_30default_config_static_selectorELNS0_4arch9wavefront6targetE0EEEvT1_,"axG",@progbits,_ZN7rocprim17ROCPRIM_400000_NS6detail17trampoline_kernelINS0_14default_configENS1_25partition_config_selectorILNS1_17partition_subalgoE9EssbEEZZNS1_14partition_implILS5_9ELb0ES3_jN6thrust23THRUST_200600_302600_NS6detail15normal_iteratorINS9_10device_ptrIsEEEESE_PNS0_10empty_typeENS0_5tupleIJSE_SF_EEENSH_IJSE_SG_EEENS0_18inequality_wrapperINS9_8equal_toIsEEEEPmJSF_EEE10hipError_tPvRmT3_T4_T5_T6_T7_T9_mT8_P12ihipStream_tbDpT10_ENKUlT_T0_E_clISt17integral_constantIbLb0EES18_EEDaS13_S14_EUlS13_E_NS1_11comp_targetILNS1_3genE9ELNS1_11target_archE1100ELNS1_3gpuE3ELNS1_3repE0EEENS1_30default_config_static_selectorELNS0_4arch9wavefront6targetE0EEEvT1_,comdat
	.protected	_ZN7rocprim17ROCPRIM_400000_NS6detail17trampoline_kernelINS0_14default_configENS1_25partition_config_selectorILNS1_17partition_subalgoE9EssbEEZZNS1_14partition_implILS5_9ELb0ES3_jN6thrust23THRUST_200600_302600_NS6detail15normal_iteratorINS9_10device_ptrIsEEEESE_PNS0_10empty_typeENS0_5tupleIJSE_SF_EEENSH_IJSE_SG_EEENS0_18inequality_wrapperINS9_8equal_toIsEEEEPmJSF_EEE10hipError_tPvRmT3_T4_T5_T6_T7_T9_mT8_P12ihipStream_tbDpT10_ENKUlT_T0_E_clISt17integral_constantIbLb0EES18_EEDaS13_S14_EUlS13_E_NS1_11comp_targetILNS1_3genE9ELNS1_11target_archE1100ELNS1_3gpuE3ELNS1_3repE0EEENS1_30default_config_static_selectorELNS0_4arch9wavefront6targetE0EEEvT1_ ; -- Begin function _ZN7rocprim17ROCPRIM_400000_NS6detail17trampoline_kernelINS0_14default_configENS1_25partition_config_selectorILNS1_17partition_subalgoE9EssbEEZZNS1_14partition_implILS5_9ELb0ES3_jN6thrust23THRUST_200600_302600_NS6detail15normal_iteratorINS9_10device_ptrIsEEEESE_PNS0_10empty_typeENS0_5tupleIJSE_SF_EEENSH_IJSE_SG_EEENS0_18inequality_wrapperINS9_8equal_toIsEEEEPmJSF_EEE10hipError_tPvRmT3_T4_T5_T6_T7_T9_mT8_P12ihipStream_tbDpT10_ENKUlT_T0_E_clISt17integral_constantIbLb0EES18_EEDaS13_S14_EUlS13_E_NS1_11comp_targetILNS1_3genE9ELNS1_11target_archE1100ELNS1_3gpuE3ELNS1_3repE0EEENS1_30default_config_static_selectorELNS0_4arch9wavefront6targetE0EEEvT1_
	.globl	_ZN7rocprim17ROCPRIM_400000_NS6detail17trampoline_kernelINS0_14default_configENS1_25partition_config_selectorILNS1_17partition_subalgoE9EssbEEZZNS1_14partition_implILS5_9ELb0ES3_jN6thrust23THRUST_200600_302600_NS6detail15normal_iteratorINS9_10device_ptrIsEEEESE_PNS0_10empty_typeENS0_5tupleIJSE_SF_EEENSH_IJSE_SG_EEENS0_18inequality_wrapperINS9_8equal_toIsEEEEPmJSF_EEE10hipError_tPvRmT3_T4_T5_T6_T7_T9_mT8_P12ihipStream_tbDpT10_ENKUlT_T0_E_clISt17integral_constantIbLb0EES18_EEDaS13_S14_EUlS13_E_NS1_11comp_targetILNS1_3genE9ELNS1_11target_archE1100ELNS1_3gpuE3ELNS1_3repE0EEENS1_30default_config_static_selectorELNS0_4arch9wavefront6targetE0EEEvT1_
	.p2align	8
	.type	_ZN7rocprim17ROCPRIM_400000_NS6detail17trampoline_kernelINS0_14default_configENS1_25partition_config_selectorILNS1_17partition_subalgoE9EssbEEZZNS1_14partition_implILS5_9ELb0ES3_jN6thrust23THRUST_200600_302600_NS6detail15normal_iteratorINS9_10device_ptrIsEEEESE_PNS0_10empty_typeENS0_5tupleIJSE_SF_EEENSH_IJSE_SG_EEENS0_18inequality_wrapperINS9_8equal_toIsEEEEPmJSF_EEE10hipError_tPvRmT3_T4_T5_T6_T7_T9_mT8_P12ihipStream_tbDpT10_ENKUlT_T0_E_clISt17integral_constantIbLb0EES18_EEDaS13_S14_EUlS13_E_NS1_11comp_targetILNS1_3genE9ELNS1_11target_archE1100ELNS1_3gpuE3ELNS1_3repE0EEENS1_30default_config_static_selectorELNS0_4arch9wavefront6targetE0EEEvT1_,@function
_ZN7rocprim17ROCPRIM_400000_NS6detail17trampoline_kernelINS0_14default_configENS1_25partition_config_selectorILNS1_17partition_subalgoE9EssbEEZZNS1_14partition_implILS5_9ELb0ES3_jN6thrust23THRUST_200600_302600_NS6detail15normal_iteratorINS9_10device_ptrIsEEEESE_PNS0_10empty_typeENS0_5tupleIJSE_SF_EEENSH_IJSE_SG_EEENS0_18inequality_wrapperINS9_8equal_toIsEEEEPmJSF_EEE10hipError_tPvRmT3_T4_T5_T6_T7_T9_mT8_P12ihipStream_tbDpT10_ENKUlT_T0_E_clISt17integral_constantIbLb0EES18_EEDaS13_S14_EUlS13_E_NS1_11comp_targetILNS1_3genE9ELNS1_11target_archE1100ELNS1_3gpuE3ELNS1_3repE0EEENS1_30default_config_static_selectorELNS0_4arch9wavefront6targetE0EEEvT1_: ; @_ZN7rocprim17ROCPRIM_400000_NS6detail17trampoline_kernelINS0_14default_configENS1_25partition_config_selectorILNS1_17partition_subalgoE9EssbEEZZNS1_14partition_implILS5_9ELb0ES3_jN6thrust23THRUST_200600_302600_NS6detail15normal_iteratorINS9_10device_ptrIsEEEESE_PNS0_10empty_typeENS0_5tupleIJSE_SF_EEENSH_IJSE_SG_EEENS0_18inequality_wrapperINS9_8equal_toIsEEEEPmJSF_EEE10hipError_tPvRmT3_T4_T5_T6_T7_T9_mT8_P12ihipStream_tbDpT10_ENKUlT_T0_E_clISt17integral_constantIbLb0EES18_EEDaS13_S14_EUlS13_E_NS1_11comp_targetILNS1_3genE9ELNS1_11target_archE1100ELNS1_3gpuE3ELNS1_3repE0EEENS1_30default_config_static_selectorELNS0_4arch9wavefront6targetE0EEEvT1_
; %bb.0:
	s_clause 0x4
	s_load_b128 s[4:7], s[0:1], 0x8
	s_load_b32 s12, s[0:1], 0x68
	s_load_b128 s[16:19], s[0:1], 0x40
	s_load_b64 s[2:3], s[0:1], 0x50
	s_load_b64 s[8:9], s[0:1], 0x18
	s_waitcnt lgkmcnt(0)
	s_lshl_b64 s[10:11], s[6:7], 1
	s_mul_i32 s13, s12, 0x600
	s_add_u32 s22, s4, s10
	s_addc_u32 s23, s5, s11
	s_add_i32 s4, s13, s6
	s_load_b64 s[18:19], s[18:19], 0x0
	s_sub_i32 s20, s2, s4
	s_add_i32 s12, s12, -1
	s_addk_i32 s20, 0x600
	s_add_u32 s4, s6, s13
	s_addc_u32 s5, s7, 0
	s_cmp_eq_u32 s15, s12
	v_cmp_ge_u64_e64 s4, s[4:5], s[2:3]
	s_cselect_b32 s13, -1, 0
	s_mov_b32 s3, 0
	s_mul_i32 s2, s15, 0x600
	s_delay_alu instid0(VALU_DEP_1)
	s_and_b32 s21, s13, s4
	s_lshl_b64 s[4:5], s[2:3], 1
	s_xor_b32 s14, s21, -1
	s_add_u32 s12, s22, s4
	s_addc_u32 s3, s23, s5
	s_and_b32 vcc_lo, exec_lo, s14
	s_mov_b32 s22, -1
	s_cbranch_vccz .LBB475_2
; %bb.1:
	v_lshlrev_b32_e32 v3, 1, v0
	s_mov_b32 s22, 0
	s_delay_alu instid0(VALU_DEP_1) | instskip(NEXT) | instid1(VALU_DEP_1)
	v_add_co_u32 v1, s2, s12, v3
	v_add_co_ci_u32_e64 v2, null, s3, 0, s2
	s_clause 0xb
	flat_load_u16 v4, v[1:2]
	flat_load_u16 v5, v[1:2] offset:256
	flat_load_u16 v6, v[1:2] offset:512
	;; [unrolled: 1-line block ×11, first 2 shown]
	s_waitcnt vmcnt(11) lgkmcnt(0)
	ds_store_b16 v3, v4
	s_waitcnt vmcnt(10)
	ds_store_b16 v3, v5 offset:256
	s_waitcnt vmcnt(9)
	ds_store_b16 v3, v6 offset:512
	;; [unrolled: 2-line block ×11, first 2 shown]
	s_waitcnt lgkmcnt(0)
	s_barrier
.LBB475_2:
	v_cmp_gt_u32_e64 s2, s20, v0
	s_and_not1_b32 vcc_lo, exec_lo, s22
	s_cbranch_vccnz .LBB475_28
; %bb.3:
                                        ; implicit-def: $vgpr1_vgpr2_vgpr3_vgpr4_vgpr5_vgpr6_vgpr7_vgpr8
	s_delay_alu instid0(VALU_DEP_1)
	s_and_saveexec_b32 s22, s2
	s_cbranch_execz .LBB475_5
; %bb.4:
	v_lshlrev_b32_e32 v1, 1, v0
	s_delay_alu instid0(VALU_DEP_1) | instskip(NEXT) | instid1(VALU_DEP_1)
	v_add_co_u32 v1, s2, s12, v1
	v_add_co_ci_u32_e64 v2, null, s3, 0, s2
	flat_load_d16_b16 v1, v[1:2]
.LBB475_5:
	s_or_b32 exec_lo, exec_lo, s22
	v_or_b32_e32 v7, 0x80, v0
	s_mov_b32 s2, exec_lo
	s_delay_alu instid0(VALU_DEP_1)
	v_cmpx_gt_u32_e64 s20, v7
	s_cbranch_execz .LBB475_7
; %bb.6:
	v_lshlrev_b32_e32 v7, 1, v0
	s_delay_alu instid0(VALU_DEP_1) | instskip(NEXT) | instid1(VALU_DEP_1)
	v_add_co_u32 v7, s22, s12, v7
	v_add_co_ci_u32_e64 v8, null, s3, 0, s22
	s_waitcnt vmcnt(0) lgkmcnt(0)
	flat_load_d16_hi_b16 v1, v[7:8] offset:256
.LBB475_7:
	s_or_b32 exec_lo, exec_lo, s2
	v_or_b32_e32 v7, 0x100, v0
	s_mov_b32 s2, exec_lo
	s_delay_alu instid0(VALU_DEP_1)
	v_cmpx_gt_u32_e64 s20, v7
	s_cbranch_execz .LBB475_9
; %bb.8:
	v_lshlrev_b32_e32 v7, 1, v0
	s_delay_alu instid0(VALU_DEP_1) | instskip(NEXT) | instid1(VALU_DEP_1)
	v_add_co_u32 v7, s22, s12, v7
	v_add_co_ci_u32_e64 v8, null, s3, 0, s22
	flat_load_d16_b16 v2, v[7:8] offset:512
.LBB475_9:
	s_or_b32 exec_lo, exec_lo, s2
	v_or_b32_e32 v7, 0x180, v0
	s_mov_b32 s2, exec_lo
	s_delay_alu instid0(VALU_DEP_1)
	v_cmpx_gt_u32_e64 s20, v7
	s_cbranch_execz .LBB475_11
; %bb.10:
	v_lshlrev_b32_e32 v7, 1, v0
	s_delay_alu instid0(VALU_DEP_1) | instskip(NEXT) | instid1(VALU_DEP_1)
	v_add_co_u32 v7, s22, s12, v7
	v_add_co_ci_u32_e64 v8, null, s3, 0, s22
	s_waitcnt vmcnt(0) lgkmcnt(0)
	flat_load_d16_hi_b16 v2, v[7:8] offset:768
.LBB475_11:
	s_or_b32 exec_lo, exec_lo, s2
	v_or_b32_e32 v7, 0x200, v0
	s_mov_b32 s2, exec_lo
	s_delay_alu instid0(VALU_DEP_1)
	v_cmpx_gt_u32_e64 s20, v7
	s_cbranch_execz .LBB475_13
; %bb.12:
	v_lshlrev_b32_e32 v7, 1, v0
	s_delay_alu instid0(VALU_DEP_1) | instskip(NEXT) | instid1(VALU_DEP_1)
	v_add_co_u32 v7, s22, s12, v7
	v_add_co_ci_u32_e64 v8, null, s3, 0, s22
	flat_load_d16_b16 v3, v[7:8] offset:1024
.LBB475_13:
	;; [unrolled: 27-line block ×5, first 2 shown]
	s_or_b32 exec_lo, exec_lo, s2
	v_or_b32_e32 v7, 0x580, v0
	s_mov_b32 s2, exec_lo
	s_delay_alu instid0(VALU_DEP_1)
	v_cmpx_gt_u32_e64 s20, v7
	s_cbranch_execz .LBB475_27
; %bb.26:
	v_lshlrev_b32_e32 v7, 1, v0
	s_delay_alu instid0(VALU_DEP_1) | instskip(NEXT) | instid1(VALU_DEP_1)
	v_add_co_u32 v7, s22, s12, v7
	v_add_co_ci_u32_e64 v8, null, s3, 0, s22
	s_waitcnt vmcnt(0) lgkmcnt(0)
	flat_load_d16_hi_b16 v6, v[7:8] offset:2816
.LBB475_27:
	s_or_b32 exec_lo, exec_lo, s2
	v_lshlrev_b32_e32 v7, 1, v0
	s_waitcnt vmcnt(0) lgkmcnt(0)
	ds_store_b16 v7, v1
	ds_store_b16_d16_hi v7, v1 offset:256
	ds_store_b16 v7, v2 offset:512
	ds_store_b16_d16_hi v7, v2 offset:768
	ds_store_b16 v7, v3 offset:1024
	;; [unrolled: 2-line block ×5, first 2 shown]
	ds_store_b16_d16_hi v7, v6 offset:2816
	s_waitcnt lgkmcnt(0)
	s_barrier
.LBB475_28:
	v_mul_u32_u24_e32 v1, 12, v0
	s_waitcnt lgkmcnt(0)
	buffer_gl0_inv
	s_add_u32 s2, s8, s10
	s_addc_u32 s8, s9, s11
	s_add_u32 s2, s2, s4
	v_lshlrev_b32_e32 v8, 1, v1
	s_addc_u32 s4, s8, s5
	s_and_b32 vcc_lo, exec_lo, s14
	s_mov_b32 s5, -1
	ds_load_2addr_b64 v[18:21], v8 offset1:1
	ds_load_b64 v[27:28], v8 offset:16
	s_waitcnt lgkmcnt(0)
	s_barrier
	buffer_gl0_inv
	s_cbranch_vccz .LBB475_30
; %bb.29:
	v_lshlrev_b32_e32 v4, 1, v0
	s_delay_alu instid0(VALU_DEP_1) | instskip(NEXT) | instid1(VALU_DEP_1)
	v_add_co_u32 v2, s5, s2, v4
	v_add_co_ci_u32_e64 v3, null, s4, 0, s5
	s_mov_b32 s5, 0
	s_clause 0xb
	flat_load_u16 v5, v[2:3]
	flat_load_u16 v6, v[2:3] offset:256
	flat_load_u16 v7, v[2:3] offset:512
	;; [unrolled: 1-line block ×11, first 2 shown]
	s_waitcnt vmcnt(11) lgkmcnt(11)
	ds_store_b16 v4, v5
	s_waitcnt vmcnt(10) lgkmcnt(11)
	ds_store_b16 v4, v6 offset:256
	s_waitcnt vmcnt(9) lgkmcnt(11)
	ds_store_b16 v4, v7 offset:512
	;; [unrolled: 2-line block ×11, first 2 shown]
	s_waitcnt lgkmcnt(0)
	s_barrier
.LBB475_30:
	s_and_not1_b32 vcc_lo, exec_lo, s5
	s_cbranch_vccnz .LBB475_56
; %bb.31:
	s_mov_b32 s5, exec_lo
                                        ; implicit-def: $vgpr2
	v_cmpx_gt_u32_e64 s20, v0
	s_cbranch_execz .LBB475_33
; %bb.32:
	v_lshlrev_b32_e32 v2, 1, v0
	s_delay_alu instid0(VALU_DEP_1) | instskip(NEXT) | instid1(VALU_DEP_1)
	v_add_co_u32 v2, s8, s2, v2
	v_add_co_ci_u32_e64 v3, null, s4, 0, s8
	flat_load_u16 v2, v[2:3]
.LBB475_33:
	s_or_b32 exec_lo, exec_lo, s5
	v_or_b32_e32 v3, 0x80, v0
	s_delay_alu instid0(VALU_DEP_1)
	v_cmp_gt_u32_e32 vcc_lo, s20, v3
                                        ; implicit-def: $vgpr3
	s_and_saveexec_b32 s5, vcc_lo
	s_cbranch_execz .LBB475_35
; %bb.34:
	v_lshlrev_b32_e32 v3, 1, v0
	s_delay_alu instid0(VALU_DEP_1) | instskip(NEXT) | instid1(VALU_DEP_1)
	v_add_co_u32 v3, s8, s2, v3
	v_add_co_ci_u32_e64 v4, null, s4, 0, s8
	flat_load_u16 v3, v[3:4] offset:256
.LBB475_35:
	s_or_b32 exec_lo, exec_lo, s5
	v_or_b32_e32 v4, 0x100, v0
	s_delay_alu instid0(VALU_DEP_1)
	v_cmp_gt_u32_e32 vcc_lo, s20, v4
                                        ; implicit-def: $vgpr4
	s_and_saveexec_b32 s5, vcc_lo
	s_cbranch_execz .LBB475_37
; %bb.36:
	v_lshlrev_b32_e32 v4, 1, v0
	s_delay_alu instid0(VALU_DEP_1) | instskip(NEXT) | instid1(VALU_DEP_1)
	v_add_co_u32 v4, s8, s2, v4
	v_add_co_ci_u32_e64 v5, null, s4, 0, s8
	flat_load_u16 v4, v[4:5] offset:512
.LBB475_37:
	s_or_b32 exec_lo, exec_lo, s5
	v_or_b32_e32 v5, 0x180, v0
	s_delay_alu instid0(VALU_DEP_1)
	v_cmp_gt_u32_e32 vcc_lo, s20, v5
                                        ; implicit-def: $vgpr5
	s_and_saveexec_b32 s5, vcc_lo
	s_cbranch_execz .LBB475_39
; %bb.38:
	v_lshlrev_b32_e32 v5, 1, v0
	s_delay_alu instid0(VALU_DEP_1) | instskip(NEXT) | instid1(VALU_DEP_1)
	v_add_co_u32 v5, s8, s2, v5
	v_add_co_ci_u32_e64 v6, null, s4, 0, s8
	flat_load_u16 v5, v[5:6] offset:768
.LBB475_39:
	s_or_b32 exec_lo, exec_lo, s5
	v_or_b32_e32 v6, 0x200, v0
	s_delay_alu instid0(VALU_DEP_1)
	v_cmp_gt_u32_e32 vcc_lo, s20, v6
                                        ; implicit-def: $vgpr6
	s_and_saveexec_b32 s5, vcc_lo
	s_cbranch_execz .LBB475_41
; %bb.40:
	v_lshlrev_b32_e32 v6, 1, v0
	s_delay_alu instid0(VALU_DEP_1) | instskip(NEXT) | instid1(VALU_DEP_1)
	v_add_co_u32 v6, s8, s2, v6
	v_add_co_ci_u32_e64 v7, null, s4, 0, s8
	flat_load_u16 v6, v[6:7] offset:1024
.LBB475_41:
	s_or_b32 exec_lo, exec_lo, s5
	v_or_b32_e32 v7, 0x280, v0
	s_delay_alu instid0(VALU_DEP_1)
	v_cmp_gt_u32_e32 vcc_lo, s20, v7
                                        ; implicit-def: $vgpr7
	s_and_saveexec_b32 s5, vcc_lo
	s_cbranch_execz .LBB475_43
; %bb.42:
	v_lshlrev_b32_e32 v7, 1, v0
	s_delay_alu instid0(VALU_DEP_1) | instskip(NEXT) | instid1(VALU_DEP_1)
	v_add_co_u32 v9, s8, s2, v7
	v_add_co_ci_u32_e64 v10, null, s4, 0, s8
	flat_load_u16 v7, v[9:10] offset:1280
.LBB475_43:
	s_or_b32 exec_lo, exec_lo, s5
	v_or_b32_e32 v9, 0x300, v0
	s_delay_alu instid0(VALU_DEP_1)
	v_cmp_gt_u32_e32 vcc_lo, s20, v9
                                        ; implicit-def: $vgpr9
	s_and_saveexec_b32 s5, vcc_lo
	s_cbranch_execz .LBB475_45
; %bb.44:
	v_lshlrev_b32_e32 v9, 1, v0
	s_delay_alu instid0(VALU_DEP_1) | instskip(NEXT) | instid1(VALU_DEP_1)
	v_add_co_u32 v9, s8, s2, v9
	v_add_co_ci_u32_e64 v10, null, s4, 0, s8
	flat_load_u16 v9, v[9:10] offset:1536
.LBB475_45:
	s_or_b32 exec_lo, exec_lo, s5
	v_or_b32_e32 v10, 0x380, v0
	s_delay_alu instid0(VALU_DEP_1)
	v_cmp_gt_u32_e32 vcc_lo, s20, v10
                                        ; implicit-def: $vgpr10
	s_and_saveexec_b32 s5, vcc_lo
	s_cbranch_execz .LBB475_47
; %bb.46:
	v_lshlrev_b32_e32 v10, 1, v0
	s_delay_alu instid0(VALU_DEP_1) | instskip(NEXT) | instid1(VALU_DEP_1)
	v_add_co_u32 v10, s8, s2, v10
	v_add_co_ci_u32_e64 v11, null, s4, 0, s8
	flat_load_u16 v10, v[10:11] offset:1792
.LBB475_47:
	s_or_b32 exec_lo, exec_lo, s5
	v_or_b32_e32 v11, 0x400, v0
	s_delay_alu instid0(VALU_DEP_1)
	v_cmp_gt_u32_e32 vcc_lo, s20, v11
                                        ; implicit-def: $vgpr11
	s_and_saveexec_b32 s5, vcc_lo
	s_cbranch_execz .LBB475_49
; %bb.48:
	v_lshlrev_b32_e32 v11, 1, v0
	s_delay_alu instid0(VALU_DEP_1) | instskip(NEXT) | instid1(VALU_DEP_1)
	v_add_co_u32 v11, s8, s2, v11
	v_add_co_ci_u32_e64 v12, null, s4, 0, s8
	flat_load_u16 v11, v[11:12] offset:2048
.LBB475_49:
	s_or_b32 exec_lo, exec_lo, s5
	v_or_b32_e32 v12, 0x480, v0
	s_delay_alu instid0(VALU_DEP_1)
	v_cmp_gt_u32_e32 vcc_lo, s20, v12
                                        ; implicit-def: $vgpr12
	s_and_saveexec_b32 s5, vcc_lo
	s_cbranch_execz .LBB475_51
; %bb.50:
	v_lshlrev_b32_e32 v12, 1, v0
	s_delay_alu instid0(VALU_DEP_1) | instskip(NEXT) | instid1(VALU_DEP_1)
	v_add_co_u32 v12, s8, s2, v12
	v_add_co_ci_u32_e64 v13, null, s4, 0, s8
	flat_load_u16 v12, v[12:13] offset:2304
.LBB475_51:
	s_or_b32 exec_lo, exec_lo, s5
	v_or_b32_e32 v13, 0x500, v0
	s_delay_alu instid0(VALU_DEP_1)
	v_cmp_gt_u32_e32 vcc_lo, s20, v13
                                        ; implicit-def: $vgpr13
	s_and_saveexec_b32 s5, vcc_lo
	s_cbranch_execz .LBB475_53
; %bb.52:
	v_lshlrev_b32_e32 v13, 1, v0
	s_delay_alu instid0(VALU_DEP_1) | instskip(NEXT) | instid1(VALU_DEP_1)
	v_add_co_u32 v13, s8, s2, v13
	v_add_co_ci_u32_e64 v14, null, s4, 0, s8
	flat_load_u16 v13, v[13:14] offset:2560
.LBB475_53:
	s_or_b32 exec_lo, exec_lo, s5
	v_or_b32_e32 v14, 0x580, v0
	s_delay_alu instid0(VALU_DEP_1)
	v_cmp_gt_u32_e32 vcc_lo, s20, v14
                                        ; implicit-def: $vgpr14
	s_and_saveexec_b32 s5, vcc_lo
	s_cbranch_execz .LBB475_55
; %bb.54:
	v_lshlrev_b32_e32 v14, 1, v0
	s_delay_alu instid0(VALU_DEP_1) | instskip(NEXT) | instid1(VALU_DEP_1)
	v_add_co_u32 v14, s2, s2, v14
	v_add_co_ci_u32_e64 v15, null, s4, 0, s2
	flat_load_u16 v14, v[14:15] offset:2816
.LBB475_55:
	s_or_b32 exec_lo, exec_lo, s5
	v_mad_i32_i24 v15, 0xffffffea, v0, v8
	s_waitcnt vmcnt(0) lgkmcnt(0)
	ds_store_b16 v15, v2
	ds_store_b16 v15, v3 offset:256
	ds_store_b16 v15, v4 offset:512
	;; [unrolled: 1-line block ×11, first 2 shown]
	s_waitcnt lgkmcnt(0)
	s_barrier
.LBB475_56:
	buffer_gl0_inv
	ds_load_2addr_b64 v[14:17], v8 offset1:1
	ds_load_b64 v[25:26], v8 offset:16
	s_cmp_lg_u32 s15, 0
	v_lshrrev_b32_e32 v41, 16, v18
	s_cselect_b32 s22, -1, 0
	s_cmp_lg_u64 s[6:7], 0
	v_lshrrev_b32_e32 v40, 16, v19
	s_cselect_b32 s2, -1, 0
	v_lshrrev_b32_e32 v39, 16, v20
	v_lshrrev_b32_e32 v38, 16, v21
	v_or_b32_e32 v12, 1, v1
	v_or_b32_e32 v6, 2, v1
	;; [unrolled: 1-line block ×3, first 2 shown]
	v_add_nc_u32_e32 v7, 4, v1
	v_add_nc_u32_e32 v5, 5, v1
	v_add_nc_u32_e32 v3, 6, v1
	v_add_nc_u32_e32 v2, 7, v1
	v_add_nc_u32_e32 v11, 8, v1
	v_lshrrev_b32_e32 v37, 16, v27
	v_lshrrev_b32_e32 v31, 16, v28
	v_add_nc_u32_e32 v10, 9, v1
	v_add_nc_u32_e32 v8, 10, v1
	;; [unrolled: 1-line block ×3, first 2 shown]
	s_or_b32 s2, s22, s2
	s_mov_b32 s23, 0
	s_and_b32 vcc_lo, exec_lo, s2
	s_waitcnt lgkmcnt(0)
	s_barrier
	buffer_gl0_inv
	s_cbranch_vccz .LBB475_61
; %bb.57:
	v_add_co_u32 v22, s2, -2, s12
	s_delay_alu instid0(VALU_DEP_1)
	v_add_co_ci_u32_e64 v23, null, -1, s3, s2
	v_lshlrev_b32_e32 v29, 1, v0
	s_mov_b32 s3, -1
	s_and_b32 vcc_lo, exec_lo, s14
	flat_load_u16 v13, v[22:23]
	ds_store_b16 v29, v31
	s_cbranch_vccz .LBB475_62
; %bb.58:
	s_waitcnt vmcnt(0) lgkmcnt(1)
	v_mov_b32_e32 v22, v13
	s_mov_b32 s3, 0
	s_mov_b32 s2, exec_lo
	s_waitcnt lgkmcnt(0)
	s_barrier
	buffer_gl0_inv
	v_cmpx_ne_u32_e32 0, v0
	s_cbranch_execz .LBB475_60
; %bb.59:
	v_add_nc_u32_e32 v22, -2, v29
	ds_load_u16 v22, v22
.LBB475_60:
	s_or_b32 exec_lo, exec_lo, s2
	v_cmp_ne_u16_e32 vcc_lo, v28, v31
	s_waitcnt lgkmcnt(0)
	v_cmp_ne_u16_e64 s2, v22, v18
	v_cndmask_b32_e64 v23, 0, 1, vcc_lo
	v_cmp_ne_u16_e32 vcc_lo, v37, v28
	s_delay_alu instid0(VALU_DEP_2) | instskip(SKIP_2) | instid1(VALU_DEP_2)
	v_lshlrev_b16 v23, 8, v23
	v_cndmask_b32_e64 v24, 0, 1, vcc_lo
	v_cmp_ne_u16_e32 vcc_lo, v27, v37
	v_or_b32_e32 v23, v24, v23
	v_cndmask_b32_e64 v30, 0, 1, vcc_lo
	v_cmp_ne_u16_e32 vcc_lo, v38, v27
	s_delay_alu instid0(VALU_DEP_2) | instskip(SKIP_2) | instid1(VALU_DEP_2)
	v_lshlrev_b16 v30, 8, v30
	v_cndmask_b32_e64 v32, 0, 1, vcc_lo
	v_cmp_ne_u16_e32 vcc_lo, v19, v40
	v_or_b32_e32 v30, v32, v30
	v_cndmask_b32_e64 v33, 0, 1, vcc_lo
	v_cmp_ne_u16_e32 vcc_lo, v21, v38
	s_delay_alu instid0(VALU_DEP_3) | instskip(NEXT) | instid1(VALU_DEP_3)
	v_and_b32_e32 v30, 0xffff, v30
	v_lshlrev_b16 v33, 8, v33
	v_cndmask_b32_e64 v34, 0, 1, vcc_lo
	v_cmp_ne_u16_e32 vcc_lo, v41, v19
	s_delay_alu instid0(VALU_DEP_2) | instskip(SKIP_2) | instid1(VALU_DEP_2)
	v_lshlrev_b16 v34, 8, v34
	v_cndmask_b32_e64 v35, 0, 1, vcc_lo
	v_cmp_ne_u16_e32 vcc_lo, v39, v21
	v_or_b32_e32 v33, v35, v33
	v_cndmask_b32_e64 v36, 0, 1, vcc_lo
	v_cmp_ne_u16_e32 vcc_lo, v20, v39
	s_delay_alu instid0(VALU_DEP_3) | instskip(NEXT) | instid1(VALU_DEP_3)
	v_lshlrev_b32_e32 v33, 16, v33
	v_or_b32_e32 v34, v36, v34
	v_cndmask_b32_e64 v42, 0, 1, vcc_lo
	v_cmp_ne_u16_e32 vcc_lo, v40, v20
	s_delay_alu instid0(VALU_DEP_3) | instskip(NEXT) | instid1(VALU_DEP_3)
	v_lshlrev_b32_e32 v34, 16, v34
	v_lshlrev_b16 v42, 8, v42
	v_cndmask_b32_e64 v35, 0, 1, vcc_lo
	v_cmp_ne_u16_e32 vcc_lo, v18, v41
	s_delay_alu instid0(VALU_DEP_2) | instskip(SKIP_1) | instid1(VALU_DEP_2)
	v_or_b32_e32 v35, v35, v42
	v_cndmask_b32_e64 v43, 0, 1, vcc_lo
	v_and_b32_e32 v32, 0xffff, v35
	s_delay_alu instid0(VALU_DEP_2) | instskip(SKIP_1) | instid1(VALU_DEP_3)
	v_lshlrev_b16 v43, 8, v43
	v_lshlrev_b32_e32 v35, 16, v23
	v_or_b32_e32 v23, v32, v34
	s_delay_alu instid0(VALU_DEP_3) | instskip(NEXT) | instid1(VALU_DEP_3)
	v_and_b32_e32 v24, 0xffff, v43
	v_or_b32_e32 v36, v30, v35
	s_delay_alu instid0(VALU_DEP_2)
	v_or_b32_e32 v22, v24, v33
	s_and_b32 vcc_lo, exec_lo, s3
	s_cbranch_vccnz .LBB475_63
	s_branch .LBB475_66
.LBB475_61:
                                        ; implicit-def: $sgpr2
                                        ; implicit-def: $vgpr36
                                        ; implicit-def: $vgpr22_vgpr23_vgpr24
	s_branch .LBB475_67
.LBB475_62:
                                        ; implicit-def: $sgpr2
                                        ; implicit-def: $vgpr36
                                        ; implicit-def: $vgpr22_vgpr23_vgpr24
	s_and_b32 vcc_lo, exec_lo, s3
	s_cbranch_vccz .LBB475_66
.LBB475_63:
	s_mov_b32 s2, exec_lo
	s_waitcnt vmcnt(0) lgkmcnt(0)
	s_barrier
	buffer_gl0_inv
	v_cmpx_ne_u32_e32 0, v0
	s_cbranch_execz .LBB475_65
; %bb.64:
	v_add_nc_u32_e32 v13, -2, v29
	ds_load_u16 v13, v13
.LBB475_65:
	s_or_b32 exec_lo, exec_lo, s2
	v_cmp_gt_u32_e32 vcc_lo, s20, v9
	v_cmp_ne_u16_e64 s2, v28, v31
	v_cmp_gt_u32_e64 s3, s20, v8
	v_cmp_ne_u16_e64 s4, v37, v28
	v_cmp_gt_u32_e64 s5, s20, v10
	v_cmp_ne_u16_e64 s6, v27, v37
	s_and_b32 s2, vcc_lo, s2
	v_cmp_gt_u32_e32 vcc_lo, s20, v11
	v_cndmask_b32_e64 v22, 0, 1, s2
	s_and_b32 s2, s3, s4
	v_cmp_gt_u32_e64 s3, s20, v2
	v_cndmask_b32_e64 v23, 0, 1, s2
	s_and_b32 s2, s5, s6
	v_cmp_ne_u16_e64 s4, v21, v38
	v_cndmask_b32_e64 v24, 0, 1, s2
	v_cmp_ne_u16_e64 s2, v38, v27
	v_cmp_gt_u32_e64 s5, s20, v3
	v_cmp_ne_u16_e64 s6, v39, v21
	v_lshlrev_b16 v22, 8, v22
	v_lshlrev_b16 v24, 8, v24
	s_and_b32 s2, vcc_lo, s2
	v_cmp_gt_u32_e32 vcc_lo, s20, v4
	v_cndmask_b32_e64 v29, 0, 1, s2
	s_and_b32 s2, s3, s4
	v_cmp_gt_u32_e64 s3, s20, v5
	v_cndmask_b32_e64 v30, 0, 1, s2
	s_and_b32 s2, s5, s6
	v_cmp_gt_u32_e64 s5, s20, v6
	v_cndmask_b32_e64 v32, 0, 1, s2
	v_cmp_ne_u16_e64 s2, v19, v40
	v_cmp_ne_u16_e64 s6, v41, v19
	;; [unrolled: 1-line block ×3, first 2 shown]
	v_lshlrev_b16 v30, 8, v30
	v_or_b32_e32 v24, v29, v24
	s_and_b32 s2, vcc_lo, s2
	v_cmp_gt_u32_e32 vcc_lo, s20, v7
	v_cndmask_b32_e64 v33, 0, 1, s2
	v_cmp_ne_u16_e64 s2, v40, v20
	s_and_b32 s5, s5, s6
	v_cmp_ne_u16_e64 s6, v18, v41
	v_cndmask_b32_e64 v34, 0, 1, s5
	v_lshlrev_b16 v33, 8, v33
	v_cmp_gt_u32_e64 s5, s20, v12
	s_and_b32 s3, s3, s4
	s_and_b32 s2, vcc_lo, s2
	v_cndmask_b32_e64 v35, 0, 1, s3
	v_or_b32_e32 v33, v34, v33
	v_cndmask_b32_e64 v34, 0, 1, s2
	s_and_b32 s2, s5, s6
	v_or_b32_e32 v30, v32, v30
	v_cndmask_b32_e64 v36, 0, 1, s2
	v_lshlrev_b16 v35, 8, v35
	v_or_b32_e32 v22, v23, v22
	v_lshlrev_b32_e32 v33, 16, v33
	v_lshlrev_b32_e32 v30, 16, v30
	v_lshlrev_b16 v36, 8, v36
	v_or_b32_e32 v34, v34, v35
	v_and_b32_e32 v24, 0xffff, v24
	v_lshlrev_b32_e32 v32, 16, v22
	v_cmp_gt_u32_e32 vcc_lo, s20, v1
	v_and_b32_e32 v23, 0xffff, v36
	v_and_b32_e32 v29, 0xffff, v34
	s_waitcnt lgkmcnt(0)
	v_cmp_ne_u16_e64 s2, v13, v18
	v_or_b32_e32 v36, v24, v32
	v_or_b32_e32 v22, v23, v33
	;; [unrolled: 1-line block ×3, first 2 shown]
	s_delay_alu instid0(VALU_DEP_4)
	s_and_b32 s2, vcc_lo, s2
.LBB475_66:
	s_mov_b32 s23, -1
	s_cbranch_execnz .LBB475_75
.LBB475_67:
	s_waitcnt vmcnt(0) lgkmcnt(1)
	v_lshlrev_b32_e32 v13, 1, v0
	v_cmp_ne_u16_e64 s8, v28, v31
	v_cmp_ne_u16_e64 s9, v37, v28
	;; [unrolled: 1-line block ×11, first 2 shown]
	s_and_b32 vcc_lo, exec_lo, s14
	ds_store_b16 v13, v31
	s_cbranch_vccz .LBB475_71
; %bb.68:
	v_cndmask_b32_e64 v22, 0, 1, s12
	v_cndmask_b32_e64 v23, 0, 1, s8
	;; [unrolled: 1-line block ×5, first 2 shown]
	v_lshlrev_b16 v22, 8, v22
	v_cndmask_b32_e64 v35, 0, 1, s7
	v_cndmask_b32_e64 v36, 0, 1, s3
	;; [unrolled: 1-line block ×5, first 2 shown]
	v_or_b32_e32 v22, v29, v22
	v_cndmask_b32_e64 v29, 0, 1, s2
	v_lshlrev_b16 v23, 8, v23
	v_lshlrev_b16 v33, 8, v33
	;; [unrolled: 1-line block ×5, first 2 shown]
	v_or_b32_e32 v23, v24, v23
	v_or_b32_e32 v24, v34, v33
	;; [unrolled: 1-line block ×5, first 2 shown]
	v_and_b32_e32 v22, 0xffff, v22
	v_lshlrev_b32_e32 v23, 16, v23
	v_and_b32_e32 v24, 0xffff, v24
	v_lshlrev_b32_e32 v30, 16, v30
	v_lshlrev_b32_e32 v29, 16, v29
	v_and_b32_e32 v32, 0xffff, v32
	v_or_b32_e32 v36, v22, v23
	s_mov_b32 s3, 0
	v_or_b32_e32 v23, v24, v30
	s_mov_b32 s4, exec_lo
	v_or_b32_e32 v22, v32, v29
	s_waitcnt lgkmcnt(0)
	s_barrier
	buffer_gl0_inv
                                        ; implicit-def: $sgpr2
	v_cmpx_ne_u32_e32 0, v0
	s_xor_b32 s4, exec_lo, s4
	s_cbranch_execz .LBB475_70
; %bb.69:
	v_add_nc_u32_e32 v24, -2, v13
	s_or_b32 s23, s23, exec_lo
	ds_load_u16 v24, v24
	s_waitcnt lgkmcnt(0)
	v_cmp_ne_u16_e32 vcc_lo, v24, v18
	s_and_b32 s2, vcc_lo, exec_lo
.LBB475_70:
	s_or_b32 exec_lo, exec_lo, s4
	s_delay_alu instid0(SALU_CYCLE_1)
	s_and_b32 vcc_lo, exec_lo, s3
	s_cbranch_vccnz .LBB475_72
	s_branch .LBB475_75
.LBB475_71:
                                        ; implicit-def: $sgpr2
                                        ; implicit-def: $vgpr36
                                        ; implicit-def: $vgpr22_vgpr23_vgpr24
	s_cbranch_execz .LBB475_75
.LBB475_72:
	v_cmp_gt_u32_e32 vcc_lo, s20, v9
	v_cmp_ne_u16_e64 s2, v28, v31
	v_cmp_gt_u32_e64 s3, s20, v8
	v_cmp_ne_u16_e64 s4, v37, v28
	v_cmp_gt_u32_e64 s5, s20, v2
	v_cmp_ne_u16_e64 s6, v21, v38
	s_and_b32 s2, vcc_lo, s2
	v_cmp_gt_u32_e32 vcc_lo, s20, v10
	v_cndmask_b32_e64 v22, 0, 1, s2
	s_and_b32 s2, s3, s4
	v_cmp_gt_u32_e64 s3, s20, v11
	v_cndmask_b32_e64 v23, 0, 1, s2
	v_cmp_ne_u16_e64 s2, v27, v37
	v_cmp_ne_u16_e64 s4, v38, v27
	v_lshlrev_b16 v22, 8, v22
	s_waitcnt lgkmcnt(0)
	s_barrier
	s_and_b32 s2, vcc_lo, s2
	v_cmp_gt_u32_e32 vcc_lo, s20, v3
	v_cndmask_b32_e64 v24, 0, 1, s2
	s_and_b32 s2, s3, s4
	v_cmp_gt_u32_e64 s3, s20, v5
	v_cndmask_b32_e64 v29, 0, 1, s2
	s_and_b32 s2, s5, s6
	v_cmp_ne_u16_e64 s4, v20, v39
	v_cndmask_b32_e64 v30, 0, 1, s2
	v_cmp_ne_u16_e64 s2, v39, v21
	v_cmp_gt_u32_e64 s5, s20, v7
	v_cmp_ne_u16_e64 s6, v40, v20
	v_lshlrev_b16 v24, 8, v24
	v_lshlrev_b16 v30, 8, v30
	s_and_b32 s2, vcc_lo, s2
	v_cmp_gt_u32_e32 vcc_lo, s20, v4
	v_cndmask_b32_e64 v32, 0, 1, s2
	s_and_b32 s2, s3, s4
	v_cmp_gt_u32_e64 s3, s20, v6
	v_cndmask_b32_e64 v33, 0, 1, s2
	s_and_b32 s2, s5, s6
	v_cmp_ne_u16_e64 s4, v41, v19
	v_cndmask_b32_e64 v34, 0, 1, s2
	v_cmp_ne_u16_e64 s2, v19, v40
	v_cmp_gt_u32_e64 s5, s20, v12
	v_cmp_ne_u16_e64 s6, v18, v41
	v_or_b32_e32 v24, v29, v24
	v_lshlrev_b16 v33, 8, v33
	s_and_b32 s2, vcc_lo, s2
	v_or_b32_e32 v22, v23, v22
	v_cndmask_b32_e64 v35, 0, 1, s2
	s_and_b32 s2, s3, s4
	v_or_b32_e32 v23, v34, v33
	v_cndmask_b32_e64 v29, 0, 1, s2
	s_and_b32 s2, s5, s6
	v_lshlrev_b16 v35, 8, v35
	v_cndmask_b32_e64 v36, 0, 1, s2
	v_or_b32_e32 v30, v32, v30
	v_and_b32_e32 v24, 0xffff, v24
	v_lshlrev_b32_e32 v22, 16, v22
	v_or_b32_e32 v29, v29, v35
	v_lshlrev_b16 v36, 8, v36
	v_and_b32_e32 v23, 0xffff, v23
	v_lshlrev_b32_e32 v30, 16, v30
	s_mov_b32 s3, exec_lo
	v_lshlrev_b32_e32 v29, 16, v29
	v_or_b32_e32 v32, 1, v36
	v_or_b32_e32 v36, v24, v22
	;; [unrolled: 1-line block ×3, first 2 shown]
	buffer_gl0_inv
                                        ; implicit-def: $sgpr2
	v_and_b32_e32 v32, 0xffff, v32
	s_delay_alu instid0(VALU_DEP_1)
	v_or_b32_e32 v22, v32, v29
	v_cmpx_ne_u32_e32 0, v0
	s_cbranch_execz .LBB475_74
; %bb.73:
	v_add_nc_u32_e32 v13, -2, v13
	v_cmp_gt_u32_e32 vcc_lo, s20, v1
	s_or_b32 s23, s23, exec_lo
	ds_load_u16 v13, v13
	s_waitcnt lgkmcnt(0)
	v_cmp_ne_u16_e64 s2, v13, v18
	s_delay_alu instid0(VALU_DEP_1) | instskip(NEXT) | instid1(SALU_CYCLE_1)
	s_and_b32 s2, vcc_lo, s2
	s_and_b32 s2, s2, exec_lo
.LBB475_74:
	s_or_b32 exec_lo, exec_lo, s3
.LBB475_75:
	s_and_saveexec_b32 s3, s23
	s_cbranch_execz .LBB475_77
; %bb.76:
	s_waitcnt vmcnt(0) lgkmcnt(1)
	v_and_b32_e32 v13, 0xffffff00, v22
	v_cndmask_b32_e64 v24, 0, 1, s2
	s_delay_alu instid0(VALU_DEP_1) | instskip(NEXT) | instid1(VALU_DEP_1)
	v_or_b32_e32 v13, v24, v13
	v_and_b32_e32 v13, 0xffff, v13
	s_delay_alu instid0(VALU_DEP_1)
	v_and_or_b32 v22, 0xffff0000, v22, v13
.LBB475_77:
	s_or_b32 exec_lo, exec_lo, s3
	s_load_b64 s[10:11], s[0:1], 0x60
	s_and_not1_b32 vcc_lo, exec_lo, s21
	s_cbranch_vccnz .LBB475_79
; %bb.78:
	v_cmp_gt_u32_e32 vcc_lo, s20, v1
	v_cmp_gt_u32_e64 s3, s20, v6
	v_cmp_gt_u32_e64 s5, s20, v4
	;; [unrolled: 1-line block ×4, first 2 shown]
	v_cndmask_b32_e32 v1, 0, v22, vcc_lo
	v_cmp_gt_u32_e32 vcc_lo, s20, v12
	v_and_b32_e32 v12, 0xffffff00, v23
	v_cmp_gt_u32_e64 s6, s20, v3
	s_delay_alu instid0(VALU_DEP_4) | instskip(NEXT) | instid1(VALU_DEP_3)
	v_and_b32_e32 v1, 0xff, v1
	v_cndmask_b32_e64 v7, v12, v23, s2
	s_delay_alu instid0(VALU_DEP_2) | instskip(SKIP_1) | instid1(VALU_DEP_3)
	v_cndmask_b32_e32 v1, v1, v22, vcc_lo
	v_cmp_gt_u32_e32 vcc_lo, s20, v11
	v_and_b32_e32 v7, 0xffff00ff, v7
	s_delay_alu instid0(VALU_DEP_3) | instskip(SKIP_1) | instid1(VALU_DEP_3)
	v_and_b32_e32 v1, 0xffff, v1
	v_cndmask_b32_e32 v11, 0, v36, vcc_lo
	v_cndmask_b32_e64 v5, v7, v23, s4
	s_delay_alu instid0(VALU_DEP_3) | instskip(SKIP_1) | instid1(VALU_DEP_3)
	v_cndmask_b32_e64 v1, v1, v22, s3
	v_cmp_gt_u32_e64 s3, s20, v10
	v_and_b32_e32 v5, 0xff00ffff, v5
	s_delay_alu instid0(VALU_DEP_3) | instskip(NEXT) | instid1(VALU_DEP_2)
	v_and_b32_e32 v1, 0xffffff, v1
	v_cndmask_b32_e64 v3, v5, v23, s6
	s_delay_alu instid0(VALU_DEP_2) | instskip(SKIP_1) | instid1(VALU_DEP_2)
	v_cndmask_b32_e64 v1, v1, v22, s5
	v_cmp_gt_u32_e64 s5, s20, v8
	v_cndmask_b32_e64 v1, v1, v22, s2
	v_cmp_gt_u32_e64 s2, s20, v9
	s_delay_alu instid0(VALU_DEP_2) | instskip(SKIP_2) | instid1(VALU_DEP_3)
	v_cndmask_b32_e64 v1, v1, v22, s4
	v_cmp_gt_u32_e64 s4, s20, v2
	v_and_b32_e32 v2, 0xffffff, v3
	v_cndmask_b32_e64 v1, v1, v22, s6
	v_and_b32_e32 v11, 0xff, v11
	s_delay_alu instid0(VALU_DEP_1) | instskip(NEXT) | instid1(VALU_DEP_1)
	v_cndmask_b32_e64 v6, v11, v36, s3
	v_and_b32_e32 v6, 0xffff, v6
	s_delay_alu instid0(VALU_DEP_1) | instskip(NEXT) | instid1(VALU_DEP_1)
	v_cndmask_b32_e64 v4, v6, v36, s5
	v_and_b32_e32 v4, 0xffffff, v4
	s_delay_alu instid0(VALU_DEP_1) | instskip(SKIP_1) | instid1(SALU_CYCLE_1)
	v_cndmask_b32_e64 v36, v4, v36, s2
	s_or_b32 s2, s2, s5
	s_or_b32 s2, s2, s3
	s_delay_alu instid0(SALU_CYCLE_1) | instskip(NEXT) | instid1(SALU_CYCLE_1)
	s_or_b32 s2, s2, vcc_lo
	s_or_b32 vcc_lo, s2, s4
	v_dual_cndmask_b32 v22, v1, v22 :: v_dual_cndmask_b32 v23, v2, v23
.LBB475_79:
	s_delay_alu instid0(VALU_DEP_1) | instskip(NEXT) | instid1(VALU_DEP_2)
	v_and_b32_e32 v42, 0xff, v22
	v_alignbit_b32 v1, v23, v22, 24
	v_bfe_u32 v43, v22, 8, 8
	v_bfe_u32 v44, v22, 16, 8
	v_and_b32_e32 v46, 0xff, v23
	v_bfe_u32 v47, v23, 8, 8
	v_and_b32_e32 v45, 0xff, v1
	v_dual_mov_b32 v1, v36 :: v_dual_add_nc_u32 v2, v43, v42
	v_bfe_u32 v48, v23, 16, 8
	v_lshrrev_b32_e32 v24, 24, v23
	v_and_b32_e32 v49, 0xff, v36
	v_mbcnt_lo_u32_b32 v52, -1, 0
	v_add3_u32 v2, v2, v44, v45
	v_bfe_u32 v50, v36, 8, 8
	v_alignbit_b32 v3, s0, v36, 24
	v_bfe_u32 v51, v36, 16, 8
	v_and_b32_e32 v4, 15, v52
	v_add3_u32 v2, v2, v46, v47
	v_or_b32_e32 v5, 31, v0
	v_and_b32_e32 v3, 0xff, v3
	v_and_b32_e32 v6, 16, v52
	v_cmp_eq_u32_e64 s7, 0, v4
	v_add3_u32 v2, v2, v48, v24
	v_cmp_lt_u32_e64 s6, 1, v4
	v_cmp_lt_u32_e64 s5, 3, v4
	;; [unrolled: 1-line block ×3, first 2 shown]
	v_cmp_eq_u32_e64 s3, 0, v6
	v_add3_u32 v2, v2, v49, v50
	v_lshrrev_b32_e32 v53, 5, v0
	v_cmp_eq_u32_e64 s2, v5, v0
	s_and_b32 vcc_lo, exec_lo, s22
	s_mov_b32 s8, -1
	v_add3_u32 v54, v2, v51, v3
	s_waitcnt vmcnt(0) lgkmcnt(0)
	s_barrier
	buffer_gl0_inv
	s_cbranch_vccz .LBB475_105
; %bb.80:
	v_mov_b32_dpp v2, v54 row_shr:1 row_mask:0xf bank_mask:0xf
	s_delay_alu instid0(VALU_DEP_1) | instskip(NEXT) | instid1(VALU_DEP_1)
	v_cndmask_b32_e64 v2, v2, 0, s7
	v_add_nc_u32_e32 v2, v2, v54
	s_delay_alu instid0(VALU_DEP_1) | instskip(NEXT) | instid1(VALU_DEP_1)
	v_mov_b32_dpp v3, v2 row_shr:2 row_mask:0xf bank_mask:0xf
	v_cndmask_b32_e64 v3, 0, v3, s6
	s_delay_alu instid0(VALU_DEP_1) | instskip(NEXT) | instid1(VALU_DEP_1)
	v_add_nc_u32_e32 v2, v2, v3
	v_mov_b32_dpp v3, v2 row_shr:4 row_mask:0xf bank_mask:0xf
	s_delay_alu instid0(VALU_DEP_1) | instskip(NEXT) | instid1(VALU_DEP_1)
	v_cndmask_b32_e64 v3, 0, v3, s5
	v_add_nc_u32_e32 v2, v2, v3
	s_delay_alu instid0(VALU_DEP_1) | instskip(NEXT) | instid1(VALU_DEP_1)
	v_mov_b32_dpp v3, v2 row_shr:8 row_mask:0xf bank_mask:0xf
	v_cndmask_b32_e64 v3, 0, v3, s4
	s_delay_alu instid0(VALU_DEP_1) | instskip(SKIP_3) | instid1(VALU_DEP_1)
	v_add_nc_u32_e32 v2, v2, v3
	ds_swizzle_b32 v3, v2 offset:swizzle(BROADCAST,32,15)
	s_waitcnt lgkmcnt(0)
	v_cndmask_b32_e64 v3, v3, 0, s3
	v_add_nc_u32_e32 v2, v2, v3
	s_and_saveexec_b32 s8, s2
	s_cbranch_execz .LBB475_82
; %bb.81:
	v_lshlrev_b32_e32 v3, 2, v53
	ds_store_b32 v3, v2
.LBB475_82:
	s_or_b32 exec_lo, exec_lo, s8
	s_delay_alu instid0(SALU_CYCLE_1)
	s_mov_b32 s8, exec_lo
	s_waitcnt lgkmcnt(0)
	s_barrier
	buffer_gl0_inv
	v_cmpx_gt_u32_e32 4, v0
	s_cbranch_execz .LBB475_84
; %bb.83:
	v_and_b32_e32 v5, 3, v52
	s_delay_alu instid0(VALU_DEP_1) | instskip(SKIP_4) | instid1(VALU_DEP_1)
	v_cmp_ne_u32_e32 vcc_lo, 0, v5
	v_lshlrev_b32_e32 v3, 2, v0
	ds_load_b32 v4, v3
	s_waitcnt lgkmcnt(0)
	v_mov_b32_dpp v6, v4 row_shr:1 row_mask:0xf bank_mask:0xf
	v_cndmask_b32_e32 v6, 0, v6, vcc_lo
	v_cmp_lt_u32_e32 vcc_lo, 1, v5
	s_delay_alu instid0(VALU_DEP_2) | instskip(NEXT) | instid1(VALU_DEP_1)
	v_add_nc_u32_e32 v4, v6, v4
	v_mov_b32_dpp v6, v4 row_shr:2 row_mask:0xf bank_mask:0xf
	s_delay_alu instid0(VALU_DEP_1) | instskip(NEXT) | instid1(VALU_DEP_1)
	v_cndmask_b32_e32 v5, 0, v6, vcc_lo
	v_add_nc_u32_e32 v4, v4, v5
	ds_store_b32 v3, v4
.LBB475_84:
	s_or_b32 exec_lo, exec_lo, s8
	v_cmp_gt_u32_e32 vcc_lo, 32, v0
	s_mov_b32 s9, exec_lo
	s_waitcnt lgkmcnt(0)
	s_barrier
	buffer_gl0_inv
                                        ; implicit-def: $vgpr10
	v_cmpx_lt_u32_e32 31, v0
	s_cbranch_execz .LBB475_86
; %bb.85:
	v_lshl_add_u32 v3, v53, 2, -4
	ds_load_b32 v10, v3
	s_waitcnt lgkmcnt(0)
	v_add_nc_u32_e32 v2, v10, v2
.LBB475_86:
	s_or_b32 exec_lo, exec_lo, s9
	v_add_nc_u32_e32 v3, -1, v52
	s_delay_alu instid0(VALU_DEP_1) | instskip(NEXT) | instid1(VALU_DEP_1)
	v_cmp_gt_i32_e64 s8, 0, v3
	v_cndmask_b32_e64 v3, v3, v52, s8
	v_cmp_eq_u32_e64 s8, 0, v52
	s_delay_alu instid0(VALU_DEP_2)
	v_lshlrev_b32_e32 v3, 2, v3
	ds_bpermute_b32 v11, v3, v2
	s_and_saveexec_b32 s9, vcc_lo
	s_cbranch_execz .LBB475_104
; %bb.87:
	v_mov_b32_e32 v6, 0
	ds_load_b32 v2, v6 offset:12
	s_and_saveexec_b32 s12, s8
	s_cbranch_execz .LBB475_89
; %bb.88:
	s_add_i32 s20, s15, 32
	s_mov_b32 s21, 0
	v_mov_b32_e32 v3, 1
	s_lshl_b64 s[20:21], s[20:21], 3
	s_delay_alu instid0(SALU_CYCLE_1)
	s_add_u32 s20, s10, s20
	s_addc_u32 s21, s11, s21
	s_waitcnt lgkmcnt(0)
	global_store_b64 v6, v[2:3], s[20:21]
.LBB475_89:
	s_or_b32 exec_lo, exec_lo, s12
	v_xad_u32 v4, v52, -1, s15
	s_mov_b32 s20, 0
	s_mov_b32 s12, exec_lo
	s_delay_alu instid0(VALU_DEP_1) | instskip(NEXT) | instid1(VALU_DEP_1)
	v_add_nc_u32_e32 v5, 32, v4
	v_lshlrev_b64 v[5:6], 3, v[5:6]
	s_delay_alu instid0(VALU_DEP_1) | instskip(NEXT) | instid1(VALU_DEP_2)
	v_add_co_u32 v8, vcc_lo, s10, v5
	v_add_co_ci_u32_e32 v9, vcc_lo, s11, v6, vcc_lo
	global_load_b64 v[6:7], v[8:9], off glc
	s_waitcnt vmcnt(0)
	v_and_b32_e32 v3, 0xff, v7
	s_delay_alu instid0(VALU_DEP_1)
	v_cmpx_eq_u16_e32 0, v3
	s_cbranch_execz .LBB475_92
.LBB475_90:                             ; =>This Inner Loop Header: Depth=1
	global_load_b64 v[6:7], v[8:9], off glc
	s_waitcnt vmcnt(0)
	v_and_b32_e32 v3, 0xff, v7
	s_delay_alu instid0(VALU_DEP_1) | instskip(SKIP_1) | instid1(SALU_CYCLE_1)
	v_cmp_ne_u16_e32 vcc_lo, 0, v3
	s_or_b32 s20, vcc_lo, s20
	s_and_not1_b32 exec_lo, exec_lo, s20
	s_cbranch_execnz .LBB475_90
; %bb.91:
	s_or_b32 exec_lo, exec_lo, s20
.LBB475_92:
	s_delay_alu instid0(SALU_CYCLE_1)
	s_or_b32 exec_lo, exec_lo, s12
	v_cmp_ne_u32_e32 vcc_lo, 31, v52
	v_lshlrev_b32_e64 v13, v52, -1
	v_add_nc_u32_e32 v30, 2, v52
	v_add_nc_u32_e32 v56, 16, v52
	v_add_co_ci_u32_e32 v3, vcc_lo, 0, v52, vcc_lo
	s_delay_alu instid0(VALU_DEP_1)
	v_lshlrev_b32_e32 v12, 2, v3
	v_and_b32_e32 v3, 0xff, v7
	ds_bpermute_b32 v5, v12, v6
	v_cmp_eq_u16_e32 vcc_lo, 2, v3
	v_and_or_b32 v3, vcc_lo, v13, 0x80000000
	v_cmp_gt_u32_e32 vcc_lo, 30, v52
	s_delay_alu instid0(VALU_DEP_2) | instskip(SKIP_1) | instid1(VALU_DEP_2)
	v_ctz_i32_b32_e32 v3, v3
	v_cndmask_b32_e64 v8, 0, 1, vcc_lo
	v_cmp_lt_u32_e32 vcc_lo, v52, v3
	s_waitcnt lgkmcnt(0)
	s_delay_alu instid0(VALU_DEP_2) | instskip(NEXT) | instid1(VALU_DEP_1)
	v_dual_cndmask_b32 v5, 0, v5 :: v_dual_lshlrev_b32 v8, 1, v8
	v_add_lshl_u32 v29, v8, v52, 2
	v_cmp_gt_u32_e32 vcc_lo, 28, v52
	s_delay_alu instid0(VALU_DEP_3) | instskip(SKIP_4) | instid1(VALU_DEP_1)
	v_add_nc_u32_e32 v5, v5, v6
	v_cndmask_b32_e64 v8, 0, 1, vcc_lo
	v_cmp_le_u32_e32 vcc_lo, v30, v3
	ds_bpermute_b32 v6, v29, v5
	v_lshlrev_b32_e32 v8, 2, v8
	v_add_lshl_u32 v32, v8, v52, 2
	s_waitcnt lgkmcnt(0)
	v_cndmask_b32_e32 v6, 0, v6, vcc_lo
	v_cmp_gt_u32_e32 vcc_lo, 24, v52
	s_delay_alu instid0(VALU_DEP_2) | instskip(SKIP_4) | instid1(VALU_DEP_2)
	v_add_nc_u32_e32 v5, v5, v6
	v_cndmask_b32_e64 v8, 0, 1, vcc_lo
	ds_bpermute_b32 v6, v32, v5
	v_add_nc_u32_e32 v33, 4, v52
	v_lshlrev_b32_e32 v8, 3, v8
	v_cmp_le_u32_e32 vcc_lo, v33, v3
	s_delay_alu instid0(VALU_DEP_2) | instskip(SKIP_3) | instid1(VALU_DEP_2)
	v_add_lshl_u32 v34, v8, v52, 2
	s_waitcnt lgkmcnt(0)
	v_cndmask_b32_e32 v6, 0, v6, vcc_lo
	v_cmp_gt_u32_e32 vcc_lo, 16, v52
	v_add_nc_u32_e32 v5, v5, v6
	v_cndmask_b32_e64 v8, 0, 1, vcc_lo
	ds_bpermute_b32 v6, v34, v5
	v_add_nc_u32_e32 v35, 8, v52
	v_lshlrev_b32_e32 v8, 4, v8
	s_delay_alu instid0(VALU_DEP_2) | instskip(NEXT) | instid1(VALU_DEP_2)
	v_cmp_le_u32_e32 vcc_lo, v35, v3
	v_add_lshl_u32 v55, v8, v52, 2
	s_waitcnt lgkmcnt(0)
	v_cndmask_b32_e32 v6, 0, v6, vcc_lo
	v_cmp_le_u32_e32 vcc_lo, v56, v3
	s_delay_alu instid0(VALU_DEP_2) | instskip(SKIP_3) | instid1(VALU_DEP_1)
	v_add_nc_u32_e32 v5, v5, v6
	ds_bpermute_b32 v6, v55, v5
	s_waitcnt lgkmcnt(0)
	v_cndmask_b32_e32 v3, 0, v6, vcc_lo
	v_dual_mov_b32 v5, 0 :: v_dual_add_nc_u32 v6, v5, v3
	s_branch .LBB475_94
.LBB475_93:                             ;   in Loop: Header=BB475_94 Depth=1
	s_or_b32 exec_lo, exec_lo, s12
	ds_bpermute_b32 v9, v12, v6
	v_and_b32_e32 v8, 0xff, v7
	v_subrev_nc_u32_e32 v4, 32, v4
	s_delay_alu instid0(VALU_DEP_2) | instskip(SKIP_1) | instid1(VALU_DEP_1)
	v_cmp_eq_u16_e32 vcc_lo, 2, v8
	v_and_or_b32 v8, vcc_lo, v13, 0x80000000
	v_ctz_i32_b32_e32 v8, v8
	s_delay_alu instid0(VALU_DEP_1) | instskip(SKIP_3) | instid1(VALU_DEP_2)
	v_cmp_lt_u32_e32 vcc_lo, v52, v8
	s_waitcnt lgkmcnt(0)
	v_cndmask_b32_e32 v9, 0, v9, vcc_lo
	v_cmp_le_u32_e32 vcc_lo, v30, v8
	v_add_nc_u32_e32 v6, v9, v6
	ds_bpermute_b32 v9, v29, v6
	s_waitcnt lgkmcnt(0)
	v_cndmask_b32_e32 v9, 0, v9, vcc_lo
	v_cmp_le_u32_e32 vcc_lo, v33, v8
	s_delay_alu instid0(VALU_DEP_2) | instskip(SKIP_4) | instid1(VALU_DEP_2)
	v_add_nc_u32_e32 v6, v6, v9
	ds_bpermute_b32 v9, v32, v6
	s_waitcnt lgkmcnt(0)
	v_cndmask_b32_e32 v9, 0, v9, vcc_lo
	v_cmp_le_u32_e32 vcc_lo, v35, v8
	v_add_nc_u32_e32 v6, v6, v9
	ds_bpermute_b32 v9, v34, v6
	s_waitcnt lgkmcnt(0)
	v_cndmask_b32_e32 v9, 0, v9, vcc_lo
	v_cmp_le_u32_e32 vcc_lo, v56, v8
	s_delay_alu instid0(VALU_DEP_2) | instskip(SKIP_3) | instid1(VALU_DEP_1)
	v_add_nc_u32_e32 v6, v6, v9
	ds_bpermute_b32 v9, v55, v6
	s_waitcnt lgkmcnt(0)
	v_cndmask_b32_e32 v8, 0, v9, vcc_lo
	v_add3_u32 v6, v8, v3, v6
.LBB475_94:                             ; =>This Loop Header: Depth=1
                                        ;     Child Loop BB475_97 Depth 2
	v_and_b32_e32 v3, 0xff, v7
	s_delay_alu instid0(VALU_DEP_1) | instskip(SKIP_2) | instid1(VALU_DEP_1)
	v_cmp_ne_u16_e32 vcc_lo, 2, v3
	v_cndmask_b32_e64 v3, 0, 1, vcc_lo
	;;#ASMSTART
	;;#ASMEND
	v_cmp_ne_u32_e32 vcc_lo, 0, v3
	v_mov_b32_e32 v3, v6
	s_cmp_lg_u32 vcc_lo, exec_lo
	s_cbranch_scc1 .LBB475_99
; %bb.95:                               ;   in Loop: Header=BB475_94 Depth=1
	v_lshlrev_b64 v[6:7], 3, v[4:5]
	s_mov_b32 s12, exec_lo
	s_delay_alu instid0(VALU_DEP_1) | instskip(NEXT) | instid1(VALU_DEP_2)
	v_add_co_u32 v8, vcc_lo, s10, v6
	v_add_co_ci_u32_e32 v9, vcc_lo, s11, v7, vcc_lo
	global_load_b64 v[6:7], v[8:9], off glc
	s_waitcnt vmcnt(0)
	v_and_b32_e32 v57, 0xff, v7
	s_delay_alu instid0(VALU_DEP_1)
	v_cmpx_eq_u16_e32 0, v57
	s_cbranch_execz .LBB475_93
; %bb.96:                               ;   in Loop: Header=BB475_94 Depth=1
	s_mov_b32 s20, 0
.LBB475_97:                             ;   Parent Loop BB475_94 Depth=1
                                        ; =>  This Inner Loop Header: Depth=2
	global_load_b64 v[6:7], v[8:9], off glc
	s_waitcnt vmcnt(0)
	v_and_b32_e32 v57, 0xff, v7
	s_delay_alu instid0(VALU_DEP_1) | instskip(SKIP_1) | instid1(SALU_CYCLE_1)
	v_cmp_ne_u16_e32 vcc_lo, 0, v57
	s_or_b32 s20, vcc_lo, s20
	s_and_not1_b32 exec_lo, exec_lo, s20
	s_cbranch_execnz .LBB475_97
; %bb.98:                               ;   in Loop: Header=BB475_94 Depth=1
	s_or_b32 exec_lo, exec_lo, s20
	s_branch .LBB475_93
.LBB475_99:                             ;   in Loop: Header=BB475_94 Depth=1
                                        ; implicit-def: $vgpr6
                                        ; implicit-def: $vgpr7
	s_cbranch_execz .LBB475_94
; %bb.100:
	s_and_saveexec_b32 s12, s8
	s_cbranch_execz .LBB475_102
; %bb.101:
	s_add_i32 s20, s15, 32
	s_mov_b32 s21, 0
	v_dual_mov_b32 v5, 2 :: v_dual_add_nc_u32 v4, v3, v2
	s_lshl_b64 s[20:21], s[20:21], 3
	v_mov_b32_e32 v6, 0
	s_add_u32 s20, s10, s20
	s_addc_u32 s21, s11, s21
	global_store_b64 v6, v[4:5], s[20:21]
	ds_store_b64 v6, v[2:3] offset:3072
.LBB475_102:
	s_or_b32 exec_lo, exec_lo, s12
	v_cmp_eq_u32_e32 vcc_lo, 0, v0
	s_and_b32 exec_lo, exec_lo, vcc_lo
	s_cbranch_execz .LBB475_104
; %bb.103:
	v_mov_b32_e32 v2, 0
	ds_store_b32 v2, v3 offset:12
.LBB475_104:
	s_or_b32 exec_lo, exec_lo, s9
	s_waitcnt lgkmcnt(0)
	v_cndmask_b32_e64 v3, v11, v10, s8
	v_cmp_ne_u32_e32 vcc_lo, 0, v0
	v_mov_b32_e32 v12, 0
	s_waitcnt_vscnt null, 0x0
	s_barrier
	buffer_gl0_inv
	v_cndmask_b32_e32 v3, 0, v3, vcc_lo
	ds_load_b32 v2, v12 offset:12
	s_waitcnt lgkmcnt(0)
	s_barrier
	buffer_gl0_inv
	ds_load_b64 v[29:30], v12 offset:3072
	v_add_nc_u32_e32 v2, v2, v3
	s_delay_alu instid0(VALU_DEP_1) | instskip(NEXT) | instid1(VALU_DEP_1)
	v_add_nc_u32_e32 v3, v2, v42
	v_add_nc_u32_e32 v4, v3, v43
	s_delay_alu instid0(VALU_DEP_1) | instskip(NEXT) | instid1(VALU_DEP_1)
	v_add_nc_u32_e32 v5, v4, v44
	;; [unrolled: 3-line block ×5, first 2 shown]
	v_add_nc_u32_e32 v12, v11, v50
	s_delay_alu instid0(VALU_DEP_1)
	v_add_nc_u32_e32 v13, v12, v51
	v_lshrrev_b64 v[34:35], 24, v[22:23]
	v_lshrrev_b64 v[32:33], 24, v[1:2]
	s_branch .LBB475_115
.LBB475_105:
                                        ; implicit-def: $vgpr30
                                        ; implicit-def: $vgpr2_vgpr3_vgpr4_vgpr5_vgpr6_vgpr7_vgpr8_vgpr9_vgpr10_vgpr11_vgpr12_vgpr13
                                        ; implicit-def: $vgpr29
	v_lshrrev_b64 v[34:35], 24, v[22:23]
	v_lshrrev_b64 v[32:33], 24, v[1:2]
	s_and_b32 vcc_lo, exec_lo, s8
	s_cbranch_vccz .LBB475_115
; %bb.106:
	v_mov_b32_dpp v1, v54 row_shr:1 row_mask:0xf bank_mask:0xf
	s_delay_alu instid0(VALU_DEP_1) | instskip(NEXT) | instid1(VALU_DEP_1)
	v_cndmask_b32_e64 v1, v1, 0, s7
	v_add_nc_u32_e32 v1, v1, v54
	s_delay_alu instid0(VALU_DEP_1) | instskip(NEXT) | instid1(VALU_DEP_1)
	v_mov_b32_dpp v2, v1 row_shr:2 row_mask:0xf bank_mask:0xf
	v_cndmask_b32_e64 v2, 0, v2, s6
	s_delay_alu instid0(VALU_DEP_1) | instskip(NEXT) | instid1(VALU_DEP_1)
	v_add_nc_u32_e32 v1, v1, v2
	v_mov_b32_dpp v2, v1 row_shr:4 row_mask:0xf bank_mask:0xf
	s_delay_alu instid0(VALU_DEP_1) | instskip(NEXT) | instid1(VALU_DEP_1)
	v_cndmask_b32_e64 v2, 0, v2, s5
	v_add_nc_u32_e32 v1, v1, v2
	s_delay_alu instid0(VALU_DEP_1) | instskip(NEXT) | instid1(VALU_DEP_1)
	v_mov_b32_dpp v2, v1 row_shr:8 row_mask:0xf bank_mask:0xf
	v_cndmask_b32_e64 v2, 0, v2, s4
	s_delay_alu instid0(VALU_DEP_1) | instskip(SKIP_3) | instid1(VALU_DEP_1)
	v_add_nc_u32_e32 v1, v1, v2
	ds_swizzle_b32 v2, v1 offset:swizzle(BROADCAST,32,15)
	s_waitcnt lgkmcnt(0)
	v_cndmask_b32_e64 v2, v2, 0, s3
	v_add_nc_u32_e32 v1, v1, v2
	s_and_saveexec_b32 s3, s2
	s_cbranch_execz .LBB475_108
; %bb.107:
	v_lshlrev_b32_e32 v2, 2, v53
	ds_store_b32 v2, v1
.LBB475_108:
	s_or_b32 exec_lo, exec_lo, s3
	s_delay_alu instid0(SALU_CYCLE_1)
	s_mov_b32 s2, exec_lo
	s_waitcnt lgkmcnt(0)
	s_barrier
	buffer_gl0_inv
	v_cmpx_gt_u32_e32 4, v0
	s_cbranch_execz .LBB475_110
; %bb.109:
	v_and_b32_e32 v4, 3, v52
	s_delay_alu instid0(VALU_DEP_1) | instskip(SKIP_4) | instid1(VALU_DEP_1)
	v_cmp_ne_u32_e32 vcc_lo, 0, v4
	v_lshlrev_b32_e32 v2, 2, v0
	ds_load_b32 v3, v2
	s_waitcnt lgkmcnt(0)
	v_mov_b32_dpp v5, v3 row_shr:1 row_mask:0xf bank_mask:0xf
	v_cndmask_b32_e32 v5, 0, v5, vcc_lo
	v_cmp_lt_u32_e32 vcc_lo, 1, v4
	s_delay_alu instid0(VALU_DEP_2) | instskip(NEXT) | instid1(VALU_DEP_1)
	v_add_nc_u32_e32 v3, v5, v3
	v_mov_b32_dpp v5, v3 row_shr:2 row_mask:0xf bank_mask:0xf
	s_delay_alu instid0(VALU_DEP_1) | instskip(NEXT) | instid1(VALU_DEP_1)
	v_cndmask_b32_e32 v4, 0, v5, vcc_lo
	v_add_nc_u32_e32 v3, v3, v4
	ds_store_b32 v2, v3
.LBB475_110:
	s_or_b32 exec_lo, exec_lo, s2
	v_dual_mov_b32 v3, 0 :: v_dual_mov_b32 v2, 0
	s_mov_b32 s2, exec_lo
	s_waitcnt lgkmcnt(0)
	s_barrier
	buffer_gl0_inv
	v_cmpx_lt_u32_e32 31, v0
	s_cbranch_execz .LBB475_112
; %bb.111:
	v_lshl_add_u32 v2, v53, 2, -4
	ds_load_b32 v2, v2
.LBB475_112:
	s_or_b32 exec_lo, exec_lo, s2
	v_add_nc_u32_e32 v4, -1, v52
	ds_load_b32 v29, v3 offset:12
	s_waitcnt lgkmcnt(1)
	v_add_nc_u32_e32 v1, v2, v1
	v_cmp_gt_i32_e32 vcc_lo, 0, v4
	v_cndmask_b32_e32 v4, v4, v52, vcc_lo
	v_cmp_eq_u32_e32 vcc_lo, 0, v0
	s_delay_alu instid0(VALU_DEP_2)
	v_lshlrev_b32_e32 v4, 2, v4
	ds_bpermute_b32 v1, v4, v1
	s_and_saveexec_b32 s2, vcc_lo
	s_cbranch_execz .LBB475_114
; %bb.113:
	v_dual_mov_b32 v3, 0 :: v_dual_mov_b32 v30, 2
	s_waitcnt lgkmcnt(1)
	global_store_b64 v3, v[29:30], s[10:11] offset:256
.LBB475_114:
	s_or_b32 exec_lo, exec_lo, s2
	v_cmp_eq_u32_e64 s2, 0, v52
	s_waitcnt lgkmcnt(0)
	s_waitcnt_vscnt null, 0x0
	s_barrier
	buffer_gl0_inv
	v_mov_b32_e32 v30, 0
	v_cndmask_b32_e64 v1, v1, v2, s2
	s_delay_alu instid0(VALU_DEP_1) | instskip(NEXT) | instid1(VALU_DEP_1)
	v_cndmask_b32_e64 v2, v1, 0, vcc_lo
	v_add_nc_u32_e32 v3, v2, v42
	s_delay_alu instid0(VALU_DEP_1) | instskip(NEXT) | instid1(VALU_DEP_1)
	v_add_nc_u32_e32 v4, v3, v43
	v_add_nc_u32_e32 v5, v4, v44
	s_delay_alu instid0(VALU_DEP_1) | instskip(NEXT) | instid1(VALU_DEP_1)
	v_add_nc_u32_e32 v6, v5, v45
	;; [unrolled: 3-line block ×5, first 2 shown]
	v_add_nc_u32_e32 v13, v12, v51
.LBB475_115:
	s_load_b128 s[4:7], s[0:1], 0x28
	s_waitcnt lgkmcnt(0)
	v_add_nc_u32_e32 v46, v30, v29
	v_cmp_gt_u32_e64 s0, 0x81, v29
	v_lshrrev_b32_e32 v33, 16, v36
	v_lshrrev_b32_e32 v44, 16, v22
	;; [unrolled: 1-line block ×6, first 2 shown]
	v_cmp_lt_u32_e64 s1, v2, v46
	s_and_b32 vcc_lo, exec_lo, s0
	s_mov_b32 s2, -1
	s_cbranch_vccz .LBB475_153
; %bb.116:
	s_lshl_b64 s[2:3], s[18:19], 1
	s_delay_alu instid0(SALU_CYCLE_1) | instskip(SKIP_2) | instid1(SALU_CYCLE_1)
	s_add_u32 s2, s4, s2
	s_addc_u32 s3, s5, s3
	s_or_b32 s8, s14, s1
	s_and_saveexec_b32 s1, s8
	s_cbranch_execz .LBB475_119
; %bb.117:
	v_and_b32_e32 v1, 1, v22
	s_delay_alu instid0(VALU_DEP_1)
	v_cmp_eq_u32_e32 vcc_lo, 1, v1
	s_and_b32 exec_lo, exec_lo, vcc_lo
	s_cbranch_execz .LBB475_119
; %bb.118:
	v_dual_mov_b32 v48, 0 :: v_dual_mov_b32 v47, v2
	s_delay_alu instid0(VALU_DEP_1) | instskip(NEXT) | instid1(VALU_DEP_1)
	v_lshlrev_b64 v[47:48], 1, v[47:48]
	v_add_co_u32 v47, vcc_lo, s2, v47
	s_delay_alu instid0(VALU_DEP_2)
	v_add_co_ci_u32_e32 v48, vcc_lo, s3, v48, vcc_lo
	global_store_b16 v[47:48], v18, off
.LBB475_119:
	s_or_b32 exec_lo, exec_lo, s1
	v_cmp_lt_u32_e32 vcc_lo, v3, v46
	s_or_b32 s8, s14, vcc_lo
	s_delay_alu instid0(SALU_CYCLE_1)
	s_and_saveexec_b32 s1, s8
	s_cbranch_execz .LBB475_122
; %bb.120:
	v_and_b32_e32 v1, 1, v45
	s_delay_alu instid0(VALU_DEP_1)
	v_cmp_eq_u32_e32 vcc_lo, 1, v1
	s_and_b32 exec_lo, exec_lo, vcc_lo
	s_cbranch_execz .LBB475_122
; %bb.121:
	v_dual_mov_b32 v48, 0 :: v_dual_mov_b32 v47, v3
	s_delay_alu instid0(VALU_DEP_1) | instskip(NEXT) | instid1(VALU_DEP_1)
	v_lshlrev_b64 v[47:48], 1, v[47:48]
	v_add_co_u32 v47, vcc_lo, s2, v47
	s_delay_alu instid0(VALU_DEP_2)
	v_add_co_ci_u32_e32 v48, vcc_lo, s3, v48, vcc_lo
	global_store_b16 v[47:48], v41, off
.LBB475_122:
	s_or_b32 exec_lo, exec_lo, s1
	v_cmp_lt_u32_e32 vcc_lo, v4, v46
	s_or_b32 s8, s14, vcc_lo
	s_delay_alu instid0(SALU_CYCLE_1)
	;; [unrolled: 21-line block ×11, first 2 shown]
	s_and_saveexec_b32 s1, s8
	s_cbranch_execz .LBB475_152
; %bb.150:
	v_and_b32_e32 v1, 1, v32
	s_delay_alu instid0(VALU_DEP_1)
	v_cmp_eq_u32_e32 vcc_lo, 1, v1
	s_and_b32 exec_lo, exec_lo, vcc_lo
	s_cbranch_execz .LBB475_152
; %bb.151:
	v_dual_mov_b32 v48, 0 :: v_dual_mov_b32 v47, v13
	s_delay_alu instid0(VALU_DEP_1) | instskip(NEXT) | instid1(VALU_DEP_1)
	v_lshlrev_b64 v[47:48], 1, v[47:48]
	v_add_co_u32 v47, vcc_lo, s2, v47
	s_delay_alu instid0(VALU_DEP_2)
	v_add_co_ci_u32_e32 v48, vcc_lo, s3, v48, vcc_lo
	global_store_b16 v[47:48], v31, off
.LBB475_152:
	s_or_b32 exec_lo, exec_lo, s1
	s_mov_b32 s2, 0
.LBB475_153:
	v_and_b32_e32 v22, 1, v22
	s_and_b32 vcc_lo, exec_lo, s2
	s_delay_alu instid0(VALU_DEP_1)
	v_cmp_eq_u32_e64 s1, 1, v22
	s_cbranch_vccz .LBB475_194
; %bb.154:
	s_delay_alu instid0(VALU_DEP_1)
	s_and_saveexec_b32 s2, s1
	s_cbranch_execz .LBB475_156
; %bb.155:
	v_sub_nc_u32_e32 v1, v2, v30
	s_delay_alu instid0(VALU_DEP_1)
	v_lshlrev_b32_e32 v1, 1, v1
	ds_store_b16 v1, v18
.LBB475_156:
	s_or_b32 exec_lo, exec_lo, s2
	v_and_b32_e32 v1, 1, v45
	s_mov_b32 s1, exec_lo
	s_delay_alu instid0(VALU_DEP_1)
	v_cmpx_eq_u32_e32 1, v1
	s_cbranch_execz .LBB475_158
; %bb.157:
	v_sub_nc_u32_e32 v1, v3, v30
	s_delay_alu instid0(VALU_DEP_1)
	v_lshlrev_b32_e32 v1, 1, v1
	ds_store_b16 v1, v41
.LBB475_158:
	s_or_b32 exec_lo, exec_lo, s1
	v_and_b32_e32 v1, 1, v44
	s_mov_b32 s1, exec_lo
	s_delay_alu instid0(VALU_DEP_1)
	v_cmpx_eq_u32_e32 1, v1
	;; [unrolled: 12-line block ×11, first 2 shown]
	s_cbranch_execz .LBB475_178
; %bb.177:
	v_sub_nc_u32_e32 v1, v13, v30
	s_delay_alu instid0(VALU_DEP_1)
	v_lshlrev_b32_e32 v1, 1, v1
	ds_store_b16 v1, v31
.LBB475_178:
	s_or_b32 exec_lo, exec_lo, s1
	s_delay_alu instid0(SALU_CYCLE_1)
	s_mov_b32 s3, exec_lo
	s_waitcnt lgkmcnt(0)
	s_waitcnt_vscnt null, 0x0
	s_barrier
	buffer_gl0_inv
	v_cmpx_lt_u32_e64 v0, v29
	s_cbranch_execz .LBB475_193
; %bb.179:
	v_mov_b32_e32 v31, 0
	s_lshl_b64 s[8:9], s[18:19], 1
	v_xad_u32 v1, v0, -1, v29
	s_add_u32 s2, s4, s8
	s_addc_u32 s4, s5, s9
	v_lshlrev_b64 v[18:19], 1, v[30:31]
	s_delay_alu instid0(VALU_DEP_2) | instskip(NEXT) | instid1(VALU_DEP_2)
	v_cmp_gt_u32_e32 vcc_lo, 0xc80, v1
	v_add_co_u32 v27, s2, s2, v18
	v_mov_b32_e32 v18, v0
	s_delay_alu instid0(VALU_DEP_4)
	v_add_co_ci_u32_e64 v28, s2, s4, v19, s2
	s_mov_b32 s2, -1
	s_mov_b32 s4, exec_lo
	v_cmpx_lt_u32_e32 0xc7f, v1
	s_cbranch_execz .LBB475_190
; %bb.180:
	v_sub_nc_u32_e32 v18, v0, v29
	s_delay_alu instid0(VALU_DEP_1) | instskip(NEXT) | instid1(VALU_DEP_1)
	v_or_b32_e32 v18, 0x7f, v18
	v_cmp_ge_u32_e64 s1, v18, v0
	v_mov_b32_e32 v18, v0
	s_delay_alu instid0(VALU_DEP_2)
	s_and_saveexec_b32 s5, s1
	s_cbranch_execz .LBB475_189
; %bb.181:
	v_lshrrev_b32_e32 v31, 7, v1
	v_or_b32_e32 v1, 0x80, v0
	s_delay_alu instid0(VALU_DEP_2) | instskip(NEXT) | instid1(VALU_DEP_1)
	v_add_nc_u32_e32 v18, -1, v31
	v_lshrrev_b32_e32 v19, 1, v18
	v_mov_b32_e32 v40, 0
	v_cmp_lt_u32_e64 s1, 13, v18
	s_delay_alu instid0(VALU_DEP_3) | instskip(SKIP_1) | instid1(VALU_DEP_3)
	v_add_nc_u32_e32 v37, 1, v19
	v_dual_mov_b32 v19, v1 :: v_dual_mov_b32 v18, v0
	s_and_saveexec_b32 s2, s1
	s_cbranch_execz .LBB475_185
; %bb.182:
	s_delay_alu instid0(VALU_DEP_2)
	v_dual_mov_b32 v19, v1 :: v_dual_and_b32 v38, -8, v37
	v_mov_b32_e32 v21, 0
	v_dual_mov_b32 v18, v0 :: v_dual_lshlrev_b32 v39, 1, v0
	s_mov_b32 s8, 0
	s_mov_b32 s9, 0
.LBB475_183:                            ; =>This Inner Loop Header: Depth=1
	s_delay_alu instid0(VALU_DEP_1) | instskip(SKIP_2) | instid1(VALU_DEP_3)
	v_dual_mov_b32 v20, v18 :: v_dual_add_nc_u32 v47, 0x100, v19
	v_add_nc_u32_e32 v38, -8, v38
	v_dual_mov_b32 v48, v21 :: v_dual_add_nc_u32 v49, 0x200, v19
	v_lshlrev_b64 v[61:62], 1, v[20:21]
	v_dual_mov_b32 v50, v21 :: v_dual_add_nc_u32 v51, 0x300, v19
	s_delay_alu instid0(VALU_DEP_4) | instskip(NEXT) | instid1(VALU_DEP_4)
	v_cmp_eq_u32_e64 s1, 0, v38
	v_lshlrev_b64 v[47:48], 1, v[47:48]
	v_dual_mov_b32 v52, v21 :: v_dual_add_nc_u32 v53, 0x400, v19
	s_add_i32 s9, s9, 16
	v_lshlrev_b64 v[49:50], 1, v[49:50]
	s_or_b32 s8, s1, s8
	v_add_co_u32 v61, s1, v27, v61
	v_dual_mov_b32 v54, v21 :: v_dual_add_nc_u32 v55, 0x500, v19
	v_add_co_ci_u32_e64 v62, s1, v28, v62, s1
	v_lshlrev_b64 v[51:52], 1, v[51:52]
	v_add_co_u32 v47, s1, v27, v47
	v_dual_mov_b32 v56, v21 :: v_dual_add_nc_u32 v57, 0x600, v19
	v_add_co_ci_u32_e64 v48, s1, v28, v48, s1
	v_lshlrev_b64 v[53:54], 1, v[53:54]
	;; [unrolled: 4-line block ×3, first 2 shown]
	v_add_co_u32 v51, s1, v27, v51
	v_mov_b32_e32 v60, v21
	v_mov_b32_e32 v20, v19
	v_add_co_ci_u32_e64 v52, s1, v28, v52, s1
	v_lshlrev_b64 v[57:58], 1, v[57:58]
	v_add_co_u32 v53, s1, v27, v53
	ds_load_u16 v1, v39
	ds_load_u16 v41, v39 offset:256
	ds_load_u16 v67, v39 offset:512
	;; [unrolled: 1-line block ×7, first 2 shown]
	v_add_co_ci_u32_e64 v54, s1, v28, v54, s1
	ds_load_u16 v73, v39 offset:2048
	ds_load_u16 v74, v39 offset:2304
	;; [unrolled: 1-line block ×8, first 2 shown]
	v_add_nc_u32_e32 v39, 0x1000, v39
	v_lshlrev_b64 v[59:60], 1, v[59:60]
	v_add_co_u32 v55, s1, v27, v55
	v_lshlrev_b64 v[63:64], 1, v[20:21]
	v_add_nc_u32_e32 v20, 0x100, v18
	v_add_co_ci_u32_e64 v56, s1, v28, v56, s1
	v_add_co_u32 v57, s1, v27, v57
	s_delay_alu instid0(VALU_DEP_1)
	v_add_co_ci_u32_e64 v58, s1, v28, v58, s1
	v_add_co_u32 v59, s1, v27, v59
	v_lshlrev_b64 v[65:66], 1, v[20:21]
	v_add_nc_u32_e32 v20, 0x200, v18
	v_add_co_ci_u32_e64 v60, s1, v28, v60, s1
	v_add_co_u32 v63, s1, v27, v63
	s_delay_alu instid0(VALU_DEP_1)
	v_add_co_ci_u32_e64 v64, s1, v28, v64, s1
	s_waitcnt lgkmcnt(15)
	global_store_b16 v[61:62], v1, off
	v_lshlrev_b64 v[61:62], 1, v[20:21]
	v_add_nc_u32_e32 v20, 0x300, v18
	v_add_co_u32 v65, s1, v27, v65
	s_delay_alu instid0(VALU_DEP_1)
	v_add_co_ci_u32_e64 v66, s1, v28, v66, s1
	s_waitcnt lgkmcnt(14)
	global_store_b16 v[63:64], v41, off
	v_lshlrev_b64 v[63:64], 1, v[20:21]
	v_add_nc_u32_e32 v20, 0x400, v18
	s_waitcnt lgkmcnt(13)
	global_store_b16 v[65:66], v67, off
	s_waitcnt lgkmcnt(12)
	global_store_b16 v[47:48], v68, off
	v_add_co_u32 v47, s1, v27, v61
	s_delay_alu instid0(VALU_DEP_1) | instskip(SKIP_3) | instid1(VALU_DEP_1)
	v_add_co_ci_u32_e64 v48, s1, v28, v62, s1
	v_lshlrev_b64 v[61:62], 1, v[20:21]
	v_add_nc_u32_e32 v20, 0x500, v18
	v_add_co_u32 v63, s1, v27, v63
	v_add_co_ci_u32_e64 v64, s1, v28, v64, s1
	s_waitcnt lgkmcnt(11)
	global_store_b16 v[47:48], v69, off
	s_waitcnt lgkmcnt(10)
	global_store_b16 v[49:50], v70, off
	v_lshlrev_b64 v[47:48], 1, v[20:21]
	v_add_nc_u32_e32 v20, 0x600, v18
	v_add_co_u32 v49, s1, v27, v61
	s_waitcnt lgkmcnt(9)
	global_store_b16 v[63:64], v71, off
	s_waitcnt lgkmcnt(8)
	global_store_b16 v[51:52], v72, off
	v_add_co_ci_u32_e64 v50, s1, v28, v62, s1
	v_lshlrev_b64 v[51:52], 1, v[20:21]
	v_add_nc_u32_e32 v20, 0x700, v18
	v_add_co_u32 v47, s1, v27, v47
	s_delay_alu instid0(VALU_DEP_1)
	v_add_co_ci_u32_e64 v48, s1, v28, v48, s1
	s_waitcnt lgkmcnt(7)
	global_store_b16 v[49:50], v73, off
	s_waitcnt lgkmcnt(6)
	global_store_b16 v[53:54], v74, off
	v_lshlrev_b64 v[49:50], 1, v[20:21]
	v_dual_mov_b32 v40, s9 :: v_dual_add_nc_u32 v19, 0x800, v19
	s_waitcnt lgkmcnt(5)
	global_store_b16 v[47:48], v75, off
	v_add_co_u32 v47, s1, v27, v51
	v_add_nc_u32_e32 v18, 0x800, v18
	v_add_co_ci_u32_e64 v48, s1, v28, v52, s1
	v_add_co_u32 v49, s1, v27, v49
	s_delay_alu instid0(VALU_DEP_1)
	v_add_co_ci_u32_e64 v50, s1, v28, v50, s1
	s_waitcnt lgkmcnt(4)
	global_store_b16 v[55:56], v76, off
	s_waitcnt lgkmcnt(3)
	global_store_b16 v[47:48], v77, off
	s_waitcnt lgkmcnt(2)
	global_store_b16 v[57:58], v78, off
	s_waitcnt lgkmcnt(1)
	global_store_b16 v[49:50], v79, off
	s_waitcnt lgkmcnt(0)
	global_store_b16 v[59:60], v80, off
	s_and_not1_b32 exec_lo, exec_lo, s8
	s_cbranch_execnz .LBB475_183
; %bb.184:
	s_or_b32 exec_lo, exec_lo, s8
.LBB475_185:
	s_delay_alu instid0(SALU_CYCLE_1) | instskip(SKIP_3) | instid1(VALU_DEP_1)
	s_or_b32 exec_lo, exec_lo, s2
	v_and_b32_e32 v1, 7, v37
	s_mov_b32 s9, 0
	s_mov_b32 s8, exec_lo
	v_cmpx_ne_u32_e32 0, v1
	s_cbranch_execz .LBB475_188
; %bb.186:
	v_dual_mov_b32 v21, 0 :: v_dual_lshlrev_b32 v20, 1, v0
	s_delay_alu instid0(VALU_DEP_1)
	v_lshl_or_b32 v37, v40, 8, v20
	s_set_inst_prefetch_distance 0x1
	.p2align	6
.LBB475_187:                            ; =>This Inner Loop Header: Depth=1
	v_dual_mov_b32 v20, v18 :: v_dual_add_nc_u32 v1, -1, v1
	ds_load_u16 v47, v37
	ds_load_u16 v48, v37 offset:256
	v_add_nc_u32_e32 v18, 0x100, v18
	v_add_nc_u32_e32 v37, 0x200, v37
	v_lshlrev_b64 v[38:39], 1, v[20:21]
	v_mov_b32_e32 v20, v19
	v_cmp_eq_u32_e64 s1, 0, v1
	v_add_nc_u32_e32 v19, 0x100, v19
	s_delay_alu instid0(VALU_DEP_3) | instskip(SKIP_1) | instid1(VALU_DEP_1)
	v_lshlrev_b64 v[40:41], 1, v[20:21]
	v_add_co_u32 v38, s2, v27, v38
	v_add_co_ci_u32_e64 v39, s2, v28, v39, s2
	s_or_b32 s9, s1, s9
	s_delay_alu instid0(VALU_DEP_3) | instskip(NEXT) | instid1(VALU_DEP_1)
	v_add_co_u32 v40, s2, v27, v40
	v_add_co_ci_u32_e64 v41, s2, v28, v41, s2
	s_waitcnt lgkmcnt(1)
	global_store_b16 v[38:39], v47, off
	s_waitcnt lgkmcnt(0)
	global_store_b16 v[40:41], v48, off
	s_and_not1_b32 exec_lo, exec_lo, s9
	s_cbranch_execnz .LBB475_187
.LBB475_188:
	s_set_inst_prefetch_distance 0x2
	s_or_b32 exec_lo, exec_lo, s8
	v_add_nc_u32_e32 v1, 1, v31
	s_delay_alu instid0(VALU_DEP_1) | instskip(NEXT) | instid1(VALU_DEP_1)
	v_and_b32_e32 v18, 0x3fffffe, v1
	v_cmp_ne_u32_e64 s1, v1, v18
	v_lshl_or_b32 v18, v18, 7, v0
	s_delay_alu instid0(VALU_DEP_2)
	s_or_not1_b32 s2, s1, exec_lo
.LBB475_189:
	s_or_b32 exec_lo, exec_lo, s5
	s_delay_alu instid0(SALU_CYCLE_1) | instskip(SKIP_1) | instid1(SALU_CYCLE_1)
	s_and_not1_b32 s1, vcc_lo, exec_lo
	s_and_b32 s2, s2, exec_lo
	s_or_b32 vcc_lo, s1, s2
.LBB475_190:
	s_or_b32 exec_lo, exec_lo, s4
	s_delay_alu instid0(SALU_CYCLE_1)
	s_and_b32 exec_lo, exec_lo, vcc_lo
	s_cbranch_execz .LBB475_193
; %bb.191:
	v_lshlrev_b32_e32 v1, 1, v18
	v_mov_b32_e32 v19, 0
	s_mov_b32 s2, 0
	.p2align	6
.LBB475_192:                            ; =>This Inner Loop Header: Depth=1
	ds_load_u16 v31, v1
	v_lshlrev_b64 v[20:21], 1, v[18:19]
	v_add_nc_u32_e32 v18, 0x80, v18
	v_add_nc_u32_e32 v1, 0x100, v1
	s_delay_alu instid0(VALU_DEP_2) | instskip(NEXT) | instid1(VALU_DEP_4)
	v_cmp_ge_u32_e32 vcc_lo, v18, v29
	v_add_co_u32 v20, s1, v27, v20
	s_delay_alu instid0(VALU_DEP_1)
	v_add_co_ci_u32_e64 v21, s1, v28, v21, s1
	s_or_b32 s2, vcc_lo, s2
	s_waitcnt lgkmcnt(0)
	global_store_b16 v[20:21], v31, off
	s_and_not1_b32 exec_lo, exec_lo, s2
	s_cbranch_execnz .LBB475_192
.LBB475_193:
	s_or_b32 exec_lo, exec_lo, s3
.LBB475_194:
	v_lshrrev_b32_e32 v27, 16, v14
	v_lshrrev_b32_e32 v21, 16, v15
	v_lshrrev_b32_e32 v20, 16, v16
	v_lshrrev_b32_e32 v19, 16, v17
	v_lshrrev_b32_e32 v18, 16, v25
	v_lshrrev_b32_e32 v1, 16, v26
	s_and_b32 vcc_lo, exec_lo, s0
	s_mov_b32 s0, -1
	s_waitcnt_vscnt null, 0x0
	s_barrier
	buffer_gl0_inv
	s_cbranch_vccnz .LBB475_198
; %bb.195:
	s_and_b32 vcc_lo, exec_lo, s0
	s_cbranch_vccnz .LBB475_235
.LBB475_196:
	v_cmp_eq_u32_e32 vcc_lo, 0, v0
	s_and_b32 s0, vcc_lo, s13
	s_delay_alu instid0(SALU_CYCLE_1)
	s_and_saveexec_b32 s1, s0
	s_cbranch_execnz .LBB475_275
.LBB475_197:
	s_nop 0
	s_sendmsg sendmsg(MSG_DEALLOC_VGPRS)
	s_endpgm
.LBB475_198:
	v_cmp_lt_u32_e32 vcc_lo, v2, v46
	s_lshl_b64 s[0:1], s[18:19], 1
	s_delay_alu instid0(SALU_CYCLE_1) | instskip(SKIP_2) | instid1(SALU_CYCLE_1)
	s_add_u32 s0, s6, s0
	s_addc_u32 s1, s7, s1
	s_or_b32 s3, s14, vcc_lo
	s_and_saveexec_b32 s2, s3
	s_cbranch_execz .LBB475_201
; %bb.199:
	v_cmp_eq_u32_e32 vcc_lo, 1, v22
	s_and_b32 exec_lo, exec_lo, vcc_lo
	s_cbranch_execz .LBB475_201
; %bb.200:
	v_dual_mov_b32 v38, 0 :: v_dual_mov_b32 v37, v2
	s_delay_alu instid0(VALU_DEP_1) | instskip(NEXT) | instid1(VALU_DEP_1)
	v_lshlrev_b64 v[37:38], 1, v[37:38]
	v_add_co_u32 v37, vcc_lo, s0, v37
	s_delay_alu instid0(VALU_DEP_2)
	v_add_co_ci_u32_e32 v38, vcc_lo, s1, v38, vcc_lo
	global_store_b16 v[37:38], v14, off
.LBB475_201:
	s_or_b32 exec_lo, exec_lo, s2
	v_cmp_lt_u32_e32 vcc_lo, v3, v46
	s_or_b32 s3, s14, vcc_lo
	s_delay_alu instid0(SALU_CYCLE_1)
	s_and_saveexec_b32 s2, s3
	s_cbranch_execz .LBB475_204
; %bb.202:
	v_and_b32_e32 v28, 1, v45
	s_delay_alu instid0(VALU_DEP_1)
	v_cmp_eq_u32_e32 vcc_lo, 1, v28
	s_and_b32 exec_lo, exec_lo, vcc_lo
	s_cbranch_execz .LBB475_204
; %bb.203:
	v_dual_mov_b32 v38, 0 :: v_dual_mov_b32 v37, v3
	s_delay_alu instid0(VALU_DEP_1) | instskip(NEXT) | instid1(VALU_DEP_1)
	v_lshlrev_b64 v[37:38], 1, v[37:38]
	v_add_co_u32 v37, vcc_lo, s0, v37
	s_delay_alu instid0(VALU_DEP_2)
	v_add_co_ci_u32_e32 v38, vcc_lo, s1, v38, vcc_lo
	global_store_b16 v[37:38], v27, off
.LBB475_204:
	s_or_b32 exec_lo, exec_lo, s2
	v_cmp_lt_u32_e32 vcc_lo, v4, v46
	s_or_b32 s3, s14, vcc_lo
	s_delay_alu instid0(SALU_CYCLE_1)
	s_and_saveexec_b32 s2, s3
	s_cbranch_execz .LBB475_207
; %bb.205:
	v_and_b32_e32 v28, 1, v44
	s_delay_alu instid0(VALU_DEP_1)
	v_cmp_eq_u32_e32 vcc_lo, 1, v28
	s_and_b32 exec_lo, exec_lo, vcc_lo
	s_cbranch_execz .LBB475_207
; %bb.206:
	v_dual_mov_b32 v38, 0 :: v_dual_mov_b32 v37, v4
	s_delay_alu instid0(VALU_DEP_1) | instskip(NEXT) | instid1(VALU_DEP_1)
	v_lshlrev_b64 v[37:38], 1, v[37:38]
	v_add_co_u32 v37, vcc_lo, s0, v37
	s_delay_alu instid0(VALU_DEP_2)
	v_add_co_ci_u32_e32 v38, vcc_lo, s1, v38, vcc_lo
	global_store_b16 v[37:38], v15, off
.LBB475_207:
	;; [unrolled: 21-line block ×11, first 2 shown]
	s_or_b32 exec_lo, exec_lo, s2
	s_branch .LBB475_196
.LBB475_235:
	s_mov_b32 s0, exec_lo
	v_cmpx_eq_u32_e32 1, v22
	s_cbranch_execz .LBB475_237
; %bb.236:
	v_sub_nc_u32_e32 v2, v2, v30
	s_delay_alu instid0(VALU_DEP_1)
	v_lshlrev_b32_e32 v2, 1, v2
	ds_store_b16 v2, v14
.LBB475_237:
	s_or_b32 exec_lo, exec_lo, s0
	v_and_b32_e32 v2, 1, v45
	s_mov_b32 s0, exec_lo
	s_delay_alu instid0(VALU_DEP_1)
	v_cmpx_eq_u32_e32 1, v2
	s_cbranch_execz .LBB475_239
; %bb.238:
	v_sub_nc_u32_e32 v2, v3, v30
	s_delay_alu instid0(VALU_DEP_1)
	v_lshlrev_b32_e32 v2, 1, v2
	ds_store_b16 v2, v27
.LBB475_239:
	s_or_b32 exec_lo, exec_lo, s0
	v_and_b32_e32 v2, 1, v44
	s_mov_b32 s0, exec_lo
	s_delay_alu instid0(VALU_DEP_1)
	;; [unrolled: 12-line block ×11, first 2 shown]
	v_cmpx_eq_u32_e32 1, v2
	s_cbranch_execz .LBB475_259
; %bb.258:
	v_sub_nc_u32_e32 v2, v13, v30
	s_delay_alu instid0(VALU_DEP_1)
	v_lshlrev_b32_e32 v2, 1, v2
	ds_store_b16 v2, v1
.LBB475_259:
	s_or_b32 exec_lo, exec_lo, s0
	s_delay_alu instid0(SALU_CYCLE_1)
	s_mov_b32 s2, exec_lo
	s_waitcnt lgkmcnt(0)
	s_waitcnt_vscnt null, 0x0
	s_barrier
	buffer_gl0_inv
	v_cmpx_lt_u32_e64 v0, v29
	s_cbranch_execz .LBB475_274
; %bb.260:
	v_mov_b32_e32 v31, 0
	s_lshl_b64 s[0:1], s[18:19], 1
	v_xad_u32 v2, v0, -1, v29
	s_add_u32 s3, s6, s0
	s_addc_u32 s4, s7, s1
	v_lshlrev_b64 v[3:4], 1, v[30:31]
	v_mov_b32_e32 v1, v0
	v_cmp_gt_u32_e32 vcc_lo, 0xc80, v2
	s_delay_alu instid0(VALU_DEP_3) | instskip(NEXT) | instid1(VALU_DEP_1)
	v_add_co_u32 v6, s1, s3, v3
	v_add_co_ci_u32_e64 v7, s1, s4, v4, s1
	s_mov_b32 s1, -1
	s_mov_b32 s3, exec_lo
	v_cmpx_lt_u32_e32 0xc7f, v2
	s_cbranch_execz .LBB475_271
; %bb.261:
	v_sub_nc_u32_e32 v1, v0, v29
	s_delay_alu instid0(VALU_DEP_1) | instskip(NEXT) | instid1(VALU_DEP_1)
	v_or_b32_e32 v1, 0x7f, v1
	v_cmp_ge_u32_e64 s0, v1, v0
	v_mov_b32_e32 v1, v0
	s_delay_alu instid0(VALU_DEP_2)
	s_and_saveexec_b32 s4, s0
	s_cbranch_execz .LBB475_270
; %bb.262:
	v_lshrrev_b32_e32 v8, 7, v2
	v_or_b32_e32 v1, 0x80, v0
	v_lshlrev_b32_e32 v9, 1, v0
	s_delay_alu instid0(VALU_DEP_3) | instskip(NEXT) | instid1(VALU_DEP_1)
	v_dual_mov_b32 v13, 0 :: v_dual_add_nc_u32 v2, -1, v8
	v_lshrrev_b32_e32 v3, 1, v2
	v_cmp_lt_u32_e64 s0, 13, v2
	s_delay_alu instid0(VALU_DEP_2) | instskip(SKIP_1) | instid1(VALU_DEP_3)
	v_dual_mov_b32 v3, v1 :: v_dual_add_nc_u32 v10, 1, v3
	v_mov_b32_e32 v2, v0
	s_and_saveexec_b32 s1, s0
	s_cbranch_execz .LBB475_266
; %bb.263:
	v_mov_b32_e32 v3, v1
	v_dual_mov_b32 v12, v9 :: v_dual_and_b32 v11, -8, v10
	v_dual_mov_b32 v5, 0 :: v_dual_mov_b32 v2, v0
	s_mov_b32 s5, 0
	s_mov_b32 s6, 0
.LBB475_264:                            ; =>This Inner Loop Header: Depth=1
	s_delay_alu instid0(VALU_DEP_1) | instskip(SKIP_2) | instid1(VALU_DEP_3)
	v_dual_mov_b32 v4, v2 :: v_dual_mov_b32 v15, v5
	v_add_nc_u32_e32 v11, -8, v11
	v_dual_mov_b32 v17, v5 :: v_dual_add_nc_u32 v14, 0x100, v3
	v_lshlrev_b64 v[31:32], 1, v[4:5]
	v_dual_mov_b32 v19, v5 :: v_dual_add_nc_u32 v16, 0x200, v3
	v_mov_b32_e32 v4, v3
	v_cmp_eq_u32_e64 s0, 0, v11
	v_lshlrev_b64 v[14:15], 1, v[14:15]
	v_dual_mov_b32 v21, v5 :: v_dual_add_nc_u32 v18, 0x300, v3
	s_add_i32 s6, s6, 16
	v_lshlrev_b64 v[16:17], 1, v[16:17]
	s_or_b32 s5, s0, s5
	v_add_co_u32 v31, s0, v6, v31
	v_dual_mov_b32 v23, v5 :: v_dual_add_nc_u32 v20, 0x400, v3
	v_add_co_ci_u32_e64 v32, s0, v7, v32, s0
	v_lshlrev_b64 v[18:19], 1, v[18:19]
	v_add_co_u32 v14, s0, v6, v14
	v_dual_mov_b32 v25, v5 :: v_dual_add_nc_u32 v22, 0x500, v3
	v_add_co_ci_u32_e64 v15, s0, v7, v15, s0
	v_lshlrev_b64 v[20:21], 1, v[20:21]
	;; [unrolled: 4-line block ×4, first 2 shown]
	v_add_co_u32 v20, s0, v6, v20
	ds_load_u16 v1, v12
	ds_load_u16 v28, v12 offset:256
	ds_load_u16 v37, v12 offset:512
	;; [unrolled: 1-line block ×7, first 2 shown]
	v_add_co_ci_u32_e64 v21, s0, v7, v21, s0
	v_lshlrev_b64 v[26:27], 1, v[26:27]
	v_add_co_u32 v22, s0, v6, v22
	v_lshlrev_b64 v[33:34], 1, v[4:5]
	v_add_nc_u32_e32 v4, 0x100, v2
	v_add_co_ci_u32_e64 v23, s0, v7, v23, s0
	v_add_co_u32 v24, s0, v6, v24
	s_delay_alu instid0(VALU_DEP_1)
	v_add_co_ci_u32_e64 v25, s0, v7, v25, s0
	v_add_co_u32 v26, s0, v6, v26
	v_lshlrev_b64 v[35:36], 1, v[4:5]
	v_add_nc_u32_e32 v4, 0x200, v2
	v_add_co_ci_u32_e64 v27, s0, v7, v27, s0
	v_add_co_u32 v33, s0, v6, v33
	ds_load_u16 v43, v12 offset:2048
	ds_load_u16 v44, v12 offset:2304
	ds_load_u16 v45, v12 offset:2560
	ds_load_u16 v46, v12 offset:2816
	ds_load_u16 v47, v12 offset:3072
	ds_load_u16 v48, v12 offset:3328
	ds_load_u16 v49, v12 offset:3584
	ds_load_u16 v50, v12 offset:3840
	v_add_co_ci_u32_e64 v34, s0, v7, v34, s0
	s_waitcnt lgkmcnt(15)
	global_store_b16 v[31:32], v1, off
	v_lshlrev_b64 v[31:32], 1, v[4:5]
	v_add_nc_u32_e32 v4, 0x300, v2
	v_add_co_u32 v35, s0, v6, v35
	s_delay_alu instid0(VALU_DEP_1)
	v_add_co_ci_u32_e64 v36, s0, v7, v36, s0
	s_waitcnt lgkmcnt(14)
	global_store_b16 v[33:34], v28, off
	v_lshlrev_b64 v[33:34], 1, v[4:5]
	v_add_nc_u32_e32 v4, 0x400, v2
	s_waitcnt lgkmcnt(13)
	global_store_b16 v[35:36], v37, off
	s_waitcnt lgkmcnt(12)
	global_store_b16 v[14:15], v38, off
	v_add_co_u32 v14, s0, v6, v31
	s_delay_alu instid0(VALU_DEP_1) | instskip(SKIP_3) | instid1(VALU_DEP_1)
	v_add_co_ci_u32_e64 v15, s0, v7, v32, s0
	v_lshlrev_b64 v[31:32], 1, v[4:5]
	v_add_nc_u32_e32 v4, 0x500, v2
	v_add_co_u32 v33, s0, v6, v33
	v_add_co_ci_u32_e64 v34, s0, v7, v34, s0
	s_waitcnt lgkmcnt(11)
	global_store_b16 v[14:15], v39, off
	s_waitcnt lgkmcnt(10)
	global_store_b16 v[16:17], v40, off
	v_lshlrev_b64 v[14:15], 1, v[4:5]
	v_add_nc_u32_e32 v4, 0x600, v2
	v_add_co_u32 v16, s0, v6, v31
	s_waitcnt lgkmcnt(9)
	global_store_b16 v[33:34], v41, off
	s_waitcnt lgkmcnt(8)
	global_store_b16 v[18:19], v42, off
	v_add_co_ci_u32_e64 v17, s0, v7, v32, s0
	v_lshlrev_b64 v[18:19], 1, v[4:5]
	v_add_nc_u32_e32 v4, 0x700, v2
	v_add_co_u32 v14, s0, v6, v14
	s_delay_alu instid0(VALU_DEP_1)
	v_add_co_ci_u32_e64 v15, s0, v7, v15, s0
	s_waitcnt lgkmcnt(7)
	global_store_b16 v[16:17], v43, off
	s_waitcnt lgkmcnt(6)
	global_store_b16 v[20:21], v44, off
	v_lshlrev_b64 v[16:17], 1, v[4:5]
	v_add_nc_u32_e32 v12, 0x1000, v12
	s_waitcnt lgkmcnt(5)
	global_store_b16 v[14:15], v45, off
	v_add_co_u32 v14, s0, v6, v18
	v_add_nc_u32_e32 v3, 0x800, v3
	v_add_nc_u32_e32 v2, 0x800, v2
	v_add_co_ci_u32_e64 v15, s0, v7, v19, s0
	v_add_co_u32 v16, s0, v6, v16
	s_delay_alu instid0(VALU_DEP_1)
	v_add_co_ci_u32_e64 v17, s0, v7, v17, s0
	s_waitcnt lgkmcnt(4)
	global_store_b16 v[22:23], v46, off
	s_waitcnt lgkmcnt(3)
	global_store_b16 v[14:15], v47, off
	;; [unrolled: 2-line block ×5, first 2 shown]
	s_and_not1_b32 exec_lo, exec_lo, s5
	s_cbranch_execnz .LBB475_264
; %bb.265:
	s_or_b32 exec_lo, exec_lo, s5
.LBB475_266:
	s_delay_alu instid0(SALU_CYCLE_1) | instskip(SKIP_3) | instid1(VALU_DEP_1)
	s_or_b32 exec_lo, exec_lo, s1
	v_and_b32_e32 v1, 7, v10
	s_mov_b32 s6, 0
	s_mov_b32 s5, exec_lo
	v_cmpx_ne_u32_e32 0, v1
	s_cbranch_execz .LBB475_269
; %bb.267:
	v_lshl_or_b32 v9, v13, 8, v9
	v_mov_b32_e32 v5, 0
	s_set_inst_prefetch_distance 0x1
	.p2align	6
.LBB475_268:                            ; =>This Inner Loop Header: Depth=1
	v_dual_mov_b32 v4, v2 :: v_dual_add_nc_u32 v1, -1, v1
	ds_load_u16 v14, v9
	ds_load_u16 v15, v9 offset:256
	v_add_nc_u32_e32 v2, 0x100, v2
	v_add_nc_u32_e32 v9, 0x200, v9
	v_lshlrev_b64 v[10:11], 1, v[4:5]
	v_mov_b32_e32 v4, v3
	v_cmp_eq_u32_e64 s0, 0, v1
	v_add_nc_u32_e32 v3, 0x100, v3
	s_delay_alu instid0(VALU_DEP_3) | instskip(SKIP_1) | instid1(VALU_DEP_1)
	v_lshlrev_b64 v[12:13], 1, v[4:5]
	v_add_co_u32 v10, s1, v6, v10
	v_add_co_ci_u32_e64 v11, s1, v7, v11, s1
	s_or_b32 s6, s0, s6
	s_delay_alu instid0(VALU_DEP_3) | instskip(NEXT) | instid1(VALU_DEP_1)
	v_add_co_u32 v12, s1, v6, v12
	v_add_co_ci_u32_e64 v13, s1, v7, v13, s1
	s_waitcnt lgkmcnt(1)
	global_store_b16 v[10:11], v14, off
	s_waitcnt lgkmcnt(0)
	global_store_b16 v[12:13], v15, off
	s_and_not1_b32 exec_lo, exec_lo, s6
	s_cbranch_execnz .LBB475_268
.LBB475_269:
	s_set_inst_prefetch_distance 0x2
	s_or_b32 exec_lo, exec_lo, s5
	v_add_nc_u32_e32 v1, 1, v8
	s_delay_alu instid0(VALU_DEP_1) | instskip(NEXT) | instid1(VALU_DEP_1)
	v_and_b32_e32 v2, 0x3fffffe, v1
	v_cmp_ne_u32_e64 s0, v1, v2
	v_lshl_or_b32 v1, v2, 7, v0
	s_delay_alu instid0(VALU_DEP_2)
	s_or_not1_b32 s1, s0, exec_lo
.LBB475_270:
	s_or_b32 exec_lo, exec_lo, s4
	s_delay_alu instid0(SALU_CYCLE_1) | instskip(SKIP_1) | instid1(SALU_CYCLE_1)
	s_and_not1_b32 s0, vcc_lo, exec_lo
	s_and_b32 s1, s1, exec_lo
	s_or_b32 vcc_lo, s0, s1
.LBB475_271:
	s_or_b32 exec_lo, exec_lo, s3
	s_delay_alu instid0(SALU_CYCLE_1)
	s_and_b32 exec_lo, exec_lo, vcc_lo
	s_cbranch_execz .LBB475_274
; %bb.272:
	v_dual_mov_b32 v2, 0 :: v_dual_lshlrev_b32 v3, 1, v1
	s_mov_b32 s1, 0
	.p2align	6
.LBB475_273:                            ; =>This Inner Loop Header: Depth=1
	ds_load_u16 v8, v3
	v_lshlrev_b64 v[4:5], 1, v[1:2]
	v_add_nc_u32_e32 v1, 0x80, v1
	v_add_nc_u32_e32 v3, 0x100, v3
	s_delay_alu instid0(VALU_DEP_2) | instskip(NEXT) | instid1(VALU_DEP_4)
	v_cmp_ge_u32_e32 vcc_lo, v1, v29
	v_add_co_u32 v4, s0, v6, v4
	s_delay_alu instid0(VALU_DEP_1)
	v_add_co_ci_u32_e64 v5, s0, v7, v5, s0
	s_or_b32 s1, vcc_lo, s1
	s_waitcnt lgkmcnt(0)
	global_store_b16 v[4:5], v8, off
	s_and_not1_b32 exec_lo, exec_lo, s1
	s_cbranch_execnz .LBB475_273
.LBB475_274:
	s_or_b32 exec_lo, exec_lo, s2
	v_cmp_eq_u32_e32 vcc_lo, 0, v0
	s_and_b32 s0, vcc_lo, s13
	s_delay_alu instid0(SALU_CYCLE_1)
	s_and_saveexec_b32 s1, s0
	s_cbranch_execz .LBB475_197
.LBB475_275:
	v_add_co_u32 v0, s0, s18, v29
	s_delay_alu instid0(VALU_DEP_1) | instskip(SKIP_1) | instid1(VALU_DEP_3)
	v_add_co_ci_u32_e64 v1, null, s19, 0, s0
	v_mov_b32_e32 v2, 0
	v_add_co_u32 v0, vcc_lo, v0, v30
	s_delay_alu instid0(VALU_DEP_3)
	v_add_co_ci_u32_e32 v1, vcc_lo, 0, v1, vcc_lo
	global_store_b64 v2, v[0:1], s[16:17]
	s_nop 0
	s_sendmsg sendmsg(MSG_DEALLOC_VGPRS)
	s_endpgm
	.section	.rodata,"a",@progbits
	.p2align	6, 0x0
	.amdhsa_kernel _ZN7rocprim17ROCPRIM_400000_NS6detail17trampoline_kernelINS0_14default_configENS1_25partition_config_selectorILNS1_17partition_subalgoE9EssbEEZZNS1_14partition_implILS5_9ELb0ES3_jN6thrust23THRUST_200600_302600_NS6detail15normal_iteratorINS9_10device_ptrIsEEEESE_PNS0_10empty_typeENS0_5tupleIJSE_SF_EEENSH_IJSE_SG_EEENS0_18inequality_wrapperINS9_8equal_toIsEEEEPmJSF_EEE10hipError_tPvRmT3_T4_T5_T6_T7_T9_mT8_P12ihipStream_tbDpT10_ENKUlT_T0_E_clISt17integral_constantIbLb0EES18_EEDaS13_S14_EUlS13_E_NS1_11comp_targetILNS1_3genE9ELNS1_11target_archE1100ELNS1_3gpuE3ELNS1_3repE0EEENS1_30default_config_static_selectorELNS0_4arch9wavefront6targetE0EEEvT1_
		.amdhsa_group_segment_fixed_size 3080
		.amdhsa_private_segment_fixed_size 0
		.amdhsa_kernarg_size 112
		.amdhsa_user_sgpr_count 15
		.amdhsa_user_sgpr_dispatch_ptr 0
		.amdhsa_user_sgpr_queue_ptr 0
		.amdhsa_user_sgpr_kernarg_segment_ptr 1
		.amdhsa_user_sgpr_dispatch_id 0
		.amdhsa_user_sgpr_private_segment_size 0
		.amdhsa_wavefront_size32 1
		.amdhsa_uses_dynamic_stack 0
		.amdhsa_enable_private_segment 0
		.amdhsa_system_sgpr_workgroup_id_x 1
		.amdhsa_system_sgpr_workgroup_id_y 0
		.amdhsa_system_sgpr_workgroup_id_z 0
		.amdhsa_system_sgpr_workgroup_info 0
		.amdhsa_system_vgpr_workitem_id 0
		.amdhsa_next_free_vgpr 81
		.amdhsa_next_free_sgpr 24
		.amdhsa_reserve_vcc 1
		.amdhsa_float_round_mode_32 0
		.amdhsa_float_round_mode_16_64 0
		.amdhsa_float_denorm_mode_32 3
		.amdhsa_float_denorm_mode_16_64 3
		.amdhsa_dx10_clamp 1
		.amdhsa_ieee_mode 1
		.amdhsa_fp16_overflow 0
		.amdhsa_workgroup_processor_mode 1
		.amdhsa_memory_ordered 1
		.amdhsa_forward_progress 0
		.amdhsa_shared_vgpr_count 0
		.amdhsa_exception_fp_ieee_invalid_op 0
		.amdhsa_exception_fp_denorm_src 0
		.amdhsa_exception_fp_ieee_div_zero 0
		.amdhsa_exception_fp_ieee_overflow 0
		.amdhsa_exception_fp_ieee_underflow 0
		.amdhsa_exception_fp_ieee_inexact 0
		.amdhsa_exception_int_div_zero 0
	.end_amdhsa_kernel
	.section	.text._ZN7rocprim17ROCPRIM_400000_NS6detail17trampoline_kernelINS0_14default_configENS1_25partition_config_selectorILNS1_17partition_subalgoE9EssbEEZZNS1_14partition_implILS5_9ELb0ES3_jN6thrust23THRUST_200600_302600_NS6detail15normal_iteratorINS9_10device_ptrIsEEEESE_PNS0_10empty_typeENS0_5tupleIJSE_SF_EEENSH_IJSE_SG_EEENS0_18inequality_wrapperINS9_8equal_toIsEEEEPmJSF_EEE10hipError_tPvRmT3_T4_T5_T6_T7_T9_mT8_P12ihipStream_tbDpT10_ENKUlT_T0_E_clISt17integral_constantIbLb0EES18_EEDaS13_S14_EUlS13_E_NS1_11comp_targetILNS1_3genE9ELNS1_11target_archE1100ELNS1_3gpuE3ELNS1_3repE0EEENS1_30default_config_static_selectorELNS0_4arch9wavefront6targetE0EEEvT1_,"axG",@progbits,_ZN7rocprim17ROCPRIM_400000_NS6detail17trampoline_kernelINS0_14default_configENS1_25partition_config_selectorILNS1_17partition_subalgoE9EssbEEZZNS1_14partition_implILS5_9ELb0ES3_jN6thrust23THRUST_200600_302600_NS6detail15normal_iteratorINS9_10device_ptrIsEEEESE_PNS0_10empty_typeENS0_5tupleIJSE_SF_EEENSH_IJSE_SG_EEENS0_18inequality_wrapperINS9_8equal_toIsEEEEPmJSF_EEE10hipError_tPvRmT3_T4_T5_T6_T7_T9_mT8_P12ihipStream_tbDpT10_ENKUlT_T0_E_clISt17integral_constantIbLb0EES18_EEDaS13_S14_EUlS13_E_NS1_11comp_targetILNS1_3genE9ELNS1_11target_archE1100ELNS1_3gpuE3ELNS1_3repE0EEENS1_30default_config_static_selectorELNS0_4arch9wavefront6targetE0EEEvT1_,comdat
.Lfunc_end475:
	.size	_ZN7rocprim17ROCPRIM_400000_NS6detail17trampoline_kernelINS0_14default_configENS1_25partition_config_selectorILNS1_17partition_subalgoE9EssbEEZZNS1_14partition_implILS5_9ELb0ES3_jN6thrust23THRUST_200600_302600_NS6detail15normal_iteratorINS9_10device_ptrIsEEEESE_PNS0_10empty_typeENS0_5tupleIJSE_SF_EEENSH_IJSE_SG_EEENS0_18inequality_wrapperINS9_8equal_toIsEEEEPmJSF_EEE10hipError_tPvRmT3_T4_T5_T6_T7_T9_mT8_P12ihipStream_tbDpT10_ENKUlT_T0_E_clISt17integral_constantIbLb0EES18_EEDaS13_S14_EUlS13_E_NS1_11comp_targetILNS1_3genE9ELNS1_11target_archE1100ELNS1_3gpuE3ELNS1_3repE0EEENS1_30default_config_static_selectorELNS0_4arch9wavefront6targetE0EEEvT1_, .Lfunc_end475-_ZN7rocprim17ROCPRIM_400000_NS6detail17trampoline_kernelINS0_14default_configENS1_25partition_config_selectorILNS1_17partition_subalgoE9EssbEEZZNS1_14partition_implILS5_9ELb0ES3_jN6thrust23THRUST_200600_302600_NS6detail15normal_iteratorINS9_10device_ptrIsEEEESE_PNS0_10empty_typeENS0_5tupleIJSE_SF_EEENSH_IJSE_SG_EEENS0_18inequality_wrapperINS9_8equal_toIsEEEEPmJSF_EEE10hipError_tPvRmT3_T4_T5_T6_T7_T9_mT8_P12ihipStream_tbDpT10_ENKUlT_T0_E_clISt17integral_constantIbLb0EES18_EEDaS13_S14_EUlS13_E_NS1_11comp_targetILNS1_3genE9ELNS1_11target_archE1100ELNS1_3gpuE3ELNS1_3repE0EEENS1_30default_config_static_selectorELNS0_4arch9wavefront6targetE0EEEvT1_
                                        ; -- End function
	.section	.AMDGPU.csdata,"",@progbits
; Kernel info:
; codeLenInByte = 13808
; NumSgprs: 26
; NumVgprs: 81
; ScratchSize: 0
; MemoryBound: 0
; FloatMode: 240
; IeeeMode: 1
; LDSByteSize: 3080 bytes/workgroup (compile time only)
; SGPRBlocks: 3
; VGPRBlocks: 10
; NumSGPRsForWavesPerEU: 26
; NumVGPRsForWavesPerEU: 81
; Occupancy: 16
; WaveLimiterHint : 1
; COMPUTE_PGM_RSRC2:SCRATCH_EN: 0
; COMPUTE_PGM_RSRC2:USER_SGPR: 15
; COMPUTE_PGM_RSRC2:TRAP_HANDLER: 0
; COMPUTE_PGM_RSRC2:TGID_X_EN: 1
; COMPUTE_PGM_RSRC2:TGID_Y_EN: 0
; COMPUTE_PGM_RSRC2:TGID_Z_EN: 0
; COMPUTE_PGM_RSRC2:TIDIG_COMP_CNT: 0
	.section	.text._ZN7rocprim17ROCPRIM_400000_NS6detail17trampoline_kernelINS0_14default_configENS1_25partition_config_selectorILNS1_17partition_subalgoE9EssbEEZZNS1_14partition_implILS5_9ELb0ES3_jN6thrust23THRUST_200600_302600_NS6detail15normal_iteratorINS9_10device_ptrIsEEEESE_PNS0_10empty_typeENS0_5tupleIJSE_SF_EEENSH_IJSE_SG_EEENS0_18inequality_wrapperINS9_8equal_toIsEEEEPmJSF_EEE10hipError_tPvRmT3_T4_T5_T6_T7_T9_mT8_P12ihipStream_tbDpT10_ENKUlT_T0_E_clISt17integral_constantIbLb0EES18_EEDaS13_S14_EUlS13_E_NS1_11comp_targetILNS1_3genE8ELNS1_11target_archE1030ELNS1_3gpuE2ELNS1_3repE0EEENS1_30default_config_static_selectorELNS0_4arch9wavefront6targetE0EEEvT1_,"axG",@progbits,_ZN7rocprim17ROCPRIM_400000_NS6detail17trampoline_kernelINS0_14default_configENS1_25partition_config_selectorILNS1_17partition_subalgoE9EssbEEZZNS1_14partition_implILS5_9ELb0ES3_jN6thrust23THRUST_200600_302600_NS6detail15normal_iteratorINS9_10device_ptrIsEEEESE_PNS0_10empty_typeENS0_5tupleIJSE_SF_EEENSH_IJSE_SG_EEENS0_18inequality_wrapperINS9_8equal_toIsEEEEPmJSF_EEE10hipError_tPvRmT3_T4_T5_T6_T7_T9_mT8_P12ihipStream_tbDpT10_ENKUlT_T0_E_clISt17integral_constantIbLb0EES18_EEDaS13_S14_EUlS13_E_NS1_11comp_targetILNS1_3genE8ELNS1_11target_archE1030ELNS1_3gpuE2ELNS1_3repE0EEENS1_30default_config_static_selectorELNS0_4arch9wavefront6targetE0EEEvT1_,comdat
	.protected	_ZN7rocprim17ROCPRIM_400000_NS6detail17trampoline_kernelINS0_14default_configENS1_25partition_config_selectorILNS1_17partition_subalgoE9EssbEEZZNS1_14partition_implILS5_9ELb0ES3_jN6thrust23THRUST_200600_302600_NS6detail15normal_iteratorINS9_10device_ptrIsEEEESE_PNS0_10empty_typeENS0_5tupleIJSE_SF_EEENSH_IJSE_SG_EEENS0_18inequality_wrapperINS9_8equal_toIsEEEEPmJSF_EEE10hipError_tPvRmT3_T4_T5_T6_T7_T9_mT8_P12ihipStream_tbDpT10_ENKUlT_T0_E_clISt17integral_constantIbLb0EES18_EEDaS13_S14_EUlS13_E_NS1_11comp_targetILNS1_3genE8ELNS1_11target_archE1030ELNS1_3gpuE2ELNS1_3repE0EEENS1_30default_config_static_selectorELNS0_4arch9wavefront6targetE0EEEvT1_ ; -- Begin function _ZN7rocprim17ROCPRIM_400000_NS6detail17trampoline_kernelINS0_14default_configENS1_25partition_config_selectorILNS1_17partition_subalgoE9EssbEEZZNS1_14partition_implILS5_9ELb0ES3_jN6thrust23THRUST_200600_302600_NS6detail15normal_iteratorINS9_10device_ptrIsEEEESE_PNS0_10empty_typeENS0_5tupleIJSE_SF_EEENSH_IJSE_SG_EEENS0_18inequality_wrapperINS9_8equal_toIsEEEEPmJSF_EEE10hipError_tPvRmT3_T4_T5_T6_T7_T9_mT8_P12ihipStream_tbDpT10_ENKUlT_T0_E_clISt17integral_constantIbLb0EES18_EEDaS13_S14_EUlS13_E_NS1_11comp_targetILNS1_3genE8ELNS1_11target_archE1030ELNS1_3gpuE2ELNS1_3repE0EEENS1_30default_config_static_selectorELNS0_4arch9wavefront6targetE0EEEvT1_
	.globl	_ZN7rocprim17ROCPRIM_400000_NS6detail17trampoline_kernelINS0_14default_configENS1_25partition_config_selectorILNS1_17partition_subalgoE9EssbEEZZNS1_14partition_implILS5_9ELb0ES3_jN6thrust23THRUST_200600_302600_NS6detail15normal_iteratorINS9_10device_ptrIsEEEESE_PNS0_10empty_typeENS0_5tupleIJSE_SF_EEENSH_IJSE_SG_EEENS0_18inequality_wrapperINS9_8equal_toIsEEEEPmJSF_EEE10hipError_tPvRmT3_T4_T5_T6_T7_T9_mT8_P12ihipStream_tbDpT10_ENKUlT_T0_E_clISt17integral_constantIbLb0EES18_EEDaS13_S14_EUlS13_E_NS1_11comp_targetILNS1_3genE8ELNS1_11target_archE1030ELNS1_3gpuE2ELNS1_3repE0EEENS1_30default_config_static_selectorELNS0_4arch9wavefront6targetE0EEEvT1_
	.p2align	8
	.type	_ZN7rocprim17ROCPRIM_400000_NS6detail17trampoline_kernelINS0_14default_configENS1_25partition_config_selectorILNS1_17partition_subalgoE9EssbEEZZNS1_14partition_implILS5_9ELb0ES3_jN6thrust23THRUST_200600_302600_NS6detail15normal_iteratorINS9_10device_ptrIsEEEESE_PNS0_10empty_typeENS0_5tupleIJSE_SF_EEENSH_IJSE_SG_EEENS0_18inequality_wrapperINS9_8equal_toIsEEEEPmJSF_EEE10hipError_tPvRmT3_T4_T5_T6_T7_T9_mT8_P12ihipStream_tbDpT10_ENKUlT_T0_E_clISt17integral_constantIbLb0EES18_EEDaS13_S14_EUlS13_E_NS1_11comp_targetILNS1_3genE8ELNS1_11target_archE1030ELNS1_3gpuE2ELNS1_3repE0EEENS1_30default_config_static_selectorELNS0_4arch9wavefront6targetE0EEEvT1_,@function
_ZN7rocprim17ROCPRIM_400000_NS6detail17trampoline_kernelINS0_14default_configENS1_25partition_config_selectorILNS1_17partition_subalgoE9EssbEEZZNS1_14partition_implILS5_9ELb0ES3_jN6thrust23THRUST_200600_302600_NS6detail15normal_iteratorINS9_10device_ptrIsEEEESE_PNS0_10empty_typeENS0_5tupleIJSE_SF_EEENSH_IJSE_SG_EEENS0_18inequality_wrapperINS9_8equal_toIsEEEEPmJSF_EEE10hipError_tPvRmT3_T4_T5_T6_T7_T9_mT8_P12ihipStream_tbDpT10_ENKUlT_T0_E_clISt17integral_constantIbLb0EES18_EEDaS13_S14_EUlS13_E_NS1_11comp_targetILNS1_3genE8ELNS1_11target_archE1030ELNS1_3gpuE2ELNS1_3repE0EEENS1_30default_config_static_selectorELNS0_4arch9wavefront6targetE0EEEvT1_: ; @_ZN7rocprim17ROCPRIM_400000_NS6detail17trampoline_kernelINS0_14default_configENS1_25partition_config_selectorILNS1_17partition_subalgoE9EssbEEZZNS1_14partition_implILS5_9ELb0ES3_jN6thrust23THRUST_200600_302600_NS6detail15normal_iteratorINS9_10device_ptrIsEEEESE_PNS0_10empty_typeENS0_5tupleIJSE_SF_EEENSH_IJSE_SG_EEENS0_18inequality_wrapperINS9_8equal_toIsEEEEPmJSF_EEE10hipError_tPvRmT3_T4_T5_T6_T7_T9_mT8_P12ihipStream_tbDpT10_ENKUlT_T0_E_clISt17integral_constantIbLb0EES18_EEDaS13_S14_EUlS13_E_NS1_11comp_targetILNS1_3genE8ELNS1_11target_archE1030ELNS1_3gpuE2ELNS1_3repE0EEENS1_30default_config_static_selectorELNS0_4arch9wavefront6targetE0EEEvT1_
; %bb.0:
	.section	.rodata,"a",@progbits
	.p2align	6, 0x0
	.amdhsa_kernel _ZN7rocprim17ROCPRIM_400000_NS6detail17trampoline_kernelINS0_14default_configENS1_25partition_config_selectorILNS1_17partition_subalgoE9EssbEEZZNS1_14partition_implILS5_9ELb0ES3_jN6thrust23THRUST_200600_302600_NS6detail15normal_iteratorINS9_10device_ptrIsEEEESE_PNS0_10empty_typeENS0_5tupleIJSE_SF_EEENSH_IJSE_SG_EEENS0_18inequality_wrapperINS9_8equal_toIsEEEEPmJSF_EEE10hipError_tPvRmT3_T4_T5_T6_T7_T9_mT8_P12ihipStream_tbDpT10_ENKUlT_T0_E_clISt17integral_constantIbLb0EES18_EEDaS13_S14_EUlS13_E_NS1_11comp_targetILNS1_3genE8ELNS1_11target_archE1030ELNS1_3gpuE2ELNS1_3repE0EEENS1_30default_config_static_selectorELNS0_4arch9wavefront6targetE0EEEvT1_
		.amdhsa_group_segment_fixed_size 0
		.amdhsa_private_segment_fixed_size 0
		.amdhsa_kernarg_size 112
		.amdhsa_user_sgpr_count 15
		.amdhsa_user_sgpr_dispatch_ptr 0
		.amdhsa_user_sgpr_queue_ptr 0
		.amdhsa_user_sgpr_kernarg_segment_ptr 1
		.amdhsa_user_sgpr_dispatch_id 0
		.amdhsa_user_sgpr_private_segment_size 0
		.amdhsa_wavefront_size32 1
		.amdhsa_uses_dynamic_stack 0
		.amdhsa_enable_private_segment 0
		.amdhsa_system_sgpr_workgroup_id_x 1
		.amdhsa_system_sgpr_workgroup_id_y 0
		.amdhsa_system_sgpr_workgroup_id_z 0
		.amdhsa_system_sgpr_workgroup_info 0
		.amdhsa_system_vgpr_workitem_id 0
		.amdhsa_next_free_vgpr 1
		.amdhsa_next_free_sgpr 1
		.amdhsa_reserve_vcc 0
		.amdhsa_float_round_mode_32 0
		.amdhsa_float_round_mode_16_64 0
		.amdhsa_float_denorm_mode_32 3
		.amdhsa_float_denorm_mode_16_64 3
		.amdhsa_dx10_clamp 1
		.amdhsa_ieee_mode 1
		.amdhsa_fp16_overflow 0
		.amdhsa_workgroup_processor_mode 1
		.amdhsa_memory_ordered 1
		.amdhsa_forward_progress 0
		.amdhsa_shared_vgpr_count 0
		.amdhsa_exception_fp_ieee_invalid_op 0
		.amdhsa_exception_fp_denorm_src 0
		.amdhsa_exception_fp_ieee_div_zero 0
		.amdhsa_exception_fp_ieee_overflow 0
		.amdhsa_exception_fp_ieee_underflow 0
		.amdhsa_exception_fp_ieee_inexact 0
		.amdhsa_exception_int_div_zero 0
	.end_amdhsa_kernel
	.section	.text._ZN7rocprim17ROCPRIM_400000_NS6detail17trampoline_kernelINS0_14default_configENS1_25partition_config_selectorILNS1_17partition_subalgoE9EssbEEZZNS1_14partition_implILS5_9ELb0ES3_jN6thrust23THRUST_200600_302600_NS6detail15normal_iteratorINS9_10device_ptrIsEEEESE_PNS0_10empty_typeENS0_5tupleIJSE_SF_EEENSH_IJSE_SG_EEENS0_18inequality_wrapperINS9_8equal_toIsEEEEPmJSF_EEE10hipError_tPvRmT3_T4_T5_T6_T7_T9_mT8_P12ihipStream_tbDpT10_ENKUlT_T0_E_clISt17integral_constantIbLb0EES18_EEDaS13_S14_EUlS13_E_NS1_11comp_targetILNS1_3genE8ELNS1_11target_archE1030ELNS1_3gpuE2ELNS1_3repE0EEENS1_30default_config_static_selectorELNS0_4arch9wavefront6targetE0EEEvT1_,"axG",@progbits,_ZN7rocprim17ROCPRIM_400000_NS6detail17trampoline_kernelINS0_14default_configENS1_25partition_config_selectorILNS1_17partition_subalgoE9EssbEEZZNS1_14partition_implILS5_9ELb0ES3_jN6thrust23THRUST_200600_302600_NS6detail15normal_iteratorINS9_10device_ptrIsEEEESE_PNS0_10empty_typeENS0_5tupleIJSE_SF_EEENSH_IJSE_SG_EEENS0_18inequality_wrapperINS9_8equal_toIsEEEEPmJSF_EEE10hipError_tPvRmT3_T4_T5_T6_T7_T9_mT8_P12ihipStream_tbDpT10_ENKUlT_T0_E_clISt17integral_constantIbLb0EES18_EEDaS13_S14_EUlS13_E_NS1_11comp_targetILNS1_3genE8ELNS1_11target_archE1030ELNS1_3gpuE2ELNS1_3repE0EEENS1_30default_config_static_selectorELNS0_4arch9wavefront6targetE0EEEvT1_,comdat
.Lfunc_end476:
	.size	_ZN7rocprim17ROCPRIM_400000_NS6detail17trampoline_kernelINS0_14default_configENS1_25partition_config_selectorILNS1_17partition_subalgoE9EssbEEZZNS1_14partition_implILS5_9ELb0ES3_jN6thrust23THRUST_200600_302600_NS6detail15normal_iteratorINS9_10device_ptrIsEEEESE_PNS0_10empty_typeENS0_5tupleIJSE_SF_EEENSH_IJSE_SG_EEENS0_18inequality_wrapperINS9_8equal_toIsEEEEPmJSF_EEE10hipError_tPvRmT3_T4_T5_T6_T7_T9_mT8_P12ihipStream_tbDpT10_ENKUlT_T0_E_clISt17integral_constantIbLb0EES18_EEDaS13_S14_EUlS13_E_NS1_11comp_targetILNS1_3genE8ELNS1_11target_archE1030ELNS1_3gpuE2ELNS1_3repE0EEENS1_30default_config_static_selectorELNS0_4arch9wavefront6targetE0EEEvT1_, .Lfunc_end476-_ZN7rocprim17ROCPRIM_400000_NS6detail17trampoline_kernelINS0_14default_configENS1_25partition_config_selectorILNS1_17partition_subalgoE9EssbEEZZNS1_14partition_implILS5_9ELb0ES3_jN6thrust23THRUST_200600_302600_NS6detail15normal_iteratorINS9_10device_ptrIsEEEESE_PNS0_10empty_typeENS0_5tupleIJSE_SF_EEENSH_IJSE_SG_EEENS0_18inequality_wrapperINS9_8equal_toIsEEEEPmJSF_EEE10hipError_tPvRmT3_T4_T5_T6_T7_T9_mT8_P12ihipStream_tbDpT10_ENKUlT_T0_E_clISt17integral_constantIbLb0EES18_EEDaS13_S14_EUlS13_E_NS1_11comp_targetILNS1_3genE8ELNS1_11target_archE1030ELNS1_3gpuE2ELNS1_3repE0EEENS1_30default_config_static_selectorELNS0_4arch9wavefront6targetE0EEEvT1_
                                        ; -- End function
	.section	.AMDGPU.csdata,"",@progbits
; Kernel info:
; codeLenInByte = 0
; NumSgprs: 0
; NumVgprs: 0
; ScratchSize: 0
; MemoryBound: 0
; FloatMode: 240
; IeeeMode: 1
; LDSByteSize: 0 bytes/workgroup (compile time only)
; SGPRBlocks: 0
; VGPRBlocks: 0
; NumSGPRsForWavesPerEU: 1
; NumVGPRsForWavesPerEU: 1
; Occupancy: 15
; WaveLimiterHint : 0
; COMPUTE_PGM_RSRC2:SCRATCH_EN: 0
; COMPUTE_PGM_RSRC2:USER_SGPR: 15
; COMPUTE_PGM_RSRC2:TRAP_HANDLER: 0
; COMPUTE_PGM_RSRC2:TGID_X_EN: 1
; COMPUTE_PGM_RSRC2:TGID_Y_EN: 0
; COMPUTE_PGM_RSRC2:TGID_Z_EN: 0
; COMPUTE_PGM_RSRC2:TIDIG_COMP_CNT: 0
	.section	.text._ZN7rocprim17ROCPRIM_400000_NS6detail17trampoline_kernelINS0_14default_configENS1_25partition_config_selectorILNS1_17partition_subalgoE9EssbEEZZNS1_14partition_implILS5_9ELb0ES3_jN6thrust23THRUST_200600_302600_NS6detail15normal_iteratorINS9_10device_ptrIsEEEESE_PNS0_10empty_typeENS0_5tupleIJSE_SF_EEENSH_IJSE_SG_EEENS0_18inequality_wrapperINS9_8equal_toIsEEEEPmJSF_EEE10hipError_tPvRmT3_T4_T5_T6_T7_T9_mT8_P12ihipStream_tbDpT10_ENKUlT_T0_E_clISt17integral_constantIbLb1EES18_EEDaS13_S14_EUlS13_E_NS1_11comp_targetILNS1_3genE0ELNS1_11target_archE4294967295ELNS1_3gpuE0ELNS1_3repE0EEENS1_30default_config_static_selectorELNS0_4arch9wavefront6targetE0EEEvT1_,"axG",@progbits,_ZN7rocprim17ROCPRIM_400000_NS6detail17trampoline_kernelINS0_14default_configENS1_25partition_config_selectorILNS1_17partition_subalgoE9EssbEEZZNS1_14partition_implILS5_9ELb0ES3_jN6thrust23THRUST_200600_302600_NS6detail15normal_iteratorINS9_10device_ptrIsEEEESE_PNS0_10empty_typeENS0_5tupleIJSE_SF_EEENSH_IJSE_SG_EEENS0_18inequality_wrapperINS9_8equal_toIsEEEEPmJSF_EEE10hipError_tPvRmT3_T4_T5_T6_T7_T9_mT8_P12ihipStream_tbDpT10_ENKUlT_T0_E_clISt17integral_constantIbLb1EES18_EEDaS13_S14_EUlS13_E_NS1_11comp_targetILNS1_3genE0ELNS1_11target_archE4294967295ELNS1_3gpuE0ELNS1_3repE0EEENS1_30default_config_static_selectorELNS0_4arch9wavefront6targetE0EEEvT1_,comdat
	.protected	_ZN7rocprim17ROCPRIM_400000_NS6detail17trampoline_kernelINS0_14default_configENS1_25partition_config_selectorILNS1_17partition_subalgoE9EssbEEZZNS1_14partition_implILS5_9ELb0ES3_jN6thrust23THRUST_200600_302600_NS6detail15normal_iteratorINS9_10device_ptrIsEEEESE_PNS0_10empty_typeENS0_5tupleIJSE_SF_EEENSH_IJSE_SG_EEENS0_18inequality_wrapperINS9_8equal_toIsEEEEPmJSF_EEE10hipError_tPvRmT3_T4_T5_T6_T7_T9_mT8_P12ihipStream_tbDpT10_ENKUlT_T0_E_clISt17integral_constantIbLb1EES18_EEDaS13_S14_EUlS13_E_NS1_11comp_targetILNS1_3genE0ELNS1_11target_archE4294967295ELNS1_3gpuE0ELNS1_3repE0EEENS1_30default_config_static_selectorELNS0_4arch9wavefront6targetE0EEEvT1_ ; -- Begin function _ZN7rocprim17ROCPRIM_400000_NS6detail17trampoline_kernelINS0_14default_configENS1_25partition_config_selectorILNS1_17partition_subalgoE9EssbEEZZNS1_14partition_implILS5_9ELb0ES3_jN6thrust23THRUST_200600_302600_NS6detail15normal_iteratorINS9_10device_ptrIsEEEESE_PNS0_10empty_typeENS0_5tupleIJSE_SF_EEENSH_IJSE_SG_EEENS0_18inequality_wrapperINS9_8equal_toIsEEEEPmJSF_EEE10hipError_tPvRmT3_T4_T5_T6_T7_T9_mT8_P12ihipStream_tbDpT10_ENKUlT_T0_E_clISt17integral_constantIbLb1EES18_EEDaS13_S14_EUlS13_E_NS1_11comp_targetILNS1_3genE0ELNS1_11target_archE4294967295ELNS1_3gpuE0ELNS1_3repE0EEENS1_30default_config_static_selectorELNS0_4arch9wavefront6targetE0EEEvT1_
	.globl	_ZN7rocprim17ROCPRIM_400000_NS6detail17trampoline_kernelINS0_14default_configENS1_25partition_config_selectorILNS1_17partition_subalgoE9EssbEEZZNS1_14partition_implILS5_9ELb0ES3_jN6thrust23THRUST_200600_302600_NS6detail15normal_iteratorINS9_10device_ptrIsEEEESE_PNS0_10empty_typeENS0_5tupleIJSE_SF_EEENSH_IJSE_SG_EEENS0_18inequality_wrapperINS9_8equal_toIsEEEEPmJSF_EEE10hipError_tPvRmT3_T4_T5_T6_T7_T9_mT8_P12ihipStream_tbDpT10_ENKUlT_T0_E_clISt17integral_constantIbLb1EES18_EEDaS13_S14_EUlS13_E_NS1_11comp_targetILNS1_3genE0ELNS1_11target_archE4294967295ELNS1_3gpuE0ELNS1_3repE0EEENS1_30default_config_static_selectorELNS0_4arch9wavefront6targetE0EEEvT1_
	.p2align	8
	.type	_ZN7rocprim17ROCPRIM_400000_NS6detail17trampoline_kernelINS0_14default_configENS1_25partition_config_selectorILNS1_17partition_subalgoE9EssbEEZZNS1_14partition_implILS5_9ELb0ES3_jN6thrust23THRUST_200600_302600_NS6detail15normal_iteratorINS9_10device_ptrIsEEEESE_PNS0_10empty_typeENS0_5tupleIJSE_SF_EEENSH_IJSE_SG_EEENS0_18inequality_wrapperINS9_8equal_toIsEEEEPmJSF_EEE10hipError_tPvRmT3_T4_T5_T6_T7_T9_mT8_P12ihipStream_tbDpT10_ENKUlT_T0_E_clISt17integral_constantIbLb1EES18_EEDaS13_S14_EUlS13_E_NS1_11comp_targetILNS1_3genE0ELNS1_11target_archE4294967295ELNS1_3gpuE0ELNS1_3repE0EEENS1_30default_config_static_selectorELNS0_4arch9wavefront6targetE0EEEvT1_,@function
_ZN7rocprim17ROCPRIM_400000_NS6detail17trampoline_kernelINS0_14default_configENS1_25partition_config_selectorILNS1_17partition_subalgoE9EssbEEZZNS1_14partition_implILS5_9ELb0ES3_jN6thrust23THRUST_200600_302600_NS6detail15normal_iteratorINS9_10device_ptrIsEEEESE_PNS0_10empty_typeENS0_5tupleIJSE_SF_EEENSH_IJSE_SG_EEENS0_18inequality_wrapperINS9_8equal_toIsEEEEPmJSF_EEE10hipError_tPvRmT3_T4_T5_T6_T7_T9_mT8_P12ihipStream_tbDpT10_ENKUlT_T0_E_clISt17integral_constantIbLb1EES18_EEDaS13_S14_EUlS13_E_NS1_11comp_targetILNS1_3genE0ELNS1_11target_archE4294967295ELNS1_3gpuE0ELNS1_3repE0EEENS1_30default_config_static_selectorELNS0_4arch9wavefront6targetE0EEEvT1_: ; @_ZN7rocprim17ROCPRIM_400000_NS6detail17trampoline_kernelINS0_14default_configENS1_25partition_config_selectorILNS1_17partition_subalgoE9EssbEEZZNS1_14partition_implILS5_9ELb0ES3_jN6thrust23THRUST_200600_302600_NS6detail15normal_iteratorINS9_10device_ptrIsEEEESE_PNS0_10empty_typeENS0_5tupleIJSE_SF_EEENSH_IJSE_SG_EEENS0_18inequality_wrapperINS9_8equal_toIsEEEEPmJSF_EEE10hipError_tPvRmT3_T4_T5_T6_T7_T9_mT8_P12ihipStream_tbDpT10_ENKUlT_T0_E_clISt17integral_constantIbLb1EES18_EEDaS13_S14_EUlS13_E_NS1_11comp_targetILNS1_3genE0ELNS1_11target_archE4294967295ELNS1_3gpuE0ELNS1_3repE0EEENS1_30default_config_static_selectorELNS0_4arch9wavefront6targetE0EEEvT1_
; %bb.0:
	.section	.rodata,"a",@progbits
	.p2align	6, 0x0
	.amdhsa_kernel _ZN7rocprim17ROCPRIM_400000_NS6detail17trampoline_kernelINS0_14default_configENS1_25partition_config_selectorILNS1_17partition_subalgoE9EssbEEZZNS1_14partition_implILS5_9ELb0ES3_jN6thrust23THRUST_200600_302600_NS6detail15normal_iteratorINS9_10device_ptrIsEEEESE_PNS0_10empty_typeENS0_5tupleIJSE_SF_EEENSH_IJSE_SG_EEENS0_18inequality_wrapperINS9_8equal_toIsEEEEPmJSF_EEE10hipError_tPvRmT3_T4_T5_T6_T7_T9_mT8_P12ihipStream_tbDpT10_ENKUlT_T0_E_clISt17integral_constantIbLb1EES18_EEDaS13_S14_EUlS13_E_NS1_11comp_targetILNS1_3genE0ELNS1_11target_archE4294967295ELNS1_3gpuE0ELNS1_3repE0EEENS1_30default_config_static_selectorELNS0_4arch9wavefront6targetE0EEEvT1_
		.amdhsa_group_segment_fixed_size 0
		.amdhsa_private_segment_fixed_size 0
		.amdhsa_kernarg_size 128
		.amdhsa_user_sgpr_count 15
		.amdhsa_user_sgpr_dispatch_ptr 0
		.amdhsa_user_sgpr_queue_ptr 0
		.amdhsa_user_sgpr_kernarg_segment_ptr 1
		.amdhsa_user_sgpr_dispatch_id 0
		.amdhsa_user_sgpr_private_segment_size 0
		.amdhsa_wavefront_size32 1
		.amdhsa_uses_dynamic_stack 0
		.amdhsa_enable_private_segment 0
		.amdhsa_system_sgpr_workgroup_id_x 1
		.amdhsa_system_sgpr_workgroup_id_y 0
		.amdhsa_system_sgpr_workgroup_id_z 0
		.amdhsa_system_sgpr_workgroup_info 0
		.amdhsa_system_vgpr_workitem_id 0
		.amdhsa_next_free_vgpr 1
		.amdhsa_next_free_sgpr 1
		.amdhsa_reserve_vcc 0
		.amdhsa_float_round_mode_32 0
		.amdhsa_float_round_mode_16_64 0
		.amdhsa_float_denorm_mode_32 3
		.amdhsa_float_denorm_mode_16_64 3
		.amdhsa_dx10_clamp 1
		.amdhsa_ieee_mode 1
		.amdhsa_fp16_overflow 0
		.amdhsa_workgroup_processor_mode 1
		.amdhsa_memory_ordered 1
		.amdhsa_forward_progress 0
		.amdhsa_shared_vgpr_count 0
		.amdhsa_exception_fp_ieee_invalid_op 0
		.amdhsa_exception_fp_denorm_src 0
		.amdhsa_exception_fp_ieee_div_zero 0
		.amdhsa_exception_fp_ieee_overflow 0
		.amdhsa_exception_fp_ieee_underflow 0
		.amdhsa_exception_fp_ieee_inexact 0
		.amdhsa_exception_int_div_zero 0
	.end_amdhsa_kernel
	.section	.text._ZN7rocprim17ROCPRIM_400000_NS6detail17trampoline_kernelINS0_14default_configENS1_25partition_config_selectorILNS1_17partition_subalgoE9EssbEEZZNS1_14partition_implILS5_9ELb0ES3_jN6thrust23THRUST_200600_302600_NS6detail15normal_iteratorINS9_10device_ptrIsEEEESE_PNS0_10empty_typeENS0_5tupleIJSE_SF_EEENSH_IJSE_SG_EEENS0_18inequality_wrapperINS9_8equal_toIsEEEEPmJSF_EEE10hipError_tPvRmT3_T4_T5_T6_T7_T9_mT8_P12ihipStream_tbDpT10_ENKUlT_T0_E_clISt17integral_constantIbLb1EES18_EEDaS13_S14_EUlS13_E_NS1_11comp_targetILNS1_3genE0ELNS1_11target_archE4294967295ELNS1_3gpuE0ELNS1_3repE0EEENS1_30default_config_static_selectorELNS0_4arch9wavefront6targetE0EEEvT1_,"axG",@progbits,_ZN7rocprim17ROCPRIM_400000_NS6detail17trampoline_kernelINS0_14default_configENS1_25partition_config_selectorILNS1_17partition_subalgoE9EssbEEZZNS1_14partition_implILS5_9ELb0ES3_jN6thrust23THRUST_200600_302600_NS6detail15normal_iteratorINS9_10device_ptrIsEEEESE_PNS0_10empty_typeENS0_5tupleIJSE_SF_EEENSH_IJSE_SG_EEENS0_18inequality_wrapperINS9_8equal_toIsEEEEPmJSF_EEE10hipError_tPvRmT3_T4_T5_T6_T7_T9_mT8_P12ihipStream_tbDpT10_ENKUlT_T0_E_clISt17integral_constantIbLb1EES18_EEDaS13_S14_EUlS13_E_NS1_11comp_targetILNS1_3genE0ELNS1_11target_archE4294967295ELNS1_3gpuE0ELNS1_3repE0EEENS1_30default_config_static_selectorELNS0_4arch9wavefront6targetE0EEEvT1_,comdat
.Lfunc_end477:
	.size	_ZN7rocprim17ROCPRIM_400000_NS6detail17trampoline_kernelINS0_14default_configENS1_25partition_config_selectorILNS1_17partition_subalgoE9EssbEEZZNS1_14partition_implILS5_9ELb0ES3_jN6thrust23THRUST_200600_302600_NS6detail15normal_iteratorINS9_10device_ptrIsEEEESE_PNS0_10empty_typeENS0_5tupleIJSE_SF_EEENSH_IJSE_SG_EEENS0_18inequality_wrapperINS9_8equal_toIsEEEEPmJSF_EEE10hipError_tPvRmT3_T4_T5_T6_T7_T9_mT8_P12ihipStream_tbDpT10_ENKUlT_T0_E_clISt17integral_constantIbLb1EES18_EEDaS13_S14_EUlS13_E_NS1_11comp_targetILNS1_3genE0ELNS1_11target_archE4294967295ELNS1_3gpuE0ELNS1_3repE0EEENS1_30default_config_static_selectorELNS0_4arch9wavefront6targetE0EEEvT1_, .Lfunc_end477-_ZN7rocprim17ROCPRIM_400000_NS6detail17trampoline_kernelINS0_14default_configENS1_25partition_config_selectorILNS1_17partition_subalgoE9EssbEEZZNS1_14partition_implILS5_9ELb0ES3_jN6thrust23THRUST_200600_302600_NS6detail15normal_iteratorINS9_10device_ptrIsEEEESE_PNS0_10empty_typeENS0_5tupleIJSE_SF_EEENSH_IJSE_SG_EEENS0_18inequality_wrapperINS9_8equal_toIsEEEEPmJSF_EEE10hipError_tPvRmT3_T4_T5_T6_T7_T9_mT8_P12ihipStream_tbDpT10_ENKUlT_T0_E_clISt17integral_constantIbLb1EES18_EEDaS13_S14_EUlS13_E_NS1_11comp_targetILNS1_3genE0ELNS1_11target_archE4294967295ELNS1_3gpuE0ELNS1_3repE0EEENS1_30default_config_static_selectorELNS0_4arch9wavefront6targetE0EEEvT1_
                                        ; -- End function
	.section	.AMDGPU.csdata,"",@progbits
; Kernel info:
; codeLenInByte = 0
; NumSgprs: 0
; NumVgprs: 0
; ScratchSize: 0
; MemoryBound: 0
; FloatMode: 240
; IeeeMode: 1
; LDSByteSize: 0 bytes/workgroup (compile time only)
; SGPRBlocks: 0
; VGPRBlocks: 0
; NumSGPRsForWavesPerEU: 1
; NumVGPRsForWavesPerEU: 1
; Occupancy: 16
; WaveLimiterHint : 0
; COMPUTE_PGM_RSRC2:SCRATCH_EN: 0
; COMPUTE_PGM_RSRC2:USER_SGPR: 15
; COMPUTE_PGM_RSRC2:TRAP_HANDLER: 0
; COMPUTE_PGM_RSRC2:TGID_X_EN: 1
; COMPUTE_PGM_RSRC2:TGID_Y_EN: 0
; COMPUTE_PGM_RSRC2:TGID_Z_EN: 0
; COMPUTE_PGM_RSRC2:TIDIG_COMP_CNT: 0
	.section	.text._ZN7rocprim17ROCPRIM_400000_NS6detail17trampoline_kernelINS0_14default_configENS1_25partition_config_selectorILNS1_17partition_subalgoE9EssbEEZZNS1_14partition_implILS5_9ELb0ES3_jN6thrust23THRUST_200600_302600_NS6detail15normal_iteratorINS9_10device_ptrIsEEEESE_PNS0_10empty_typeENS0_5tupleIJSE_SF_EEENSH_IJSE_SG_EEENS0_18inequality_wrapperINS9_8equal_toIsEEEEPmJSF_EEE10hipError_tPvRmT3_T4_T5_T6_T7_T9_mT8_P12ihipStream_tbDpT10_ENKUlT_T0_E_clISt17integral_constantIbLb1EES18_EEDaS13_S14_EUlS13_E_NS1_11comp_targetILNS1_3genE5ELNS1_11target_archE942ELNS1_3gpuE9ELNS1_3repE0EEENS1_30default_config_static_selectorELNS0_4arch9wavefront6targetE0EEEvT1_,"axG",@progbits,_ZN7rocprim17ROCPRIM_400000_NS6detail17trampoline_kernelINS0_14default_configENS1_25partition_config_selectorILNS1_17partition_subalgoE9EssbEEZZNS1_14partition_implILS5_9ELb0ES3_jN6thrust23THRUST_200600_302600_NS6detail15normal_iteratorINS9_10device_ptrIsEEEESE_PNS0_10empty_typeENS0_5tupleIJSE_SF_EEENSH_IJSE_SG_EEENS0_18inequality_wrapperINS9_8equal_toIsEEEEPmJSF_EEE10hipError_tPvRmT3_T4_T5_T6_T7_T9_mT8_P12ihipStream_tbDpT10_ENKUlT_T0_E_clISt17integral_constantIbLb1EES18_EEDaS13_S14_EUlS13_E_NS1_11comp_targetILNS1_3genE5ELNS1_11target_archE942ELNS1_3gpuE9ELNS1_3repE0EEENS1_30default_config_static_selectorELNS0_4arch9wavefront6targetE0EEEvT1_,comdat
	.protected	_ZN7rocprim17ROCPRIM_400000_NS6detail17trampoline_kernelINS0_14default_configENS1_25partition_config_selectorILNS1_17partition_subalgoE9EssbEEZZNS1_14partition_implILS5_9ELb0ES3_jN6thrust23THRUST_200600_302600_NS6detail15normal_iteratorINS9_10device_ptrIsEEEESE_PNS0_10empty_typeENS0_5tupleIJSE_SF_EEENSH_IJSE_SG_EEENS0_18inequality_wrapperINS9_8equal_toIsEEEEPmJSF_EEE10hipError_tPvRmT3_T4_T5_T6_T7_T9_mT8_P12ihipStream_tbDpT10_ENKUlT_T0_E_clISt17integral_constantIbLb1EES18_EEDaS13_S14_EUlS13_E_NS1_11comp_targetILNS1_3genE5ELNS1_11target_archE942ELNS1_3gpuE9ELNS1_3repE0EEENS1_30default_config_static_selectorELNS0_4arch9wavefront6targetE0EEEvT1_ ; -- Begin function _ZN7rocprim17ROCPRIM_400000_NS6detail17trampoline_kernelINS0_14default_configENS1_25partition_config_selectorILNS1_17partition_subalgoE9EssbEEZZNS1_14partition_implILS5_9ELb0ES3_jN6thrust23THRUST_200600_302600_NS6detail15normal_iteratorINS9_10device_ptrIsEEEESE_PNS0_10empty_typeENS0_5tupleIJSE_SF_EEENSH_IJSE_SG_EEENS0_18inequality_wrapperINS9_8equal_toIsEEEEPmJSF_EEE10hipError_tPvRmT3_T4_T5_T6_T7_T9_mT8_P12ihipStream_tbDpT10_ENKUlT_T0_E_clISt17integral_constantIbLb1EES18_EEDaS13_S14_EUlS13_E_NS1_11comp_targetILNS1_3genE5ELNS1_11target_archE942ELNS1_3gpuE9ELNS1_3repE0EEENS1_30default_config_static_selectorELNS0_4arch9wavefront6targetE0EEEvT1_
	.globl	_ZN7rocprim17ROCPRIM_400000_NS6detail17trampoline_kernelINS0_14default_configENS1_25partition_config_selectorILNS1_17partition_subalgoE9EssbEEZZNS1_14partition_implILS5_9ELb0ES3_jN6thrust23THRUST_200600_302600_NS6detail15normal_iteratorINS9_10device_ptrIsEEEESE_PNS0_10empty_typeENS0_5tupleIJSE_SF_EEENSH_IJSE_SG_EEENS0_18inequality_wrapperINS9_8equal_toIsEEEEPmJSF_EEE10hipError_tPvRmT3_T4_T5_T6_T7_T9_mT8_P12ihipStream_tbDpT10_ENKUlT_T0_E_clISt17integral_constantIbLb1EES18_EEDaS13_S14_EUlS13_E_NS1_11comp_targetILNS1_3genE5ELNS1_11target_archE942ELNS1_3gpuE9ELNS1_3repE0EEENS1_30default_config_static_selectorELNS0_4arch9wavefront6targetE0EEEvT1_
	.p2align	8
	.type	_ZN7rocprim17ROCPRIM_400000_NS6detail17trampoline_kernelINS0_14default_configENS1_25partition_config_selectorILNS1_17partition_subalgoE9EssbEEZZNS1_14partition_implILS5_9ELb0ES3_jN6thrust23THRUST_200600_302600_NS6detail15normal_iteratorINS9_10device_ptrIsEEEESE_PNS0_10empty_typeENS0_5tupleIJSE_SF_EEENSH_IJSE_SG_EEENS0_18inequality_wrapperINS9_8equal_toIsEEEEPmJSF_EEE10hipError_tPvRmT3_T4_T5_T6_T7_T9_mT8_P12ihipStream_tbDpT10_ENKUlT_T0_E_clISt17integral_constantIbLb1EES18_EEDaS13_S14_EUlS13_E_NS1_11comp_targetILNS1_3genE5ELNS1_11target_archE942ELNS1_3gpuE9ELNS1_3repE0EEENS1_30default_config_static_selectorELNS0_4arch9wavefront6targetE0EEEvT1_,@function
_ZN7rocprim17ROCPRIM_400000_NS6detail17trampoline_kernelINS0_14default_configENS1_25partition_config_selectorILNS1_17partition_subalgoE9EssbEEZZNS1_14partition_implILS5_9ELb0ES3_jN6thrust23THRUST_200600_302600_NS6detail15normal_iteratorINS9_10device_ptrIsEEEESE_PNS0_10empty_typeENS0_5tupleIJSE_SF_EEENSH_IJSE_SG_EEENS0_18inequality_wrapperINS9_8equal_toIsEEEEPmJSF_EEE10hipError_tPvRmT3_T4_T5_T6_T7_T9_mT8_P12ihipStream_tbDpT10_ENKUlT_T0_E_clISt17integral_constantIbLb1EES18_EEDaS13_S14_EUlS13_E_NS1_11comp_targetILNS1_3genE5ELNS1_11target_archE942ELNS1_3gpuE9ELNS1_3repE0EEENS1_30default_config_static_selectorELNS0_4arch9wavefront6targetE0EEEvT1_: ; @_ZN7rocprim17ROCPRIM_400000_NS6detail17trampoline_kernelINS0_14default_configENS1_25partition_config_selectorILNS1_17partition_subalgoE9EssbEEZZNS1_14partition_implILS5_9ELb0ES3_jN6thrust23THRUST_200600_302600_NS6detail15normal_iteratorINS9_10device_ptrIsEEEESE_PNS0_10empty_typeENS0_5tupleIJSE_SF_EEENSH_IJSE_SG_EEENS0_18inequality_wrapperINS9_8equal_toIsEEEEPmJSF_EEE10hipError_tPvRmT3_T4_T5_T6_T7_T9_mT8_P12ihipStream_tbDpT10_ENKUlT_T0_E_clISt17integral_constantIbLb1EES18_EEDaS13_S14_EUlS13_E_NS1_11comp_targetILNS1_3genE5ELNS1_11target_archE942ELNS1_3gpuE9ELNS1_3repE0EEENS1_30default_config_static_selectorELNS0_4arch9wavefront6targetE0EEEvT1_
; %bb.0:
	.section	.rodata,"a",@progbits
	.p2align	6, 0x0
	.amdhsa_kernel _ZN7rocprim17ROCPRIM_400000_NS6detail17trampoline_kernelINS0_14default_configENS1_25partition_config_selectorILNS1_17partition_subalgoE9EssbEEZZNS1_14partition_implILS5_9ELb0ES3_jN6thrust23THRUST_200600_302600_NS6detail15normal_iteratorINS9_10device_ptrIsEEEESE_PNS0_10empty_typeENS0_5tupleIJSE_SF_EEENSH_IJSE_SG_EEENS0_18inequality_wrapperINS9_8equal_toIsEEEEPmJSF_EEE10hipError_tPvRmT3_T4_T5_T6_T7_T9_mT8_P12ihipStream_tbDpT10_ENKUlT_T0_E_clISt17integral_constantIbLb1EES18_EEDaS13_S14_EUlS13_E_NS1_11comp_targetILNS1_3genE5ELNS1_11target_archE942ELNS1_3gpuE9ELNS1_3repE0EEENS1_30default_config_static_selectorELNS0_4arch9wavefront6targetE0EEEvT1_
		.amdhsa_group_segment_fixed_size 0
		.amdhsa_private_segment_fixed_size 0
		.amdhsa_kernarg_size 128
		.amdhsa_user_sgpr_count 15
		.amdhsa_user_sgpr_dispatch_ptr 0
		.amdhsa_user_sgpr_queue_ptr 0
		.amdhsa_user_sgpr_kernarg_segment_ptr 1
		.amdhsa_user_sgpr_dispatch_id 0
		.amdhsa_user_sgpr_private_segment_size 0
		.amdhsa_wavefront_size32 1
		.amdhsa_uses_dynamic_stack 0
		.amdhsa_enable_private_segment 0
		.amdhsa_system_sgpr_workgroup_id_x 1
		.amdhsa_system_sgpr_workgroup_id_y 0
		.amdhsa_system_sgpr_workgroup_id_z 0
		.amdhsa_system_sgpr_workgroup_info 0
		.amdhsa_system_vgpr_workitem_id 0
		.amdhsa_next_free_vgpr 1
		.amdhsa_next_free_sgpr 1
		.amdhsa_reserve_vcc 0
		.amdhsa_float_round_mode_32 0
		.amdhsa_float_round_mode_16_64 0
		.amdhsa_float_denorm_mode_32 3
		.amdhsa_float_denorm_mode_16_64 3
		.amdhsa_dx10_clamp 1
		.amdhsa_ieee_mode 1
		.amdhsa_fp16_overflow 0
		.amdhsa_workgroup_processor_mode 1
		.amdhsa_memory_ordered 1
		.amdhsa_forward_progress 0
		.amdhsa_shared_vgpr_count 0
		.amdhsa_exception_fp_ieee_invalid_op 0
		.amdhsa_exception_fp_denorm_src 0
		.amdhsa_exception_fp_ieee_div_zero 0
		.amdhsa_exception_fp_ieee_overflow 0
		.amdhsa_exception_fp_ieee_underflow 0
		.amdhsa_exception_fp_ieee_inexact 0
		.amdhsa_exception_int_div_zero 0
	.end_amdhsa_kernel
	.section	.text._ZN7rocprim17ROCPRIM_400000_NS6detail17trampoline_kernelINS0_14default_configENS1_25partition_config_selectorILNS1_17partition_subalgoE9EssbEEZZNS1_14partition_implILS5_9ELb0ES3_jN6thrust23THRUST_200600_302600_NS6detail15normal_iteratorINS9_10device_ptrIsEEEESE_PNS0_10empty_typeENS0_5tupleIJSE_SF_EEENSH_IJSE_SG_EEENS0_18inequality_wrapperINS9_8equal_toIsEEEEPmJSF_EEE10hipError_tPvRmT3_T4_T5_T6_T7_T9_mT8_P12ihipStream_tbDpT10_ENKUlT_T0_E_clISt17integral_constantIbLb1EES18_EEDaS13_S14_EUlS13_E_NS1_11comp_targetILNS1_3genE5ELNS1_11target_archE942ELNS1_3gpuE9ELNS1_3repE0EEENS1_30default_config_static_selectorELNS0_4arch9wavefront6targetE0EEEvT1_,"axG",@progbits,_ZN7rocprim17ROCPRIM_400000_NS6detail17trampoline_kernelINS0_14default_configENS1_25partition_config_selectorILNS1_17partition_subalgoE9EssbEEZZNS1_14partition_implILS5_9ELb0ES3_jN6thrust23THRUST_200600_302600_NS6detail15normal_iteratorINS9_10device_ptrIsEEEESE_PNS0_10empty_typeENS0_5tupleIJSE_SF_EEENSH_IJSE_SG_EEENS0_18inequality_wrapperINS9_8equal_toIsEEEEPmJSF_EEE10hipError_tPvRmT3_T4_T5_T6_T7_T9_mT8_P12ihipStream_tbDpT10_ENKUlT_T0_E_clISt17integral_constantIbLb1EES18_EEDaS13_S14_EUlS13_E_NS1_11comp_targetILNS1_3genE5ELNS1_11target_archE942ELNS1_3gpuE9ELNS1_3repE0EEENS1_30default_config_static_selectorELNS0_4arch9wavefront6targetE0EEEvT1_,comdat
.Lfunc_end478:
	.size	_ZN7rocprim17ROCPRIM_400000_NS6detail17trampoline_kernelINS0_14default_configENS1_25partition_config_selectorILNS1_17partition_subalgoE9EssbEEZZNS1_14partition_implILS5_9ELb0ES3_jN6thrust23THRUST_200600_302600_NS6detail15normal_iteratorINS9_10device_ptrIsEEEESE_PNS0_10empty_typeENS0_5tupleIJSE_SF_EEENSH_IJSE_SG_EEENS0_18inequality_wrapperINS9_8equal_toIsEEEEPmJSF_EEE10hipError_tPvRmT3_T4_T5_T6_T7_T9_mT8_P12ihipStream_tbDpT10_ENKUlT_T0_E_clISt17integral_constantIbLb1EES18_EEDaS13_S14_EUlS13_E_NS1_11comp_targetILNS1_3genE5ELNS1_11target_archE942ELNS1_3gpuE9ELNS1_3repE0EEENS1_30default_config_static_selectorELNS0_4arch9wavefront6targetE0EEEvT1_, .Lfunc_end478-_ZN7rocprim17ROCPRIM_400000_NS6detail17trampoline_kernelINS0_14default_configENS1_25partition_config_selectorILNS1_17partition_subalgoE9EssbEEZZNS1_14partition_implILS5_9ELb0ES3_jN6thrust23THRUST_200600_302600_NS6detail15normal_iteratorINS9_10device_ptrIsEEEESE_PNS0_10empty_typeENS0_5tupleIJSE_SF_EEENSH_IJSE_SG_EEENS0_18inequality_wrapperINS9_8equal_toIsEEEEPmJSF_EEE10hipError_tPvRmT3_T4_T5_T6_T7_T9_mT8_P12ihipStream_tbDpT10_ENKUlT_T0_E_clISt17integral_constantIbLb1EES18_EEDaS13_S14_EUlS13_E_NS1_11comp_targetILNS1_3genE5ELNS1_11target_archE942ELNS1_3gpuE9ELNS1_3repE0EEENS1_30default_config_static_selectorELNS0_4arch9wavefront6targetE0EEEvT1_
                                        ; -- End function
	.section	.AMDGPU.csdata,"",@progbits
; Kernel info:
; codeLenInByte = 0
; NumSgprs: 0
; NumVgprs: 0
; ScratchSize: 0
; MemoryBound: 0
; FloatMode: 240
; IeeeMode: 1
; LDSByteSize: 0 bytes/workgroup (compile time only)
; SGPRBlocks: 0
; VGPRBlocks: 0
; NumSGPRsForWavesPerEU: 1
; NumVGPRsForWavesPerEU: 1
; Occupancy: 16
; WaveLimiterHint : 0
; COMPUTE_PGM_RSRC2:SCRATCH_EN: 0
; COMPUTE_PGM_RSRC2:USER_SGPR: 15
; COMPUTE_PGM_RSRC2:TRAP_HANDLER: 0
; COMPUTE_PGM_RSRC2:TGID_X_EN: 1
; COMPUTE_PGM_RSRC2:TGID_Y_EN: 0
; COMPUTE_PGM_RSRC2:TGID_Z_EN: 0
; COMPUTE_PGM_RSRC2:TIDIG_COMP_CNT: 0
	.section	.text._ZN7rocprim17ROCPRIM_400000_NS6detail17trampoline_kernelINS0_14default_configENS1_25partition_config_selectorILNS1_17partition_subalgoE9EssbEEZZNS1_14partition_implILS5_9ELb0ES3_jN6thrust23THRUST_200600_302600_NS6detail15normal_iteratorINS9_10device_ptrIsEEEESE_PNS0_10empty_typeENS0_5tupleIJSE_SF_EEENSH_IJSE_SG_EEENS0_18inequality_wrapperINS9_8equal_toIsEEEEPmJSF_EEE10hipError_tPvRmT3_T4_T5_T6_T7_T9_mT8_P12ihipStream_tbDpT10_ENKUlT_T0_E_clISt17integral_constantIbLb1EES18_EEDaS13_S14_EUlS13_E_NS1_11comp_targetILNS1_3genE4ELNS1_11target_archE910ELNS1_3gpuE8ELNS1_3repE0EEENS1_30default_config_static_selectorELNS0_4arch9wavefront6targetE0EEEvT1_,"axG",@progbits,_ZN7rocprim17ROCPRIM_400000_NS6detail17trampoline_kernelINS0_14default_configENS1_25partition_config_selectorILNS1_17partition_subalgoE9EssbEEZZNS1_14partition_implILS5_9ELb0ES3_jN6thrust23THRUST_200600_302600_NS6detail15normal_iteratorINS9_10device_ptrIsEEEESE_PNS0_10empty_typeENS0_5tupleIJSE_SF_EEENSH_IJSE_SG_EEENS0_18inequality_wrapperINS9_8equal_toIsEEEEPmJSF_EEE10hipError_tPvRmT3_T4_T5_T6_T7_T9_mT8_P12ihipStream_tbDpT10_ENKUlT_T0_E_clISt17integral_constantIbLb1EES18_EEDaS13_S14_EUlS13_E_NS1_11comp_targetILNS1_3genE4ELNS1_11target_archE910ELNS1_3gpuE8ELNS1_3repE0EEENS1_30default_config_static_selectorELNS0_4arch9wavefront6targetE0EEEvT1_,comdat
	.protected	_ZN7rocprim17ROCPRIM_400000_NS6detail17trampoline_kernelINS0_14default_configENS1_25partition_config_selectorILNS1_17partition_subalgoE9EssbEEZZNS1_14partition_implILS5_9ELb0ES3_jN6thrust23THRUST_200600_302600_NS6detail15normal_iteratorINS9_10device_ptrIsEEEESE_PNS0_10empty_typeENS0_5tupleIJSE_SF_EEENSH_IJSE_SG_EEENS0_18inequality_wrapperINS9_8equal_toIsEEEEPmJSF_EEE10hipError_tPvRmT3_T4_T5_T6_T7_T9_mT8_P12ihipStream_tbDpT10_ENKUlT_T0_E_clISt17integral_constantIbLb1EES18_EEDaS13_S14_EUlS13_E_NS1_11comp_targetILNS1_3genE4ELNS1_11target_archE910ELNS1_3gpuE8ELNS1_3repE0EEENS1_30default_config_static_selectorELNS0_4arch9wavefront6targetE0EEEvT1_ ; -- Begin function _ZN7rocprim17ROCPRIM_400000_NS6detail17trampoline_kernelINS0_14default_configENS1_25partition_config_selectorILNS1_17partition_subalgoE9EssbEEZZNS1_14partition_implILS5_9ELb0ES3_jN6thrust23THRUST_200600_302600_NS6detail15normal_iteratorINS9_10device_ptrIsEEEESE_PNS0_10empty_typeENS0_5tupleIJSE_SF_EEENSH_IJSE_SG_EEENS0_18inequality_wrapperINS9_8equal_toIsEEEEPmJSF_EEE10hipError_tPvRmT3_T4_T5_T6_T7_T9_mT8_P12ihipStream_tbDpT10_ENKUlT_T0_E_clISt17integral_constantIbLb1EES18_EEDaS13_S14_EUlS13_E_NS1_11comp_targetILNS1_3genE4ELNS1_11target_archE910ELNS1_3gpuE8ELNS1_3repE0EEENS1_30default_config_static_selectorELNS0_4arch9wavefront6targetE0EEEvT1_
	.globl	_ZN7rocprim17ROCPRIM_400000_NS6detail17trampoline_kernelINS0_14default_configENS1_25partition_config_selectorILNS1_17partition_subalgoE9EssbEEZZNS1_14partition_implILS5_9ELb0ES3_jN6thrust23THRUST_200600_302600_NS6detail15normal_iteratorINS9_10device_ptrIsEEEESE_PNS0_10empty_typeENS0_5tupleIJSE_SF_EEENSH_IJSE_SG_EEENS0_18inequality_wrapperINS9_8equal_toIsEEEEPmJSF_EEE10hipError_tPvRmT3_T4_T5_T6_T7_T9_mT8_P12ihipStream_tbDpT10_ENKUlT_T0_E_clISt17integral_constantIbLb1EES18_EEDaS13_S14_EUlS13_E_NS1_11comp_targetILNS1_3genE4ELNS1_11target_archE910ELNS1_3gpuE8ELNS1_3repE0EEENS1_30default_config_static_selectorELNS0_4arch9wavefront6targetE0EEEvT1_
	.p2align	8
	.type	_ZN7rocprim17ROCPRIM_400000_NS6detail17trampoline_kernelINS0_14default_configENS1_25partition_config_selectorILNS1_17partition_subalgoE9EssbEEZZNS1_14partition_implILS5_9ELb0ES3_jN6thrust23THRUST_200600_302600_NS6detail15normal_iteratorINS9_10device_ptrIsEEEESE_PNS0_10empty_typeENS0_5tupleIJSE_SF_EEENSH_IJSE_SG_EEENS0_18inequality_wrapperINS9_8equal_toIsEEEEPmJSF_EEE10hipError_tPvRmT3_T4_T5_T6_T7_T9_mT8_P12ihipStream_tbDpT10_ENKUlT_T0_E_clISt17integral_constantIbLb1EES18_EEDaS13_S14_EUlS13_E_NS1_11comp_targetILNS1_3genE4ELNS1_11target_archE910ELNS1_3gpuE8ELNS1_3repE0EEENS1_30default_config_static_selectorELNS0_4arch9wavefront6targetE0EEEvT1_,@function
_ZN7rocprim17ROCPRIM_400000_NS6detail17trampoline_kernelINS0_14default_configENS1_25partition_config_selectorILNS1_17partition_subalgoE9EssbEEZZNS1_14partition_implILS5_9ELb0ES3_jN6thrust23THRUST_200600_302600_NS6detail15normal_iteratorINS9_10device_ptrIsEEEESE_PNS0_10empty_typeENS0_5tupleIJSE_SF_EEENSH_IJSE_SG_EEENS0_18inequality_wrapperINS9_8equal_toIsEEEEPmJSF_EEE10hipError_tPvRmT3_T4_T5_T6_T7_T9_mT8_P12ihipStream_tbDpT10_ENKUlT_T0_E_clISt17integral_constantIbLb1EES18_EEDaS13_S14_EUlS13_E_NS1_11comp_targetILNS1_3genE4ELNS1_11target_archE910ELNS1_3gpuE8ELNS1_3repE0EEENS1_30default_config_static_selectorELNS0_4arch9wavefront6targetE0EEEvT1_: ; @_ZN7rocprim17ROCPRIM_400000_NS6detail17trampoline_kernelINS0_14default_configENS1_25partition_config_selectorILNS1_17partition_subalgoE9EssbEEZZNS1_14partition_implILS5_9ELb0ES3_jN6thrust23THRUST_200600_302600_NS6detail15normal_iteratorINS9_10device_ptrIsEEEESE_PNS0_10empty_typeENS0_5tupleIJSE_SF_EEENSH_IJSE_SG_EEENS0_18inequality_wrapperINS9_8equal_toIsEEEEPmJSF_EEE10hipError_tPvRmT3_T4_T5_T6_T7_T9_mT8_P12ihipStream_tbDpT10_ENKUlT_T0_E_clISt17integral_constantIbLb1EES18_EEDaS13_S14_EUlS13_E_NS1_11comp_targetILNS1_3genE4ELNS1_11target_archE910ELNS1_3gpuE8ELNS1_3repE0EEENS1_30default_config_static_selectorELNS0_4arch9wavefront6targetE0EEEvT1_
; %bb.0:
	.section	.rodata,"a",@progbits
	.p2align	6, 0x0
	.amdhsa_kernel _ZN7rocprim17ROCPRIM_400000_NS6detail17trampoline_kernelINS0_14default_configENS1_25partition_config_selectorILNS1_17partition_subalgoE9EssbEEZZNS1_14partition_implILS5_9ELb0ES3_jN6thrust23THRUST_200600_302600_NS6detail15normal_iteratorINS9_10device_ptrIsEEEESE_PNS0_10empty_typeENS0_5tupleIJSE_SF_EEENSH_IJSE_SG_EEENS0_18inequality_wrapperINS9_8equal_toIsEEEEPmJSF_EEE10hipError_tPvRmT3_T4_T5_T6_T7_T9_mT8_P12ihipStream_tbDpT10_ENKUlT_T0_E_clISt17integral_constantIbLb1EES18_EEDaS13_S14_EUlS13_E_NS1_11comp_targetILNS1_3genE4ELNS1_11target_archE910ELNS1_3gpuE8ELNS1_3repE0EEENS1_30default_config_static_selectorELNS0_4arch9wavefront6targetE0EEEvT1_
		.amdhsa_group_segment_fixed_size 0
		.amdhsa_private_segment_fixed_size 0
		.amdhsa_kernarg_size 128
		.amdhsa_user_sgpr_count 15
		.amdhsa_user_sgpr_dispatch_ptr 0
		.amdhsa_user_sgpr_queue_ptr 0
		.amdhsa_user_sgpr_kernarg_segment_ptr 1
		.amdhsa_user_sgpr_dispatch_id 0
		.amdhsa_user_sgpr_private_segment_size 0
		.amdhsa_wavefront_size32 1
		.amdhsa_uses_dynamic_stack 0
		.amdhsa_enable_private_segment 0
		.amdhsa_system_sgpr_workgroup_id_x 1
		.amdhsa_system_sgpr_workgroup_id_y 0
		.amdhsa_system_sgpr_workgroup_id_z 0
		.amdhsa_system_sgpr_workgroup_info 0
		.amdhsa_system_vgpr_workitem_id 0
		.amdhsa_next_free_vgpr 1
		.amdhsa_next_free_sgpr 1
		.amdhsa_reserve_vcc 0
		.amdhsa_float_round_mode_32 0
		.amdhsa_float_round_mode_16_64 0
		.amdhsa_float_denorm_mode_32 3
		.amdhsa_float_denorm_mode_16_64 3
		.amdhsa_dx10_clamp 1
		.amdhsa_ieee_mode 1
		.amdhsa_fp16_overflow 0
		.amdhsa_workgroup_processor_mode 1
		.amdhsa_memory_ordered 1
		.amdhsa_forward_progress 0
		.amdhsa_shared_vgpr_count 0
		.amdhsa_exception_fp_ieee_invalid_op 0
		.amdhsa_exception_fp_denorm_src 0
		.amdhsa_exception_fp_ieee_div_zero 0
		.amdhsa_exception_fp_ieee_overflow 0
		.amdhsa_exception_fp_ieee_underflow 0
		.amdhsa_exception_fp_ieee_inexact 0
		.amdhsa_exception_int_div_zero 0
	.end_amdhsa_kernel
	.section	.text._ZN7rocprim17ROCPRIM_400000_NS6detail17trampoline_kernelINS0_14default_configENS1_25partition_config_selectorILNS1_17partition_subalgoE9EssbEEZZNS1_14partition_implILS5_9ELb0ES3_jN6thrust23THRUST_200600_302600_NS6detail15normal_iteratorINS9_10device_ptrIsEEEESE_PNS0_10empty_typeENS0_5tupleIJSE_SF_EEENSH_IJSE_SG_EEENS0_18inequality_wrapperINS9_8equal_toIsEEEEPmJSF_EEE10hipError_tPvRmT3_T4_T5_T6_T7_T9_mT8_P12ihipStream_tbDpT10_ENKUlT_T0_E_clISt17integral_constantIbLb1EES18_EEDaS13_S14_EUlS13_E_NS1_11comp_targetILNS1_3genE4ELNS1_11target_archE910ELNS1_3gpuE8ELNS1_3repE0EEENS1_30default_config_static_selectorELNS0_4arch9wavefront6targetE0EEEvT1_,"axG",@progbits,_ZN7rocprim17ROCPRIM_400000_NS6detail17trampoline_kernelINS0_14default_configENS1_25partition_config_selectorILNS1_17partition_subalgoE9EssbEEZZNS1_14partition_implILS5_9ELb0ES3_jN6thrust23THRUST_200600_302600_NS6detail15normal_iteratorINS9_10device_ptrIsEEEESE_PNS0_10empty_typeENS0_5tupleIJSE_SF_EEENSH_IJSE_SG_EEENS0_18inequality_wrapperINS9_8equal_toIsEEEEPmJSF_EEE10hipError_tPvRmT3_T4_T5_T6_T7_T9_mT8_P12ihipStream_tbDpT10_ENKUlT_T0_E_clISt17integral_constantIbLb1EES18_EEDaS13_S14_EUlS13_E_NS1_11comp_targetILNS1_3genE4ELNS1_11target_archE910ELNS1_3gpuE8ELNS1_3repE0EEENS1_30default_config_static_selectorELNS0_4arch9wavefront6targetE0EEEvT1_,comdat
.Lfunc_end479:
	.size	_ZN7rocprim17ROCPRIM_400000_NS6detail17trampoline_kernelINS0_14default_configENS1_25partition_config_selectorILNS1_17partition_subalgoE9EssbEEZZNS1_14partition_implILS5_9ELb0ES3_jN6thrust23THRUST_200600_302600_NS6detail15normal_iteratorINS9_10device_ptrIsEEEESE_PNS0_10empty_typeENS0_5tupleIJSE_SF_EEENSH_IJSE_SG_EEENS0_18inequality_wrapperINS9_8equal_toIsEEEEPmJSF_EEE10hipError_tPvRmT3_T4_T5_T6_T7_T9_mT8_P12ihipStream_tbDpT10_ENKUlT_T0_E_clISt17integral_constantIbLb1EES18_EEDaS13_S14_EUlS13_E_NS1_11comp_targetILNS1_3genE4ELNS1_11target_archE910ELNS1_3gpuE8ELNS1_3repE0EEENS1_30default_config_static_selectorELNS0_4arch9wavefront6targetE0EEEvT1_, .Lfunc_end479-_ZN7rocprim17ROCPRIM_400000_NS6detail17trampoline_kernelINS0_14default_configENS1_25partition_config_selectorILNS1_17partition_subalgoE9EssbEEZZNS1_14partition_implILS5_9ELb0ES3_jN6thrust23THRUST_200600_302600_NS6detail15normal_iteratorINS9_10device_ptrIsEEEESE_PNS0_10empty_typeENS0_5tupleIJSE_SF_EEENSH_IJSE_SG_EEENS0_18inequality_wrapperINS9_8equal_toIsEEEEPmJSF_EEE10hipError_tPvRmT3_T4_T5_T6_T7_T9_mT8_P12ihipStream_tbDpT10_ENKUlT_T0_E_clISt17integral_constantIbLb1EES18_EEDaS13_S14_EUlS13_E_NS1_11comp_targetILNS1_3genE4ELNS1_11target_archE910ELNS1_3gpuE8ELNS1_3repE0EEENS1_30default_config_static_selectorELNS0_4arch9wavefront6targetE0EEEvT1_
                                        ; -- End function
	.section	.AMDGPU.csdata,"",@progbits
; Kernel info:
; codeLenInByte = 0
; NumSgprs: 0
; NumVgprs: 0
; ScratchSize: 0
; MemoryBound: 0
; FloatMode: 240
; IeeeMode: 1
; LDSByteSize: 0 bytes/workgroup (compile time only)
; SGPRBlocks: 0
; VGPRBlocks: 0
; NumSGPRsForWavesPerEU: 1
; NumVGPRsForWavesPerEU: 1
; Occupancy: 16
; WaveLimiterHint : 0
; COMPUTE_PGM_RSRC2:SCRATCH_EN: 0
; COMPUTE_PGM_RSRC2:USER_SGPR: 15
; COMPUTE_PGM_RSRC2:TRAP_HANDLER: 0
; COMPUTE_PGM_RSRC2:TGID_X_EN: 1
; COMPUTE_PGM_RSRC2:TGID_Y_EN: 0
; COMPUTE_PGM_RSRC2:TGID_Z_EN: 0
; COMPUTE_PGM_RSRC2:TIDIG_COMP_CNT: 0
	.section	.text._ZN7rocprim17ROCPRIM_400000_NS6detail17trampoline_kernelINS0_14default_configENS1_25partition_config_selectorILNS1_17partition_subalgoE9EssbEEZZNS1_14partition_implILS5_9ELb0ES3_jN6thrust23THRUST_200600_302600_NS6detail15normal_iteratorINS9_10device_ptrIsEEEESE_PNS0_10empty_typeENS0_5tupleIJSE_SF_EEENSH_IJSE_SG_EEENS0_18inequality_wrapperINS9_8equal_toIsEEEEPmJSF_EEE10hipError_tPvRmT3_T4_T5_T6_T7_T9_mT8_P12ihipStream_tbDpT10_ENKUlT_T0_E_clISt17integral_constantIbLb1EES18_EEDaS13_S14_EUlS13_E_NS1_11comp_targetILNS1_3genE3ELNS1_11target_archE908ELNS1_3gpuE7ELNS1_3repE0EEENS1_30default_config_static_selectorELNS0_4arch9wavefront6targetE0EEEvT1_,"axG",@progbits,_ZN7rocprim17ROCPRIM_400000_NS6detail17trampoline_kernelINS0_14default_configENS1_25partition_config_selectorILNS1_17partition_subalgoE9EssbEEZZNS1_14partition_implILS5_9ELb0ES3_jN6thrust23THRUST_200600_302600_NS6detail15normal_iteratorINS9_10device_ptrIsEEEESE_PNS0_10empty_typeENS0_5tupleIJSE_SF_EEENSH_IJSE_SG_EEENS0_18inequality_wrapperINS9_8equal_toIsEEEEPmJSF_EEE10hipError_tPvRmT3_T4_T5_T6_T7_T9_mT8_P12ihipStream_tbDpT10_ENKUlT_T0_E_clISt17integral_constantIbLb1EES18_EEDaS13_S14_EUlS13_E_NS1_11comp_targetILNS1_3genE3ELNS1_11target_archE908ELNS1_3gpuE7ELNS1_3repE0EEENS1_30default_config_static_selectorELNS0_4arch9wavefront6targetE0EEEvT1_,comdat
	.protected	_ZN7rocprim17ROCPRIM_400000_NS6detail17trampoline_kernelINS0_14default_configENS1_25partition_config_selectorILNS1_17partition_subalgoE9EssbEEZZNS1_14partition_implILS5_9ELb0ES3_jN6thrust23THRUST_200600_302600_NS6detail15normal_iteratorINS9_10device_ptrIsEEEESE_PNS0_10empty_typeENS0_5tupleIJSE_SF_EEENSH_IJSE_SG_EEENS0_18inequality_wrapperINS9_8equal_toIsEEEEPmJSF_EEE10hipError_tPvRmT3_T4_T5_T6_T7_T9_mT8_P12ihipStream_tbDpT10_ENKUlT_T0_E_clISt17integral_constantIbLb1EES18_EEDaS13_S14_EUlS13_E_NS1_11comp_targetILNS1_3genE3ELNS1_11target_archE908ELNS1_3gpuE7ELNS1_3repE0EEENS1_30default_config_static_selectorELNS0_4arch9wavefront6targetE0EEEvT1_ ; -- Begin function _ZN7rocprim17ROCPRIM_400000_NS6detail17trampoline_kernelINS0_14default_configENS1_25partition_config_selectorILNS1_17partition_subalgoE9EssbEEZZNS1_14partition_implILS5_9ELb0ES3_jN6thrust23THRUST_200600_302600_NS6detail15normal_iteratorINS9_10device_ptrIsEEEESE_PNS0_10empty_typeENS0_5tupleIJSE_SF_EEENSH_IJSE_SG_EEENS0_18inequality_wrapperINS9_8equal_toIsEEEEPmJSF_EEE10hipError_tPvRmT3_T4_T5_T6_T7_T9_mT8_P12ihipStream_tbDpT10_ENKUlT_T0_E_clISt17integral_constantIbLb1EES18_EEDaS13_S14_EUlS13_E_NS1_11comp_targetILNS1_3genE3ELNS1_11target_archE908ELNS1_3gpuE7ELNS1_3repE0EEENS1_30default_config_static_selectorELNS0_4arch9wavefront6targetE0EEEvT1_
	.globl	_ZN7rocprim17ROCPRIM_400000_NS6detail17trampoline_kernelINS0_14default_configENS1_25partition_config_selectorILNS1_17partition_subalgoE9EssbEEZZNS1_14partition_implILS5_9ELb0ES3_jN6thrust23THRUST_200600_302600_NS6detail15normal_iteratorINS9_10device_ptrIsEEEESE_PNS0_10empty_typeENS0_5tupleIJSE_SF_EEENSH_IJSE_SG_EEENS0_18inequality_wrapperINS9_8equal_toIsEEEEPmJSF_EEE10hipError_tPvRmT3_T4_T5_T6_T7_T9_mT8_P12ihipStream_tbDpT10_ENKUlT_T0_E_clISt17integral_constantIbLb1EES18_EEDaS13_S14_EUlS13_E_NS1_11comp_targetILNS1_3genE3ELNS1_11target_archE908ELNS1_3gpuE7ELNS1_3repE0EEENS1_30default_config_static_selectorELNS0_4arch9wavefront6targetE0EEEvT1_
	.p2align	8
	.type	_ZN7rocprim17ROCPRIM_400000_NS6detail17trampoline_kernelINS0_14default_configENS1_25partition_config_selectorILNS1_17partition_subalgoE9EssbEEZZNS1_14partition_implILS5_9ELb0ES3_jN6thrust23THRUST_200600_302600_NS6detail15normal_iteratorINS9_10device_ptrIsEEEESE_PNS0_10empty_typeENS0_5tupleIJSE_SF_EEENSH_IJSE_SG_EEENS0_18inequality_wrapperINS9_8equal_toIsEEEEPmJSF_EEE10hipError_tPvRmT3_T4_T5_T6_T7_T9_mT8_P12ihipStream_tbDpT10_ENKUlT_T0_E_clISt17integral_constantIbLb1EES18_EEDaS13_S14_EUlS13_E_NS1_11comp_targetILNS1_3genE3ELNS1_11target_archE908ELNS1_3gpuE7ELNS1_3repE0EEENS1_30default_config_static_selectorELNS0_4arch9wavefront6targetE0EEEvT1_,@function
_ZN7rocprim17ROCPRIM_400000_NS6detail17trampoline_kernelINS0_14default_configENS1_25partition_config_selectorILNS1_17partition_subalgoE9EssbEEZZNS1_14partition_implILS5_9ELb0ES3_jN6thrust23THRUST_200600_302600_NS6detail15normal_iteratorINS9_10device_ptrIsEEEESE_PNS0_10empty_typeENS0_5tupleIJSE_SF_EEENSH_IJSE_SG_EEENS0_18inequality_wrapperINS9_8equal_toIsEEEEPmJSF_EEE10hipError_tPvRmT3_T4_T5_T6_T7_T9_mT8_P12ihipStream_tbDpT10_ENKUlT_T0_E_clISt17integral_constantIbLb1EES18_EEDaS13_S14_EUlS13_E_NS1_11comp_targetILNS1_3genE3ELNS1_11target_archE908ELNS1_3gpuE7ELNS1_3repE0EEENS1_30default_config_static_selectorELNS0_4arch9wavefront6targetE0EEEvT1_: ; @_ZN7rocprim17ROCPRIM_400000_NS6detail17trampoline_kernelINS0_14default_configENS1_25partition_config_selectorILNS1_17partition_subalgoE9EssbEEZZNS1_14partition_implILS5_9ELb0ES3_jN6thrust23THRUST_200600_302600_NS6detail15normal_iteratorINS9_10device_ptrIsEEEESE_PNS0_10empty_typeENS0_5tupleIJSE_SF_EEENSH_IJSE_SG_EEENS0_18inequality_wrapperINS9_8equal_toIsEEEEPmJSF_EEE10hipError_tPvRmT3_T4_T5_T6_T7_T9_mT8_P12ihipStream_tbDpT10_ENKUlT_T0_E_clISt17integral_constantIbLb1EES18_EEDaS13_S14_EUlS13_E_NS1_11comp_targetILNS1_3genE3ELNS1_11target_archE908ELNS1_3gpuE7ELNS1_3repE0EEENS1_30default_config_static_selectorELNS0_4arch9wavefront6targetE0EEEvT1_
; %bb.0:
	.section	.rodata,"a",@progbits
	.p2align	6, 0x0
	.amdhsa_kernel _ZN7rocprim17ROCPRIM_400000_NS6detail17trampoline_kernelINS0_14default_configENS1_25partition_config_selectorILNS1_17partition_subalgoE9EssbEEZZNS1_14partition_implILS5_9ELb0ES3_jN6thrust23THRUST_200600_302600_NS6detail15normal_iteratorINS9_10device_ptrIsEEEESE_PNS0_10empty_typeENS0_5tupleIJSE_SF_EEENSH_IJSE_SG_EEENS0_18inequality_wrapperINS9_8equal_toIsEEEEPmJSF_EEE10hipError_tPvRmT3_T4_T5_T6_T7_T9_mT8_P12ihipStream_tbDpT10_ENKUlT_T0_E_clISt17integral_constantIbLb1EES18_EEDaS13_S14_EUlS13_E_NS1_11comp_targetILNS1_3genE3ELNS1_11target_archE908ELNS1_3gpuE7ELNS1_3repE0EEENS1_30default_config_static_selectorELNS0_4arch9wavefront6targetE0EEEvT1_
		.amdhsa_group_segment_fixed_size 0
		.amdhsa_private_segment_fixed_size 0
		.amdhsa_kernarg_size 128
		.amdhsa_user_sgpr_count 15
		.amdhsa_user_sgpr_dispatch_ptr 0
		.amdhsa_user_sgpr_queue_ptr 0
		.amdhsa_user_sgpr_kernarg_segment_ptr 1
		.amdhsa_user_sgpr_dispatch_id 0
		.amdhsa_user_sgpr_private_segment_size 0
		.amdhsa_wavefront_size32 1
		.amdhsa_uses_dynamic_stack 0
		.amdhsa_enable_private_segment 0
		.amdhsa_system_sgpr_workgroup_id_x 1
		.amdhsa_system_sgpr_workgroup_id_y 0
		.amdhsa_system_sgpr_workgroup_id_z 0
		.amdhsa_system_sgpr_workgroup_info 0
		.amdhsa_system_vgpr_workitem_id 0
		.amdhsa_next_free_vgpr 1
		.amdhsa_next_free_sgpr 1
		.amdhsa_reserve_vcc 0
		.amdhsa_float_round_mode_32 0
		.amdhsa_float_round_mode_16_64 0
		.amdhsa_float_denorm_mode_32 3
		.amdhsa_float_denorm_mode_16_64 3
		.amdhsa_dx10_clamp 1
		.amdhsa_ieee_mode 1
		.amdhsa_fp16_overflow 0
		.amdhsa_workgroup_processor_mode 1
		.amdhsa_memory_ordered 1
		.amdhsa_forward_progress 0
		.amdhsa_shared_vgpr_count 0
		.amdhsa_exception_fp_ieee_invalid_op 0
		.amdhsa_exception_fp_denorm_src 0
		.amdhsa_exception_fp_ieee_div_zero 0
		.amdhsa_exception_fp_ieee_overflow 0
		.amdhsa_exception_fp_ieee_underflow 0
		.amdhsa_exception_fp_ieee_inexact 0
		.amdhsa_exception_int_div_zero 0
	.end_amdhsa_kernel
	.section	.text._ZN7rocprim17ROCPRIM_400000_NS6detail17trampoline_kernelINS0_14default_configENS1_25partition_config_selectorILNS1_17partition_subalgoE9EssbEEZZNS1_14partition_implILS5_9ELb0ES3_jN6thrust23THRUST_200600_302600_NS6detail15normal_iteratorINS9_10device_ptrIsEEEESE_PNS0_10empty_typeENS0_5tupleIJSE_SF_EEENSH_IJSE_SG_EEENS0_18inequality_wrapperINS9_8equal_toIsEEEEPmJSF_EEE10hipError_tPvRmT3_T4_T5_T6_T7_T9_mT8_P12ihipStream_tbDpT10_ENKUlT_T0_E_clISt17integral_constantIbLb1EES18_EEDaS13_S14_EUlS13_E_NS1_11comp_targetILNS1_3genE3ELNS1_11target_archE908ELNS1_3gpuE7ELNS1_3repE0EEENS1_30default_config_static_selectorELNS0_4arch9wavefront6targetE0EEEvT1_,"axG",@progbits,_ZN7rocprim17ROCPRIM_400000_NS6detail17trampoline_kernelINS0_14default_configENS1_25partition_config_selectorILNS1_17partition_subalgoE9EssbEEZZNS1_14partition_implILS5_9ELb0ES3_jN6thrust23THRUST_200600_302600_NS6detail15normal_iteratorINS9_10device_ptrIsEEEESE_PNS0_10empty_typeENS0_5tupleIJSE_SF_EEENSH_IJSE_SG_EEENS0_18inequality_wrapperINS9_8equal_toIsEEEEPmJSF_EEE10hipError_tPvRmT3_T4_T5_T6_T7_T9_mT8_P12ihipStream_tbDpT10_ENKUlT_T0_E_clISt17integral_constantIbLb1EES18_EEDaS13_S14_EUlS13_E_NS1_11comp_targetILNS1_3genE3ELNS1_11target_archE908ELNS1_3gpuE7ELNS1_3repE0EEENS1_30default_config_static_selectorELNS0_4arch9wavefront6targetE0EEEvT1_,comdat
.Lfunc_end480:
	.size	_ZN7rocprim17ROCPRIM_400000_NS6detail17trampoline_kernelINS0_14default_configENS1_25partition_config_selectorILNS1_17partition_subalgoE9EssbEEZZNS1_14partition_implILS5_9ELb0ES3_jN6thrust23THRUST_200600_302600_NS6detail15normal_iteratorINS9_10device_ptrIsEEEESE_PNS0_10empty_typeENS0_5tupleIJSE_SF_EEENSH_IJSE_SG_EEENS0_18inequality_wrapperINS9_8equal_toIsEEEEPmJSF_EEE10hipError_tPvRmT3_T4_T5_T6_T7_T9_mT8_P12ihipStream_tbDpT10_ENKUlT_T0_E_clISt17integral_constantIbLb1EES18_EEDaS13_S14_EUlS13_E_NS1_11comp_targetILNS1_3genE3ELNS1_11target_archE908ELNS1_3gpuE7ELNS1_3repE0EEENS1_30default_config_static_selectorELNS0_4arch9wavefront6targetE0EEEvT1_, .Lfunc_end480-_ZN7rocprim17ROCPRIM_400000_NS6detail17trampoline_kernelINS0_14default_configENS1_25partition_config_selectorILNS1_17partition_subalgoE9EssbEEZZNS1_14partition_implILS5_9ELb0ES3_jN6thrust23THRUST_200600_302600_NS6detail15normal_iteratorINS9_10device_ptrIsEEEESE_PNS0_10empty_typeENS0_5tupleIJSE_SF_EEENSH_IJSE_SG_EEENS0_18inequality_wrapperINS9_8equal_toIsEEEEPmJSF_EEE10hipError_tPvRmT3_T4_T5_T6_T7_T9_mT8_P12ihipStream_tbDpT10_ENKUlT_T0_E_clISt17integral_constantIbLb1EES18_EEDaS13_S14_EUlS13_E_NS1_11comp_targetILNS1_3genE3ELNS1_11target_archE908ELNS1_3gpuE7ELNS1_3repE0EEENS1_30default_config_static_selectorELNS0_4arch9wavefront6targetE0EEEvT1_
                                        ; -- End function
	.section	.AMDGPU.csdata,"",@progbits
; Kernel info:
; codeLenInByte = 0
; NumSgprs: 0
; NumVgprs: 0
; ScratchSize: 0
; MemoryBound: 0
; FloatMode: 240
; IeeeMode: 1
; LDSByteSize: 0 bytes/workgroup (compile time only)
; SGPRBlocks: 0
; VGPRBlocks: 0
; NumSGPRsForWavesPerEU: 1
; NumVGPRsForWavesPerEU: 1
; Occupancy: 16
; WaveLimiterHint : 0
; COMPUTE_PGM_RSRC2:SCRATCH_EN: 0
; COMPUTE_PGM_RSRC2:USER_SGPR: 15
; COMPUTE_PGM_RSRC2:TRAP_HANDLER: 0
; COMPUTE_PGM_RSRC2:TGID_X_EN: 1
; COMPUTE_PGM_RSRC2:TGID_Y_EN: 0
; COMPUTE_PGM_RSRC2:TGID_Z_EN: 0
; COMPUTE_PGM_RSRC2:TIDIG_COMP_CNT: 0
	.section	.text._ZN7rocprim17ROCPRIM_400000_NS6detail17trampoline_kernelINS0_14default_configENS1_25partition_config_selectorILNS1_17partition_subalgoE9EssbEEZZNS1_14partition_implILS5_9ELb0ES3_jN6thrust23THRUST_200600_302600_NS6detail15normal_iteratorINS9_10device_ptrIsEEEESE_PNS0_10empty_typeENS0_5tupleIJSE_SF_EEENSH_IJSE_SG_EEENS0_18inequality_wrapperINS9_8equal_toIsEEEEPmJSF_EEE10hipError_tPvRmT3_T4_T5_T6_T7_T9_mT8_P12ihipStream_tbDpT10_ENKUlT_T0_E_clISt17integral_constantIbLb1EES18_EEDaS13_S14_EUlS13_E_NS1_11comp_targetILNS1_3genE2ELNS1_11target_archE906ELNS1_3gpuE6ELNS1_3repE0EEENS1_30default_config_static_selectorELNS0_4arch9wavefront6targetE0EEEvT1_,"axG",@progbits,_ZN7rocprim17ROCPRIM_400000_NS6detail17trampoline_kernelINS0_14default_configENS1_25partition_config_selectorILNS1_17partition_subalgoE9EssbEEZZNS1_14partition_implILS5_9ELb0ES3_jN6thrust23THRUST_200600_302600_NS6detail15normal_iteratorINS9_10device_ptrIsEEEESE_PNS0_10empty_typeENS0_5tupleIJSE_SF_EEENSH_IJSE_SG_EEENS0_18inequality_wrapperINS9_8equal_toIsEEEEPmJSF_EEE10hipError_tPvRmT3_T4_T5_T6_T7_T9_mT8_P12ihipStream_tbDpT10_ENKUlT_T0_E_clISt17integral_constantIbLb1EES18_EEDaS13_S14_EUlS13_E_NS1_11comp_targetILNS1_3genE2ELNS1_11target_archE906ELNS1_3gpuE6ELNS1_3repE0EEENS1_30default_config_static_selectorELNS0_4arch9wavefront6targetE0EEEvT1_,comdat
	.protected	_ZN7rocprim17ROCPRIM_400000_NS6detail17trampoline_kernelINS0_14default_configENS1_25partition_config_selectorILNS1_17partition_subalgoE9EssbEEZZNS1_14partition_implILS5_9ELb0ES3_jN6thrust23THRUST_200600_302600_NS6detail15normal_iteratorINS9_10device_ptrIsEEEESE_PNS0_10empty_typeENS0_5tupleIJSE_SF_EEENSH_IJSE_SG_EEENS0_18inequality_wrapperINS9_8equal_toIsEEEEPmJSF_EEE10hipError_tPvRmT3_T4_T5_T6_T7_T9_mT8_P12ihipStream_tbDpT10_ENKUlT_T0_E_clISt17integral_constantIbLb1EES18_EEDaS13_S14_EUlS13_E_NS1_11comp_targetILNS1_3genE2ELNS1_11target_archE906ELNS1_3gpuE6ELNS1_3repE0EEENS1_30default_config_static_selectorELNS0_4arch9wavefront6targetE0EEEvT1_ ; -- Begin function _ZN7rocprim17ROCPRIM_400000_NS6detail17trampoline_kernelINS0_14default_configENS1_25partition_config_selectorILNS1_17partition_subalgoE9EssbEEZZNS1_14partition_implILS5_9ELb0ES3_jN6thrust23THRUST_200600_302600_NS6detail15normal_iteratorINS9_10device_ptrIsEEEESE_PNS0_10empty_typeENS0_5tupleIJSE_SF_EEENSH_IJSE_SG_EEENS0_18inequality_wrapperINS9_8equal_toIsEEEEPmJSF_EEE10hipError_tPvRmT3_T4_T5_T6_T7_T9_mT8_P12ihipStream_tbDpT10_ENKUlT_T0_E_clISt17integral_constantIbLb1EES18_EEDaS13_S14_EUlS13_E_NS1_11comp_targetILNS1_3genE2ELNS1_11target_archE906ELNS1_3gpuE6ELNS1_3repE0EEENS1_30default_config_static_selectorELNS0_4arch9wavefront6targetE0EEEvT1_
	.globl	_ZN7rocprim17ROCPRIM_400000_NS6detail17trampoline_kernelINS0_14default_configENS1_25partition_config_selectorILNS1_17partition_subalgoE9EssbEEZZNS1_14partition_implILS5_9ELb0ES3_jN6thrust23THRUST_200600_302600_NS6detail15normal_iteratorINS9_10device_ptrIsEEEESE_PNS0_10empty_typeENS0_5tupleIJSE_SF_EEENSH_IJSE_SG_EEENS0_18inequality_wrapperINS9_8equal_toIsEEEEPmJSF_EEE10hipError_tPvRmT3_T4_T5_T6_T7_T9_mT8_P12ihipStream_tbDpT10_ENKUlT_T0_E_clISt17integral_constantIbLb1EES18_EEDaS13_S14_EUlS13_E_NS1_11comp_targetILNS1_3genE2ELNS1_11target_archE906ELNS1_3gpuE6ELNS1_3repE0EEENS1_30default_config_static_selectorELNS0_4arch9wavefront6targetE0EEEvT1_
	.p2align	8
	.type	_ZN7rocprim17ROCPRIM_400000_NS6detail17trampoline_kernelINS0_14default_configENS1_25partition_config_selectorILNS1_17partition_subalgoE9EssbEEZZNS1_14partition_implILS5_9ELb0ES3_jN6thrust23THRUST_200600_302600_NS6detail15normal_iteratorINS9_10device_ptrIsEEEESE_PNS0_10empty_typeENS0_5tupleIJSE_SF_EEENSH_IJSE_SG_EEENS0_18inequality_wrapperINS9_8equal_toIsEEEEPmJSF_EEE10hipError_tPvRmT3_T4_T5_T6_T7_T9_mT8_P12ihipStream_tbDpT10_ENKUlT_T0_E_clISt17integral_constantIbLb1EES18_EEDaS13_S14_EUlS13_E_NS1_11comp_targetILNS1_3genE2ELNS1_11target_archE906ELNS1_3gpuE6ELNS1_3repE0EEENS1_30default_config_static_selectorELNS0_4arch9wavefront6targetE0EEEvT1_,@function
_ZN7rocprim17ROCPRIM_400000_NS6detail17trampoline_kernelINS0_14default_configENS1_25partition_config_selectorILNS1_17partition_subalgoE9EssbEEZZNS1_14partition_implILS5_9ELb0ES3_jN6thrust23THRUST_200600_302600_NS6detail15normal_iteratorINS9_10device_ptrIsEEEESE_PNS0_10empty_typeENS0_5tupleIJSE_SF_EEENSH_IJSE_SG_EEENS0_18inequality_wrapperINS9_8equal_toIsEEEEPmJSF_EEE10hipError_tPvRmT3_T4_T5_T6_T7_T9_mT8_P12ihipStream_tbDpT10_ENKUlT_T0_E_clISt17integral_constantIbLb1EES18_EEDaS13_S14_EUlS13_E_NS1_11comp_targetILNS1_3genE2ELNS1_11target_archE906ELNS1_3gpuE6ELNS1_3repE0EEENS1_30default_config_static_selectorELNS0_4arch9wavefront6targetE0EEEvT1_: ; @_ZN7rocprim17ROCPRIM_400000_NS6detail17trampoline_kernelINS0_14default_configENS1_25partition_config_selectorILNS1_17partition_subalgoE9EssbEEZZNS1_14partition_implILS5_9ELb0ES3_jN6thrust23THRUST_200600_302600_NS6detail15normal_iteratorINS9_10device_ptrIsEEEESE_PNS0_10empty_typeENS0_5tupleIJSE_SF_EEENSH_IJSE_SG_EEENS0_18inequality_wrapperINS9_8equal_toIsEEEEPmJSF_EEE10hipError_tPvRmT3_T4_T5_T6_T7_T9_mT8_P12ihipStream_tbDpT10_ENKUlT_T0_E_clISt17integral_constantIbLb1EES18_EEDaS13_S14_EUlS13_E_NS1_11comp_targetILNS1_3genE2ELNS1_11target_archE906ELNS1_3gpuE6ELNS1_3repE0EEENS1_30default_config_static_selectorELNS0_4arch9wavefront6targetE0EEEvT1_
; %bb.0:
	.section	.rodata,"a",@progbits
	.p2align	6, 0x0
	.amdhsa_kernel _ZN7rocprim17ROCPRIM_400000_NS6detail17trampoline_kernelINS0_14default_configENS1_25partition_config_selectorILNS1_17partition_subalgoE9EssbEEZZNS1_14partition_implILS5_9ELb0ES3_jN6thrust23THRUST_200600_302600_NS6detail15normal_iteratorINS9_10device_ptrIsEEEESE_PNS0_10empty_typeENS0_5tupleIJSE_SF_EEENSH_IJSE_SG_EEENS0_18inequality_wrapperINS9_8equal_toIsEEEEPmJSF_EEE10hipError_tPvRmT3_T4_T5_T6_T7_T9_mT8_P12ihipStream_tbDpT10_ENKUlT_T0_E_clISt17integral_constantIbLb1EES18_EEDaS13_S14_EUlS13_E_NS1_11comp_targetILNS1_3genE2ELNS1_11target_archE906ELNS1_3gpuE6ELNS1_3repE0EEENS1_30default_config_static_selectorELNS0_4arch9wavefront6targetE0EEEvT1_
		.amdhsa_group_segment_fixed_size 0
		.amdhsa_private_segment_fixed_size 0
		.amdhsa_kernarg_size 128
		.amdhsa_user_sgpr_count 15
		.amdhsa_user_sgpr_dispatch_ptr 0
		.amdhsa_user_sgpr_queue_ptr 0
		.amdhsa_user_sgpr_kernarg_segment_ptr 1
		.amdhsa_user_sgpr_dispatch_id 0
		.amdhsa_user_sgpr_private_segment_size 0
		.amdhsa_wavefront_size32 1
		.amdhsa_uses_dynamic_stack 0
		.amdhsa_enable_private_segment 0
		.amdhsa_system_sgpr_workgroup_id_x 1
		.amdhsa_system_sgpr_workgroup_id_y 0
		.amdhsa_system_sgpr_workgroup_id_z 0
		.amdhsa_system_sgpr_workgroup_info 0
		.amdhsa_system_vgpr_workitem_id 0
		.amdhsa_next_free_vgpr 1
		.amdhsa_next_free_sgpr 1
		.amdhsa_reserve_vcc 0
		.amdhsa_float_round_mode_32 0
		.amdhsa_float_round_mode_16_64 0
		.amdhsa_float_denorm_mode_32 3
		.amdhsa_float_denorm_mode_16_64 3
		.amdhsa_dx10_clamp 1
		.amdhsa_ieee_mode 1
		.amdhsa_fp16_overflow 0
		.amdhsa_workgroup_processor_mode 1
		.amdhsa_memory_ordered 1
		.amdhsa_forward_progress 0
		.amdhsa_shared_vgpr_count 0
		.amdhsa_exception_fp_ieee_invalid_op 0
		.amdhsa_exception_fp_denorm_src 0
		.amdhsa_exception_fp_ieee_div_zero 0
		.amdhsa_exception_fp_ieee_overflow 0
		.amdhsa_exception_fp_ieee_underflow 0
		.amdhsa_exception_fp_ieee_inexact 0
		.amdhsa_exception_int_div_zero 0
	.end_amdhsa_kernel
	.section	.text._ZN7rocprim17ROCPRIM_400000_NS6detail17trampoline_kernelINS0_14default_configENS1_25partition_config_selectorILNS1_17partition_subalgoE9EssbEEZZNS1_14partition_implILS5_9ELb0ES3_jN6thrust23THRUST_200600_302600_NS6detail15normal_iteratorINS9_10device_ptrIsEEEESE_PNS0_10empty_typeENS0_5tupleIJSE_SF_EEENSH_IJSE_SG_EEENS0_18inequality_wrapperINS9_8equal_toIsEEEEPmJSF_EEE10hipError_tPvRmT3_T4_T5_T6_T7_T9_mT8_P12ihipStream_tbDpT10_ENKUlT_T0_E_clISt17integral_constantIbLb1EES18_EEDaS13_S14_EUlS13_E_NS1_11comp_targetILNS1_3genE2ELNS1_11target_archE906ELNS1_3gpuE6ELNS1_3repE0EEENS1_30default_config_static_selectorELNS0_4arch9wavefront6targetE0EEEvT1_,"axG",@progbits,_ZN7rocprim17ROCPRIM_400000_NS6detail17trampoline_kernelINS0_14default_configENS1_25partition_config_selectorILNS1_17partition_subalgoE9EssbEEZZNS1_14partition_implILS5_9ELb0ES3_jN6thrust23THRUST_200600_302600_NS6detail15normal_iteratorINS9_10device_ptrIsEEEESE_PNS0_10empty_typeENS0_5tupleIJSE_SF_EEENSH_IJSE_SG_EEENS0_18inequality_wrapperINS9_8equal_toIsEEEEPmJSF_EEE10hipError_tPvRmT3_T4_T5_T6_T7_T9_mT8_P12ihipStream_tbDpT10_ENKUlT_T0_E_clISt17integral_constantIbLb1EES18_EEDaS13_S14_EUlS13_E_NS1_11comp_targetILNS1_3genE2ELNS1_11target_archE906ELNS1_3gpuE6ELNS1_3repE0EEENS1_30default_config_static_selectorELNS0_4arch9wavefront6targetE0EEEvT1_,comdat
.Lfunc_end481:
	.size	_ZN7rocprim17ROCPRIM_400000_NS6detail17trampoline_kernelINS0_14default_configENS1_25partition_config_selectorILNS1_17partition_subalgoE9EssbEEZZNS1_14partition_implILS5_9ELb0ES3_jN6thrust23THRUST_200600_302600_NS6detail15normal_iteratorINS9_10device_ptrIsEEEESE_PNS0_10empty_typeENS0_5tupleIJSE_SF_EEENSH_IJSE_SG_EEENS0_18inequality_wrapperINS9_8equal_toIsEEEEPmJSF_EEE10hipError_tPvRmT3_T4_T5_T6_T7_T9_mT8_P12ihipStream_tbDpT10_ENKUlT_T0_E_clISt17integral_constantIbLb1EES18_EEDaS13_S14_EUlS13_E_NS1_11comp_targetILNS1_3genE2ELNS1_11target_archE906ELNS1_3gpuE6ELNS1_3repE0EEENS1_30default_config_static_selectorELNS0_4arch9wavefront6targetE0EEEvT1_, .Lfunc_end481-_ZN7rocprim17ROCPRIM_400000_NS6detail17trampoline_kernelINS0_14default_configENS1_25partition_config_selectorILNS1_17partition_subalgoE9EssbEEZZNS1_14partition_implILS5_9ELb0ES3_jN6thrust23THRUST_200600_302600_NS6detail15normal_iteratorINS9_10device_ptrIsEEEESE_PNS0_10empty_typeENS0_5tupleIJSE_SF_EEENSH_IJSE_SG_EEENS0_18inequality_wrapperINS9_8equal_toIsEEEEPmJSF_EEE10hipError_tPvRmT3_T4_T5_T6_T7_T9_mT8_P12ihipStream_tbDpT10_ENKUlT_T0_E_clISt17integral_constantIbLb1EES18_EEDaS13_S14_EUlS13_E_NS1_11comp_targetILNS1_3genE2ELNS1_11target_archE906ELNS1_3gpuE6ELNS1_3repE0EEENS1_30default_config_static_selectorELNS0_4arch9wavefront6targetE0EEEvT1_
                                        ; -- End function
	.section	.AMDGPU.csdata,"",@progbits
; Kernel info:
; codeLenInByte = 0
; NumSgprs: 0
; NumVgprs: 0
; ScratchSize: 0
; MemoryBound: 0
; FloatMode: 240
; IeeeMode: 1
; LDSByteSize: 0 bytes/workgroup (compile time only)
; SGPRBlocks: 0
; VGPRBlocks: 0
; NumSGPRsForWavesPerEU: 1
; NumVGPRsForWavesPerEU: 1
; Occupancy: 16
; WaveLimiterHint : 0
; COMPUTE_PGM_RSRC2:SCRATCH_EN: 0
; COMPUTE_PGM_RSRC2:USER_SGPR: 15
; COMPUTE_PGM_RSRC2:TRAP_HANDLER: 0
; COMPUTE_PGM_RSRC2:TGID_X_EN: 1
; COMPUTE_PGM_RSRC2:TGID_Y_EN: 0
; COMPUTE_PGM_RSRC2:TGID_Z_EN: 0
; COMPUTE_PGM_RSRC2:TIDIG_COMP_CNT: 0
	.section	.text._ZN7rocprim17ROCPRIM_400000_NS6detail17trampoline_kernelINS0_14default_configENS1_25partition_config_selectorILNS1_17partition_subalgoE9EssbEEZZNS1_14partition_implILS5_9ELb0ES3_jN6thrust23THRUST_200600_302600_NS6detail15normal_iteratorINS9_10device_ptrIsEEEESE_PNS0_10empty_typeENS0_5tupleIJSE_SF_EEENSH_IJSE_SG_EEENS0_18inequality_wrapperINS9_8equal_toIsEEEEPmJSF_EEE10hipError_tPvRmT3_T4_T5_T6_T7_T9_mT8_P12ihipStream_tbDpT10_ENKUlT_T0_E_clISt17integral_constantIbLb1EES18_EEDaS13_S14_EUlS13_E_NS1_11comp_targetILNS1_3genE10ELNS1_11target_archE1200ELNS1_3gpuE4ELNS1_3repE0EEENS1_30default_config_static_selectorELNS0_4arch9wavefront6targetE0EEEvT1_,"axG",@progbits,_ZN7rocprim17ROCPRIM_400000_NS6detail17trampoline_kernelINS0_14default_configENS1_25partition_config_selectorILNS1_17partition_subalgoE9EssbEEZZNS1_14partition_implILS5_9ELb0ES3_jN6thrust23THRUST_200600_302600_NS6detail15normal_iteratorINS9_10device_ptrIsEEEESE_PNS0_10empty_typeENS0_5tupleIJSE_SF_EEENSH_IJSE_SG_EEENS0_18inequality_wrapperINS9_8equal_toIsEEEEPmJSF_EEE10hipError_tPvRmT3_T4_T5_T6_T7_T9_mT8_P12ihipStream_tbDpT10_ENKUlT_T0_E_clISt17integral_constantIbLb1EES18_EEDaS13_S14_EUlS13_E_NS1_11comp_targetILNS1_3genE10ELNS1_11target_archE1200ELNS1_3gpuE4ELNS1_3repE0EEENS1_30default_config_static_selectorELNS0_4arch9wavefront6targetE0EEEvT1_,comdat
	.protected	_ZN7rocprim17ROCPRIM_400000_NS6detail17trampoline_kernelINS0_14default_configENS1_25partition_config_selectorILNS1_17partition_subalgoE9EssbEEZZNS1_14partition_implILS5_9ELb0ES3_jN6thrust23THRUST_200600_302600_NS6detail15normal_iteratorINS9_10device_ptrIsEEEESE_PNS0_10empty_typeENS0_5tupleIJSE_SF_EEENSH_IJSE_SG_EEENS0_18inequality_wrapperINS9_8equal_toIsEEEEPmJSF_EEE10hipError_tPvRmT3_T4_T5_T6_T7_T9_mT8_P12ihipStream_tbDpT10_ENKUlT_T0_E_clISt17integral_constantIbLb1EES18_EEDaS13_S14_EUlS13_E_NS1_11comp_targetILNS1_3genE10ELNS1_11target_archE1200ELNS1_3gpuE4ELNS1_3repE0EEENS1_30default_config_static_selectorELNS0_4arch9wavefront6targetE0EEEvT1_ ; -- Begin function _ZN7rocprim17ROCPRIM_400000_NS6detail17trampoline_kernelINS0_14default_configENS1_25partition_config_selectorILNS1_17partition_subalgoE9EssbEEZZNS1_14partition_implILS5_9ELb0ES3_jN6thrust23THRUST_200600_302600_NS6detail15normal_iteratorINS9_10device_ptrIsEEEESE_PNS0_10empty_typeENS0_5tupleIJSE_SF_EEENSH_IJSE_SG_EEENS0_18inequality_wrapperINS9_8equal_toIsEEEEPmJSF_EEE10hipError_tPvRmT3_T4_T5_T6_T7_T9_mT8_P12ihipStream_tbDpT10_ENKUlT_T0_E_clISt17integral_constantIbLb1EES18_EEDaS13_S14_EUlS13_E_NS1_11comp_targetILNS1_3genE10ELNS1_11target_archE1200ELNS1_3gpuE4ELNS1_3repE0EEENS1_30default_config_static_selectorELNS0_4arch9wavefront6targetE0EEEvT1_
	.globl	_ZN7rocprim17ROCPRIM_400000_NS6detail17trampoline_kernelINS0_14default_configENS1_25partition_config_selectorILNS1_17partition_subalgoE9EssbEEZZNS1_14partition_implILS5_9ELb0ES3_jN6thrust23THRUST_200600_302600_NS6detail15normal_iteratorINS9_10device_ptrIsEEEESE_PNS0_10empty_typeENS0_5tupleIJSE_SF_EEENSH_IJSE_SG_EEENS0_18inequality_wrapperINS9_8equal_toIsEEEEPmJSF_EEE10hipError_tPvRmT3_T4_T5_T6_T7_T9_mT8_P12ihipStream_tbDpT10_ENKUlT_T0_E_clISt17integral_constantIbLb1EES18_EEDaS13_S14_EUlS13_E_NS1_11comp_targetILNS1_3genE10ELNS1_11target_archE1200ELNS1_3gpuE4ELNS1_3repE0EEENS1_30default_config_static_selectorELNS0_4arch9wavefront6targetE0EEEvT1_
	.p2align	8
	.type	_ZN7rocprim17ROCPRIM_400000_NS6detail17trampoline_kernelINS0_14default_configENS1_25partition_config_selectorILNS1_17partition_subalgoE9EssbEEZZNS1_14partition_implILS5_9ELb0ES3_jN6thrust23THRUST_200600_302600_NS6detail15normal_iteratorINS9_10device_ptrIsEEEESE_PNS0_10empty_typeENS0_5tupleIJSE_SF_EEENSH_IJSE_SG_EEENS0_18inequality_wrapperINS9_8equal_toIsEEEEPmJSF_EEE10hipError_tPvRmT3_T4_T5_T6_T7_T9_mT8_P12ihipStream_tbDpT10_ENKUlT_T0_E_clISt17integral_constantIbLb1EES18_EEDaS13_S14_EUlS13_E_NS1_11comp_targetILNS1_3genE10ELNS1_11target_archE1200ELNS1_3gpuE4ELNS1_3repE0EEENS1_30default_config_static_selectorELNS0_4arch9wavefront6targetE0EEEvT1_,@function
_ZN7rocprim17ROCPRIM_400000_NS6detail17trampoline_kernelINS0_14default_configENS1_25partition_config_selectorILNS1_17partition_subalgoE9EssbEEZZNS1_14partition_implILS5_9ELb0ES3_jN6thrust23THRUST_200600_302600_NS6detail15normal_iteratorINS9_10device_ptrIsEEEESE_PNS0_10empty_typeENS0_5tupleIJSE_SF_EEENSH_IJSE_SG_EEENS0_18inequality_wrapperINS9_8equal_toIsEEEEPmJSF_EEE10hipError_tPvRmT3_T4_T5_T6_T7_T9_mT8_P12ihipStream_tbDpT10_ENKUlT_T0_E_clISt17integral_constantIbLb1EES18_EEDaS13_S14_EUlS13_E_NS1_11comp_targetILNS1_3genE10ELNS1_11target_archE1200ELNS1_3gpuE4ELNS1_3repE0EEENS1_30default_config_static_selectorELNS0_4arch9wavefront6targetE0EEEvT1_: ; @_ZN7rocprim17ROCPRIM_400000_NS6detail17trampoline_kernelINS0_14default_configENS1_25partition_config_selectorILNS1_17partition_subalgoE9EssbEEZZNS1_14partition_implILS5_9ELb0ES3_jN6thrust23THRUST_200600_302600_NS6detail15normal_iteratorINS9_10device_ptrIsEEEESE_PNS0_10empty_typeENS0_5tupleIJSE_SF_EEENSH_IJSE_SG_EEENS0_18inequality_wrapperINS9_8equal_toIsEEEEPmJSF_EEE10hipError_tPvRmT3_T4_T5_T6_T7_T9_mT8_P12ihipStream_tbDpT10_ENKUlT_T0_E_clISt17integral_constantIbLb1EES18_EEDaS13_S14_EUlS13_E_NS1_11comp_targetILNS1_3genE10ELNS1_11target_archE1200ELNS1_3gpuE4ELNS1_3repE0EEENS1_30default_config_static_selectorELNS0_4arch9wavefront6targetE0EEEvT1_
; %bb.0:
	.section	.rodata,"a",@progbits
	.p2align	6, 0x0
	.amdhsa_kernel _ZN7rocprim17ROCPRIM_400000_NS6detail17trampoline_kernelINS0_14default_configENS1_25partition_config_selectorILNS1_17partition_subalgoE9EssbEEZZNS1_14partition_implILS5_9ELb0ES3_jN6thrust23THRUST_200600_302600_NS6detail15normal_iteratorINS9_10device_ptrIsEEEESE_PNS0_10empty_typeENS0_5tupleIJSE_SF_EEENSH_IJSE_SG_EEENS0_18inequality_wrapperINS9_8equal_toIsEEEEPmJSF_EEE10hipError_tPvRmT3_T4_T5_T6_T7_T9_mT8_P12ihipStream_tbDpT10_ENKUlT_T0_E_clISt17integral_constantIbLb1EES18_EEDaS13_S14_EUlS13_E_NS1_11comp_targetILNS1_3genE10ELNS1_11target_archE1200ELNS1_3gpuE4ELNS1_3repE0EEENS1_30default_config_static_selectorELNS0_4arch9wavefront6targetE0EEEvT1_
		.amdhsa_group_segment_fixed_size 0
		.amdhsa_private_segment_fixed_size 0
		.amdhsa_kernarg_size 128
		.amdhsa_user_sgpr_count 15
		.amdhsa_user_sgpr_dispatch_ptr 0
		.amdhsa_user_sgpr_queue_ptr 0
		.amdhsa_user_sgpr_kernarg_segment_ptr 1
		.amdhsa_user_sgpr_dispatch_id 0
		.amdhsa_user_sgpr_private_segment_size 0
		.amdhsa_wavefront_size32 1
		.amdhsa_uses_dynamic_stack 0
		.amdhsa_enable_private_segment 0
		.amdhsa_system_sgpr_workgroup_id_x 1
		.amdhsa_system_sgpr_workgroup_id_y 0
		.amdhsa_system_sgpr_workgroup_id_z 0
		.amdhsa_system_sgpr_workgroup_info 0
		.amdhsa_system_vgpr_workitem_id 0
		.amdhsa_next_free_vgpr 1
		.amdhsa_next_free_sgpr 1
		.amdhsa_reserve_vcc 0
		.amdhsa_float_round_mode_32 0
		.amdhsa_float_round_mode_16_64 0
		.amdhsa_float_denorm_mode_32 3
		.amdhsa_float_denorm_mode_16_64 3
		.amdhsa_dx10_clamp 1
		.amdhsa_ieee_mode 1
		.amdhsa_fp16_overflow 0
		.amdhsa_workgroup_processor_mode 1
		.amdhsa_memory_ordered 1
		.amdhsa_forward_progress 0
		.amdhsa_shared_vgpr_count 0
		.amdhsa_exception_fp_ieee_invalid_op 0
		.amdhsa_exception_fp_denorm_src 0
		.amdhsa_exception_fp_ieee_div_zero 0
		.amdhsa_exception_fp_ieee_overflow 0
		.amdhsa_exception_fp_ieee_underflow 0
		.amdhsa_exception_fp_ieee_inexact 0
		.amdhsa_exception_int_div_zero 0
	.end_amdhsa_kernel
	.section	.text._ZN7rocprim17ROCPRIM_400000_NS6detail17trampoline_kernelINS0_14default_configENS1_25partition_config_selectorILNS1_17partition_subalgoE9EssbEEZZNS1_14partition_implILS5_9ELb0ES3_jN6thrust23THRUST_200600_302600_NS6detail15normal_iteratorINS9_10device_ptrIsEEEESE_PNS0_10empty_typeENS0_5tupleIJSE_SF_EEENSH_IJSE_SG_EEENS0_18inequality_wrapperINS9_8equal_toIsEEEEPmJSF_EEE10hipError_tPvRmT3_T4_T5_T6_T7_T9_mT8_P12ihipStream_tbDpT10_ENKUlT_T0_E_clISt17integral_constantIbLb1EES18_EEDaS13_S14_EUlS13_E_NS1_11comp_targetILNS1_3genE10ELNS1_11target_archE1200ELNS1_3gpuE4ELNS1_3repE0EEENS1_30default_config_static_selectorELNS0_4arch9wavefront6targetE0EEEvT1_,"axG",@progbits,_ZN7rocprim17ROCPRIM_400000_NS6detail17trampoline_kernelINS0_14default_configENS1_25partition_config_selectorILNS1_17partition_subalgoE9EssbEEZZNS1_14partition_implILS5_9ELb0ES3_jN6thrust23THRUST_200600_302600_NS6detail15normal_iteratorINS9_10device_ptrIsEEEESE_PNS0_10empty_typeENS0_5tupleIJSE_SF_EEENSH_IJSE_SG_EEENS0_18inequality_wrapperINS9_8equal_toIsEEEEPmJSF_EEE10hipError_tPvRmT3_T4_T5_T6_T7_T9_mT8_P12ihipStream_tbDpT10_ENKUlT_T0_E_clISt17integral_constantIbLb1EES18_EEDaS13_S14_EUlS13_E_NS1_11comp_targetILNS1_3genE10ELNS1_11target_archE1200ELNS1_3gpuE4ELNS1_3repE0EEENS1_30default_config_static_selectorELNS0_4arch9wavefront6targetE0EEEvT1_,comdat
.Lfunc_end482:
	.size	_ZN7rocprim17ROCPRIM_400000_NS6detail17trampoline_kernelINS0_14default_configENS1_25partition_config_selectorILNS1_17partition_subalgoE9EssbEEZZNS1_14partition_implILS5_9ELb0ES3_jN6thrust23THRUST_200600_302600_NS6detail15normal_iteratorINS9_10device_ptrIsEEEESE_PNS0_10empty_typeENS0_5tupleIJSE_SF_EEENSH_IJSE_SG_EEENS0_18inequality_wrapperINS9_8equal_toIsEEEEPmJSF_EEE10hipError_tPvRmT3_T4_T5_T6_T7_T9_mT8_P12ihipStream_tbDpT10_ENKUlT_T0_E_clISt17integral_constantIbLb1EES18_EEDaS13_S14_EUlS13_E_NS1_11comp_targetILNS1_3genE10ELNS1_11target_archE1200ELNS1_3gpuE4ELNS1_3repE0EEENS1_30default_config_static_selectorELNS0_4arch9wavefront6targetE0EEEvT1_, .Lfunc_end482-_ZN7rocprim17ROCPRIM_400000_NS6detail17trampoline_kernelINS0_14default_configENS1_25partition_config_selectorILNS1_17partition_subalgoE9EssbEEZZNS1_14partition_implILS5_9ELb0ES3_jN6thrust23THRUST_200600_302600_NS6detail15normal_iteratorINS9_10device_ptrIsEEEESE_PNS0_10empty_typeENS0_5tupleIJSE_SF_EEENSH_IJSE_SG_EEENS0_18inequality_wrapperINS9_8equal_toIsEEEEPmJSF_EEE10hipError_tPvRmT3_T4_T5_T6_T7_T9_mT8_P12ihipStream_tbDpT10_ENKUlT_T0_E_clISt17integral_constantIbLb1EES18_EEDaS13_S14_EUlS13_E_NS1_11comp_targetILNS1_3genE10ELNS1_11target_archE1200ELNS1_3gpuE4ELNS1_3repE0EEENS1_30default_config_static_selectorELNS0_4arch9wavefront6targetE0EEEvT1_
                                        ; -- End function
	.section	.AMDGPU.csdata,"",@progbits
; Kernel info:
; codeLenInByte = 0
; NumSgprs: 0
; NumVgprs: 0
; ScratchSize: 0
; MemoryBound: 0
; FloatMode: 240
; IeeeMode: 1
; LDSByteSize: 0 bytes/workgroup (compile time only)
; SGPRBlocks: 0
; VGPRBlocks: 0
; NumSGPRsForWavesPerEU: 1
; NumVGPRsForWavesPerEU: 1
; Occupancy: 16
; WaveLimiterHint : 0
; COMPUTE_PGM_RSRC2:SCRATCH_EN: 0
; COMPUTE_PGM_RSRC2:USER_SGPR: 15
; COMPUTE_PGM_RSRC2:TRAP_HANDLER: 0
; COMPUTE_PGM_RSRC2:TGID_X_EN: 1
; COMPUTE_PGM_RSRC2:TGID_Y_EN: 0
; COMPUTE_PGM_RSRC2:TGID_Z_EN: 0
; COMPUTE_PGM_RSRC2:TIDIG_COMP_CNT: 0
	.section	.text._ZN7rocprim17ROCPRIM_400000_NS6detail17trampoline_kernelINS0_14default_configENS1_25partition_config_selectorILNS1_17partition_subalgoE9EssbEEZZNS1_14partition_implILS5_9ELb0ES3_jN6thrust23THRUST_200600_302600_NS6detail15normal_iteratorINS9_10device_ptrIsEEEESE_PNS0_10empty_typeENS0_5tupleIJSE_SF_EEENSH_IJSE_SG_EEENS0_18inequality_wrapperINS9_8equal_toIsEEEEPmJSF_EEE10hipError_tPvRmT3_T4_T5_T6_T7_T9_mT8_P12ihipStream_tbDpT10_ENKUlT_T0_E_clISt17integral_constantIbLb1EES18_EEDaS13_S14_EUlS13_E_NS1_11comp_targetILNS1_3genE9ELNS1_11target_archE1100ELNS1_3gpuE3ELNS1_3repE0EEENS1_30default_config_static_selectorELNS0_4arch9wavefront6targetE0EEEvT1_,"axG",@progbits,_ZN7rocprim17ROCPRIM_400000_NS6detail17trampoline_kernelINS0_14default_configENS1_25partition_config_selectorILNS1_17partition_subalgoE9EssbEEZZNS1_14partition_implILS5_9ELb0ES3_jN6thrust23THRUST_200600_302600_NS6detail15normal_iteratorINS9_10device_ptrIsEEEESE_PNS0_10empty_typeENS0_5tupleIJSE_SF_EEENSH_IJSE_SG_EEENS0_18inequality_wrapperINS9_8equal_toIsEEEEPmJSF_EEE10hipError_tPvRmT3_T4_T5_T6_T7_T9_mT8_P12ihipStream_tbDpT10_ENKUlT_T0_E_clISt17integral_constantIbLb1EES18_EEDaS13_S14_EUlS13_E_NS1_11comp_targetILNS1_3genE9ELNS1_11target_archE1100ELNS1_3gpuE3ELNS1_3repE0EEENS1_30default_config_static_selectorELNS0_4arch9wavefront6targetE0EEEvT1_,comdat
	.protected	_ZN7rocprim17ROCPRIM_400000_NS6detail17trampoline_kernelINS0_14default_configENS1_25partition_config_selectorILNS1_17partition_subalgoE9EssbEEZZNS1_14partition_implILS5_9ELb0ES3_jN6thrust23THRUST_200600_302600_NS6detail15normal_iteratorINS9_10device_ptrIsEEEESE_PNS0_10empty_typeENS0_5tupleIJSE_SF_EEENSH_IJSE_SG_EEENS0_18inequality_wrapperINS9_8equal_toIsEEEEPmJSF_EEE10hipError_tPvRmT3_T4_T5_T6_T7_T9_mT8_P12ihipStream_tbDpT10_ENKUlT_T0_E_clISt17integral_constantIbLb1EES18_EEDaS13_S14_EUlS13_E_NS1_11comp_targetILNS1_3genE9ELNS1_11target_archE1100ELNS1_3gpuE3ELNS1_3repE0EEENS1_30default_config_static_selectorELNS0_4arch9wavefront6targetE0EEEvT1_ ; -- Begin function _ZN7rocprim17ROCPRIM_400000_NS6detail17trampoline_kernelINS0_14default_configENS1_25partition_config_selectorILNS1_17partition_subalgoE9EssbEEZZNS1_14partition_implILS5_9ELb0ES3_jN6thrust23THRUST_200600_302600_NS6detail15normal_iteratorINS9_10device_ptrIsEEEESE_PNS0_10empty_typeENS0_5tupleIJSE_SF_EEENSH_IJSE_SG_EEENS0_18inequality_wrapperINS9_8equal_toIsEEEEPmJSF_EEE10hipError_tPvRmT3_T4_T5_T6_T7_T9_mT8_P12ihipStream_tbDpT10_ENKUlT_T0_E_clISt17integral_constantIbLb1EES18_EEDaS13_S14_EUlS13_E_NS1_11comp_targetILNS1_3genE9ELNS1_11target_archE1100ELNS1_3gpuE3ELNS1_3repE0EEENS1_30default_config_static_selectorELNS0_4arch9wavefront6targetE0EEEvT1_
	.globl	_ZN7rocprim17ROCPRIM_400000_NS6detail17trampoline_kernelINS0_14default_configENS1_25partition_config_selectorILNS1_17partition_subalgoE9EssbEEZZNS1_14partition_implILS5_9ELb0ES3_jN6thrust23THRUST_200600_302600_NS6detail15normal_iteratorINS9_10device_ptrIsEEEESE_PNS0_10empty_typeENS0_5tupleIJSE_SF_EEENSH_IJSE_SG_EEENS0_18inequality_wrapperINS9_8equal_toIsEEEEPmJSF_EEE10hipError_tPvRmT3_T4_T5_T6_T7_T9_mT8_P12ihipStream_tbDpT10_ENKUlT_T0_E_clISt17integral_constantIbLb1EES18_EEDaS13_S14_EUlS13_E_NS1_11comp_targetILNS1_3genE9ELNS1_11target_archE1100ELNS1_3gpuE3ELNS1_3repE0EEENS1_30default_config_static_selectorELNS0_4arch9wavefront6targetE0EEEvT1_
	.p2align	8
	.type	_ZN7rocprim17ROCPRIM_400000_NS6detail17trampoline_kernelINS0_14default_configENS1_25partition_config_selectorILNS1_17partition_subalgoE9EssbEEZZNS1_14partition_implILS5_9ELb0ES3_jN6thrust23THRUST_200600_302600_NS6detail15normal_iteratorINS9_10device_ptrIsEEEESE_PNS0_10empty_typeENS0_5tupleIJSE_SF_EEENSH_IJSE_SG_EEENS0_18inequality_wrapperINS9_8equal_toIsEEEEPmJSF_EEE10hipError_tPvRmT3_T4_T5_T6_T7_T9_mT8_P12ihipStream_tbDpT10_ENKUlT_T0_E_clISt17integral_constantIbLb1EES18_EEDaS13_S14_EUlS13_E_NS1_11comp_targetILNS1_3genE9ELNS1_11target_archE1100ELNS1_3gpuE3ELNS1_3repE0EEENS1_30default_config_static_selectorELNS0_4arch9wavefront6targetE0EEEvT1_,@function
_ZN7rocprim17ROCPRIM_400000_NS6detail17trampoline_kernelINS0_14default_configENS1_25partition_config_selectorILNS1_17partition_subalgoE9EssbEEZZNS1_14partition_implILS5_9ELb0ES3_jN6thrust23THRUST_200600_302600_NS6detail15normal_iteratorINS9_10device_ptrIsEEEESE_PNS0_10empty_typeENS0_5tupleIJSE_SF_EEENSH_IJSE_SG_EEENS0_18inequality_wrapperINS9_8equal_toIsEEEEPmJSF_EEE10hipError_tPvRmT3_T4_T5_T6_T7_T9_mT8_P12ihipStream_tbDpT10_ENKUlT_T0_E_clISt17integral_constantIbLb1EES18_EEDaS13_S14_EUlS13_E_NS1_11comp_targetILNS1_3genE9ELNS1_11target_archE1100ELNS1_3gpuE3ELNS1_3repE0EEENS1_30default_config_static_selectorELNS0_4arch9wavefront6targetE0EEEvT1_: ; @_ZN7rocprim17ROCPRIM_400000_NS6detail17trampoline_kernelINS0_14default_configENS1_25partition_config_selectorILNS1_17partition_subalgoE9EssbEEZZNS1_14partition_implILS5_9ELb0ES3_jN6thrust23THRUST_200600_302600_NS6detail15normal_iteratorINS9_10device_ptrIsEEEESE_PNS0_10empty_typeENS0_5tupleIJSE_SF_EEENSH_IJSE_SG_EEENS0_18inequality_wrapperINS9_8equal_toIsEEEEPmJSF_EEE10hipError_tPvRmT3_T4_T5_T6_T7_T9_mT8_P12ihipStream_tbDpT10_ENKUlT_T0_E_clISt17integral_constantIbLb1EES18_EEDaS13_S14_EUlS13_E_NS1_11comp_targetILNS1_3genE9ELNS1_11target_archE1100ELNS1_3gpuE3ELNS1_3repE0EEENS1_30default_config_static_selectorELNS0_4arch9wavefront6targetE0EEEvT1_
; %bb.0:
	s_clause 0x4
	s_load_b128 s[4:7], s[0:1], 0x8
	s_load_b64 s[8:9], s[0:1], 0x18
	s_load_b128 s[16:19], s[0:1], 0x40
	s_load_b64 s[12:13], s[0:1], 0x50
	s_load_b64 s[24:25], s[0:1], 0x60
	v_cmp_ne_u32_e64 s3, 0, v0
	v_cmp_eq_u32_e64 s2, 0, v0
	s_delay_alu instid0(VALU_DEP_1)
	s_and_saveexec_b32 s10, s2
	s_cbranch_execz .LBB483_4
; %bb.1:
	s_mov_b32 s14, exec_lo
	s_mov_b32 s11, exec_lo
	v_mbcnt_lo_u32_b32 v1, s14, 0
                                        ; implicit-def: $vgpr2
	s_delay_alu instid0(VALU_DEP_1)
	v_cmpx_eq_u32_e32 0, v1
	s_cbranch_execz .LBB483_3
; %bb.2:
	s_load_b64 s[20:21], s[0:1], 0x70
	s_bcnt1_i32_b32 s14, s14
	s_delay_alu instid0(SALU_CYCLE_1)
	v_dual_mov_b32 v2, 0 :: v_dual_mov_b32 v3, s14
	s_waitcnt lgkmcnt(0)
	global_atomic_add_u32 v2, v2, v3, s[20:21] glc
.LBB483_3:
	s_or_b32 exec_lo, exec_lo, s11
	s_waitcnt vmcnt(0)
	v_readfirstlane_b32 s11, v2
	s_delay_alu instid0(VALU_DEP_1)
	v_dual_mov_b32 v2, 0 :: v_dual_add_nc_u32 v1, s11, v1
	ds_store_b32 v2, v1
.LBB483_4:
	s_or_b32 exec_lo, exec_lo, s10
	v_mov_b32_e32 v1, 0
	s_clause 0x1
	s_load_b128 s[20:23], s[0:1], 0x28
	s_load_b32 s0, s[0:1], 0x68
	s_waitcnt lgkmcnt(0)
	s_barrier
	buffer_gl0_inv
	ds_load_b32 v3, v1
	s_waitcnt lgkmcnt(0)
	s_barrier
	buffer_gl0_inv
	global_load_b64 v[1:2], v1, s[18:19]
	s_lshl_b64 s[10:11], s[6:7], 1
	s_mov_b32 s28, -1
	s_add_u32 s14, s4, s10
	s_addc_u32 s15, s5, s11
	s_mul_i32 s1, s0, 0x600
	s_delay_alu instid0(SALU_CYCLE_1) | instskip(NEXT) | instid1(SALU_CYCLE_1)
	s_add_i32 s4, s1, s6
	s_sub_i32 s26, s12, s4
	s_add_i32 s4, s0, -1
	s_addk_i32 s26, 0x600
	s_add_u32 s0, s6, s1
	v_readfirstlane_b32 s19, v3
	s_addc_u32 s1, s7, 0
	s_delay_alu instid0(SALU_CYCLE_1) | instskip(SKIP_1) | instid1(VALU_DEP_2)
	v_cmp_ge_u64_e64 s5, s[0:1], s[12:13]
	s_mov_b32 s1, 0
	s_cmp_eq_u32 s19, s4
	s_mul_i32 s0, s19, 0x600
	s_cselect_b32 s13, -1, 0
	s_delay_alu instid0(VALU_DEP_1) | instid1(SALU_CYCLE_1)
	s_and_b32 s27, s5, s13
	s_lshl_b64 s[4:5], s[0:1], 1
	s_xor_b32 s18, s27, -1
	s_add_u32 s12, s14, s4
	s_addc_u32 s1, s15, s5
	s_and_b32 vcc_lo, exec_lo, s18
	s_waitcnt vmcnt(0)
	v_readfirstlane_b32 s14, v1
	v_readfirstlane_b32 s15, v2
	s_cbranch_vccz .LBB483_6
; %bb.5:
	v_lshlrev_b32_e32 v3, 1, v0
	s_mov_b32 s28, 0
	s_delay_alu instid0(VALU_DEP_1) | instskip(NEXT) | instid1(VALU_DEP_1)
	v_add_co_u32 v1, s0, s12, v3
	v_add_co_ci_u32_e64 v2, null, s1, 0, s0
	s_clause 0xb
	flat_load_u16 v4, v[1:2]
	flat_load_u16 v5, v[1:2] offset:256
	flat_load_u16 v6, v[1:2] offset:512
	;; [unrolled: 1-line block ×11, first 2 shown]
	s_waitcnt vmcnt(11) lgkmcnt(11)
	ds_store_b16 v3, v4
	s_waitcnt vmcnt(10) lgkmcnt(11)
	ds_store_b16 v3, v5 offset:256
	s_waitcnt vmcnt(9) lgkmcnt(11)
	ds_store_b16 v3, v6 offset:512
	;; [unrolled: 2-line block ×11, first 2 shown]
	s_waitcnt lgkmcnt(0)
	s_barrier
.LBB483_6:
	v_cmp_gt_u32_e64 s0, s26, v0
	s_and_not1_b32 vcc_lo, exec_lo, s28
	s_cbranch_vccnz .LBB483_32
; %bb.7:
                                        ; implicit-def: $vgpr1_vgpr2_vgpr3_vgpr4_vgpr5_vgpr6_vgpr7_vgpr8
	s_delay_alu instid0(VALU_DEP_1)
	s_and_saveexec_b32 s28, s0
	s_cbranch_execz .LBB483_9
; %bb.8:
	v_lshlrev_b32_e32 v1, 1, v0
	s_delay_alu instid0(VALU_DEP_1) | instskip(NEXT) | instid1(VALU_DEP_1)
	v_add_co_u32 v1, s0, s12, v1
	v_add_co_ci_u32_e64 v2, null, s1, 0, s0
	flat_load_d16_b16 v1, v[1:2]
.LBB483_9:
	s_or_b32 exec_lo, exec_lo, s28
	v_or_b32_e32 v7, 0x80, v0
	s_mov_b32 s0, exec_lo
	s_delay_alu instid0(VALU_DEP_1)
	v_cmpx_gt_u32_e64 s26, v7
	s_cbranch_execz .LBB483_11
; %bb.10:
	v_lshlrev_b32_e32 v7, 1, v0
	s_delay_alu instid0(VALU_DEP_1) | instskip(NEXT) | instid1(VALU_DEP_1)
	v_add_co_u32 v7, s28, s12, v7
	v_add_co_ci_u32_e64 v8, null, s1, 0, s28
	s_waitcnt vmcnt(0) lgkmcnt(0)
	flat_load_d16_hi_b16 v1, v[7:8] offset:256
.LBB483_11:
	s_or_b32 exec_lo, exec_lo, s0
	v_or_b32_e32 v7, 0x100, v0
	s_mov_b32 s0, exec_lo
	s_delay_alu instid0(VALU_DEP_1)
	v_cmpx_gt_u32_e64 s26, v7
	s_cbranch_execz .LBB483_13
; %bb.12:
	v_lshlrev_b32_e32 v7, 1, v0
	s_delay_alu instid0(VALU_DEP_1) | instskip(NEXT) | instid1(VALU_DEP_1)
	v_add_co_u32 v7, s28, s12, v7
	v_add_co_ci_u32_e64 v8, null, s1, 0, s28
	flat_load_d16_b16 v2, v[7:8] offset:512
.LBB483_13:
	s_or_b32 exec_lo, exec_lo, s0
	v_or_b32_e32 v7, 0x180, v0
	s_mov_b32 s0, exec_lo
	s_delay_alu instid0(VALU_DEP_1)
	v_cmpx_gt_u32_e64 s26, v7
	s_cbranch_execz .LBB483_15
; %bb.14:
	v_lshlrev_b32_e32 v7, 1, v0
	s_delay_alu instid0(VALU_DEP_1) | instskip(NEXT) | instid1(VALU_DEP_1)
	v_add_co_u32 v7, s28, s12, v7
	v_add_co_ci_u32_e64 v8, null, s1, 0, s28
	s_waitcnt vmcnt(0) lgkmcnt(0)
	flat_load_d16_hi_b16 v2, v[7:8] offset:768
.LBB483_15:
	s_or_b32 exec_lo, exec_lo, s0
	v_or_b32_e32 v7, 0x200, v0
	s_mov_b32 s0, exec_lo
	s_delay_alu instid0(VALU_DEP_1)
	v_cmpx_gt_u32_e64 s26, v7
	s_cbranch_execz .LBB483_17
; %bb.16:
	v_lshlrev_b32_e32 v7, 1, v0
	s_delay_alu instid0(VALU_DEP_1) | instskip(NEXT) | instid1(VALU_DEP_1)
	v_add_co_u32 v7, s28, s12, v7
	v_add_co_ci_u32_e64 v8, null, s1, 0, s28
	flat_load_d16_b16 v3, v[7:8] offset:1024
.LBB483_17:
	;; [unrolled: 27-line block ×5, first 2 shown]
	s_or_b32 exec_lo, exec_lo, s0
	v_or_b32_e32 v7, 0x580, v0
	s_mov_b32 s0, exec_lo
	s_delay_alu instid0(VALU_DEP_1)
	v_cmpx_gt_u32_e64 s26, v7
	s_cbranch_execz .LBB483_31
; %bb.30:
	v_lshlrev_b32_e32 v7, 1, v0
	s_delay_alu instid0(VALU_DEP_1) | instskip(NEXT) | instid1(VALU_DEP_1)
	v_add_co_u32 v7, s28, s12, v7
	v_add_co_ci_u32_e64 v8, null, s1, 0, s28
	s_waitcnt vmcnt(0) lgkmcnt(0)
	flat_load_d16_hi_b16 v6, v[7:8] offset:2816
.LBB483_31:
	s_or_b32 exec_lo, exec_lo, s0
	v_lshlrev_b32_e32 v7, 1, v0
	s_waitcnt vmcnt(0) lgkmcnt(0)
	ds_store_b16 v7, v1
	ds_store_b16_d16_hi v7, v1 offset:256
	ds_store_b16 v7, v2 offset:512
	ds_store_b16_d16_hi v7, v2 offset:768
	ds_store_b16 v7, v3 offset:1024
	;; [unrolled: 2-line block ×5, first 2 shown]
	ds_store_b16_d16_hi v7, v6 offset:2816
	s_waitcnt lgkmcnt(0)
	s_barrier
.LBB483_32:
	v_mul_u32_u24_e32 v1, 12, v0
	buffer_gl0_inv
	s_add_u32 s0, s8, s10
	s_addc_u32 s8, s9, s11
	s_add_u32 s0, s0, s4
	v_lshlrev_b32_e32 v8, 1, v1
	s_addc_u32 s4, s8, s5
	s_and_b32 vcc_lo, exec_lo, s18
	s_mov_b32 s5, -1
	ds_load_2addr_b64 v[18:21], v8 offset1:1
	ds_load_b64 v[27:28], v8 offset:16
	s_waitcnt lgkmcnt(0)
	s_barrier
	buffer_gl0_inv
	s_cbranch_vccz .LBB483_34
; %bb.33:
	v_lshlrev_b32_e32 v4, 1, v0
	s_delay_alu instid0(VALU_DEP_1) | instskip(NEXT) | instid1(VALU_DEP_1)
	v_add_co_u32 v2, s5, s0, v4
	v_add_co_ci_u32_e64 v3, null, s4, 0, s5
	s_mov_b32 s5, 0
	s_clause 0xb
	flat_load_u16 v5, v[2:3]
	flat_load_u16 v6, v[2:3] offset:256
	flat_load_u16 v7, v[2:3] offset:512
	;; [unrolled: 1-line block ×11, first 2 shown]
	s_waitcnt vmcnt(11) lgkmcnt(11)
	ds_store_b16 v4, v5
	s_waitcnt vmcnt(10) lgkmcnt(11)
	ds_store_b16 v4, v6 offset:256
	s_waitcnt vmcnt(9) lgkmcnt(11)
	ds_store_b16 v4, v7 offset:512
	;; [unrolled: 2-line block ×11, first 2 shown]
	s_waitcnt lgkmcnt(0)
	s_barrier
.LBB483_34:
	s_and_not1_b32 vcc_lo, exec_lo, s5
	s_cbranch_vccnz .LBB483_60
; %bb.35:
	s_mov_b32 s5, exec_lo
                                        ; implicit-def: $vgpr2
	v_cmpx_gt_u32_e64 s26, v0
	s_cbranch_execz .LBB483_37
; %bb.36:
	v_lshlrev_b32_e32 v2, 1, v0
	s_delay_alu instid0(VALU_DEP_1) | instskip(NEXT) | instid1(VALU_DEP_1)
	v_add_co_u32 v2, s8, s0, v2
	v_add_co_ci_u32_e64 v3, null, s4, 0, s8
	flat_load_u16 v2, v[2:3]
.LBB483_37:
	s_or_b32 exec_lo, exec_lo, s5
	v_or_b32_e32 v3, 0x80, v0
	s_delay_alu instid0(VALU_DEP_1)
	v_cmp_gt_u32_e32 vcc_lo, s26, v3
                                        ; implicit-def: $vgpr3
	s_and_saveexec_b32 s5, vcc_lo
	s_cbranch_execz .LBB483_39
; %bb.38:
	v_lshlrev_b32_e32 v3, 1, v0
	s_delay_alu instid0(VALU_DEP_1) | instskip(NEXT) | instid1(VALU_DEP_1)
	v_add_co_u32 v3, s8, s0, v3
	v_add_co_ci_u32_e64 v4, null, s4, 0, s8
	flat_load_u16 v3, v[3:4] offset:256
.LBB483_39:
	s_or_b32 exec_lo, exec_lo, s5
	v_or_b32_e32 v4, 0x100, v0
	s_delay_alu instid0(VALU_DEP_1)
	v_cmp_gt_u32_e32 vcc_lo, s26, v4
                                        ; implicit-def: $vgpr4
	s_and_saveexec_b32 s5, vcc_lo
	s_cbranch_execz .LBB483_41
; %bb.40:
	v_lshlrev_b32_e32 v4, 1, v0
	s_delay_alu instid0(VALU_DEP_1) | instskip(NEXT) | instid1(VALU_DEP_1)
	v_add_co_u32 v4, s8, s0, v4
	v_add_co_ci_u32_e64 v5, null, s4, 0, s8
	flat_load_u16 v4, v[4:5] offset:512
.LBB483_41:
	s_or_b32 exec_lo, exec_lo, s5
	v_or_b32_e32 v5, 0x180, v0
	s_delay_alu instid0(VALU_DEP_1)
	v_cmp_gt_u32_e32 vcc_lo, s26, v5
                                        ; implicit-def: $vgpr5
	s_and_saveexec_b32 s5, vcc_lo
	s_cbranch_execz .LBB483_43
; %bb.42:
	v_lshlrev_b32_e32 v5, 1, v0
	s_delay_alu instid0(VALU_DEP_1) | instskip(NEXT) | instid1(VALU_DEP_1)
	v_add_co_u32 v5, s8, s0, v5
	v_add_co_ci_u32_e64 v6, null, s4, 0, s8
	flat_load_u16 v5, v[5:6] offset:768
.LBB483_43:
	s_or_b32 exec_lo, exec_lo, s5
	v_or_b32_e32 v6, 0x200, v0
	s_delay_alu instid0(VALU_DEP_1)
	v_cmp_gt_u32_e32 vcc_lo, s26, v6
                                        ; implicit-def: $vgpr6
	s_and_saveexec_b32 s5, vcc_lo
	s_cbranch_execz .LBB483_45
; %bb.44:
	v_lshlrev_b32_e32 v6, 1, v0
	s_delay_alu instid0(VALU_DEP_1) | instskip(NEXT) | instid1(VALU_DEP_1)
	v_add_co_u32 v6, s8, s0, v6
	v_add_co_ci_u32_e64 v7, null, s4, 0, s8
	flat_load_u16 v6, v[6:7] offset:1024
.LBB483_45:
	s_or_b32 exec_lo, exec_lo, s5
	v_or_b32_e32 v7, 0x280, v0
	s_delay_alu instid0(VALU_DEP_1)
	v_cmp_gt_u32_e32 vcc_lo, s26, v7
                                        ; implicit-def: $vgpr7
	s_and_saveexec_b32 s5, vcc_lo
	s_cbranch_execz .LBB483_47
; %bb.46:
	v_lshlrev_b32_e32 v7, 1, v0
	s_delay_alu instid0(VALU_DEP_1) | instskip(NEXT) | instid1(VALU_DEP_1)
	v_add_co_u32 v9, s8, s0, v7
	v_add_co_ci_u32_e64 v10, null, s4, 0, s8
	flat_load_u16 v7, v[9:10] offset:1280
.LBB483_47:
	s_or_b32 exec_lo, exec_lo, s5
	v_or_b32_e32 v9, 0x300, v0
	s_delay_alu instid0(VALU_DEP_1)
	v_cmp_gt_u32_e32 vcc_lo, s26, v9
                                        ; implicit-def: $vgpr9
	s_and_saveexec_b32 s5, vcc_lo
	s_cbranch_execz .LBB483_49
; %bb.48:
	v_lshlrev_b32_e32 v9, 1, v0
	s_delay_alu instid0(VALU_DEP_1) | instskip(NEXT) | instid1(VALU_DEP_1)
	v_add_co_u32 v9, s8, s0, v9
	v_add_co_ci_u32_e64 v10, null, s4, 0, s8
	flat_load_u16 v9, v[9:10] offset:1536
.LBB483_49:
	s_or_b32 exec_lo, exec_lo, s5
	v_or_b32_e32 v10, 0x380, v0
	s_delay_alu instid0(VALU_DEP_1)
	v_cmp_gt_u32_e32 vcc_lo, s26, v10
                                        ; implicit-def: $vgpr10
	s_and_saveexec_b32 s5, vcc_lo
	s_cbranch_execz .LBB483_51
; %bb.50:
	v_lshlrev_b32_e32 v10, 1, v0
	s_delay_alu instid0(VALU_DEP_1) | instskip(NEXT) | instid1(VALU_DEP_1)
	v_add_co_u32 v10, s8, s0, v10
	v_add_co_ci_u32_e64 v11, null, s4, 0, s8
	flat_load_u16 v10, v[10:11] offset:1792
.LBB483_51:
	s_or_b32 exec_lo, exec_lo, s5
	v_or_b32_e32 v11, 0x400, v0
	s_delay_alu instid0(VALU_DEP_1)
	v_cmp_gt_u32_e32 vcc_lo, s26, v11
                                        ; implicit-def: $vgpr11
	s_and_saveexec_b32 s5, vcc_lo
	s_cbranch_execz .LBB483_53
; %bb.52:
	v_lshlrev_b32_e32 v11, 1, v0
	s_delay_alu instid0(VALU_DEP_1) | instskip(NEXT) | instid1(VALU_DEP_1)
	v_add_co_u32 v11, s8, s0, v11
	v_add_co_ci_u32_e64 v12, null, s4, 0, s8
	flat_load_u16 v11, v[11:12] offset:2048
.LBB483_53:
	s_or_b32 exec_lo, exec_lo, s5
	v_or_b32_e32 v12, 0x480, v0
	s_delay_alu instid0(VALU_DEP_1)
	v_cmp_gt_u32_e32 vcc_lo, s26, v12
                                        ; implicit-def: $vgpr12
	s_and_saveexec_b32 s5, vcc_lo
	s_cbranch_execz .LBB483_55
; %bb.54:
	v_lshlrev_b32_e32 v12, 1, v0
	s_delay_alu instid0(VALU_DEP_1) | instskip(NEXT) | instid1(VALU_DEP_1)
	v_add_co_u32 v12, s8, s0, v12
	v_add_co_ci_u32_e64 v13, null, s4, 0, s8
	flat_load_u16 v12, v[12:13] offset:2304
.LBB483_55:
	s_or_b32 exec_lo, exec_lo, s5
	v_or_b32_e32 v13, 0x500, v0
	s_delay_alu instid0(VALU_DEP_1)
	v_cmp_gt_u32_e32 vcc_lo, s26, v13
                                        ; implicit-def: $vgpr13
	s_and_saveexec_b32 s5, vcc_lo
	s_cbranch_execz .LBB483_57
; %bb.56:
	v_lshlrev_b32_e32 v13, 1, v0
	s_delay_alu instid0(VALU_DEP_1) | instskip(NEXT) | instid1(VALU_DEP_1)
	v_add_co_u32 v13, s8, s0, v13
	v_add_co_ci_u32_e64 v14, null, s4, 0, s8
	flat_load_u16 v13, v[13:14] offset:2560
.LBB483_57:
	s_or_b32 exec_lo, exec_lo, s5
	v_or_b32_e32 v14, 0x580, v0
	s_delay_alu instid0(VALU_DEP_1)
	v_cmp_gt_u32_e32 vcc_lo, s26, v14
                                        ; implicit-def: $vgpr14
	s_and_saveexec_b32 s5, vcc_lo
	s_cbranch_execz .LBB483_59
; %bb.58:
	v_lshlrev_b32_e32 v14, 1, v0
	s_delay_alu instid0(VALU_DEP_1) | instskip(NEXT) | instid1(VALU_DEP_1)
	v_add_co_u32 v14, s0, s0, v14
	v_add_co_ci_u32_e64 v15, null, s4, 0, s0
	flat_load_u16 v14, v[14:15] offset:2816
.LBB483_59:
	s_or_b32 exec_lo, exec_lo, s5
	v_mad_i32_i24 v15, 0xffffffea, v0, v8
	s_waitcnt vmcnt(0) lgkmcnt(0)
	ds_store_b16 v15, v2
	ds_store_b16 v15, v3 offset:256
	ds_store_b16 v15, v4 offset:512
	;; [unrolled: 1-line block ×11, first 2 shown]
	s_waitcnt lgkmcnt(0)
	s_barrier
.LBB483_60:
	buffer_gl0_inv
	ds_load_2addr_b64 v[14:17], v8 offset1:1
	ds_load_b64 v[25:26], v8 offset:16
	s_cmp_lg_u32 s19, 0
	v_lshrrev_b32_e32 v41, 16, v18
	s_cselect_b32 s28, -1, 0
	s_cmp_lg_u64 s[6:7], 0
	v_lshrrev_b32_e32 v40, 16, v19
	s_cselect_b32 s0, -1, 0
	v_lshrrev_b32_e32 v39, 16, v20
	v_lshrrev_b32_e32 v38, 16, v21
	v_or_b32_e32 v12, 1, v1
	v_or_b32_e32 v6, 2, v1
	;; [unrolled: 1-line block ×3, first 2 shown]
	v_add_nc_u32_e32 v7, 4, v1
	v_add_nc_u32_e32 v5, 5, v1
	;; [unrolled: 1-line block ×5, first 2 shown]
	v_lshrrev_b32_e32 v37, 16, v27
	v_lshrrev_b32_e32 v31, 16, v28
	v_add_nc_u32_e32 v10, 9, v1
	v_add_nc_u32_e32 v8, 10, v1
	;; [unrolled: 1-line block ×3, first 2 shown]
	s_or_b32 s0, s0, s28
	s_mov_b32 s29, 0
	s_and_b32 vcc_lo, exec_lo, s0
	s_waitcnt lgkmcnt(0)
	s_barrier
	buffer_gl0_inv
	s_cbranch_vccz .LBB483_65
; %bb.61:
	v_add_co_u32 v22, s0, -2, s12
	s_delay_alu instid0(VALU_DEP_1)
	v_add_co_ci_u32_e64 v23, null, -1, s1, s0
	v_lshlrev_b32_e32 v29, 1, v0
	s_mov_b32 s1, -1
	s_and_b32 vcc_lo, exec_lo, s18
	flat_load_u16 v13, v[22:23]
	ds_store_b16 v29, v31
	s_cbranch_vccz .LBB483_66
; %bb.62:
	s_waitcnt vmcnt(0) lgkmcnt(1)
	v_mov_b32_e32 v22, v13
	s_waitcnt lgkmcnt(0)
	s_barrier
	buffer_gl0_inv
	s_and_saveexec_b32 s0, s3
	s_cbranch_execz .LBB483_64
; %bb.63:
	v_add_nc_u32_e32 v22, -2, v29
	ds_load_u16 v22, v22
.LBB483_64:
	s_or_b32 exec_lo, exec_lo, s0
	v_cmp_ne_u16_e32 vcc_lo, v28, v31
	s_waitcnt lgkmcnt(0)
	v_cmp_ne_u16_e64 s0, v22, v18
	v_cndmask_b32_e64 v23, 0, 1, vcc_lo
	v_cmp_ne_u16_e32 vcc_lo, v37, v28
	s_delay_alu instid0(VALU_DEP_2) | instskip(SKIP_2) | instid1(VALU_DEP_2)
	v_lshlrev_b16 v23, 8, v23
	v_cndmask_b32_e64 v24, 0, 1, vcc_lo
	v_cmp_ne_u16_e32 vcc_lo, v27, v37
	v_or_b32_e32 v23, v24, v23
	v_cndmask_b32_e64 v30, 0, 1, vcc_lo
	v_cmp_ne_u16_e32 vcc_lo, v38, v27
	s_delay_alu instid0(VALU_DEP_2) | instskip(SKIP_2) | instid1(VALU_DEP_2)
	v_lshlrev_b16 v30, 8, v30
	v_cndmask_b32_e64 v32, 0, 1, vcc_lo
	v_cmp_ne_u16_e32 vcc_lo, v19, v40
	v_or_b32_e32 v30, v32, v30
	v_cndmask_b32_e64 v33, 0, 1, vcc_lo
	v_cmp_ne_u16_e32 vcc_lo, v21, v38
	s_delay_alu instid0(VALU_DEP_3) | instskip(NEXT) | instid1(VALU_DEP_3)
	v_and_b32_e32 v30, 0xffff, v30
	v_lshlrev_b16 v33, 8, v33
	v_cndmask_b32_e64 v34, 0, 1, vcc_lo
	v_cmp_ne_u16_e32 vcc_lo, v41, v19
	s_delay_alu instid0(VALU_DEP_2) | instskip(SKIP_2) | instid1(VALU_DEP_2)
	v_lshlrev_b16 v34, 8, v34
	v_cndmask_b32_e64 v35, 0, 1, vcc_lo
	v_cmp_ne_u16_e32 vcc_lo, v39, v21
	v_or_b32_e32 v33, v35, v33
	v_cndmask_b32_e64 v36, 0, 1, vcc_lo
	v_cmp_ne_u16_e32 vcc_lo, v20, v39
	s_delay_alu instid0(VALU_DEP_3) | instskip(NEXT) | instid1(VALU_DEP_3)
	v_lshlrev_b32_e32 v33, 16, v33
	v_or_b32_e32 v34, v36, v34
	v_cndmask_b32_e64 v42, 0, 1, vcc_lo
	v_cmp_ne_u16_e32 vcc_lo, v40, v20
	s_delay_alu instid0(VALU_DEP_3) | instskip(NEXT) | instid1(VALU_DEP_3)
	v_lshlrev_b32_e32 v34, 16, v34
	v_lshlrev_b16 v42, 8, v42
	v_cndmask_b32_e64 v35, 0, 1, vcc_lo
	v_cmp_ne_u16_e32 vcc_lo, v18, v41
	s_delay_alu instid0(VALU_DEP_2) | instskip(SKIP_1) | instid1(VALU_DEP_2)
	v_or_b32_e32 v35, v35, v42
	v_cndmask_b32_e64 v43, 0, 1, vcc_lo
	v_and_b32_e32 v32, 0xffff, v35
	s_delay_alu instid0(VALU_DEP_2) | instskip(SKIP_1) | instid1(VALU_DEP_3)
	v_lshlrev_b16 v43, 8, v43
	v_lshlrev_b32_e32 v35, 16, v23
	v_or_b32_e32 v23, v32, v34
	s_delay_alu instid0(VALU_DEP_3) | instskip(NEXT) | instid1(VALU_DEP_3)
	v_and_b32_e32 v24, 0xffff, v43
	v_or_b32_e32 v36, v30, v35
	s_delay_alu instid0(VALU_DEP_2)
	v_or_b32_e32 v22, v24, v33
	s_branch .LBB483_70
.LBB483_65:
                                        ; implicit-def: $sgpr0
                                        ; implicit-def: $vgpr36
                                        ; implicit-def: $vgpr22_vgpr23_vgpr24
	s_branch .LBB483_71
.LBB483_66:
                                        ; implicit-def: $sgpr0
                                        ; implicit-def: $vgpr36
                                        ; implicit-def: $vgpr22_vgpr23_vgpr24
	s_and_b32 vcc_lo, exec_lo, s1
	s_cbranch_vccz .LBB483_70
; %bb.67:
	s_waitcnt vmcnt(0) lgkmcnt(0)
	s_barrier
	buffer_gl0_inv
	s_and_saveexec_b32 s0, s3
	s_cbranch_execz .LBB483_69
; %bb.68:
	v_add_nc_u32_e32 v13, -2, v29
	ds_load_u16 v13, v13
.LBB483_69:
	s_or_b32 exec_lo, exec_lo, s0
	v_cmp_gt_u32_e32 vcc_lo, s26, v9
	v_cmp_ne_u16_e64 s0, v28, v31
	v_cmp_gt_u32_e64 s1, s26, v8
	v_cmp_ne_u16_e64 s4, v37, v28
	v_cmp_gt_u32_e64 s5, s26, v10
	v_cmp_ne_u16_e64 s6, v27, v37
	s_and_b32 s0, vcc_lo, s0
	v_cmp_gt_u32_e32 vcc_lo, s26, v11
	v_cndmask_b32_e64 v22, 0, 1, s0
	s_and_b32 s0, s1, s4
	v_cmp_gt_u32_e64 s1, s26, v2
	v_cndmask_b32_e64 v23, 0, 1, s0
	s_and_b32 s0, s5, s6
	v_cmp_ne_u16_e64 s4, v21, v38
	v_cndmask_b32_e64 v24, 0, 1, s0
	v_cmp_ne_u16_e64 s0, v38, v27
	v_cmp_gt_u32_e64 s5, s26, v3
	v_cmp_ne_u16_e64 s6, v39, v21
	v_lshlrev_b16 v22, 8, v22
	v_lshlrev_b16 v24, 8, v24
	s_and_b32 s0, vcc_lo, s0
	v_cmp_gt_u32_e32 vcc_lo, s26, v4
	v_cndmask_b32_e64 v29, 0, 1, s0
	s_and_b32 s0, s1, s4
	v_cmp_gt_u32_e64 s1, s26, v5
	v_cndmask_b32_e64 v30, 0, 1, s0
	s_and_b32 s0, s5, s6
	v_cmp_gt_u32_e64 s5, s26, v6
	v_cndmask_b32_e64 v32, 0, 1, s0
	v_cmp_ne_u16_e64 s0, v19, v40
	v_cmp_ne_u16_e64 s6, v41, v19
	;; [unrolled: 1-line block ×3, first 2 shown]
	v_lshlrev_b16 v30, 8, v30
	v_or_b32_e32 v24, v29, v24
	s_and_b32 s0, vcc_lo, s0
	v_cmp_gt_u32_e32 vcc_lo, s26, v7
	v_cndmask_b32_e64 v33, 0, 1, s0
	v_cmp_ne_u16_e64 s0, v40, v20
	s_and_b32 s5, s5, s6
	v_cmp_ne_u16_e64 s6, v18, v41
	v_cndmask_b32_e64 v34, 0, 1, s5
	v_lshlrev_b16 v33, 8, v33
	v_cmp_gt_u32_e64 s5, s26, v12
	s_and_b32 s1, s1, s4
	s_and_b32 s0, vcc_lo, s0
	v_cndmask_b32_e64 v35, 0, 1, s1
	v_or_b32_e32 v33, v34, v33
	v_cndmask_b32_e64 v34, 0, 1, s0
	s_and_b32 s0, s5, s6
	v_or_b32_e32 v30, v32, v30
	v_cndmask_b32_e64 v36, 0, 1, s0
	v_lshlrev_b16 v35, 8, v35
	v_or_b32_e32 v22, v23, v22
	v_lshlrev_b32_e32 v33, 16, v33
	v_lshlrev_b32_e32 v30, 16, v30
	v_lshlrev_b16 v36, 8, v36
	v_or_b32_e32 v34, v34, v35
	v_and_b32_e32 v24, 0xffff, v24
	v_lshlrev_b32_e32 v32, 16, v22
	v_cmp_gt_u32_e32 vcc_lo, s26, v1
	v_and_b32_e32 v23, 0xffff, v36
	v_and_b32_e32 v29, 0xffff, v34
	s_waitcnt lgkmcnt(0)
	v_cmp_ne_u16_e64 s0, v13, v18
	v_or_b32_e32 v36, v24, v32
	v_or_b32_e32 v22, v23, v33
	;; [unrolled: 1-line block ×3, first 2 shown]
	s_delay_alu instid0(VALU_DEP_4)
	s_and_b32 s0, vcc_lo, s0
.LBB483_70:
	s_mov_b32 s29, -1
	s_cbranch_execnz .LBB483_79
.LBB483_71:
	s_waitcnt vmcnt(0) lgkmcnt(1)
	v_lshlrev_b32_e32 v13, 1, v0
	v_cmp_ne_u16_e64 s8, v28, v31
	v_cmp_ne_u16_e64 s9, v37, v28
	v_cmp_ne_u16_e64 s12, v27, v37
	v_cmp_ne_u16_e64 s10, v38, v27
	v_cmp_ne_u16_e64 s11, v21, v38
	v_cmp_ne_u16_e64 s4, v39, v21
	v_cmp_ne_u16_e64 s5, v20, v39
	v_cmp_ne_u16_e64 s6, v40, v20
	v_cmp_ne_u16_e64 s7, v19, v40
	v_cmp_ne_u16_e64 s0, v41, v19
	v_cmp_ne_u16_e64 s1, v18, v41
	s_and_b32 vcc_lo, exec_lo, s18
	ds_store_b16 v13, v31
	s_cbranch_vccz .LBB483_75
; %bb.72:
	v_cndmask_b32_e64 v22, 0, 1, s12
	v_cndmask_b32_e64 v23, 0, 1, s8
	;; [unrolled: 1-line block ×5, first 2 shown]
	v_lshlrev_b16 v22, 8, v22
	v_cndmask_b32_e64 v35, 0, 1, s7
	v_cndmask_b32_e64 v36, 0, 1, s1
	;; [unrolled: 1-line block ×5, first 2 shown]
	v_or_b32_e32 v22, v29, v22
	v_cndmask_b32_e64 v29, 0, 1, s0
	v_lshlrev_b16 v23, 8, v23
	v_lshlrev_b16 v33, 8, v33
	;; [unrolled: 1-line block ×5, first 2 shown]
	v_or_b32_e32 v23, v24, v23
	v_or_b32_e32 v24, v34, v33
	;; [unrolled: 1-line block ×5, first 2 shown]
	v_and_b32_e32 v22, 0xffff, v22
	v_lshlrev_b32_e32 v23, 16, v23
	v_and_b32_e32 v24, 0xffff, v24
	v_lshlrev_b32_e32 v30, 16, v30
	v_lshlrev_b32_e32 v29, 16, v29
	v_and_b32_e32 v32, 0xffff, v32
	v_or_b32_e32 v36, v22, v23
	s_waitcnt lgkmcnt(0)
	v_or_b32_e32 v23, v24, v30
	s_barrier
	v_or_b32_e32 v22, v32, v29
	buffer_gl0_inv
                                        ; implicit-def: $sgpr0
	s_and_saveexec_b32 s1, s3
	s_delay_alu instid0(SALU_CYCLE_1)
	s_xor_b32 s1, exec_lo, s1
	s_cbranch_execz .LBB483_74
; %bb.73:
	v_add_nc_u32_e32 v24, -2, v13
	s_or_b32 s29, s29, exec_lo
	ds_load_u16 v24, v24
	s_waitcnt lgkmcnt(0)
	v_cmp_ne_u16_e32 vcc_lo, v24, v18
	s_and_b32 s0, vcc_lo, exec_lo
.LBB483_74:
	s_or_b32 exec_lo, exec_lo, s1
	s_branch .LBB483_79
.LBB483_75:
                                        ; implicit-def: $sgpr0
                                        ; implicit-def: $vgpr36
                                        ; implicit-def: $vgpr22_vgpr23_vgpr24
	s_cbranch_execz .LBB483_79
; %bb.76:
	v_cmp_gt_u32_e32 vcc_lo, s26, v9
	v_cmp_ne_u16_e64 s0, v28, v31
	v_cmp_gt_u32_e64 s1, s26, v8
	v_cmp_ne_u16_e64 s4, v37, v28
	v_cmp_gt_u32_e64 s5, s26, v2
	v_cmp_ne_u16_e64 s6, v21, v38
	s_and_b32 s0, vcc_lo, s0
	v_cmp_gt_u32_e32 vcc_lo, s26, v10
	v_cndmask_b32_e64 v22, 0, 1, s0
	s_and_b32 s0, s1, s4
	v_cmp_gt_u32_e64 s1, s26, v11
	v_cndmask_b32_e64 v23, 0, 1, s0
	v_cmp_ne_u16_e64 s0, v27, v37
	v_cmp_ne_u16_e64 s4, v38, v27
	v_lshlrev_b16 v22, 8, v22
	s_waitcnt lgkmcnt(0)
	s_barrier
	s_and_b32 s0, vcc_lo, s0
	v_cmp_gt_u32_e32 vcc_lo, s26, v3
	v_cndmask_b32_e64 v24, 0, 1, s0
	s_and_b32 s0, s1, s4
	v_cmp_gt_u32_e64 s1, s26, v5
	v_cndmask_b32_e64 v29, 0, 1, s0
	s_and_b32 s0, s5, s6
	v_cmp_ne_u16_e64 s4, v20, v39
	v_cndmask_b32_e64 v30, 0, 1, s0
	v_cmp_ne_u16_e64 s0, v39, v21
	v_cmp_gt_u32_e64 s5, s26, v7
	v_cmp_ne_u16_e64 s6, v40, v20
	v_lshlrev_b16 v24, 8, v24
	v_lshlrev_b16 v30, 8, v30
	s_and_b32 s0, vcc_lo, s0
	v_cmp_gt_u32_e32 vcc_lo, s26, v4
	v_cndmask_b32_e64 v32, 0, 1, s0
	s_and_b32 s0, s1, s4
	v_cmp_gt_u32_e64 s1, s26, v6
	v_cndmask_b32_e64 v33, 0, 1, s0
	s_and_b32 s0, s5, s6
	v_cmp_ne_u16_e64 s4, v41, v19
	v_cndmask_b32_e64 v34, 0, 1, s0
	v_cmp_ne_u16_e64 s0, v19, v40
	v_cmp_gt_u32_e64 s5, s26, v12
	v_cmp_ne_u16_e64 s6, v18, v41
	v_or_b32_e32 v24, v29, v24
	v_lshlrev_b16 v33, 8, v33
	s_and_b32 s0, vcc_lo, s0
	v_or_b32_e32 v22, v23, v22
	v_cndmask_b32_e64 v35, 0, 1, s0
	s_and_b32 s0, s1, s4
	v_or_b32_e32 v23, v34, v33
	v_cndmask_b32_e64 v29, 0, 1, s0
	s_and_b32 s0, s5, s6
	v_lshlrev_b16 v35, 8, v35
	v_cndmask_b32_e64 v36, 0, 1, s0
	v_or_b32_e32 v30, v32, v30
	v_and_b32_e32 v24, 0xffff, v24
	v_lshlrev_b32_e32 v22, 16, v22
	v_or_b32_e32 v29, v29, v35
	v_lshlrev_b16 v36, 8, v36
	v_and_b32_e32 v23, 0xffff, v23
	v_lshlrev_b32_e32 v30, 16, v30
	buffer_gl0_inv
	v_lshlrev_b32_e32 v29, 16, v29
	v_or_b32_e32 v32, 1, v36
	v_or_b32_e32 v36, v24, v22
	;; [unrolled: 1-line block ×3, first 2 shown]
                                        ; implicit-def: $sgpr0
	s_delay_alu instid0(VALU_DEP_3) | instskip(NEXT) | instid1(VALU_DEP_1)
	v_and_b32_e32 v32, 0xffff, v32
	v_or_b32_e32 v22, v32, v29
	s_and_saveexec_b32 s1, s3
	s_cbranch_execz .LBB483_78
; %bb.77:
	v_add_nc_u32_e32 v13, -2, v13
	v_cmp_gt_u32_e32 vcc_lo, s26, v1
	s_or_b32 s29, s29, exec_lo
	ds_load_u16 v13, v13
	s_waitcnt lgkmcnt(0)
	v_cmp_ne_u16_e64 s0, v13, v18
	s_delay_alu instid0(VALU_DEP_1) | instskip(NEXT) | instid1(SALU_CYCLE_1)
	s_and_b32 s0, vcc_lo, s0
	s_and_b32 s0, s0, exec_lo
.LBB483_78:
	s_or_b32 exec_lo, exec_lo, s1
.LBB483_79:
	s_and_saveexec_b32 s1, s29
	s_cbranch_execz .LBB483_81
; %bb.80:
	s_waitcnt vmcnt(0) lgkmcnt(1)
	v_and_b32_e32 v13, 0xffffff00, v22
	v_cndmask_b32_e64 v24, 0, 1, s0
	s_delay_alu instid0(VALU_DEP_1) | instskip(NEXT) | instid1(VALU_DEP_1)
	v_or_b32_e32 v13, v24, v13
	v_and_b32_e32 v13, 0xffff, v13
	s_delay_alu instid0(VALU_DEP_1)
	v_and_or_b32 v22, 0xffff0000, v22, v13
.LBB483_81:
	s_or_b32 exec_lo, exec_lo, s1
	s_delay_alu instid0(SALU_CYCLE_1)
	s_and_not1_b32 vcc_lo, exec_lo, s27
	s_cbranch_vccnz .LBB483_83
; %bb.82:
	v_cmp_gt_u32_e32 vcc_lo, s26, v1
	v_cmp_gt_u32_e64 s1, s26, v6
	v_cmp_gt_u32_e64 s4, s26, v4
	;; [unrolled: 1-line block ×4, first 2 shown]
	v_cndmask_b32_e32 v1, 0, v22, vcc_lo
	v_cmp_gt_u32_e32 vcc_lo, s26, v12
	v_and_b32_e32 v12, 0xffffff00, v23
	v_cmp_gt_u32_e64 s5, s26, v3
	s_delay_alu instid0(VALU_DEP_4) | instskip(NEXT) | instid1(VALU_DEP_3)
	v_and_b32_e32 v1, 0xff, v1
	v_cndmask_b32_e64 v7, v12, v23, s0
	s_delay_alu instid0(VALU_DEP_2) | instskip(SKIP_1) | instid1(VALU_DEP_3)
	v_cndmask_b32_e32 v1, v1, v22, vcc_lo
	v_cmp_gt_u32_e32 vcc_lo, s26, v11
	v_and_b32_e32 v7, 0xffff00ff, v7
	s_delay_alu instid0(VALU_DEP_3) | instskip(SKIP_1) | instid1(VALU_DEP_3)
	v_and_b32_e32 v1, 0xffff, v1
	v_cndmask_b32_e32 v11, 0, v36, vcc_lo
	v_cndmask_b32_e64 v5, v7, v23, s3
	s_delay_alu instid0(VALU_DEP_3) | instskip(SKIP_1) | instid1(VALU_DEP_3)
	v_cndmask_b32_e64 v1, v1, v22, s1
	v_cmp_gt_u32_e64 s1, s26, v10
	v_and_b32_e32 v5, 0xff00ffff, v5
	s_delay_alu instid0(VALU_DEP_3) | instskip(NEXT) | instid1(VALU_DEP_2)
	v_and_b32_e32 v1, 0xffffff, v1
	v_cndmask_b32_e64 v3, v5, v23, s5
	s_delay_alu instid0(VALU_DEP_2) | instskip(SKIP_1) | instid1(VALU_DEP_2)
	v_cndmask_b32_e64 v1, v1, v22, s4
	v_cmp_gt_u32_e64 s4, s26, v8
	v_cndmask_b32_e64 v1, v1, v22, s0
	v_cmp_gt_u32_e64 s0, s26, v9
	s_delay_alu instid0(VALU_DEP_2) | instskip(SKIP_2) | instid1(VALU_DEP_3)
	v_cndmask_b32_e64 v1, v1, v22, s3
	v_cmp_gt_u32_e64 s3, s26, v2
	v_and_b32_e32 v2, 0xffffff, v3
	v_cndmask_b32_e64 v1, v1, v22, s5
	v_and_b32_e32 v11, 0xff, v11
	s_delay_alu instid0(VALU_DEP_1) | instskip(NEXT) | instid1(VALU_DEP_1)
	v_cndmask_b32_e64 v6, v11, v36, s1
	v_and_b32_e32 v6, 0xffff, v6
	s_delay_alu instid0(VALU_DEP_1) | instskip(NEXT) | instid1(VALU_DEP_1)
	v_cndmask_b32_e64 v4, v6, v36, s4
	v_and_b32_e32 v4, 0xffffff, v4
	s_delay_alu instid0(VALU_DEP_1) | instskip(SKIP_1) | instid1(SALU_CYCLE_1)
	v_cndmask_b32_e64 v36, v4, v36, s0
	s_or_b32 s0, s0, s4
	s_or_b32 s0, s0, s1
	s_delay_alu instid0(SALU_CYCLE_1) | instskip(NEXT) | instid1(SALU_CYCLE_1)
	s_or_b32 s0, s0, vcc_lo
	s_or_b32 vcc_lo, s0, s3
	v_dual_cndmask_b32 v22, v1, v22 :: v_dual_cndmask_b32 v23, v2, v23
.LBB483_83:
	s_delay_alu instid0(VALU_DEP_1) | instskip(NEXT) | instid1(VALU_DEP_2)
	v_and_b32_e32 v42, 0xff, v22
	v_alignbit_b32 v1, v23, v22, 24
	v_bfe_u32 v43, v22, 8, 8
	v_bfe_u32 v44, v22, 16, 8
	v_and_b32_e32 v46, 0xff, v23
	v_bfe_u32 v47, v23, 8, 8
	v_and_b32_e32 v45, 0xff, v1
	v_dual_mov_b32 v1, v36 :: v_dual_add_nc_u32 v2, v43, v42
	v_bfe_u32 v48, v23, 16, 8
	v_lshrrev_b32_e32 v24, 24, v23
	v_and_b32_e32 v49, 0xff, v36
	v_mbcnt_lo_u32_b32 v52, -1, 0
	v_add3_u32 v2, v2, v44, v45
	v_bfe_u32 v50, v36, 8, 8
	v_alignbit_b32 v3, s0, v36, 24
	v_bfe_u32 v51, v36, 16, 8
	v_and_b32_e32 v4, 15, v52
	v_add3_u32 v2, v2, v46, v47
	v_or_b32_e32 v5, 31, v0
	v_and_b32_e32 v3, 0xff, v3
	v_and_b32_e32 v6, 16, v52
	v_cmp_eq_u32_e64 s6, 0, v4
	v_add3_u32 v2, v2, v48, v24
	v_cmp_lt_u32_e64 s5, 1, v4
	v_cmp_lt_u32_e64 s4, 3, v4
	;; [unrolled: 1-line block ×3, first 2 shown]
	v_cmp_eq_u32_e64 s1, 0, v6
	v_add3_u32 v2, v2, v49, v50
	v_lshrrev_b32_e32 v53, 5, v0
	v_cmp_eq_u32_e64 s0, v5, v0
	s_and_b32 vcc_lo, exec_lo, s28
	s_mov_b32 s7, -1
	v_add3_u32 v54, v2, v51, v3
	s_waitcnt vmcnt(0) lgkmcnt(0)
	s_barrier
	buffer_gl0_inv
	s_cbranch_vccz .LBB483_114
; %bb.84:
	v_mov_b32_dpp v2, v54 row_shr:1 row_mask:0xf bank_mask:0xf
	s_delay_alu instid0(VALU_DEP_1) | instskip(NEXT) | instid1(VALU_DEP_1)
	v_cndmask_b32_e64 v2, v2, 0, s6
	v_add_nc_u32_e32 v2, v2, v54
	s_delay_alu instid0(VALU_DEP_1) | instskip(NEXT) | instid1(VALU_DEP_1)
	v_mov_b32_dpp v3, v2 row_shr:2 row_mask:0xf bank_mask:0xf
	v_cndmask_b32_e64 v3, 0, v3, s5
	s_delay_alu instid0(VALU_DEP_1) | instskip(NEXT) | instid1(VALU_DEP_1)
	v_add_nc_u32_e32 v2, v2, v3
	v_mov_b32_dpp v3, v2 row_shr:4 row_mask:0xf bank_mask:0xf
	s_delay_alu instid0(VALU_DEP_1) | instskip(NEXT) | instid1(VALU_DEP_1)
	v_cndmask_b32_e64 v3, 0, v3, s4
	v_add_nc_u32_e32 v2, v2, v3
	s_delay_alu instid0(VALU_DEP_1) | instskip(NEXT) | instid1(VALU_DEP_1)
	v_mov_b32_dpp v3, v2 row_shr:8 row_mask:0xf bank_mask:0xf
	v_cndmask_b32_e64 v3, 0, v3, s3
	s_delay_alu instid0(VALU_DEP_1) | instskip(SKIP_3) | instid1(VALU_DEP_1)
	v_add_nc_u32_e32 v2, v2, v3
	ds_swizzle_b32 v3, v2 offset:swizzle(BROADCAST,32,15)
	s_waitcnt lgkmcnt(0)
	v_cndmask_b32_e64 v3, v3, 0, s1
	v_add_nc_u32_e32 v2, v2, v3
	s_and_saveexec_b32 s7, s0
	s_cbranch_execz .LBB483_86
; %bb.85:
	v_lshlrev_b32_e32 v3, 2, v53
	ds_store_b32 v3, v2
.LBB483_86:
	s_or_b32 exec_lo, exec_lo, s7
	s_delay_alu instid0(SALU_CYCLE_1)
	s_mov_b32 s7, exec_lo
	s_waitcnt lgkmcnt(0)
	s_barrier
	buffer_gl0_inv
	v_cmpx_gt_u32_e32 4, v0
	s_cbranch_execz .LBB483_88
; %bb.87:
	v_and_b32_e32 v5, 3, v52
	s_delay_alu instid0(VALU_DEP_1) | instskip(SKIP_4) | instid1(VALU_DEP_1)
	v_cmp_ne_u32_e32 vcc_lo, 0, v5
	v_lshlrev_b32_e32 v3, 2, v0
	ds_load_b32 v4, v3
	s_waitcnt lgkmcnt(0)
	v_mov_b32_dpp v6, v4 row_shr:1 row_mask:0xf bank_mask:0xf
	v_cndmask_b32_e32 v6, 0, v6, vcc_lo
	v_cmp_lt_u32_e32 vcc_lo, 1, v5
	s_delay_alu instid0(VALU_DEP_2) | instskip(NEXT) | instid1(VALU_DEP_1)
	v_add_nc_u32_e32 v4, v6, v4
	v_mov_b32_dpp v6, v4 row_shr:2 row_mask:0xf bank_mask:0xf
	s_delay_alu instid0(VALU_DEP_1) | instskip(NEXT) | instid1(VALU_DEP_1)
	v_cndmask_b32_e32 v5, 0, v6, vcc_lo
	v_add_nc_u32_e32 v4, v4, v5
	ds_store_b32 v3, v4
.LBB483_88:
	s_or_b32 exec_lo, exec_lo, s7
	v_cmp_gt_u32_e32 vcc_lo, 32, v0
	s_mov_b32 s8, exec_lo
	s_waitcnt lgkmcnt(0)
	s_barrier
	buffer_gl0_inv
                                        ; implicit-def: $vgpr10
	v_cmpx_lt_u32_e32 31, v0
	s_cbranch_execz .LBB483_90
; %bb.89:
	v_lshl_add_u32 v3, v53, 2, -4
	ds_load_b32 v10, v3
	s_waitcnt lgkmcnt(0)
	v_add_nc_u32_e32 v2, v10, v2
.LBB483_90:
	s_or_b32 exec_lo, exec_lo, s8
	v_add_nc_u32_e32 v3, -1, v52
	s_delay_alu instid0(VALU_DEP_1) | instskip(NEXT) | instid1(VALU_DEP_1)
	v_cmp_gt_i32_e64 s7, 0, v3
	v_cndmask_b32_e64 v3, v3, v52, s7
	v_cmp_eq_u32_e64 s7, 0, v52
	s_delay_alu instid0(VALU_DEP_2)
	v_lshlrev_b32_e32 v3, 2, v3
	ds_bpermute_b32 v11, v3, v2
	s_and_saveexec_b32 s8, vcc_lo
	s_cbranch_execz .LBB483_113
; %bb.91:
	v_mov_b32_e32 v6, 0
	ds_load_b32 v2, v6 offset:12
	s_and_saveexec_b32 s9, s7
	s_cbranch_execz .LBB483_93
; %bb.92:
	s_add_i32 s10, s19, 32
	s_mov_b32 s11, 0
	v_mov_b32_e32 v3, 1
	s_lshl_b64 s[10:11], s[10:11], 3
	s_delay_alu instid0(SALU_CYCLE_1)
	s_add_u32 s10, s24, s10
	s_addc_u32 s11, s25, s11
	s_waitcnt lgkmcnt(0)
	global_store_b64 v6, v[2:3], s[10:11]
.LBB483_93:
	s_or_b32 exec_lo, exec_lo, s9
	v_xad_u32 v4, v52, -1, s19
	s_mov_b32 s10, 0
	s_mov_b32 s9, exec_lo
	s_delay_alu instid0(VALU_DEP_1) | instskip(NEXT) | instid1(VALU_DEP_1)
	v_add_nc_u32_e32 v5, 32, v4
	v_lshlrev_b64 v[5:6], 3, v[5:6]
	s_delay_alu instid0(VALU_DEP_1) | instskip(NEXT) | instid1(VALU_DEP_2)
	v_add_co_u32 v8, vcc_lo, s24, v5
	v_add_co_ci_u32_e32 v9, vcc_lo, s25, v6, vcc_lo
	global_load_b64 v[6:7], v[8:9], off glc
	s_waitcnt vmcnt(0)
	v_and_b32_e32 v3, 0xff, v7
	s_delay_alu instid0(VALU_DEP_1)
	v_cmpx_eq_u16_e32 0, v3
	s_cbranch_execz .LBB483_99
; %bb.94:
	s_mov_b32 s11, 1
	.p2align	6
.LBB483_95:                             ; =>This Loop Header: Depth=1
                                        ;     Child Loop BB483_96 Depth 2
	s_delay_alu instid0(SALU_CYCLE_1)
	s_max_u32 s12, s11, 1
.LBB483_96:                             ;   Parent Loop BB483_95 Depth=1
                                        ; =>  This Inner Loop Header: Depth=2
	s_delay_alu instid0(SALU_CYCLE_1)
	s_add_i32 s12, s12, -1
	s_sleep 1
	s_cmp_eq_u32 s12, 0
	s_cbranch_scc0 .LBB483_96
; %bb.97:                               ;   in Loop: Header=BB483_95 Depth=1
	global_load_b64 v[6:7], v[8:9], off glc
	s_cmp_lt_u32 s11, 32
	s_cselect_b32 s12, -1, 0
	s_delay_alu instid0(SALU_CYCLE_1) | instskip(SKIP_3) | instid1(VALU_DEP_1)
	s_cmp_lg_u32 s12, 0
	s_addc_u32 s11, s11, 0
	s_waitcnt vmcnt(0)
	v_and_b32_e32 v3, 0xff, v7
	v_cmp_ne_u16_e32 vcc_lo, 0, v3
	s_or_b32 s10, vcc_lo, s10
	s_delay_alu instid0(SALU_CYCLE_1)
	s_and_not1_b32 exec_lo, exec_lo, s10
	s_cbranch_execnz .LBB483_95
; %bb.98:
	s_or_b32 exec_lo, exec_lo, s10
.LBB483_99:
	s_delay_alu instid0(SALU_CYCLE_1)
	s_or_b32 exec_lo, exec_lo, s9
	v_cmp_ne_u32_e32 vcc_lo, 31, v52
	v_lshlrev_b32_e64 v13, v52, -1
	v_add_nc_u32_e32 v30, 2, v52
	v_add_nc_u32_e32 v56, 16, v52
	v_add_co_ci_u32_e32 v3, vcc_lo, 0, v52, vcc_lo
	s_delay_alu instid0(VALU_DEP_1)
	v_lshlrev_b32_e32 v12, 2, v3
	v_and_b32_e32 v3, 0xff, v7
	ds_bpermute_b32 v5, v12, v6
	v_cmp_eq_u16_e32 vcc_lo, 2, v3
	v_and_or_b32 v3, vcc_lo, v13, 0x80000000
	v_cmp_gt_u32_e32 vcc_lo, 30, v52
	s_delay_alu instid0(VALU_DEP_2) | instskip(SKIP_1) | instid1(VALU_DEP_2)
	v_ctz_i32_b32_e32 v3, v3
	v_cndmask_b32_e64 v8, 0, 1, vcc_lo
	v_cmp_lt_u32_e32 vcc_lo, v52, v3
	s_waitcnt lgkmcnt(0)
	s_delay_alu instid0(VALU_DEP_2) | instskip(NEXT) | instid1(VALU_DEP_1)
	v_dual_cndmask_b32 v5, 0, v5 :: v_dual_lshlrev_b32 v8, 1, v8
	v_add_lshl_u32 v29, v8, v52, 2
	v_cmp_gt_u32_e32 vcc_lo, 28, v52
	s_delay_alu instid0(VALU_DEP_3) | instskip(SKIP_4) | instid1(VALU_DEP_1)
	v_add_nc_u32_e32 v5, v5, v6
	v_cndmask_b32_e64 v8, 0, 1, vcc_lo
	v_cmp_le_u32_e32 vcc_lo, v30, v3
	ds_bpermute_b32 v6, v29, v5
	v_lshlrev_b32_e32 v8, 2, v8
	v_add_lshl_u32 v32, v8, v52, 2
	s_waitcnt lgkmcnt(0)
	v_cndmask_b32_e32 v6, 0, v6, vcc_lo
	v_cmp_gt_u32_e32 vcc_lo, 24, v52
	s_delay_alu instid0(VALU_DEP_2) | instskip(SKIP_4) | instid1(VALU_DEP_2)
	v_add_nc_u32_e32 v5, v5, v6
	v_cndmask_b32_e64 v8, 0, 1, vcc_lo
	ds_bpermute_b32 v6, v32, v5
	v_add_nc_u32_e32 v33, 4, v52
	v_lshlrev_b32_e32 v8, 3, v8
	v_cmp_le_u32_e32 vcc_lo, v33, v3
	s_delay_alu instid0(VALU_DEP_2) | instskip(SKIP_3) | instid1(VALU_DEP_2)
	v_add_lshl_u32 v34, v8, v52, 2
	s_waitcnt lgkmcnt(0)
	v_cndmask_b32_e32 v6, 0, v6, vcc_lo
	v_cmp_gt_u32_e32 vcc_lo, 16, v52
	v_add_nc_u32_e32 v5, v5, v6
	v_cndmask_b32_e64 v8, 0, 1, vcc_lo
	ds_bpermute_b32 v6, v34, v5
	v_add_nc_u32_e32 v35, 8, v52
	v_lshlrev_b32_e32 v8, 4, v8
	s_delay_alu instid0(VALU_DEP_2) | instskip(NEXT) | instid1(VALU_DEP_2)
	v_cmp_le_u32_e32 vcc_lo, v35, v3
	v_add_lshl_u32 v55, v8, v52, 2
	s_waitcnt lgkmcnt(0)
	v_cndmask_b32_e32 v6, 0, v6, vcc_lo
	v_cmp_le_u32_e32 vcc_lo, v56, v3
	s_delay_alu instid0(VALU_DEP_2) | instskip(SKIP_3) | instid1(VALU_DEP_1)
	v_add_nc_u32_e32 v5, v5, v6
	ds_bpermute_b32 v6, v55, v5
	s_waitcnt lgkmcnt(0)
	v_cndmask_b32_e32 v3, 0, v6, vcc_lo
	v_dual_mov_b32 v5, 0 :: v_dual_add_nc_u32 v6, v5, v3
	s_branch .LBB483_101
.LBB483_100:                            ;   in Loop: Header=BB483_101 Depth=1
	s_or_b32 exec_lo, exec_lo, s9
	ds_bpermute_b32 v9, v12, v6
	v_and_b32_e32 v8, 0xff, v7
	v_subrev_nc_u32_e32 v4, 32, v4
	s_delay_alu instid0(VALU_DEP_2) | instskip(SKIP_1) | instid1(VALU_DEP_1)
	v_cmp_eq_u16_e32 vcc_lo, 2, v8
	v_and_or_b32 v8, vcc_lo, v13, 0x80000000
	v_ctz_i32_b32_e32 v8, v8
	s_delay_alu instid0(VALU_DEP_1) | instskip(SKIP_3) | instid1(VALU_DEP_2)
	v_cmp_lt_u32_e32 vcc_lo, v52, v8
	s_waitcnt lgkmcnt(0)
	v_cndmask_b32_e32 v9, 0, v9, vcc_lo
	v_cmp_le_u32_e32 vcc_lo, v30, v8
	v_add_nc_u32_e32 v6, v9, v6
	ds_bpermute_b32 v9, v29, v6
	s_waitcnt lgkmcnt(0)
	v_cndmask_b32_e32 v9, 0, v9, vcc_lo
	v_cmp_le_u32_e32 vcc_lo, v33, v8
	s_delay_alu instid0(VALU_DEP_2) | instskip(SKIP_4) | instid1(VALU_DEP_2)
	v_add_nc_u32_e32 v6, v6, v9
	ds_bpermute_b32 v9, v32, v6
	s_waitcnt lgkmcnt(0)
	v_cndmask_b32_e32 v9, 0, v9, vcc_lo
	v_cmp_le_u32_e32 vcc_lo, v35, v8
	v_add_nc_u32_e32 v6, v6, v9
	ds_bpermute_b32 v9, v34, v6
	s_waitcnt lgkmcnt(0)
	v_cndmask_b32_e32 v9, 0, v9, vcc_lo
	v_cmp_le_u32_e32 vcc_lo, v56, v8
	s_delay_alu instid0(VALU_DEP_2) | instskip(SKIP_3) | instid1(VALU_DEP_1)
	v_add_nc_u32_e32 v6, v6, v9
	ds_bpermute_b32 v9, v55, v6
	s_waitcnt lgkmcnt(0)
	v_cndmask_b32_e32 v8, 0, v9, vcc_lo
	v_add3_u32 v6, v8, v3, v6
.LBB483_101:                            ; =>This Loop Header: Depth=1
                                        ;     Child Loop BB483_104 Depth 2
                                        ;       Child Loop BB483_105 Depth 3
	v_and_b32_e32 v3, 0xff, v7
	s_delay_alu instid0(VALU_DEP_1) | instskip(SKIP_2) | instid1(VALU_DEP_1)
	v_cmp_ne_u16_e32 vcc_lo, 2, v3
	v_cndmask_b32_e64 v3, 0, 1, vcc_lo
	;;#ASMSTART
	;;#ASMEND
	v_cmp_ne_u32_e32 vcc_lo, 0, v3
	v_mov_b32_e32 v3, v6
	s_cmp_lg_u32 vcc_lo, exec_lo
	s_cbranch_scc1 .LBB483_108
; %bb.102:                              ;   in Loop: Header=BB483_101 Depth=1
	v_lshlrev_b64 v[6:7], 3, v[4:5]
	s_mov_b32 s9, exec_lo
	s_delay_alu instid0(VALU_DEP_1) | instskip(NEXT) | instid1(VALU_DEP_2)
	v_add_co_u32 v8, vcc_lo, s24, v6
	v_add_co_ci_u32_e32 v9, vcc_lo, s25, v7, vcc_lo
	global_load_b64 v[6:7], v[8:9], off glc
	s_waitcnt vmcnt(0)
	v_and_b32_e32 v57, 0xff, v7
	s_delay_alu instid0(VALU_DEP_1)
	v_cmpx_eq_u16_e32 0, v57
	s_cbranch_execz .LBB483_100
; %bb.103:                              ;   in Loop: Header=BB483_101 Depth=1
	s_mov_b32 s11, 1
	s_mov_b32 s10, 0
	.p2align	6
.LBB483_104:                            ;   Parent Loop BB483_101 Depth=1
                                        ; =>  This Loop Header: Depth=2
                                        ;       Child Loop BB483_105 Depth 3
	s_max_u32 s12, s11, 1
.LBB483_105:                            ;   Parent Loop BB483_101 Depth=1
                                        ;     Parent Loop BB483_104 Depth=2
                                        ; =>    This Inner Loop Header: Depth=3
	s_delay_alu instid0(SALU_CYCLE_1)
	s_add_i32 s12, s12, -1
	s_sleep 1
	s_cmp_eq_u32 s12, 0
	s_cbranch_scc0 .LBB483_105
; %bb.106:                              ;   in Loop: Header=BB483_104 Depth=2
	global_load_b64 v[6:7], v[8:9], off glc
	s_cmp_lt_u32 s11, 32
	s_cselect_b32 s12, -1, 0
	s_delay_alu instid0(SALU_CYCLE_1) | instskip(SKIP_3) | instid1(VALU_DEP_1)
	s_cmp_lg_u32 s12, 0
	s_addc_u32 s11, s11, 0
	s_waitcnt vmcnt(0)
	v_and_b32_e32 v57, 0xff, v7
	v_cmp_ne_u16_e32 vcc_lo, 0, v57
	s_or_b32 s10, vcc_lo, s10
	s_delay_alu instid0(SALU_CYCLE_1)
	s_and_not1_b32 exec_lo, exec_lo, s10
	s_cbranch_execnz .LBB483_104
; %bb.107:                              ;   in Loop: Header=BB483_101 Depth=1
	s_or_b32 exec_lo, exec_lo, s10
	s_branch .LBB483_100
.LBB483_108:                            ;   in Loop: Header=BB483_101 Depth=1
                                        ; implicit-def: $vgpr6
                                        ; implicit-def: $vgpr7
	s_cbranch_execz .LBB483_101
; %bb.109:
	s_and_saveexec_b32 s9, s7
	s_cbranch_execz .LBB483_111
; %bb.110:
	s_add_i32 s10, s19, 32
	s_mov_b32 s11, 0
	v_dual_mov_b32 v5, 2 :: v_dual_add_nc_u32 v4, v3, v2
	s_lshl_b64 s[10:11], s[10:11], 3
	v_mov_b32_e32 v6, 0
	s_add_u32 s10, s24, s10
	s_addc_u32 s11, s25, s11
	global_store_b64 v6, v[4:5], s[10:11]
	ds_store_b64 v6, v[2:3] offset:3072
.LBB483_111:
	s_or_b32 exec_lo, exec_lo, s9
	s_delay_alu instid0(SALU_CYCLE_1)
	s_and_b32 exec_lo, exec_lo, s2
	s_cbranch_execz .LBB483_113
; %bb.112:
	v_mov_b32_e32 v2, 0
	ds_store_b32 v2, v3 offset:12
.LBB483_113:
	s_or_b32 exec_lo, exec_lo, s8
	v_mov_b32_e32 v12, 0
	s_waitcnt lgkmcnt(0)
	s_waitcnt_vscnt null, 0x0
	s_barrier
	buffer_gl0_inv
	v_cndmask_b32_e64 v3, v11, v10, s7
	ds_load_b32 v2, v12 offset:12
	s_waitcnt lgkmcnt(0)
	s_barrier
	buffer_gl0_inv
	v_cndmask_b32_e64 v3, v3, 0, s2
	s_delay_alu instid0(VALU_DEP_1) | instskip(NEXT) | instid1(VALU_DEP_1)
	v_add_nc_u32_e32 v2, v2, v3
	v_add_nc_u32_e32 v3, v2, v42
	ds_load_b64 v[29:30], v12 offset:3072
	v_add_nc_u32_e32 v4, v3, v43
	s_delay_alu instid0(VALU_DEP_1) | instskip(NEXT) | instid1(VALU_DEP_1)
	v_add_nc_u32_e32 v5, v4, v44
	v_add_nc_u32_e32 v6, v5, v45
	s_delay_alu instid0(VALU_DEP_1) | instskip(NEXT) | instid1(VALU_DEP_1)
	v_add_nc_u32_e32 v7, v6, v46
	;; [unrolled: 3-line block ×4, first 2 shown]
	v_add_nc_u32_e32 v12, v11, v50
	s_delay_alu instid0(VALU_DEP_1)
	v_add_nc_u32_e32 v13, v12, v51
	v_lshrrev_b64 v[34:35], 24, v[22:23]
	v_lshrrev_b64 v[32:33], 24, v[1:2]
	s_branch .LBB483_124
.LBB483_114:
                                        ; implicit-def: $vgpr30
                                        ; implicit-def: $vgpr2_vgpr3_vgpr4_vgpr5_vgpr6_vgpr7_vgpr8_vgpr9_vgpr10_vgpr11_vgpr12_vgpr13
                                        ; implicit-def: $vgpr29
	v_lshrrev_b64 v[34:35], 24, v[22:23]
	v_lshrrev_b64 v[32:33], 24, v[1:2]
	s_and_b32 vcc_lo, exec_lo, s7
	s_cbranch_vccz .LBB483_124
; %bb.115:
	v_mov_b32_dpp v1, v54 row_shr:1 row_mask:0xf bank_mask:0xf
	s_delay_alu instid0(VALU_DEP_1) | instskip(NEXT) | instid1(VALU_DEP_1)
	v_cndmask_b32_e64 v1, v1, 0, s6
	v_add_nc_u32_e32 v1, v1, v54
	s_delay_alu instid0(VALU_DEP_1) | instskip(NEXT) | instid1(VALU_DEP_1)
	v_mov_b32_dpp v2, v1 row_shr:2 row_mask:0xf bank_mask:0xf
	v_cndmask_b32_e64 v2, 0, v2, s5
	s_delay_alu instid0(VALU_DEP_1) | instskip(NEXT) | instid1(VALU_DEP_1)
	v_add_nc_u32_e32 v1, v1, v2
	v_mov_b32_dpp v2, v1 row_shr:4 row_mask:0xf bank_mask:0xf
	s_delay_alu instid0(VALU_DEP_1) | instskip(NEXT) | instid1(VALU_DEP_1)
	v_cndmask_b32_e64 v2, 0, v2, s4
	v_add_nc_u32_e32 v1, v1, v2
	s_delay_alu instid0(VALU_DEP_1) | instskip(NEXT) | instid1(VALU_DEP_1)
	v_mov_b32_dpp v2, v1 row_shr:8 row_mask:0xf bank_mask:0xf
	v_cndmask_b32_e64 v2, 0, v2, s3
	s_delay_alu instid0(VALU_DEP_1) | instskip(SKIP_3) | instid1(VALU_DEP_1)
	v_add_nc_u32_e32 v1, v1, v2
	ds_swizzle_b32 v2, v1 offset:swizzle(BROADCAST,32,15)
	s_waitcnt lgkmcnt(0)
	v_cndmask_b32_e64 v2, v2, 0, s1
	v_add_nc_u32_e32 v1, v1, v2
	s_and_saveexec_b32 s1, s0
	s_cbranch_execz .LBB483_117
; %bb.116:
	v_lshlrev_b32_e32 v2, 2, v53
	ds_store_b32 v2, v1
.LBB483_117:
	s_or_b32 exec_lo, exec_lo, s1
	s_delay_alu instid0(SALU_CYCLE_1)
	s_mov_b32 s0, exec_lo
	s_waitcnt lgkmcnt(0)
	s_barrier
	buffer_gl0_inv
	v_cmpx_gt_u32_e32 4, v0
	s_cbranch_execz .LBB483_119
; %bb.118:
	v_and_b32_e32 v4, 3, v52
	s_delay_alu instid0(VALU_DEP_1) | instskip(SKIP_4) | instid1(VALU_DEP_1)
	v_cmp_ne_u32_e32 vcc_lo, 0, v4
	v_lshlrev_b32_e32 v2, 2, v0
	ds_load_b32 v3, v2
	s_waitcnt lgkmcnt(0)
	v_mov_b32_dpp v5, v3 row_shr:1 row_mask:0xf bank_mask:0xf
	v_cndmask_b32_e32 v5, 0, v5, vcc_lo
	v_cmp_lt_u32_e32 vcc_lo, 1, v4
	s_delay_alu instid0(VALU_DEP_2) | instskip(NEXT) | instid1(VALU_DEP_1)
	v_add_nc_u32_e32 v3, v5, v3
	v_mov_b32_dpp v5, v3 row_shr:2 row_mask:0xf bank_mask:0xf
	s_delay_alu instid0(VALU_DEP_1) | instskip(NEXT) | instid1(VALU_DEP_1)
	v_cndmask_b32_e32 v4, 0, v5, vcc_lo
	v_add_nc_u32_e32 v3, v3, v4
	ds_store_b32 v2, v3
.LBB483_119:
	s_or_b32 exec_lo, exec_lo, s0
	v_dual_mov_b32 v3, 0 :: v_dual_mov_b32 v2, 0
	s_mov_b32 s0, exec_lo
	s_waitcnt lgkmcnt(0)
	s_barrier
	buffer_gl0_inv
	v_cmpx_lt_u32_e32 31, v0
	s_cbranch_execz .LBB483_121
; %bb.120:
	v_lshl_add_u32 v2, v53, 2, -4
	ds_load_b32 v2, v2
.LBB483_121:
	s_or_b32 exec_lo, exec_lo, s0
	v_add_nc_u32_e32 v4, -1, v52
	ds_load_b32 v29, v3 offset:12
	s_waitcnt lgkmcnt(1)
	v_add_nc_u32_e32 v1, v2, v1
	v_cmp_gt_i32_e32 vcc_lo, 0, v4
	v_cndmask_b32_e32 v4, v4, v52, vcc_lo
	s_delay_alu instid0(VALU_DEP_1)
	v_lshlrev_b32_e32 v4, 2, v4
	ds_bpermute_b32 v1, v4, v1
	s_and_saveexec_b32 s0, s2
	s_cbranch_execz .LBB483_123
; %bb.122:
	v_dual_mov_b32 v3, 0 :: v_dual_mov_b32 v30, 2
	s_waitcnt lgkmcnt(1)
	global_store_b64 v3, v[29:30], s[24:25] offset:256
.LBB483_123:
	s_or_b32 exec_lo, exec_lo, s0
	v_cmp_eq_u32_e32 vcc_lo, 0, v52
	s_waitcnt lgkmcnt(0)
	s_waitcnt_vscnt null, 0x0
	s_barrier
	buffer_gl0_inv
	v_dual_mov_b32 v30, 0 :: v_dual_cndmask_b32 v1, v1, v2
	s_delay_alu instid0(VALU_DEP_1) | instskip(NEXT) | instid1(VALU_DEP_1)
	v_cndmask_b32_e64 v2, v1, 0, s2
	v_add_nc_u32_e32 v3, v2, v42
	s_delay_alu instid0(VALU_DEP_1) | instskip(NEXT) | instid1(VALU_DEP_1)
	v_add_nc_u32_e32 v4, v3, v43
	v_add_nc_u32_e32 v5, v4, v44
	s_delay_alu instid0(VALU_DEP_1) | instskip(NEXT) | instid1(VALU_DEP_1)
	v_add_nc_u32_e32 v6, v5, v45
	;; [unrolled: 3-line block ×5, first 2 shown]
	v_add_nc_u32_e32 v13, v12, v51
.LBB483_124:
	s_waitcnt lgkmcnt(0)
	v_add_nc_u32_e32 v46, v30, v29
	v_cmp_gt_u32_e64 s0, 0x81, v29
	v_lshrrev_b32_e32 v33, 16, v36
	v_lshrrev_b32_e32 v44, 16, v22
	;; [unrolled: 1-line block ×6, first 2 shown]
	v_cmp_lt_u32_e64 s1, v2, v46
	s_and_b32 vcc_lo, exec_lo, s0
	s_mov_b32 s3, -1
	s_cbranch_vccz .LBB483_162
; %bb.125:
	s_lshl_b64 s[4:5], s[14:15], 1
	s_delay_alu instid0(SALU_CYCLE_1) | instskip(SKIP_2) | instid1(SALU_CYCLE_1)
	s_add_u32 s3, s20, s4
	s_addc_u32 s4, s21, s5
	s_or_b32 s5, s18, s1
	s_and_saveexec_b32 s1, s5
	s_cbranch_execz .LBB483_128
; %bb.126:
	v_and_b32_e32 v1, 1, v22
	s_delay_alu instid0(VALU_DEP_1)
	v_cmp_eq_u32_e32 vcc_lo, 1, v1
	s_and_b32 exec_lo, exec_lo, vcc_lo
	s_cbranch_execz .LBB483_128
; %bb.127:
	v_dual_mov_b32 v48, 0 :: v_dual_mov_b32 v47, v2
	s_delay_alu instid0(VALU_DEP_1) | instskip(NEXT) | instid1(VALU_DEP_1)
	v_lshlrev_b64 v[47:48], 1, v[47:48]
	v_add_co_u32 v47, vcc_lo, s3, v47
	s_delay_alu instid0(VALU_DEP_2)
	v_add_co_ci_u32_e32 v48, vcc_lo, s4, v48, vcc_lo
	global_store_b16 v[47:48], v18, off
.LBB483_128:
	s_or_b32 exec_lo, exec_lo, s1
	v_cmp_lt_u32_e32 vcc_lo, v3, v46
	s_or_b32 s5, s18, vcc_lo
	s_delay_alu instid0(SALU_CYCLE_1)
	s_and_saveexec_b32 s1, s5
	s_cbranch_execz .LBB483_131
; %bb.129:
	v_and_b32_e32 v1, 1, v45
	s_delay_alu instid0(VALU_DEP_1)
	v_cmp_eq_u32_e32 vcc_lo, 1, v1
	s_and_b32 exec_lo, exec_lo, vcc_lo
	s_cbranch_execz .LBB483_131
; %bb.130:
	v_dual_mov_b32 v48, 0 :: v_dual_mov_b32 v47, v3
	s_delay_alu instid0(VALU_DEP_1) | instskip(NEXT) | instid1(VALU_DEP_1)
	v_lshlrev_b64 v[47:48], 1, v[47:48]
	v_add_co_u32 v47, vcc_lo, s3, v47
	s_delay_alu instid0(VALU_DEP_2)
	v_add_co_ci_u32_e32 v48, vcc_lo, s4, v48, vcc_lo
	global_store_b16 v[47:48], v41, off
.LBB483_131:
	s_or_b32 exec_lo, exec_lo, s1
	v_cmp_lt_u32_e32 vcc_lo, v4, v46
	s_or_b32 s5, s18, vcc_lo
	s_delay_alu instid0(SALU_CYCLE_1)
	;; [unrolled: 21-line block ×11, first 2 shown]
	s_and_saveexec_b32 s1, s5
	s_cbranch_execz .LBB483_161
; %bb.159:
	v_and_b32_e32 v1, 1, v32
	s_delay_alu instid0(VALU_DEP_1)
	v_cmp_eq_u32_e32 vcc_lo, 1, v1
	s_and_b32 exec_lo, exec_lo, vcc_lo
	s_cbranch_execz .LBB483_161
; %bb.160:
	v_dual_mov_b32 v48, 0 :: v_dual_mov_b32 v47, v13
	s_delay_alu instid0(VALU_DEP_1) | instskip(NEXT) | instid1(VALU_DEP_1)
	v_lshlrev_b64 v[47:48], 1, v[47:48]
	v_add_co_u32 v47, vcc_lo, s3, v47
	s_delay_alu instid0(VALU_DEP_2)
	v_add_co_ci_u32_e32 v48, vcc_lo, s4, v48, vcc_lo
	global_store_b16 v[47:48], v31, off
.LBB483_161:
	s_or_b32 exec_lo, exec_lo, s1
	s_mov_b32 s3, 0
.LBB483_162:
	v_and_b32_e32 v22, 1, v22
	s_and_b32 vcc_lo, exec_lo, s3
	s_delay_alu instid0(VALU_DEP_1)
	v_cmp_eq_u32_e64 s1, 1, v22
	s_cbranch_vccz .LBB483_203
; %bb.163:
	s_delay_alu instid0(VALU_DEP_1)
	s_and_saveexec_b32 s3, s1
	s_cbranch_execz .LBB483_165
; %bb.164:
	v_sub_nc_u32_e32 v1, v2, v30
	s_delay_alu instid0(VALU_DEP_1)
	v_lshlrev_b32_e32 v1, 1, v1
	ds_store_b16 v1, v18
.LBB483_165:
	s_or_b32 exec_lo, exec_lo, s3
	v_and_b32_e32 v1, 1, v45
	s_mov_b32 s1, exec_lo
	s_delay_alu instid0(VALU_DEP_1)
	v_cmpx_eq_u32_e32 1, v1
	s_cbranch_execz .LBB483_167
; %bb.166:
	v_sub_nc_u32_e32 v1, v3, v30
	s_delay_alu instid0(VALU_DEP_1)
	v_lshlrev_b32_e32 v1, 1, v1
	ds_store_b16 v1, v41
.LBB483_167:
	s_or_b32 exec_lo, exec_lo, s1
	v_and_b32_e32 v1, 1, v44
	s_mov_b32 s1, exec_lo
	s_delay_alu instid0(VALU_DEP_1)
	v_cmpx_eq_u32_e32 1, v1
	;; [unrolled: 12-line block ×11, first 2 shown]
	s_cbranch_execz .LBB483_187
; %bb.186:
	v_sub_nc_u32_e32 v1, v13, v30
	s_delay_alu instid0(VALU_DEP_1)
	v_lshlrev_b32_e32 v1, 1, v1
	ds_store_b16 v1, v31
.LBB483_187:
	s_or_b32 exec_lo, exec_lo, s1
	s_delay_alu instid0(SALU_CYCLE_1)
	s_mov_b32 s4, exec_lo
	s_waitcnt lgkmcnt(0)
	s_waitcnt_vscnt null, 0x0
	s_barrier
	buffer_gl0_inv
	v_cmpx_lt_u32_e64 v0, v29
	s_cbranch_execz .LBB483_202
; %bb.188:
	v_mov_b32_e32 v31, 0
	s_lshl_b64 s[6:7], s[14:15], 1
	v_xad_u32 v1, v0, -1, v29
	s_add_u32 s3, s20, s6
	s_addc_u32 s5, s21, s7
	v_lshlrev_b64 v[18:19], 1, v[30:31]
	s_delay_alu instid0(VALU_DEP_2) | instskip(NEXT) | instid1(VALU_DEP_2)
	v_cmp_gt_u32_e32 vcc_lo, 0xc80, v1
	v_add_co_u32 v27, s3, s3, v18
	v_mov_b32_e32 v18, v0
	s_delay_alu instid0(VALU_DEP_4)
	v_add_co_ci_u32_e64 v28, s3, s5, v19, s3
	s_mov_b32 s3, -1
	s_mov_b32 s5, exec_lo
	v_cmpx_lt_u32_e32 0xc7f, v1
	s_cbranch_execz .LBB483_199
; %bb.189:
	v_sub_nc_u32_e32 v18, v0, v29
	s_delay_alu instid0(VALU_DEP_1) | instskip(NEXT) | instid1(VALU_DEP_1)
	v_or_b32_e32 v18, 0x7f, v18
	v_cmp_ge_u32_e64 s1, v18, v0
	v_mov_b32_e32 v18, v0
	s_delay_alu instid0(VALU_DEP_2)
	s_and_saveexec_b32 s6, s1
	s_cbranch_execz .LBB483_198
; %bb.190:
	v_lshrrev_b32_e32 v31, 7, v1
	v_or_b32_e32 v1, 0x80, v0
	s_delay_alu instid0(VALU_DEP_2) | instskip(NEXT) | instid1(VALU_DEP_1)
	v_add_nc_u32_e32 v18, -1, v31
	v_lshrrev_b32_e32 v19, 1, v18
	v_mov_b32_e32 v40, 0
	v_cmp_lt_u32_e64 s1, 13, v18
	s_delay_alu instid0(VALU_DEP_3) | instskip(SKIP_1) | instid1(VALU_DEP_3)
	v_add_nc_u32_e32 v37, 1, v19
	v_dual_mov_b32 v19, v1 :: v_dual_mov_b32 v18, v0
	s_and_saveexec_b32 s3, s1
	s_cbranch_execz .LBB483_194
; %bb.191:
	s_delay_alu instid0(VALU_DEP_2)
	v_dual_mov_b32 v19, v1 :: v_dual_and_b32 v38, -8, v37
	v_mov_b32_e32 v21, 0
	v_dual_mov_b32 v18, v0 :: v_dual_lshlrev_b32 v39, 1, v0
	s_mov_b32 s7, 0
	s_mov_b32 s8, 0
.LBB483_192:                            ; =>This Inner Loop Header: Depth=1
	s_delay_alu instid0(VALU_DEP_1) | instskip(SKIP_2) | instid1(VALU_DEP_3)
	v_dual_mov_b32 v20, v18 :: v_dual_add_nc_u32 v47, 0x100, v19
	v_add_nc_u32_e32 v38, -8, v38
	v_dual_mov_b32 v48, v21 :: v_dual_add_nc_u32 v49, 0x200, v19
	v_lshlrev_b64 v[61:62], 1, v[20:21]
	v_dual_mov_b32 v50, v21 :: v_dual_add_nc_u32 v51, 0x300, v19
	s_delay_alu instid0(VALU_DEP_4) | instskip(NEXT) | instid1(VALU_DEP_4)
	v_cmp_eq_u32_e64 s1, 0, v38
	v_lshlrev_b64 v[47:48], 1, v[47:48]
	v_dual_mov_b32 v52, v21 :: v_dual_add_nc_u32 v53, 0x400, v19
	s_add_i32 s8, s8, 16
	v_lshlrev_b64 v[49:50], 1, v[49:50]
	s_or_b32 s7, s1, s7
	v_add_co_u32 v61, s1, v27, v61
	v_dual_mov_b32 v54, v21 :: v_dual_add_nc_u32 v55, 0x500, v19
	v_add_co_ci_u32_e64 v62, s1, v28, v62, s1
	v_lshlrev_b64 v[51:52], 1, v[51:52]
	v_add_co_u32 v47, s1, v27, v47
	v_dual_mov_b32 v56, v21 :: v_dual_add_nc_u32 v57, 0x600, v19
	v_add_co_ci_u32_e64 v48, s1, v28, v48, s1
	v_lshlrev_b64 v[53:54], 1, v[53:54]
	v_add_co_u32 v49, s1, v27, v49
	v_dual_mov_b32 v58, v21 :: v_dual_add_nc_u32 v59, 0x700, v19
	v_add_co_ci_u32_e64 v50, s1, v28, v50, s1
	v_lshlrev_b64 v[55:56], 1, v[55:56]
	v_add_co_u32 v51, s1, v27, v51
	v_mov_b32_e32 v60, v21
	v_mov_b32_e32 v20, v19
	v_add_co_ci_u32_e64 v52, s1, v28, v52, s1
	v_lshlrev_b64 v[57:58], 1, v[57:58]
	v_add_co_u32 v53, s1, v27, v53
	ds_load_u16 v1, v39
	ds_load_u16 v41, v39 offset:256
	ds_load_u16 v67, v39 offset:512
	;; [unrolled: 1-line block ×7, first 2 shown]
	v_add_co_ci_u32_e64 v54, s1, v28, v54, s1
	ds_load_u16 v73, v39 offset:2048
	ds_load_u16 v74, v39 offset:2304
	;; [unrolled: 1-line block ×8, first 2 shown]
	v_add_nc_u32_e32 v39, 0x1000, v39
	v_lshlrev_b64 v[59:60], 1, v[59:60]
	v_add_co_u32 v55, s1, v27, v55
	v_lshlrev_b64 v[63:64], 1, v[20:21]
	v_add_nc_u32_e32 v20, 0x100, v18
	v_add_co_ci_u32_e64 v56, s1, v28, v56, s1
	v_add_co_u32 v57, s1, v27, v57
	s_delay_alu instid0(VALU_DEP_1)
	v_add_co_ci_u32_e64 v58, s1, v28, v58, s1
	v_add_co_u32 v59, s1, v27, v59
	v_lshlrev_b64 v[65:66], 1, v[20:21]
	v_add_nc_u32_e32 v20, 0x200, v18
	v_add_co_ci_u32_e64 v60, s1, v28, v60, s1
	v_add_co_u32 v63, s1, v27, v63
	s_delay_alu instid0(VALU_DEP_1)
	v_add_co_ci_u32_e64 v64, s1, v28, v64, s1
	s_waitcnt lgkmcnt(15)
	global_store_b16 v[61:62], v1, off
	v_lshlrev_b64 v[61:62], 1, v[20:21]
	v_add_nc_u32_e32 v20, 0x300, v18
	v_add_co_u32 v65, s1, v27, v65
	s_delay_alu instid0(VALU_DEP_1)
	v_add_co_ci_u32_e64 v66, s1, v28, v66, s1
	s_waitcnt lgkmcnt(14)
	global_store_b16 v[63:64], v41, off
	v_lshlrev_b64 v[63:64], 1, v[20:21]
	v_add_nc_u32_e32 v20, 0x400, v18
	s_waitcnt lgkmcnt(13)
	global_store_b16 v[65:66], v67, off
	s_waitcnt lgkmcnt(12)
	global_store_b16 v[47:48], v68, off
	v_add_co_u32 v47, s1, v27, v61
	s_delay_alu instid0(VALU_DEP_1) | instskip(SKIP_3) | instid1(VALU_DEP_1)
	v_add_co_ci_u32_e64 v48, s1, v28, v62, s1
	v_lshlrev_b64 v[61:62], 1, v[20:21]
	v_add_nc_u32_e32 v20, 0x500, v18
	v_add_co_u32 v63, s1, v27, v63
	v_add_co_ci_u32_e64 v64, s1, v28, v64, s1
	s_waitcnt lgkmcnt(11)
	global_store_b16 v[47:48], v69, off
	s_waitcnt lgkmcnt(10)
	global_store_b16 v[49:50], v70, off
	v_lshlrev_b64 v[47:48], 1, v[20:21]
	v_add_nc_u32_e32 v20, 0x600, v18
	v_add_co_u32 v49, s1, v27, v61
	s_waitcnt lgkmcnt(9)
	global_store_b16 v[63:64], v71, off
	s_waitcnt lgkmcnt(8)
	global_store_b16 v[51:52], v72, off
	v_add_co_ci_u32_e64 v50, s1, v28, v62, s1
	v_lshlrev_b64 v[51:52], 1, v[20:21]
	v_add_nc_u32_e32 v20, 0x700, v18
	v_add_co_u32 v47, s1, v27, v47
	s_delay_alu instid0(VALU_DEP_1)
	v_add_co_ci_u32_e64 v48, s1, v28, v48, s1
	s_waitcnt lgkmcnt(7)
	global_store_b16 v[49:50], v73, off
	s_waitcnt lgkmcnt(6)
	global_store_b16 v[53:54], v74, off
	v_lshlrev_b64 v[49:50], 1, v[20:21]
	v_dual_mov_b32 v40, s8 :: v_dual_add_nc_u32 v19, 0x800, v19
	s_waitcnt lgkmcnt(5)
	global_store_b16 v[47:48], v75, off
	v_add_co_u32 v47, s1, v27, v51
	v_add_nc_u32_e32 v18, 0x800, v18
	v_add_co_ci_u32_e64 v48, s1, v28, v52, s1
	v_add_co_u32 v49, s1, v27, v49
	s_delay_alu instid0(VALU_DEP_1)
	v_add_co_ci_u32_e64 v50, s1, v28, v50, s1
	s_waitcnt lgkmcnt(4)
	global_store_b16 v[55:56], v76, off
	s_waitcnt lgkmcnt(3)
	global_store_b16 v[47:48], v77, off
	;; [unrolled: 2-line block ×5, first 2 shown]
	s_and_not1_b32 exec_lo, exec_lo, s7
	s_cbranch_execnz .LBB483_192
; %bb.193:
	s_or_b32 exec_lo, exec_lo, s7
.LBB483_194:
	s_delay_alu instid0(SALU_CYCLE_1) | instskip(SKIP_3) | instid1(VALU_DEP_1)
	s_or_b32 exec_lo, exec_lo, s3
	v_and_b32_e32 v1, 7, v37
	s_mov_b32 s8, 0
	s_mov_b32 s7, exec_lo
	v_cmpx_ne_u32_e32 0, v1
	s_cbranch_execz .LBB483_197
; %bb.195:
	v_dual_mov_b32 v21, 0 :: v_dual_lshlrev_b32 v20, 1, v0
	s_delay_alu instid0(VALU_DEP_1)
	v_lshl_or_b32 v37, v40, 8, v20
	s_set_inst_prefetch_distance 0x1
	.p2align	6
.LBB483_196:                            ; =>This Inner Loop Header: Depth=1
	v_dual_mov_b32 v20, v18 :: v_dual_add_nc_u32 v1, -1, v1
	ds_load_u16 v47, v37
	ds_load_u16 v48, v37 offset:256
	v_add_nc_u32_e32 v18, 0x100, v18
	v_add_nc_u32_e32 v37, 0x200, v37
	v_lshlrev_b64 v[38:39], 1, v[20:21]
	v_mov_b32_e32 v20, v19
	v_cmp_eq_u32_e64 s1, 0, v1
	v_add_nc_u32_e32 v19, 0x100, v19
	s_delay_alu instid0(VALU_DEP_3) | instskip(SKIP_1) | instid1(VALU_DEP_1)
	v_lshlrev_b64 v[40:41], 1, v[20:21]
	v_add_co_u32 v38, s3, v27, v38
	v_add_co_ci_u32_e64 v39, s3, v28, v39, s3
	s_or_b32 s8, s1, s8
	s_delay_alu instid0(VALU_DEP_3) | instskip(NEXT) | instid1(VALU_DEP_1)
	v_add_co_u32 v40, s3, v27, v40
	v_add_co_ci_u32_e64 v41, s3, v28, v41, s3
	s_waitcnt lgkmcnt(1)
	global_store_b16 v[38:39], v47, off
	s_waitcnt lgkmcnt(0)
	global_store_b16 v[40:41], v48, off
	s_and_not1_b32 exec_lo, exec_lo, s8
	s_cbranch_execnz .LBB483_196
.LBB483_197:
	s_set_inst_prefetch_distance 0x2
	s_or_b32 exec_lo, exec_lo, s7
	v_add_nc_u32_e32 v1, 1, v31
	s_delay_alu instid0(VALU_DEP_1) | instskip(NEXT) | instid1(VALU_DEP_1)
	v_and_b32_e32 v18, 0x3fffffe, v1
	v_cmp_ne_u32_e64 s1, v1, v18
	v_lshl_or_b32 v18, v18, 7, v0
	s_delay_alu instid0(VALU_DEP_2)
	s_or_not1_b32 s3, s1, exec_lo
.LBB483_198:
	s_or_b32 exec_lo, exec_lo, s6
	s_delay_alu instid0(SALU_CYCLE_1) | instskip(SKIP_1) | instid1(SALU_CYCLE_1)
	s_and_not1_b32 s1, vcc_lo, exec_lo
	s_and_b32 s3, s3, exec_lo
	s_or_b32 vcc_lo, s1, s3
.LBB483_199:
	s_or_b32 exec_lo, exec_lo, s5
	s_delay_alu instid0(SALU_CYCLE_1)
	s_and_b32 exec_lo, exec_lo, vcc_lo
	s_cbranch_execz .LBB483_202
; %bb.200:
	v_lshlrev_b32_e32 v1, 1, v18
	v_mov_b32_e32 v19, 0
	s_mov_b32 s3, 0
	.p2align	6
.LBB483_201:                            ; =>This Inner Loop Header: Depth=1
	ds_load_u16 v31, v1
	v_lshlrev_b64 v[20:21], 1, v[18:19]
	v_add_nc_u32_e32 v18, 0x80, v18
	v_add_nc_u32_e32 v1, 0x100, v1
	s_delay_alu instid0(VALU_DEP_2) | instskip(NEXT) | instid1(VALU_DEP_4)
	v_cmp_ge_u32_e32 vcc_lo, v18, v29
	v_add_co_u32 v20, s1, v27, v20
	s_delay_alu instid0(VALU_DEP_1)
	v_add_co_ci_u32_e64 v21, s1, v28, v21, s1
	s_or_b32 s3, vcc_lo, s3
	s_waitcnt lgkmcnt(0)
	global_store_b16 v[20:21], v31, off
	s_and_not1_b32 exec_lo, exec_lo, s3
	s_cbranch_execnz .LBB483_201
.LBB483_202:
	s_or_b32 exec_lo, exec_lo, s4
.LBB483_203:
	v_lshrrev_b32_e32 v27, 16, v14
	v_lshrrev_b32_e32 v21, 16, v15
	;; [unrolled: 1-line block ×6, first 2 shown]
	s_and_b32 vcc_lo, exec_lo, s0
	s_mov_b32 s0, -1
	s_waitcnt_vscnt null, 0x0
	s_barrier
	buffer_gl0_inv
	s_cbranch_vccnz .LBB483_207
; %bb.204:
	s_and_b32 vcc_lo, exec_lo, s0
	s_cbranch_vccnz .LBB483_244
.LBB483_205:
	s_and_b32 s0, s2, s13
	s_delay_alu instid0(SALU_CYCLE_1)
	s_and_saveexec_b32 s1, s0
	s_cbranch_execnz .LBB483_284
.LBB483_206:
	s_nop 0
	s_sendmsg sendmsg(MSG_DEALLOC_VGPRS)
	s_endpgm
.LBB483_207:
	v_cmp_lt_u32_e32 vcc_lo, v2, v46
	s_lshl_b64 s[0:1], s[14:15], 1
	s_delay_alu instid0(SALU_CYCLE_1) | instskip(SKIP_2) | instid1(SALU_CYCLE_1)
	s_add_u32 s0, s22, s0
	s_addc_u32 s1, s23, s1
	s_or_b32 s4, s18, vcc_lo
	s_and_saveexec_b32 s3, s4
	s_cbranch_execz .LBB483_210
; %bb.208:
	v_cmp_eq_u32_e32 vcc_lo, 1, v22
	s_and_b32 exec_lo, exec_lo, vcc_lo
	s_cbranch_execz .LBB483_210
; %bb.209:
	v_dual_mov_b32 v38, 0 :: v_dual_mov_b32 v37, v2
	s_delay_alu instid0(VALU_DEP_1) | instskip(NEXT) | instid1(VALU_DEP_1)
	v_lshlrev_b64 v[37:38], 1, v[37:38]
	v_add_co_u32 v37, vcc_lo, s0, v37
	s_delay_alu instid0(VALU_DEP_2)
	v_add_co_ci_u32_e32 v38, vcc_lo, s1, v38, vcc_lo
	global_store_b16 v[37:38], v14, off
.LBB483_210:
	s_or_b32 exec_lo, exec_lo, s3
	v_cmp_lt_u32_e32 vcc_lo, v3, v46
	s_or_b32 s4, s18, vcc_lo
	s_delay_alu instid0(SALU_CYCLE_1)
	s_and_saveexec_b32 s3, s4
	s_cbranch_execz .LBB483_213
; %bb.211:
	v_and_b32_e32 v28, 1, v45
	s_delay_alu instid0(VALU_DEP_1)
	v_cmp_eq_u32_e32 vcc_lo, 1, v28
	s_and_b32 exec_lo, exec_lo, vcc_lo
	s_cbranch_execz .LBB483_213
; %bb.212:
	v_dual_mov_b32 v38, 0 :: v_dual_mov_b32 v37, v3
	s_delay_alu instid0(VALU_DEP_1) | instskip(NEXT) | instid1(VALU_DEP_1)
	v_lshlrev_b64 v[37:38], 1, v[37:38]
	v_add_co_u32 v37, vcc_lo, s0, v37
	s_delay_alu instid0(VALU_DEP_2)
	v_add_co_ci_u32_e32 v38, vcc_lo, s1, v38, vcc_lo
	global_store_b16 v[37:38], v27, off
.LBB483_213:
	s_or_b32 exec_lo, exec_lo, s3
	v_cmp_lt_u32_e32 vcc_lo, v4, v46
	s_or_b32 s4, s18, vcc_lo
	s_delay_alu instid0(SALU_CYCLE_1)
	s_and_saveexec_b32 s3, s4
	s_cbranch_execz .LBB483_216
; %bb.214:
	v_and_b32_e32 v28, 1, v44
	s_delay_alu instid0(VALU_DEP_1)
	v_cmp_eq_u32_e32 vcc_lo, 1, v28
	s_and_b32 exec_lo, exec_lo, vcc_lo
	s_cbranch_execz .LBB483_216
; %bb.215:
	v_dual_mov_b32 v38, 0 :: v_dual_mov_b32 v37, v4
	s_delay_alu instid0(VALU_DEP_1) | instskip(NEXT) | instid1(VALU_DEP_1)
	v_lshlrev_b64 v[37:38], 1, v[37:38]
	v_add_co_u32 v37, vcc_lo, s0, v37
	s_delay_alu instid0(VALU_DEP_2)
	v_add_co_ci_u32_e32 v38, vcc_lo, s1, v38, vcc_lo
	global_store_b16 v[37:38], v15, off
.LBB483_216:
	;; [unrolled: 21-line block ×11, first 2 shown]
	s_or_b32 exec_lo, exec_lo, s3
	s_branch .LBB483_205
.LBB483_244:
	s_mov_b32 s0, exec_lo
	v_cmpx_eq_u32_e32 1, v22
	s_cbranch_execz .LBB483_246
; %bb.245:
	v_sub_nc_u32_e32 v2, v2, v30
	s_delay_alu instid0(VALU_DEP_1)
	v_lshlrev_b32_e32 v2, 1, v2
	ds_store_b16 v2, v14
.LBB483_246:
	s_or_b32 exec_lo, exec_lo, s0
	v_and_b32_e32 v2, 1, v45
	s_mov_b32 s0, exec_lo
	s_delay_alu instid0(VALU_DEP_1)
	v_cmpx_eq_u32_e32 1, v2
	s_cbranch_execz .LBB483_248
; %bb.247:
	v_sub_nc_u32_e32 v2, v3, v30
	s_delay_alu instid0(VALU_DEP_1)
	v_lshlrev_b32_e32 v2, 1, v2
	ds_store_b16 v2, v27
.LBB483_248:
	s_or_b32 exec_lo, exec_lo, s0
	v_and_b32_e32 v2, 1, v44
	s_mov_b32 s0, exec_lo
	s_delay_alu instid0(VALU_DEP_1)
	;; [unrolled: 12-line block ×11, first 2 shown]
	v_cmpx_eq_u32_e32 1, v2
	s_cbranch_execz .LBB483_268
; %bb.267:
	v_sub_nc_u32_e32 v2, v13, v30
	s_delay_alu instid0(VALU_DEP_1)
	v_lshlrev_b32_e32 v2, 1, v2
	ds_store_b16 v2, v1
.LBB483_268:
	s_or_b32 exec_lo, exec_lo, s0
	s_delay_alu instid0(SALU_CYCLE_1)
	s_mov_b32 s3, exec_lo
	s_waitcnt lgkmcnt(0)
	s_waitcnt_vscnt null, 0x0
	s_barrier
	buffer_gl0_inv
	v_cmpx_lt_u32_e64 v0, v29
	s_cbranch_execz .LBB483_283
; %bb.269:
	v_mov_b32_e32 v31, 0
	s_lshl_b64 s[0:1], s[14:15], 1
	v_xad_u32 v1, v0, -1, v29
	s_add_u32 s0, s22, s0
	s_addc_u32 s1, s23, s1
	v_lshlrev_b64 v[2:3], 1, v[30:31]
	s_mov_b32 s4, exec_lo
	v_cmp_gt_u32_e32 vcc_lo, 0xc80, v1
	s_delay_alu instid0(VALU_DEP_2) | instskip(NEXT) | instid1(VALU_DEP_1)
	v_add_co_u32 v6, s0, s0, v2
	v_add_co_ci_u32_e64 v7, s0, s1, v3, s0
	s_mov_b32 s1, -1
	v_cmpx_lt_u32_e32 0xc7f, v1
	s_cbranch_execz .LBB483_280
; %bb.270:
	v_sub_nc_u32_e32 v2, v0, v29
	s_mov_b32 s5, exec_lo
	s_delay_alu instid0(VALU_DEP_1) | instskip(NEXT) | instid1(VALU_DEP_1)
	v_or_b32_e32 v2, 0x7f, v2
	v_cmpx_ge_u32_e64 v2, v0
	s_cbranch_execz .LBB483_279
; %bb.271:
	v_lshrrev_b32_e32 v8, 7, v1
	v_or_b32_e32 v1, 0x80, v0
	v_lshlrev_b32_e32 v9, 1, v0
	s_delay_alu instid0(VALU_DEP_3) | instskip(NEXT) | instid1(VALU_DEP_1)
	v_dual_mov_b32 v13, 0 :: v_dual_add_nc_u32 v2, -1, v8
	v_lshrrev_b32_e32 v3, 1, v2
	v_cmp_lt_u32_e64 s0, 13, v2
	s_delay_alu instid0(VALU_DEP_2) | instskip(SKIP_1) | instid1(VALU_DEP_3)
	v_dual_mov_b32 v3, v1 :: v_dual_add_nc_u32 v10, 1, v3
	v_mov_b32_e32 v2, v0
	s_and_saveexec_b32 s1, s0
	s_cbranch_execz .LBB483_275
; %bb.272:
	v_mov_b32_e32 v3, v1
	v_dual_mov_b32 v12, v9 :: v_dual_and_b32 v11, -8, v10
	v_dual_mov_b32 v5, 0 :: v_dual_mov_b32 v2, v0
	s_mov_b32 s6, 0
	s_mov_b32 s7, 0
.LBB483_273:                            ; =>This Inner Loop Header: Depth=1
	s_delay_alu instid0(VALU_DEP_1) | instskip(SKIP_2) | instid1(VALU_DEP_3)
	v_dual_mov_b32 v4, v2 :: v_dual_mov_b32 v15, v5
	v_add_nc_u32_e32 v11, -8, v11
	v_dual_mov_b32 v17, v5 :: v_dual_add_nc_u32 v14, 0x100, v3
	v_lshlrev_b64 v[31:32], 1, v[4:5]
	v_dual_mov_b32 v19, v5 :: v_dual_add_nc_u32 v16, 0x200, v3
	v_mov_b32_e32 v4, v3
	v_cmp_eq_u32_e64 s0, 0, v11
	v_lshlrev_b64 v[14:15], 1, v[14:15]
	v_dual_mov_b32 v21, v5 :: v_dual_add_nc_u32 v18, 0x300, v3
	s_add_i32 s7, s7, 16
	v_lshlrev_b64 v[16:17], 1, v[16:17]
	s_or_b32 s6, s0, s6
	v_add_co_u32 v31, s0, v6, v31
	v_dual_mov_b32 v23, v5 :: v_dual_add_nc_u32 v20, 0x400, v3
	v_add_co_ci_u32_e64 v32, s0, v7, v32, s0
	v_lshlrev_b64 v[18:19], 1, v[18:19]
	v_add_co_u32 v14, s0, v6, v14
	v_dual_mov_b32 v25, v5 :: v_dual_add_nc_u32 v22, 0x500, v3
	v_add_co_ci_u32_e64 v15, s0, v7, v15, s0
	v_lshlrev_b64 v[20:21], 1, v[20:21]
	;; [unrolled: 4-line block ×4, first 2 shown]
	v_add_co_u32 v20, s0, v6, v20
	ds_load_u16 v1, v12
	ds_load_u16 v28, v12 offset:256
	ds_load_u16 v37, v12 offset:512
	;; [unrolled: 1-line block ×7, first 2 shown]
	v_add_co_ci_u32_e64 v21, s0, v7, v21, s0
	v_lshlrev_b64 v[26:27], 1, v[26:27]
	v_add_co_u32 v22, s0, v6, v22
	v_lshlrev_b64 v[33:34], 1, v[4:5]
	v_add_nc_u32_e32 v4, 0x100, v2
	v_add_co_ci_u32_e64 v23, s0, v7, v23, s0
	v_add_co_u32 v24, s0, v6, v24
	s_delay_alu instid0(VALU_DEP_1)
	v_add_co_ci_u32_e64 v25, s0, v7, v25, s0
	v_add_co_u32 v26, s0, v6, v26
	v_lshlrev_b64 v[35:36], 1, v[4:5]
	v_add_nc_u32_e32 v4, 0x200, v2
	v_add_co_ci_u32_e64 v27, s0, v7, v27, s0
	v_add_co_u32 v33, s0, v6, v33
	ds_load_u16 v43, v12 offset:2048
	ds_load_u16 v44, v12 offset:2304
	;; [unrolled: 1-line block ×8, first 2 shown]
	v_add_co_ci_u32_e64 v34, s0, v7, v34, s0
	s_waitcnt lgkmcnt(15)
	global_store_b16 v[31:32], v1, off
	v_lshlrev_b64 v[31:32], 1, v[4:5]
	v_add_nc_u32_e32 v4, 0x300, v2
	v_add_co_u32 v35, s0, v6, v35
	s_delay_alu instid0(VALU_DEP_1)
	v_add_co_ci_u32_e64 v36, s0, v7, v36, s0
	s_waitcnt lgkmcnt(14)
	global_store_b16 v[33:34], v28, off
	v_lshlrev_b64 v[33:34], 1, v[4:5]
	v_add_nc_u32_e32 v4, 0x400, v2
	s_waitcnt lgkmcnt(13)
	global_store_b16 v[35:36], v37, off
	s_waitcnt lgkmcnt(12)
	global_store_b16 v[14:15], v38, off
	v_add_co_u32 v14, s0, v6, v31
	s_delay_alu instid0(VALU_DEP_1) | instskip(SKIP_3) | instid1(VALU_DEP_1)
	v_add_co_ci_u32_e64 v15, s0, v7, v32, s0
	v_lshlrev_b64 v[31:32], 1, v[4:5]
	v_add_nc_u32_e32 v4, 0x500, v2
	v_add_co_u32 v33, s0, v6, v33
	v_add_co_ci_u32_e64 v34, s0, v7, v34, s0
	s_waitcnt lgkmcnt(11)
	global_store_b16 v[14:15], v39, off
	s_waitcnt lgkmcnt(10)
	global_store_b16 v[16:17], v40, off
	v_lshlrev_b64 v[14:15], 1, v[4:5]
	v_add_nc_u32_e32 v4, 0x600, v2
	v_add_co_u32 v16, s0, v6, v31
	s_waitcnt lgkmcnt(9)
	global_store_b16 v[33:34], v41, off
	s_waitcnt lgkmcnt(8)
	global_store_b16 v[18:19], v42, off
	v_add_co_ci_u32_e64 v17, s0, v7, v32, s0
	v_lshlrev_b64 v[18:19], 1, v[4:5]
	v_add_nc_u32_e32 v4, 0x700, v2
	v_add_co_u32 v14, s0, v6, v14
	s_delay_alu instid0(VALU_DEP_1)
	v_add_co_ci_u32_e64 v15, s0, v7, v15, s0
	s_waitcnt lgkmcnt(7)
	global_store_b16 v[16:17], v43, off
	s_waitcnt lgkmcnt(6)
	global_store_b16 v[20:21], v44, off
	v_lshlrev_b64 v[16:17], 1, v[4:5]
	v_add_nc_u32_e32 v12, 0x1000, v12
	s_waitcnt lgkmcnt(5)
	global_store_b16 v[14:15], v45, off
	v_add_co_u32 v14, s0, v6, v18
	v_add_nc_u32_e32 v3, 0x800, v3
	v_add_nc_u32_e32 v2, 0x800, v2
	v_add_co_ci_u32_e64 v15, s0, v7, v19, s0
	v_add_co_u32 v16, s0, v6, v16
	s_delay_alu instid0(VALU_DEP_1)
	v_add_co_ci_u32_e64 v17, s0, v7, v17, s0
	s_waitcnt lgkmcnt(4)
	global_store_b16 v[22:23], v46, off
	s_waitcnt lgkmcnt(3)
	global_store_b16 v[14:15], v47, off
	;; [unrolled: 2-line block ×5, first 2 shown]
	s_and_not1_b32 exec_lo, exec_lo, s6
	s_cbranch_execnz .LBB483_273
; %bb.274:
	s_or_b32 exec_lo, exec_lo, s6
.LBB483_275:
	s_delay_alu instid0(SALU_CYCLE_1) | instskip(SKIP_3) | instid1(VALU_DEP_1)
	s_or_b32 exec_lo, exec_lo, s1
	v_and_b32_e32 v1, 7, v10
	s_mov_b32 s7, 0
	s_mov_b32 s6, exec_lo
	v_cmpx_ne_u32_e32 0, v1
	s_cbranch_execz .LBB483_278
; %bb.276:
	v_lshl_or_b32 v9, v13, 8, v9
	v_mov_b32_e32 v5, 0
	s_set_inst_prefetch_distance 0x1
	.p2align	6
.LBB483_277:                            ; =>This Inner Loop Header: Depth=1
	v_dual_mov_b32 v4, v2 :: v_dual_add_nc_u32 v1, -1, v1
	ds_load_u16 v14, v9
	ds_load_u16 v15, v9 offset:256
	v_add_nc_u32_e32 v2, 0x100, v2
	v_add_nc_u32_e32 v9, 0x200, v9
	v_lshlrev_b64 v[10:11], 1, v[4:5]
	v_mov_b32_e32 v4, v3
	v_cmp_eq_u32_e64 s0, 0, v1
	v_add_nc_u32_e32 v3, 0x100, v3
	s_delay_alu instid0(VALU_DEP_3) | instskip(SKIP_1) | instid1(VALU_DEP_1)
	v_lshlrev_b64 v[12:13], 1, v[4:5]
	v_add_co_u32 v10, s1, v6, v10
	v_add_co_ci_u32_e64 v11, s1, v7, v11, s1
	s_or_b32 s7, s0, s7
	s_delay_alu instid0(VALU_DEP_3) | instskip(NEXT) | instid1(VALU_DEP_1)
	v_add_co_u32 v12, s1, v6, v12
	v_add_co_ci_u32_e64 v13, s1, v7, v13, s1
	s_waitcnt lgkmcnt(1)
	global_store_b16 v[10:11], v14, off
	s_waitcnt lgkmcnt(0)
	global_store_b16 v[12:13], v15, off
	s_and_not1_b32 exec_lo, exec_lo, s7
	s_cbranch_execnz .LBB483_277
.LBB483_278:
	s_set_inst_prefetch_distance 0x2
	s_or_b32 exec_lo, exec_lo, s6
	v_add_nc_u32_e32 v1, 1, v8
	s_delay_alu instid0(VALU_DEP_1) | instskip(NEXT) | instid1(VALU_DEP_1)
	v_and_b32_e32 v2, 0x3fffffe, v1
	v_cmp_ne_u32_e64 s0, v1, v2
	v_lshl_or_b32 v0, v2, 7, v0
	s_delay_alu instid0(VALU_DEP_2)
	s_or_not1_b32 s1, s0, exec_lo
.LBB483_279:
	s_or_b32 exec_lo, exec_lo, s5
	s_delay_alu instid0(SALU_CYCLE_1) | instskip(SKIP_1) | instid1(SALU_CYCLE_1)
	s_and_not1_b32 s0, vcc_lo, exec_lo
	s_and_b32 s1, s1, exec_lo
	s_or_b32 vcc_lo, s0, s1
.LBB483_280:
	s_or_b32 exec_lo, exec_lo, s4
	s_delay_alu instid0(SALU_CYCLE_1)
	s_and_b32 exec_lo, exec_lo, vcc_lo
	s_cbranch_execz .LBB483_283
; %bb.281:
	v_dual_mov_b32 v1, 0 :: v_dual_lshlrev_b32 v2, 1, v0
	s_mov_b32 s1, 0
	.p2align	6
.LBB483_282:                            ; =>This Inner Loop Header: Depth=1
	ds_load_u16 v5, v2
	v_lshlrev_b64 v[3:4], 1, v[0:1]
	v_add_nc_u32_e32 v0, 0x80, v0
	v_add_nc_u32_e32 v2, 0x100, v2
	s_delay_alu instid0(VALU_DEP_2) | instskip(NEXT) | instid1(VALU_DEP_4)
	v_cmp_ge_u32_e32 vcc_lo, v0, v29
	v_add_co_u32 v3, s0, v6, v3
	s_delay_alu instid0(VALU_DEP_1)
	v_add_co_ci_u32_e64 v4, s0, v7, v4, s0
	s_or_b32 s1, vcc_lo, s1
	s_waitcnt lgkmcnt(0)
	global_store_b16 v[3:4], v5, off
	s_and_not1_b32 exec_lo, exec_lo, s1
	s_cbranch_execnz .LBB483_282
.LBB483_283:
	s_or_b32 exec_lo, exec_lo, s3
	s_and_b32 s0, s2, s13
	s_delay_alu instid0(SALU_CYCLE_1)
	s_and_saveexec_b32 s1, s0
	s_cbranch_execz .LBB483_206
.LBB483_284:
	v_add_co_u32 v0, s0, s14, v29
	s_delay_alu instid0(VALU_DEP_1) | instskip(SKIP_1) | instid1(VALU_DEP_3)
	v_add_co_ci_u32_e64 v1, null, s15, 0, s0
	v_mov_b32_e32 v2, 0
	v_add_co_u32 v0, vcc_lo, v0, v30
	s_delay_alu instid0(VALU_DEP_3)
	v_add_co_ci_u32_e32 v1, vcc_lo, 0, v1, vcc_lo
	global_store_b64 v2, v[0:1], s[16:17]
	s_nop 0
	s_sendmsg sendmsg(MSG_DEALLOC_VGPRS)
	s_endpgm
	.section	.rodata,"a",@progbits
	.p2align	6, 0x0
	.amdhsa_kernel _ZN7rocprim17ROCPRIM_400000_NS6detail17trampoline_kernelINS0_14default_configENS1_25partition_config_selectorILNS1_17partition_subalgoE9EssbEEZZNS1_14partition_implILS5_9ELb0ES3_jN6thrust23THRUST_200600_302600_NS6detail15normal_iteratorINS9_10device_ptrIsEEEESE_PNS0_10empty_typeENS0_5tupleIJSE_SF_EEENSH_IJSE_SG_EEENS0_18inequality_wrapperINS9_8equal_toIsEEEEPmJSF_EEE10hipError_tPvRmT3_T4_T5_T6_T7_T9_mT8_P12ihipStream_tbDpT10_ENKUlT_T0_E_clISt17integral_constantIbLb1EES18_EEDaS13_S14_EUlS13_E_NS1_11comp_targetILNS1_3genE9ELNS1_11target_archE1100ELNS1_3gpuE3ELNS1_3repE0EEENS1_30default_config_static_selectorELNS0_4arch9wavefront6targetE0EEEvT1_
		.amdhsa_group_segment_fixed_size 3080
		.amdhsa_private_segment_fixed_size 0
		.amdhsa_kernarg_size 128
		.amdhsa_user_sgpr_count 15
		.amdhsa_user_sgpr_dispatch_ptr 0
		.amdhsa_user_sgpr_queue_ptr 0
		.amdhsa_user_sgpr_kernarg_segment_ptr 1
		.amdhsa_user_sgpr_dispatch_id 0
		.amdhsa_user_sgpr_private_segment_size 0
		.amdhsa_wavefront_size32 1
		.amdhsa_uses_dynamic_stack 0
		.amdhsa_enable_private_segment 0
		.amdhsa_system_sgpr_workgroup_id_x 1
		.amdhsa_system_sgpr_workgroup_id_y 0
		.amdhsa_system_sgpr_workgroup_id_z 0
		.amdhsa_system_sgpr_workgroup_info 0
		.amdhsa_system_vgpr_workitem_id 0
		.amdhsa_next_free_vgpr 81
		.amdhsa_next_free_sgpr 30
		.amdhsa_reserve_vcc 1
		.amdhsa_float_round_mode_32 0
		.amdhsa_float_round_mode_16_64 0
		.amdhsa_float_denorm_mode_32 3
		.amdhsa_float_denorm_mode_16_64 3
		.amdhsa_dx10_clamp 1
		.amdhsa_ieee_mode 1
		.amdhsa_fp16_overflow 0
		.amdhsa_workgroup_processor_mode 1
		.amdhsa_memory_ordered 1
		.amdhsa_forward_progress 0
		.amdhsa_shared_vgpr_count 0
		.amdhsa_exception_fp_ieee_invalid_op 0
		.amdhsa_exception_fp_denorm_src 0
		.amdhsa_exception_fp_ieee_div_zero 0
		.amdhsa_exception_fp_ieee_overflow 0
		.amdhsa_exception_fp_ieee_underflow 0
		.amdhsa_exception_fp_ieee_inexact 0
		.amdhsa_exception_int_div_zero 0
	.end_amdhsa_kernel
	.section	.text._ZN7rocprim17ROCPRIM_400000_NS6detail17trampoline_kernelINS0_14default_configENS1_25partition_config_selectorILNS1_17partition_subalgoE9EssbEEZZNS1_14partition_implILS5_9ELb0ES3_jN6thrust23THRUST_200600_302600_NS6detail15normal_iteratorINS9_10device_ptrIsEEEESE_PNS0_10empty_typeENS0_5tupleIJSE_SF_EEENSH_IJSE_SG_EEENS0_18inequality_wrapperINS9_8equal_toIsEEEEPmJSF_EEE10hipError_tPvRmT3_T4_T5_T6_T7_T9_mT8_P12ihipStream_tbDpT10_ENKUlT_T0_E_clISt17integral_constantIbLb1EES18_EEDaS13_S14_EUlS13_E_NS1_11comp_targetILNS1_3genE9ELNS1_11target_archE1100ELNS1_3gpuE3ELNS1_3repE0EEENS1_30default_config_static_selectorELNS0_4arch9wavefront6targetE0EEEvT1_,"axG",@progbits,_ZN7rocprim17ROCPRIM_400000_NS6detail17trampoline_kernelINS0_14default_configENS1_25partition_config_selectorILNS1_17partition_subalgoE9EssbEEZZNS1_14partition_implILS5_9ELb0ES3_jN6thrust23THRUST_200600_302600_NS6detail15normal_iteratorINS9_10device_ptrIsEEEESE_PNS0_10empty_typeENS0_5tupleIJSE_SF_EEENSH_IJSE_SG_EEENS0_18inequality_wrapperINS9_8equal_toIsEEEEPmJSF_EEE10hipError_tPvRmT3_T4_T5_T6_T7_T9_mT8_P12ihipStream_tbDpT10_ENKUlT_T0_E_clISt17integral_constantIbLb1EES18_EEDaS13_S14_EUlS13_E_NS1_11comp_targetILNS1_3genE9ELNS1_11target_archE1100ELNS1_3gpuE3ELNS1_3repE0EEENS1_30default_config_static_selectorELNS0_4arch9wavefront6targetE0EEEvT1_,comdat
.Lfunc_end483:
	.size	_ZN7rocprim17ROCPRIM_400000_NS6detail17trampoline_kernelINS0_14default_configENS1_25partition_config_selectorILNS1_17partition_subalgoE9EssbEEZZNS1_14partition_implILS5_9ELb0ES3_jN6thrust23THRUST_200600_302600_NS6detail15normal_iteratorINS9_10device_ptrIsEEEESE_PNS0_10empty_typeENS0_5tupleIJSE_SF_EEENSH_IJSE_SG_EEENS0_18inequality_wrapperINS9_8equal_toIsEEEEPmJSF_EEE10hipError_tPvRmT3_T4_T5_T6_T7_T9_mT8_P12ihipStream_tbDpT10_ENKUlT_T0_E_clISt17integral_constantIbLb1EES18_EEDaS13_S14_EUlS13_E_NS1_11comp_targetILNS1_3genE9ELNS1_11target_archE1100ELNS1_3gpuE3ELNS1_3repE0EEENS1_30default_config_static_selectorELNS0_4arch9wavefront6targetE0EEEvT1_, .Lfunc_end483-_ZN7rocprim17ROCPRIM_400000_NS6detail17trampoline_kernelINS0_14default_configENS1_25partition_config_selectorILNS1_17partition_subalgoE9EssbEEZZNS1_14partition_implILS5_9ELb0ES3_jN6thrust23THRUST_200600_302600_NS6detail15normal_iteratorINS9_10device_ptrIsEEEESE_PNS0_10empty_typeENS0_5tupleIJSE_SF_EEENSH_IJSE_SG_EEENS0_18inequality_wrapperINS9_8equal_toIsEEEEPmJSF_EEE10hipError_tPvRmT3_T4_T5_T6_T7_T9_mT8_P12ihipStream_tbDpT10_ENKUlT_T0_E_clISt17integral_constantIbLb1EES18_EEDaS13_S14_EUlS13_E_NS1_11comp_targetILNS1_3genE9ELNS1_11target_archE1100ELNS1_3gpuE3ELNS1_3repE0EEENS1_30default_config_static_selectorELNS0_4arch9wavefront6targetE0EEEvT1_
                                        ; -- End function
	.section	.AMDGPU.csdata,"",@progbits
; Kernel info:
; codeLenInByte = 14032
; NumSgprs: 32
; NumVgprs: 81
; ScratchSize: 0
; MemoryBound: 0
; FloatMode: 240
; IeeeMode: 1
; LDSByteSize: 3080 bytes/workgroup (compile time only)
; SGPRBlocks: 3
; VGPRBlocks: 10
; NumSGPRsForWavesPerEU: 32
; NumVGPRsForWavesPerEU: 81
; Occupancy: 16
; WaveLimiterHint : 1
; COMPUTE_PGM_RSRC2:SCRATCH_EN: 0
; COMPUTE_PGM_RSRC2:USER_SGPR: 15
; COMPUTE_PGM_RSRC2:TRAP_HANDLER: 0
; COMPUTE_PGM_RSRC2:TGID_X_EN: 1
; COMPUTE_PGM_RSRC2:TGID_Y_EN: 0
; COMPUTE_PGM_RSRC2:TGID_Z_EN: 0
; COMPUTE_PGM_RSRC2:TIDIG_COMP_CNT: 0
	.section	.text._ZN7rocprim17ROCPRIM_400000_NS6detail17trampoline_kernelINS0_14default_configENS1_25partition_config_selectorILNS1_17partition_subalgoE9EssbEEZZNS1_14partition_implILS5_9ELb0ES3_jN6thrust23THRUST_200600_302600_NS6detail15normal_iteratorINS9_10device_ptrIsEEEESE_PNS0_10empty_typeENS0_5tupleIJSE_SF_EEENSH_IJSE_SG_EEENS0_18inequality_wrapperINS9_8equal_toIsEEEEPmJSF_EEE10hipError_tPvRmT3_T4_T5_T6_T7_T9_mT8_P12ihipStream_tbDpT10_ENKUlT_T0_E_clISt17integral_constantIbLb1EES18_EEDaS13_S14_EUlS13_E_NS1_11comp_targetILNS1_3genE8ELNS1_11target_archE1030ELNS1_3gpuE2ELNS1_3repE0EEENS1_30default_config_static_selectorELNS0_4arch9wavefront6targetE0EEEvT1_,"axG",@progbits,_ZN7rocprim17ROCPRIM_400000_NS6detail17trampoline_kernelINS0_14default_configENS1_25partition_config_selectorILNS1_17partition_subalgoE9EssbEEZZNS1_14partition_implILS5_9ELb0ES3_jN6thrust23THRUST_200600_302600_NS6detail15normal_iteratorINS9_10device_ptrIsEEEESE_PNS0_10empty_typeENS0_5tupleIJSE_SF_EEENSH_IJSE_SG_EEENS0_18inequality_wrapperINS9_8equal_toIsEEEEPmJSF_EEE10hipError_tPvRmT3_T4_T5_T6_T7_T9_mT8_P12ihipStream_tbDpT10_ENKUlT_T0_E_clISt17integral_constantIbLb1EES18_EEDaS13_S14_EUlS13_E_NS1_11comp_targetILNS1_3genE8ELNS1_11target_archE1030ELNS1_3gpuE2ELNS1_3repE0EEENS1_30default_config_static_selectorELNS0_4arch9wavefront6targetE0EEEvT1_,comdat
	.protected	_ZN7rocprim17ROCPRIM_400000_NS6detail17trampoline_kernelINS0_14default_configENS1_25partition_config_selectorILNS1_17partition_subalgoE9EssbEEZZNS1_14partition_implILS5_9ELb0ES3_jN6thrust23THRUST_200600_302600_NS6detail15normal_iteratorINS9_10device_ptrIsEEEESE_PNS0_10empty_typeENS0_5tupleIJSE_SF_EEENSH_IJSE_SG_EEENS0_18inequality_wrapperINS9_8equal_toIsEEEEPmJSF_EEE10hipError_tPvRmT3_T4_T5_T6_T7_T9_mT8_P12ihipStream_tbDpT10_ENKUlT_T0_E_clISt17integral_constantIbLb1EES18_EEDaS13_S14_EUlS13_E_NS1_11comp_targetILNS1_3genE8ELNS1_11target_archE1030ELNS1_3gpuE2ELNS1_3repE0EEENS1_30default_config_static_selectorELNS0_4arch9wavefront6targetE0EEEvT1_ ; -- Begin function _ZN7rocprim17ROCPRIM_400000_NS6detail17trampoline_kernelINS0_14default_configENS1_25partition_config_selectorILNS1_17partition_subalgoE9EssbEEZZNS1_14partition_implILS5_9ELb0ES3_jN6thrust23THRUST_200600_302600_NS6detail15normal_iteratorINS9_10device_ptrIsEEEESE_PNS0_10empty_typeENS0_5tupleIJSE_SF_EEENSH_IJSE_SG_EEENS0_18inequality_wrapperINS9_8equal_toIsEEEEPmJSF_EEE10hipError_tPvRmT3_T4_T5_T6_T7_T9_mT8_P12ihipStream_tbDpT10_ENKUlT_T0_E_clISt17integral_constantIbLb1EES18_EEDaS13_S14_EUlS13_E_NS1_11comp_targetILNS1_3genE8ELNS1_11target_archE1030ELNS1_3gpuE2ELNS1_3repE0EEENS1_30default_config_static_selectorELNS0_4arch9wavefront6targetE0EEEvT1_
	.globl	_ZN7rocprim17ROCPRIM_400000_NS6detail17trampoline_kernelINS0_14default_configENS1_25partition_config_selectorILNS1_17partition_subalgoE9EssbEEZZNS1_14partition_implILS5_9ELb0ES3_jN6thrust23THRUST_200600_302600_NS6detail15normal_iteratorINS9_10device_ptrIsEEEESE_PNS0_10empty_typeENS0_5tupleIJSE_SF_EEENSH_IJSE_SG_EEENS0_18inequality_wrapperINS9_8equal_toIsEEEEPmJSF_EEE10hipError_tPvRmT3_T4_T5_T6_T7_T9_mT8_P12ihipStream_tbDpT10_ENKUlT_T0_E_clISt17integral_constantIbLb1EES18_EEDaS13_S14_EUlS13_E_NS1_11comp_targetILNS1_3genE8ELNS1_11target_archE1030ELNS1_3gpuE2ELNS1_3repE0EEENS1_30default_config_static_selectorELNS0_4arch9wavefront6targetE0EEEvT1_
	.p2align	8
	.type	_ZN7rocprim17ROCPRIM_400000_NS6detail17trampoline_kernelINS0_14default_configENS1_25partition_config_selectorILNS1_17partition_subalgoE9EssbEEZZNS1_14partition_implILS5_9ELb0ES3_jN6thrust23THRUST_200600_302600_NS6detail15normal_iteratorINS9_10device_ptrIsEEEESE_PNS0_10empty_typeENS0_5tupleIJSE_SF_EEENSH_IJSE_SG_EEENS0_18inequality_wrapperINS9_8equal_toIsEEEEPmJSF_EEE10hipError_tPvRmT3_T4_T5_T6_T7_T9_mT8_P12ihipStream_tbDpT10_ENKUlT_T0_E_clISt17integral_constantIbLb1EES18_EEDaS13_S14_EUlS13_E_NS1_11comp_targetILNS1_3genE8ELNS1_11target_archE1030ELNS1_3gpuE2ELNS1_3repE0EEENS1_30default_config_static_selectorELNS0_4arch9wavefront6targetE0EEEvT1_,@function
_ZN7rocprim17ROCPRIM_400000_NS6detail17trampoline_kernelINS0_14default_configENS1_25partition_config_selectorILNS1_17partition_subalgoE9EssbEEZZNS1_14partition_implILS5_9ELb0ES3_jN6thrust23THRUST_200600_302600_NS6detail15normal_iteratorINS9_10device_ptrIsEEEESE_PNS0_10empty_typeENS0_5tupleIJSE_SF_EEENSH_IJSE_SG_EEENS0_18inequality_wrapperINS9_8equal_toIsEEEEPmJSF_EEE10hipError_tPvRmT3_T4_T5_T6_T7_T9_mT8_P12ihipStream_tbDpT10_ENKUlT_T0_E_clISt17integral_constantIbLb1EES18_EEDaS13_S14_EUlS13_E_NS1_11comp_targetILNS1_3genE8ELNS1_11target_archE1030ELNS1_3gpuE2ELNS1_3repE0EEENS1_30default_config_static_selectorELNS0_4arch9wavefront6targetE0EEEvT1_: ; @_ZN7rocprim17ROCPRIM_400000_NS6detail17trampoline_kernelINS0_14default_configENS1_25partition_config_selectorILNS1_17partition_subalgoE9EssbEEZZNS1_14partition_implILS5_9ELb0ES3_jN6thrust23THRUST_200600_302600_NS6detail15normal_iteratorINS9_10device_ptrIsEEEESE_PNS0_10empty_typeENS0_5tupleIJSE_SF_EEENSH_IJSE_SG_EEENS0_18inequality_wrapperINS9_8equal_toIsEEEEPmJSF_EEE10hipError_tPvRmT3_T4_T5_T6_T7_T9_mT8_P12ihipStream_tbDpT10_ENKUlT_T0_E_clISt17integral_constantIbLb1EES18_EEDaS13_S14_EUlS13_E_NS1_11comp_targetILNS1_3genE8ELNS1_11target_archE1030ELNS1_3gpuE2ELNS1_3repE0EEENS1_30default_config_static_selectorELNS0_4arch9wavefront6targetE0EEEvT1_
; %bb.0:
	.section	.rodata,"a",@progbits
	.p2align	6, 0x0
	.amdhsa_kernel _ZN7rocprim17ROCPRIM_400000_NS6detail17trampoline_kernelINS0_14default_configENS1_25partition_config_selectorILNS1_17partition_subalgoE9EssbEEZZNS1_14partition_implILS5_9ELb0ES3_jN6thrust23THRUST_200600_302600_NS6detail15normal_iteratorINS9_10device_ptrIsEEEESE_PNS0_10empty_typeENS0_5tupleIJSE_SF_EEENSH_IJSE_SG_EEENS0_18inequality_wrapperINS9_8equal_toIsEEEEPmJSF_EEE10hipError_tPvRmT3_T4_T5_T6_T7_T9_mT8_P12ihipStream_tbDpT10_ENKUlT_T0_E_clISt17integral_constantIbLb1EES18_EEDaS13_S14_EUlS13_E_NS1_11comp_targetILNS1_3genE8ELNS1_11target_archE1030ELNS1_3gpuE2ELNS1_3repE0EEENS1_30default_config_static_selectorELNS0_4arch9wavefront6targetE0EEEvT1_
		.amdhsa_group_segment_fixed_size 0
		.amdhsa_private_segment_fixed_size 0
		.amdhsa_kernarg_size 128
		.amdhsa_user_sgpr_count 15
		.amdhsa_user_sgpr_dispatch_ptr 0
		.amdhsa_user_sgpr_queue_ptr 0
		.amdhsa_user_sgpr_kernarg_segment_ptr 1
		.amdhsa_user_sgpr_dispatch_id 0
		.amdhsa_user_sgpr_private_segment_size 0
		.amdhsa_wavefront_size32 1
		.amdhsa_uses_dynamic_stack 0
		.amdhsa_enable_private_segment 0
		.amdhsa_system_sgpr_workgroup_id_x 1
		.amdhsa_system_sgpr_workgroup_id_y 0
		.amdhsa_system_sgpr_workgroup_id_z 0
		.amdhsa_system_sgpr_workgroup_info 0
		.amdhsa_system_vgpr_workitem_id 0
		.amdhsa_next_free_vgpr 1
		.amdhsa_next_free_sgpr 1
		.amdhsa_reserve_vcc 0
		.amdhsa_float_round_mode_32 0
		.amdhsa_float_round_mode_16_64 0
		.amdhsa_float_denorm_mode_32 3
		.amdhsa_float_denorm_mode_16_64 3
		.amdhsa_dx10_clamp 1
		.amdhsa_ieee_mode 1
		.amdhsa_fp16_overflow 0
		.amdhsa_workgroup_processor_mode 1
		.amdhsa_memory_ordered 1
		.amdhsa_forward_progress 0
		.amdhsa_shared_vgpr_count 0
		.amdhsa_exception_fp_ieee_invalid_op 0
		.amdhsa_exception_fp_denorm_src 0
		.amdhsa_exception_fp_ieee_div_zero 0
		.amdhsa_exception_fp_ieee_overflow 0
		.amdhsa_exception_fp_ieee_underflow 0
		.amdhsa_exception_fp_ieee_inexact 0
		.amdhsa_exception_int_div_zero 0
	.end_amdhsa_kernel
	.section	.text._ZN7rocprim17ROCPRIM_400000_NS6detail17trampoline_kernelINS0_14default_configENS1_25partition_config_selectorILNS1_17partition_subalgoE9EssbEEZZNS1_14partition_implILS5_9ELb0ES3_jN6thrust23THRUST_200600_302600_NS6detail15normal_iteratorINS9_10device_ptrIsEEEESE_PNS0_10empty_typeENS0_5tupleIJSE_SF_EEENSH_IJSE_SG_EEENS0_18inequality_wrapperINS9_8equal_toIsEEEEPmJSF_EEE10hipError_tPvRmT3_T4_T5_T6_T7_T9_mT8_P12ihipStream_tbDpT10_ENKUlT_T0_E_clISt17integral_constantIbLb1EES18_EEDaS13_S14_EUlS13_E_NS1_11comp_targetILNS1_3genE8ELNS1_11target_archE1030ELNS1_3gpuE2ELNS1_3repE0EEENS1_30default_config_static_selectorELNS0_4arch9wavefront6targetE0EEEvT1_,"axG",@progbits,_ZN7rocprim17ROCPRIM_400000_NS6detail17trampoline_kernelINS0_14default_configENS1_25partition_config_selectorILNS1_17partition_subalgoE9EssbEEZZNS1_14partition_implILS5_9ELb0ES3_jN6thrust23THRUST_200600_302600_NS6detail15normal_iteratorINS9_10device_ptrIsEEEESE_PNS0_10empty_typeENS0_5tupleIJSE_SF_EEENSH_IJSE_SG_EEENS0_18inequality_wrapperINS9_8equal_toIsEEEEPmJSF_EEE10hipError_tPvRmT3_T4_T5_T6_T7_T9_mT8_P12ihipStream_tbDpT10_ENKUlT_T0_E_clISt17integral_constantIbLb1EES18_EEDaS13_S14_EUlS13_E_NS1_11comp_targetILNS1_3genE8ELNS1_11target_archE1030ELNS1_3gpuE2ELNS1_3repE0EEENS1_30default_config_static_selectorELNS0_4arch9wavefront6targetE0EEEvT1_,comdat
.Lfunc_end484:
	.size	_ZN7rocprim17ROCPRIM_400000_NS6detail17trampoline_kernelINS0_14default_configENS1_25partition_config_selectorILNS1_17partition_subalgoE9EssbEEZZNS1_14partition_implILS5_9ELb0ES3_jN6thrust23THRUST_200600_302600_NS6detail15normal_iteratorINS9_10device_ptrIsEEEESE_PNS0_10empty_typeENS0_5tupleIJSE_SF_EEENSH_IJSE_SG_EEENS0_18inequality_wrapperINS9_8equal_toIsEEEEPmJSF_EEE10hipError_tPvRmT3_T4_T5_T6_T7_T9_mT8_P12ihipStream_tbDpT10_ENKUlT_T0_E_clISt17integral_constantIbLb1EES18_EEDaS13_S14_EUlS13_E_NS1_11comp_targetILNS1_3genE8ELNS1_11target_archE1030ELNS1_3gpuE2ELNS1_3repE0EEENS1_30default_config_static_selectorELNS0_4arch9wavefront6targetE0EEEvT1_, .Lfunc_end484-_ZN7rocprim17ROCPRIM_400000_NS6detail17trampoline_kernelINS0_14default_configENS1_25partition_config_selectorILNS1_17partition_subalgoE9EssbEEZZNS1_14partition_implILS5_9ELb0ES3_jN6thrust23THRUST_200600_302600_NS6detail15normal_iteratorINS9_10device_ptrIsEEEESE_PNS0_10empty_typeENS0_5tupleIJSE_SF_EEENSH_IJSE_SG_EEENS0_18inequality_wrapperINS9_8equal_toIsEEEEPmJSF_EEE10hipError_tPvRmT3_T4_T5_T6_T7_T9_mT8_P12ihipStream_tbDpT10_ENKUlT_T0_E_clISt17integral_constantIbLb1EES18_EEDaS13_S14_EUlS13_E_NS1_11comp_targetILNS1_3genE8ELNS1_11target_archE1030ELNS1_3gpuE2ELNS1_3repE0EEENS1_30default_config_static_selectorELNS0_4arch9wavefront6targetE0EEEvT1_
                                        ; -- End function
	.section	.AMDGPU.csdata,"",@progbits
; Kernel info:
; codeLenInByte = 0
; NumSgprs: 0
; NumVgprs: 0
; ScratchSize: 0
; MemoryBound: 0
; FloatMode: 240
; IeeeMode: 1
; LDSByteSize: 0 bytes/workgroup (compile time only)
; SGPRBlocks: 0
; VGPRBlocks: 0
; NumSGPRsForWavesPerEU: 1
; NumVGPRsForWavesPerEU: 1
; Occupancy: 15
; WaveLimiterHint : 0
; COMPUTE_PGM_RSRC2:SCRATCH_EN: 0
; COMPUTE_PGM_RSRC2:USER_SGPR: 15
; COMPUTE_PGM_RSRC2:TRAP_HANDLER: 0
; COMPUTE_PGM_RSRC2:TGID_X_EN: 1
; COMPUTE_PGM_RSRC2:TGID_Y_EN: 0
; COMPUTE_PGM_RSRC2:TGID_Z_EN: 0
; COMPUTE_PGM_RSRC2:TIDIG_COMP_CNT: 0
	.section	.text._ZN7rocprim17ROCPRIM_400000_NS6detail17trampoline_kernelINS0_14default_configENS1_25partition_config_selectorILNS1_17partition_subalgoE9EssbEEZZNS1_14partition_implILS5_9ELb0ES3_jN6thrust23THRUST_200600_302600_NS6detail15normal_iteratorINS9_10device_ptrIsEEEESE_PNS0_10empty_typeENS0_5tupleIJSE_SF_EEENSH_IJSE_SG_EEENS0_18inequality_wrapperINS9_8equal_toIsEEEEPmJSF_EEE10hipError_tPvRmT3_T4_T5_T6_T7_T9_mT8_P12ihipStream_tbDpT10_ENKUlT_T0_E_clISt17integral_constantIbLb1EES17_IbLb0EEEEDaS13_S14_EUlS13_E_NS1_11comp_targetILNS1_3genE0ELNS1_11target_archE4294967295ELNS1_3gpuE0ELNS1_3repE0EEENS1_30default_config_static_selectorELNS0_4arch9wavefront6targetE0EEEvT1_,"axG",@progbits,_ZN7rocprim17ROCPRIM_400000_NS6detail17trampoline_kernelINS0_14default_configENS1_25partition_config_selectorILNS1_17partition_subalgoE9EssbEEZZNS1_14partition_implILS5_9ELb0ES3_jN6thrust23THRUST_200600_302600_NS6detail15normal_iteratorINS9_10device_ptrIsEEEESE_PNS0_10empty_typeENS0_5tupleIJSE_SF_EEENSH_IJSE_SG_EEENS0_18inequality_wrapperINS9_8equal_toIsEEEEPmJSF_EEE10hipError_tPvRmT3_T4_T5_T6_T7_T9_mT8_P12ihipStream_tbDpT10_ENKUlT_T0_E_clISt17integral_constantIbLb1EES17_IbLb0EEEEDaS13_S14_EUlS13_E_NS1_11comp_targetILNS1_3genE0ELNS1_11target_archE4294967295ELNS1_3gpuE0ELNS1_3repE0EEENS1_30default_config_static_selectorELNS0_4arch9wavefront6targetE0EEEvT1_,comdat
	.protected	_ZN7rocprim17ROCPRIM_400000_NS6detail17trampoline_kernelINS0_14default_configENS1_25partition_config_selectorILNS1_17partition_subalgoE9EssbEEZZNS1_14partition_implILS5_9ELb0ES3_jN6thrust23THRUST_200600_302600_NS6detail15normal_iteratorINS9_10device_ptrIsEEEESE_PNS0_10empty_typeENS0_5tupleIJSE_SF_EEENSH_IJSE_SG_EEENS0_18inequality_wrapperINS9_8equal_toIsEEEEPmJSF_EEE10hipError_tPvRmT3_T4_T5_T6_T7_T9_mT8_P12ihipStream_tbDpT10_ENKUlT_T0_E_clISt17integral_constantIbLb1EES17_IbLb0EEEEDaS13_S14_EUlS13_E_NS1_11comp_targetILNS1_3genE0ELNS1_11target_archE4294967295ELNS1_3gpuE0ELNS1_3repE0EEENS1_30default_config_static_selectorELNS0_4arch9wavefront6targetE0EEEvT1_ ; -- Begin function _ZN7rocprim17ROCPRIM_400000_NS6detail17trampoline_kernelINS0_14default_configENS1_25partition_config_selectorILNS1_17partition_subalgoE9EssbEEZZNS1_14partition_implILS5_9ELb0ES3_jN6thrust23THRUST_200600_302600_NS6detail15normal_iteratorINS9_10device_ptrIsEEEESE_PNS0_10empty_typeENS0_5tupleIJSE_SF_EEENSH_IJSE_SG_EEENS0_18inequality_wrapperINS9_8equal_toIsEEEEPmJSF_EEE10hipError_tPvRmT3_T4_T5_T6_T7_T9_mT8_P12ihipStream_tbDpT10_ENKUlT_T0_E_clISt17integral_constantIbLb1EES17_IbLb0EEEEDaS13_S14_EUlS13_E_NS1_11comp_targetILNS1_3genE0ELNS1_11target_archE4294967295ELNS1_3gpuE0ELNS1_3repE0EEENS1_30default_config_static_selectorELNS0_4arch9wavefront6targetE0EEEvT1_
	.globl	_ZN7rocprim17ROCPRIM_400000_NS6detail17trampoline_kernelINS0_14default_configENS1_25partition_config_selectorILNS1_17partition_subalgoE9EssbEEZZNS1_14partition_implILS5_9ELb0ES3_jN6thrust23THRUST_200600_302600_NS6detail15normal_iteratorINS9_10device_ptrIsEEEESE_PNS0_10empty_typeENS0_5tupleIJSE_SF_EEENSH_IJSE_SG_EEENS0_18inequality_wrapperINS9_8equal_toIsEEEEPmJSF_EEE10hipError_tPvRmT3_T4_T5_T6_T7_T9_mT8_P12ihipStream_tbDpT10_ENKUlT_T0_E_clISt17integral_constantIbLb1EES17_IbLb0EEEEDaS13_S14_EUlS13_E_NS1_11comp_targetILNS1_3genE0ELNS1_11target_archE4294967295ELNS1_3gpuE0ELNS1_3repE0EEENS1_30default_config_static_selectorELNS0_4arch9wavefront6targetE0EEEvT1_
	.p2align	8
	.type	_ZN7rocprim17ROCPRIM_400000_NS6detail17trampoline_kernelINS0_14default_configENS1_25partition_config_selectorILNS1_17partition_subalgoE9EssbEEZZNS1_14partition_implILS5_9ELb0ES3_jN6thrust23THRUST_200600_302600_NS6detail15normal_iteratorINS9_10device_ptrIsEEEESE_PNS0_10empty_typeENS0_5tupleIJSE_SF_EEENSH_IJSE_SG_EEENS0_18inequality_wrapperINS9_8equal_toIsEEEEPmJSF_EEE10hipError_tPvRmT3_T4_T5_T6_T7_T9_mT8_P12ihipStream_tbDpT10_ENKUlT_T0_E_clISt17integral_constantIbLb1EES17_IbLb0EEEEDaS13_S14_EUlS13_E_NS1_11comp_targetILNS1_3genE0ELNS1_11target_archE4294967295ELNS1_3gpuE0ELNS1_3repE0EEENS1_30default_config_static_selectorELNS0_4arch9wavefront6targetE0EEEvT1_,@function
_ZN7rocprim17ROCPRIM_400000_NS6detail17trampoline_kernelINS0_14default_configENS1_25partition_config_selectorILNS1_17partition_subalgoE9EssbEEZZNS1_14partition_implILS5_9ELb0ES3_jN6thrust23THRUST_200600_302600_NS6detail15normal_iteratorINS9_10device_ptrIsEEEESE_PNS0_10empty_typeENS0_5tupleIJSE_SF_EEENSH_IJSE_SG_EEENS0_18inequality_wrapperINS9_8equal_toIsEEEEPmJSF_EEE10hipError_tPvRmT3_T4_T5_T6_T7_T9_mT8_P12ihipStream_tbDpT10_ENKUlT_T0_E_clISt17integral_constantIbLb1EES17_IbLb0EEEEDaS13_S14_EUlS13_E_NS1_11comp_targetILNS1_3genE0ELNS1_11target_archE4294967295ELNS1_3gpuE0ELNS1_3repE0EEENS1_30default_config_static_selectorELNS0_4arch9wavefront6targetE0EEEvT1_: ; @_ZN7rocprim17ROCPRIM_400000_NS6detail17trampoline_kernelINS0_14default_configENS1_25partition_config_selectorILNS1_17partition_subalgoE9EssbEEZZNS1_14partition_implILS5_9ELb0ES3_jN6thrust23THRUST_200600_302600_NS6detail15normal_iteratorINS9_10device_ptrIsEEEESE_PNS0_10empty_typeENS0_5tupleIJSE_SF_EEENSH_IJSE_SG_EEENS0_18inequality_wrapperINS9_8equal_toIsEEEEPmJSF_EEE10hipError_tPvRmT3_T4_T5_T6_T7_T9_mT8_P12ihipStream_tbDpT10_ENKUlT_T0_E_clISt17integral_constantIbLb1EES17_IbLb0EEEEDaS13_S14_EUlS13_E_NS1_11comp_targetILNS1_3genE0ELNS1_11target_archE4294967295ELNS1_3gpuE0ELNS1_3repE0EEENS1_30default_config_static_selectorELNS0_4arch9wavefront6targetE0EEEvT1_
; %bb.0:
	.section	.rodata,"a",@progbits
	.p2align	6, 0x0
	.amdhsa_kernel _ZN7rocprim17ROCPRIM_400000_NS6detail17trampoline_kernelINS0_14default_configENS1_25partition_config_selectorILNS1_17partition_subalgoE9EssbEEZZNS1_14partition_implILS5_9ELb0ES3_jN6thrust23THRUST_200600_302600_NS6detail15normal_iteratorINS9_10device_ptrIsEEEESE_PNS0_10empty_typeENS0_5tupleIJSE_SF_EEENSH_IJSE_SG_EEENS0_18inequality_wrapperINS9_8equal_toIsEEEEPmJSF_EEE10hipError_tPvRmT3_T4_T5_T6_T7_T9_mT8_P12ihipStream_tbDpT10_ENKUlT_T0_E_clISt17integral_constantIbLb1EES17_IbLb0EEEEDaS13_S14_EUlS13_E_NS1_11comp_targetILNS1_3genE0ELNS1_11target_archE4294967295ELNS1_3gpuE0ELNS1_3repE0EEENS1_30default_config_static_selectorELNS0_4arch9wavefront6targetE0EEEvT1_
		.amdhsa_group_segment_fixed_size 0
		.amdhsa_private_segment_fixed_size 0
		.amdhsa_kernarg_size 112
		.amdhsa_user_sgpr_count 15
		.amdhsa_user_sgpr_dispatch_ptr 0
		.amdhsa_user_sgpr_queue_ptr 0
		.amdhsa_user_sgpr_kernarg_segment_ptr 1
		.amdhsa_user_sgpr_dispatch_id 0
		.amdhsa_user_sgpr_private_segment_size 0
		.amdhsa_wavefront_size32 1
		.amdhsa_uses_dynamic_stack 0
		.amdhsa_enable_private_segment 0
		.amdhsa_system_sgpr_workgroup_id_x 1
		.amdhsa_system_sgpr_workgroup_id_y 0
		.amdhsa_system_sgpr_workgroup_id_z 0
		.amdhsa_system_sgpr_workgroup_info 0
		.amdhsa_system_vgpr_workitem_id 0
		.amdhsa_next_free_vgpr 1
		.amdhsa_next_free_sgpr 1
		.amdhsa_reserve_vcc 0
		.amdhsa_float_round_mode_32 0
		.amdhsa_float_round_mode_16_64 0
		.amdhsa_float_denorm_mode_32 3
		.amdhsa_float_denorm_mode_16_64 3
		.amdhsa_dx10_clamp 1
		.amdhsa_ieee_mode 1
		.amdhsa_fp16_overflow 0
		.amdhsa_workgroup_processor_mode 1
		.amdhsa_memory_ordered 1
		.amdhsa_forward_progress 0
		.amdhsa_shared_vgpr_count 0
		.amdhsa_exception_fp_ieee_invalid_op 0
		.amdhsa_exception_fp_denorm_src 0
		.amdhsa_exception_fp_ieee_div_zero 0
		.amdhsa_exception_fp_ieee_overflow 0
		.amdhsa_exception_fp_ieee_underflow 0
		.amdhsa_exception_fp_ieee_inexact 0
		.amdhsa_exception_int_div_zero 0
	.end_amdhsa_kernel
	.section	.text._ZN7rocprim17ROCPRIM_400000_NS6detail17trampoline_kernelINS0_14default_configENS1_25partition_config_selectorILNS1_17partition_subalgoE9EssbEEZZNS1_14partition_implILS5_9ELb0ES3_jN6thrust23THRUST_200600_302600_NS6detail15normal_iteratorINS9_10device_ptrIsEEEESE_PNS0_10empty_typeENS0_5tupleIJSE_SF_EEENSH_IJSE_SG_EEENS0_18inequality_wrapperINS9_8equal_toIsEEEEPmJSF_EEE10hipError_tPvRmT3_T4_T5_T6_T7_T9_mT8_P12ihipStream_tbDpT10_ENKUlT_T0_E_clISt17integral_constantIbLb1EES17_IbLb0EEEEDaS13_S14_EUlS13_E_NS1_11comp_targetILNS1_3genE0ELNS1_11target_archE4294967295ELNS1_3gpuE0ELNS1_3repE0EEENS1_30default_config_static_selectorELNS0_4arch9wavefront6targetE0EEEvT1_,"axG",@progbits,_ZN7rocprim17ROCPRIM_400000_NS6detail17trampoline_kernelINS0_14default_configENS1_25partition_config_selectorILNS1_17partition_subalgoE9EssbEEZZNS1_14partition_implILS5_9ELb0ES3_jN6thrust23THRUST_200600_302600_NS6detail15normal_iteratorINS9_10device_ptrIsEEEESE_PNS0_10empty_typeENS0_5tupleIJSE_SF_EEENSH_IJSE_SG_EEENS0_18inequality_wrapperINS9_8equal_toIsEEEEPmJSF_EEE10hipError_tPvRmT3_T4_T5_T6_T7_T9_mT8_P12ihipStream_tbDpT10_ENKUlT_T0_E_clISt17integral_constantIbLb1EES17_IbLb0EEEEDaS13_S14_EUlS13_E_NS1_11comp_targetILNS1_3genE0ELNS1_11target_archE4294967295ELNS1_3gpuE0ELNS1_3repE0EEENS1_30default_config_static_selectorELNS0_4arch9wavefront6targetE0EEEvT1_,comdat
.Lfunc_end485:
	.size	_ZN7rocprim17ROCPRIM_400000_NS6detail17trampoline_kernelINS0_14default_configENS1_25partition_config_selectorILNS1_17partition_subalgoE9EssbEEZZNS1_14partition_implILS5_9ELb0ES3_jN6thrust23THRUST_200600_302600_NS6detail15normal_iteratorINS9_10device_ptrIsEEEESE_PNS0_10empty_typeENS0_5tupleIJSE_SF_EEENSH_IJSE_SG_EEENS0_18inequality_wrapperINS9_8equal_toIsEEEEPmJSF_EEE10hipError_tPvRmT3_T4_T5_T6_T7_T9_mT8_P12ihipStream_tbDpT10_ENKUlT_T0_E_clISt17integral_constantIbLb1EES17_IbLb0EEEEDaS13_S14_EUlS13_E_NS1_11comp_targetILNS1_3genE0ELNS1_11target_archE4294967295ELNS1_3gpuE0ELNS1_3repE0EEENS1_30default_config_static_selectorELNS0_4arch9wavefront6targetE0EEEvT1_, .Lfunc_end485-_ZN7rocprim17ROCPRIM_400000_NS6detail17trampoline_kernelINS0_14default_configENS1_25partition_config_selectorILNS1_17partition_subalgoE9EssbEEZZNS1_14partition_implILS5_9ELb0ES3_jN6thrust23THRUST_200600_302600_NS6detail15normal_iteratorINS9_10device_ptrIsEEEESE_PNS0_10empty_typeENS0_5tupleIJSE_SF_EEENSH_IJSE_SG_EEENS0_18inequality_wrapperINS9_8equal_toIsEEEEPmJSF_EEE10hipError_tPvRmT3_T4_T5_T6_T7_T9_mT8_P12ihipStream_tbDpT10_ENKUlT_T0_E_clISt17integral_constantIbLb1EES17_IbLb0EEEEDaS13_S14_EUlS13_E_NS1_11comp_targetILNS1_3genE0ELNS1_11target_archE4294967295ELNS1_3gpuE0ELNS1_3repE0EEENS1_30default_config_static_selectorELNS0_4arch9wavefront6targetE0EEEvT1_
                                        ; -- End function
	.section	.AMDGPU.csdata,"",@progbits
; Kernel info:
; codeLenInByte = 0
; NumSgprs: 0
; NumVgprs: 0
; ScratchSize: 0
; MemoryBound: 0
; FloatMode: 240
; IeeeMode: 1
; LDSByteSize: 0 bytes/workgroup (compile time only)
; SGPRBlocks: 0
; VGPRBlocks: 0
; NumSGPRsForWavesPerEU: 1
; NumVGPRsForWavesPerEU: 1
; Occupancy: 16
; WaveLimiterHint : 0
; COMPUTE_PGM_RSRC2:SCRATCH_EN: 0
; COMPUTE_PGM_RSRC2:USER_SGPR: 15
; COMPUTE_PGM_RSRC2:TRAP_HANDLER: 0
; COMPUTE_PGM_RSRC2:TGID_X_EN: 1
; COMPUTE_PGM_RSRC2:TGID_Y_EN: 0
; COMPUTE_PGM_RSRC2:TGID_Z_EN: 0
; COMPUTE_PGM_RSRC2:TIDIG_COMP_CNT: 0
	.section	.text._ZN7rocprim17ROCPRIM_400000_NS6detail17trampoline_kernelINS0_14default_configENS1_25partition_config_selectorILNS1_17partition_subalgoE9EssbEEZZNS1_14partition_implILS5_9ELb0ES3_jN6thrust23THRUST_200600_302600_NS6detail15normal_iteratorINS9_10device_ptrIsEEEESE_PNS0_10empty_typeENS0_5tupleIJSE_SF_EEENSH_IJSE_SG_EEENS0_18inequality_wrapperINS9_8equal_toIsEEEEPmJSF_EEE10hipError_tPvRmT3_T4_T5_T6_T7_T9_mT8_P12ihipStream_tbDpT10_ENKUlT_T0_E_clISt17integral_constantIbLb1EES17_IbLb0EEEEDaS13_S14_EUlS13_E_NS1_11comp_targetILNS1_3genE5ELNS1_11target_archE942ELNS1_3gpuE9ELNS1_3repE0EEENS1_30default_config_static_selectorELNS0_4arch9wavefront6targetE0EEEvT1_,"axG",@progbits,_ZN7rocprim17ROCPRIM_400000_NS6detail17trampoline_kernelINS0_14default_configENS1_25partition_config_selectorILNS1_17partition_subalgoE9EssbEEZZNS1_14partition_implILS5_9ELb0ES3_jN6thrust23THRUST_200600_302600_NS6detail15normal_iteratorINS9_10device_ptrIsEEEESE_PNS0_10empty_typeENS0_5tupleIJSE_SF_EEENSH_IJSE_SG_EEENS0_18inequality_wrapperINS9_8equal_toIsEEEEPmJSF_EEE10hipError_tPvRmT3_T4_T5_T6_T7_T9_mT8_P12ihipStream_tbDpT10_ENKUlT_T0_E_clISt17integral_constantIbLb1EES17_IbLb0EEEEDaS13_S14_EUlS13_E_NS1_11comp_targetILNS1_3genE5ELNS1_11target_archE942ELNS1_3gpuE9ELNS1_3repE0EEENS1_30default_config_static_selectorELNS0_4arch9wavefront6targetE0EEEvT1_,comdat
	.protected	_ZN7rocprim17ROCPRIM_400000_NS6detail17trampoline_kernelINS0_14default_configENS1_25partition_config_selectorILNS1_17partition_subalgoE9EssbEEZZNS1_14partition_implILS5_9ELb0ES3_jN6thrust23THRUST_200600_302600_NS6detail15normal_iteratorINS9_10device_ptrIsEEEESE_PNS0_10empty_typeENS0_5tupleIJSE_SF_EEENSH_IJSE_SG_EEENS0_18inequality_wrapperINS9_8equal_toIsEEEEPmJSF_EEE10hipError_tPvRmT3_T4_T5_T6_T7_T9_mT8_P12ihipStream_tbDpT10_ENKUlT_T0_E_clISt17integral_constantIbLb1EES17_IbLb0EEEEDaS13_S14_EUlS13_E_NS1_11comp_targetILNS1_3genE5ELNS1_11target_archE942ELNS1_3gpuE9ELNS1_3repE0EEENS1_30default_config_static_selectorELNS0_4arch9wavefront6targetE0EEEvT1_ ; -- Begin function _ZN7rocprim17ROCPRIM_400000_NS6detail17trampoline_kernelINS0_14default_configENS1_25partition_config_selectorILNS1_17partition_subalgoE9EssbEEZZNS1_14partition_implILS5_9ELb0ES3_jN6thrust23THRUST_200600_302600_NS6detail15normal_iteratorINS9_10device_ptrIsEEEESE_PNS0_10empty_typeENS0_5tupleIJSE_SF_EEENSH_IJSE_SG_EEENS0_18inequality_wrapperINS9_8equal_toIsEEEEPmJSF_EEE10hipError_tPvRmT3_T4_T5_T6_T7_T9_mT8_P12ihipStream_tbDpT10_ENKUlT_T0_E_clISt17integral_constantIbLb1EES17_IbLb0EEEEDaS13_S14_EUlS13_E_NS1_11comp_targetILNS1_3genE5ELNS1_11target_archE942ELNS1_3gpuE9ELNS1_3repE0EEENS1_30default_config_static_selectorELNS0_4arch9wavefront6targetE0EEEvT1_
	.globl	_ZN7rocprim17ROCPRIM_400000_NS6detail17trampoline_kernelINS0_14default_configENS1_25partition_config_selectorILNS1_17partition_subalgoE9EssbEEZZNS1_14partition_implILS5_9ELb0ES3_jN6thrust23THRUST_200600_302600_NS6detail15normal_iteratorINS9_10device_ptrIsEEEESE_PNS0_10empty_typeENS0_5tupleIJSE_SF_EEENSH_IJSE_SG_EEENS0_18inequality_wrapperINS9_8equal_toIsEEEEPmJSF_EEE10hipError_tPvRmT3_T4_T5_T6_T7_T9_mT8_P12ihipStream_tbDpT10_ENKUlT_T0_E_clISt17integral_constantIbLb1EES17_IbLb0EEEEDaS13_S14_EUlS13_E_NS1_11comp_targetILNS1_3genE5ELNS1_11target_archE942ELNS1_3gpuE9ELNS1_3repE0EEENS1_30default_config_static_selectorELNS0_4arch9wavefront6targetE0EEEvT1_
	.p2align	8
	.type	_ZN7rocprim17ROCPRIM_400000_NS6detail17trampoline_kernelINS0_14default_configENS1_25partition_config_selectorILNS1_17partition_subalgoE9EssbEEZZNS1_14partition_implILS5_9ELb0ES3_jN6thrust23THRUST_200600_302600_NS6detail15normal_iteratorINS9_10device_ptrIsEEEESE_PNS0_10empty_typeENS0_5tupleIJSE_SF_EEENSH_IJSE_SG_EEENS0_18inequality_wrapperINS9_8equal_toIsEEEEPmJSF_EEE10hipError_tPvRmT3_T4_T5_T6_T7_T9_mT8_P12ihipStream_tbDpT10_ENKUlT_T0_E_clISt17integral_constantIbLb1EES17_IbLb0EEEEDaS13_S14_EUlS13_E_NS1_11comp_targetILNS1_3genE5ELNS1_11target_archE942ELNS1_3gpuE9ELNS1_3repE0EEENS1_30default_config_static_selectorELNS0_4arch9wavefront6targetE0EEEvT1_,@function
_ZN7rocprim17ROCPRIM_400000_NS6detail17trampoline_kernelINS0_14default_configENS1_25partition_config_selectorILNS1_17partition_subalgoE9EssbEEZZNS1_14partition_implILS5_9ELb0ES3_jN6thrust23THRUST_200600_302600_NS6detail15normal_iteratorINS9_10device_ptrIsEEEESE_PNS0_10empty_typeENS0_5tupleIJSE_SF_EEENSH_IJSE_SG_EEENS0_18inequality_wrapperINS9_8equal_toIsEEEEPmJSF_EEE10hipError_tPvRmT3_T4_T5_T6_T7_T9_mT8_P12ihipStream_tbDpT10_ENKUlT_T0_E_clISt17integral_constantIbLb1EES17_IbLb0EEEEDaS13_S14_EUlS13_E_NS1_11comp_targetILNS1_3genE5ELNS1_11target_archE942ELNS1_3gpuE9ELNS1_3repE0EEENS1_30default_config_static_selectorELNS0_4arch9wavefront6targetE0EEEvT1_: ; @_ZN7rocprim17ROCPRIM_400000_NS6detail17trampoline_kernelINS0_14default_configENS1_25partition_config_selectorILNS1_17partition_subalgoE9EssbEEZZNS1_14partition_implILS5_9ELb0ES3_jN6thrust23THRUST_200600_302600_NS6detail15normal_iteratorINS9_10device_ptrIsEEEESE_PNS0_10empty_typeENS0_5tupleIJSE_SF_EEENSH_IJSE_SG_EEENS0_18inequality_wrapperINS9_8equal_toIsEEEEPmJSF_EEE10hipError_tPvRmT3_T4_T5_T6_T7_T9_mT8_P12ihipStream_tbDpT10_ENKUlT_T0_E_clISt17integral_constantIbLb1EES17_IbLb0EEEEDaS13_S14_EUlS13_E_NS1_11comp_targetILNS1_3genE5ELNS1_11target_archE942ELNS1_3gpuE9ELNS1_3repE0EEENS1_30default_config_static_selectorELNS0_4arch9wavefront6targetE0EEEvT1_
; %bb.0:
	.section	.rodata,"a",@progbits
	.p2align	6, 0x0
	.amdhsa_kernel _ZN7rocprim17ROCPRIM_400000_NS6detail17trampoline_kernelINS0_14default_configENS1_25partition_config_selectorILNS1_17partition_subalgoE9EssbEEZZNS1_14partition_implILS5_9ELb0ES3_jN6thrust23THRUST_200600_302600_NS6detail15normal_iteratorINS9_10device_ptrIsEEEESE_PNS0_10empty_typeENS0_5tupleIJSE_SF_EEENSH_IJSE_SG_EEENS0_18inequality_wrapperINS9_8equal_toIsEEEEPmJSF_EEE10hipError_tPvRmT3_T4_T5_T6_T7_T9_mT8_P12ihipStream_tbDpT10_ENKUlT_T0_E_clISt17integral_constantIbLb1EES17_IbLb0EEEEDaS13_S14_EUlS13_E_NS1_11comp_targetILNS1_3genE5ELNS1_11target_archE942ELNS1_3gpuE9ELNS1_3repE0EEENS1_30default_config_static_selectorELNS0_4arch9wavefront6targetE0EEEvT1_
		.amdhsa_group_segment_fixed_size 0
		.amdhsa_private_segment_fixed_size 0
		.amdhsa_kernarg_size 112
		.amdhsa_user_sgpr_count 15
		.amdhsa_user_sgpr_dispatch_ptr 0
		.amdhsa_user_sgpr_queue_ptr 0
		.amdhsa_user_sgpr_kernarg_segment_ptr 1
		.amdhsa_user_sgpr_dispatch_id 0
		.amdhsa_user_sgpr_private_segment_size 0
		.amdhsa_wavefront_size32 1
		.amdhsa_uses_dynamic_stack 0
		.amdhsa_enable_private_segment 0
		.amdhsa_system_sgpr_workgroup_id_x 1
		.amdhsa_system_sgpr_workgroup_id_y 0
		.amdhsa_system_sgpr_workgroup_id_z 0
		.amdhsa_system_sgpr_workgroup_info 0
		.amdhsa_system_vgpr_workitem_id 0
		.amdhsa_next_free_vgpr 1
		.amdhsa_next_free_sgpr 1
		.amdhsa_reserve_vcc 0
		.amdhsa_float_round_mode_32 0
		.amdhsa_float_round_mode_16_64 0
		.amdhsa_float_denorm_mode_32 3
		.amdhsa_float_denorm_mode_16_64 3
		.amdhsa_dx10_clamp 1
		.amdhsa_ieee_mode 1
		.amdhsa_fp16_overflow 0
		.amdhsa_workgroup_processor_mode 1
		.amdhsa_memory_ordered 1
		.amdhsa_forward_progress 0
		.amdhsa_shared_vgpr_count 0
		.amdhsa_exception_fp_ieee_invalid_op 0
		.amdhsa_exception_fp_denorm_src 0
		.amdhsa_exception_fp_ieee_div_zero 0
		.amdhsa_exception_fp_ieee_overflow 0
		.amdhsa_exception_fp_ieee_underflow 0
		.amdhsa_exception_fp_ieee_inexact 0
		.amdhsa_exception_int_div_zero 0
	.end_amdhsa_kernel
	.section	.text._ZN7rocprim17ROCPRIM_400000_NS6detail17trampoline_kernelINS0_14default_configENS1_25partition_config_selectorILNS1_17partition_subalgoE9EssbEEZZNS1_14partition_implILS5_9ELb0ES3_jN6thrust23THRUST_200600_302600_NS6detail15normal_iteratorINS9_10device_ptrIsEEEESE_PNS0_10empty_typeENS0_5tupleIJSE_SF_EEENSH_IJSE_SG_EEENS0_18inequality_wrapperINS9_8equal_toIsEEEEPmJSF_EEE10hipError_tPvRmT3_T4_T5_T6_T7_T9_mT8_P12ihipStream_tbDpT10_ENKUlT_T0_E_clISt17integral_constantIbLb1EES17_IbLb0EEEEDaS13_S14_EUlS13_E_NS1_11comp_targetILNS1_3genE5ELNS1_11target_archE942ELNS1_3gpuE9ELNS1_3repE0EEENS1_30default_config_static_selectorELNS0_4arch9wavefront6targetE0EEEvT1_,"axG",@progbits,_ZN7rocprim17ROCPRIM_400000_NS6detail17trampoline_kernelINS0_14default_configENS1_25partition_config_selectorILNS1_17partition_subalgoE9EssbEEZZNS1_14partition_implILS5_9ELb0ES3_jN6thrust23THRUST_200600_302600_NS6detail15normal_iteratorINS9_10device_ptrIsEEEESE_PNS0_10empty_typeENS0_5tupleIJSE_SF_EEENSH_IJSE_SG_EEENS0_18inequality_wrapperINS9_8equal_toIsEEEEPmJSF_EEE10hipError_tPvRmT3_T4_T5_T6_T7_T9_mT8_P12ihipStream_tbDpT10_ENKUlT_T0_E_clISt17integral_constantIbLb1EES17_IbLb0EEEEDaS13_S14_EUlS13_E_NS1_11comp_targetILNS1_3genE5ELNS1_11target_archE942ELNS1_3gpuE9ELNS1_3repE0EEENS1_30default_config_static_selectorELNS0_4arch9wavefront6targetE0EEEvT1_,comdat
.Lfunc_end486:
	.size	_ZN7rocprim17ROCPRIM_400000_NS6detail17trampoline_kernelINS0_14default_configENS1_25partition_config_selectorILNS1_17partition_subalgoE9EssbEEZZNS1_14partition_implILS5_9ELb0ES3_jN6thrust23THRUST_200600_302600_NS6detail15normal_iteratorINS9_10device_ptrIsEEEESE_PNS0_10empty_typeENS0_5tupleIJSE_SF_EEENSH_IJSE_SG_EEENS0_18inequality_wrapperINS9_8equal_toIsEEEEPmJSF_EEE10hipError_tPvRmT3_T4_T5_T6_T7_T9_mT8_P12ihipStream_tbDpT10_ENKUlT_T0_E_clISt17integral_constantIbLb1EES17_IbLb0EEEEDaS13_S14_EUlS13_E_NS1_11comp_targetILNS1_3genE5ELNS1_11target_archE942ELNS1_3gpuE9ELNS1_3repE0EEENS1_30default_config_static_selectorELNS0_4arch9wavefront6targetE0EEEvT1_, .Lfunc_end486-_ZN7rocprim17ROCPRIM_400000_NS6detail17trampoline_kernelINS0_14default_configENS1_25partition_config_selectorILNS1_17partition_subalgoE9EssbEEZZNS1_14partition_implILS5_9ELb0ES3_jN6thrust23THRUST_200600_302600_NS6detail15normal_iteratorINS9_10device_ptrIsEEEESE_PNS0_10empty_typeENS0_5tupleIJSE_SF_EEENSH_IJSE_SG_EEENS0_18inequality_wrapperINS9_8equal_toIsEEEEPmJSF_EEE10hipError_tPvRmT3_T4_T5_T6_T7_T9_mT8_P12ihipStream_tbDpT10_ENKUlT_T0_E_clISt17integral_constantIbLb1EES17_IbLb0EEEEDaS13_S14_EUlS13_E_NS1_11comp_targetILNS1_3genE5ELNS1_11target_archE942ELNS1_3gpuE9ELNS1_3repE0EEENS1_30default_config_static_selectorELNS0_4arch9wavefront6targetE0EEEvT1_
                                        ; -- End function
	.section	.AMDGPU.csdata,"",@progbits
; Kernel info:
; codeLenInByte = 0
; NumSgprs: 0
; NumVgprs: 0
; ScratchSize: 0
; MemoryBound: 0
; FloatMode: 240
; IeeeMode: 1
; LDSByteSize: 0 bytes/workgroup (compile time only)
; SGPRBlocks: 0
; VGPRBlocks: 0
; NumSGPRsForWavesPerEU: 1
; NumVGPRsForWavesPerEU: 1
; Occupancy: 16
; WaveLimiterHint : 0
; COMPUTE_PGM_RSRC2:SCRATCH_EN: 0
; COMPUTE_PGM_RSRC2:USER_SGPR: 15
; COMPUTE_PGM_RSRC2:TRAP_HANDLER: 0
; COMPUTE_PGM_RSRC2:TGID_X_EN: 1
; COMPUTE_PGM_RSRC2:TGID_Y_EN: 0
; COMPUTE_PGM_RSRC2:TGID_Z_EN: 0
; COMPUTE_PGM_RSRC2:TIDIG_COMP_CNT: 0
	.section	.text._ZN7rocprim17ROCPRIM_400000_NS6detail17trampoline_kernelINS0_14default_configENS1_25partition_config_selectorILNS1_17partition_subalgoE9EssbEEZZNS1_14partition_implILS5_9ELb0ES3_jN6thrust23THRUST_200600_302600_NS6detail15normal_iteratorINS9_10device_ptrIsEEEESE_PNS0_10empty_typeENS0_5tupleIJSE_SF_EEENSH_IJSE_SG_EEENS0_18inequality_wrapperINS9_8equal_toIsEEEEPmJSF_EEE10hipError_tPvRmT3_T4_T5_T6_T7_T9_mT8_P12ihipStream_tbDpT10_ENKUlT_T0_E_clISt17integral_constantIbLb1EES17_IbLb0EEEEDaS13_S14_EUlS13_E_NS1_11comp_targetILNS1_3genE4ELNS1_11target_archE910ELNS1_3gpuE8ELNS1_3repE0EEENS1_30default_config_static_selectorELNS0_4arch9wavefront6targetE0EEEvT1_,"axG",@progbits,_ZN7rocprim17ROCPRIM_400000_NS6detail17trampoline_kernelINS0_14default_configENS1_25partition_config_selectorILNS1_17partition_subalgoE9EssbEEZZNS1_14partition_implILS5_9ELb0ES3_jN6thrust23THRUST_200600_302600_NS6detail15normal_iteratorINS9_10device_ptrIsEEEESE_PNS0_10empty_typeENS0_5tupleIJSE_SF_EEENSH_IJSE_SG_EEENS0_18inequality_wrapperINS9_8equal_toIsEEEEPmJSF_EEE10hipError_tPvRmT3_T4_T5_T6_T7_T9_mT8_P12ihipStream_tbDpT10_ENKUlT_T0_E_clISt17integral_constantIbLb1EES17_IbLb0EEEEDaS13_S14_EUlS13_E_NS1_11comp_targetILNS1_3genE4ELNS1_11target_archE910ELNS1_3gpuE8ELNS1_3repE0EEENS1_30default_config_static_selectorELNS0_4arch9wavefront6targetE0EEEvT1_,comdat
	.protected	_ZN7rocprim17ROCPRIM_400000_NS6detail17trampoline_kernelINS0_14default_configENS1_25partition_config_selectorILNS1_17partition_subalgoE9EssbEEZZNS1_14partition_implILS5_9ELb0ES3_jN6thrust23THRUST_200600_302600_NS6detail15normal_iteratorINS9_10device_ptrIsEEEESE_PNS0_10empty_typeENS0_5tupleIJSE_SF_EEENSH_IJSE_SG_EEENS0_18inequality_wrapperINS9_8equal_toIsEEEEPmJSF_EEE10hipError_tPvRmT3_T4_T5_T6_T7_T9_mT8_P12ihipStream_tbDpT10_ENKUlT_T0_E_clISt17integral_constantIbLb1EES17_IbLb0EEEEDaS13_S14_EUlS13_E_NS1_11comp_targetILNS1_3genE4ELNS1_11target_archE910ELNS1_3gpuE8ELNS1_3repE0EEENS1_30default_config_static_selectorELNS0_4arch9wavefront6targetE0EEEvT1_ ; -- Begin function _ZN7rocprim17ROCPRIM_400000_NS6detail17trampoline_kernelINS0_14default_configENS1_25partition_config_selectorILNS1_17partition_subalgoE9EssbEEZZNS1_14partition_implILS5_9ELb0ES3_jN6thrust23THRUST_200600_302600_NS6detail15normal_iteratorINS9_10device_ptrIsEEEESE_PNS0_10empty_typeENS0_5tupleIJSE_SF_EEENSH_IJSE_SG_EEENS0_18inequality_wrapperINS9_8equal_toIsEEEEPmJSF_EEE10hipError_tPvRmT3_T4_T5_T6_T7_T9_mT8_P12ihipStream_tbDpT10_ENKUlT_T0_E_clISt17integral_constantIbLb1EES17_IbLb0EEEEDaS13_S14_EUlS13_E_NS1_11comp_targetILNS1_3genE4ELNS1_11target_archE910ELNS1_3gpuE8ELNS1_3repE0EEENS1_30default_config_static_selectorELNS0_4arch9wavefront6targetE0EEEvT1_
	.globl	_ZN7rocprim17ROCPRIM_400000_NS6detail17trampoline_kernelINS0_14default_configENS1_25partition_config_selectorILNS1_17partition_subalgoE9EssbEEZZNS1_14partition_implILS5_9ELb0ES3_jN6thrust23THRUST_200600_302600_NS6detail15normal_iteratorINS9_10device_ptrIsEEEESE_PNS0_10empty_typeENS0_5tupleIJSE_SF_EEENSH_IJSE_SG_EEENS0_18inequality_wrapperINS9_8equal_toIsEEEEPmJSF_EEE10hipError_tPvRmT3_T4_T5_T6_T7_T9_mT8_P12ihipStream_tbDpT10_ENKUlT_T0_E_clISt17integral_constantIbLb1EES17_IbLb0EEEEDaS13_S14_EUlS13_E_NS1_11comp_targetILNS1_3genE4ELNS1_11target_archE910ELNS1_3gpuE8ELNS1_3repE0EEENS1_30default_config_static_selectorELNS0_4arch9wavefront6targetE0EEEvT1_
	.p2align	8
	.type	_ZN7rocprim17ROCPRIM_400000_NS6detail17trampoline_kernelINS0_14default_configENS1_25partition_config_selectorILNS1_17partition_subalgoE9EssbEEZZNS1_14partition_implILS5_9ELb0ES3_jN6thrust23THRUST_200600_302600_NS6detail15normal_iteratorINS9_10device_ptrIsEEEESE_PNS0_10empty_typeENS0_5tupleIJSE_SF_EEENSH_IJSE_SG_EEENS0_18inequality_wrapperINS9_8equal_toIsEEEEPmJSF_EEE10hipError_tPvRmT3_T4_T5_T6_T7_T9_mT8_P12ihipStream_tbDpT10_ENKUlT_T0_E_clISt17integral_constantIbLb1EES17_IbLb0EEEEDaS13_S14_EUlS13_E_NS1_11comp_targetILNS1_3genE4ELNS1_11target_archE910ELNS1_3gpuE8ELNS1_3repE0EEENS1_30default_config_static_selectorELNS0_4arch9wavefront6targetE0EEEvT1_,@function
_ZN7rocprim17ROCPRIM_400000_NS6detail17trampoline_kernelINS0_14default_configENS1_25partition_config_selectorILNS1_17partition_subalgoE9EssbEEZZNS1_14partition_implILS5_9ELb0ES3_jN6thrust23THRUST_200600_302600_NS6detail15normal_iteratorINS9_10device_ptrIsEEEESE_PNS0_10empty_typeENS0_5tupleIJSE_SF_EEENSH_IJSE_SG_EEENS0_18inequality_wrapperINS9_8equal_toIsEEEEPmJSF_EEE10hipError_tPvRmT3_T4_T5_T6_T7_T9_mT8_P12ihipStream_tbDpT10_ENKUlT_T0_E_clISt17integral_constantIbLb1EES17_IbLb0EEEEDaS13_S14_EUlS13_E_NS1_11comp_targetILNS1_3genE4ELNS1_11target_archE910ELNS1_3gpuE8ELNS1_3repE0EEENS1_30default_config_static_selectorELNS0_4arch9wavefront6targetE0EEEvT1_: ; @_ZN7rocprim17ROCPRIM_400000_NS6detail17trampoline_kernelINS0_14default_configENS1_25partition_config_selectorILNS1_17partition_subalgoE9EssbEEZZNS1_14partition_implILS5_9ELb0ES3_jN6thrust23THRUST_200600_302600_NS6detail15normal_iteratorINS9_10device_ptrIsEEEESE_PNS0_10empty_typeENS0_5tupleIJSE_SF_EEENSH_IJSE_SG_EEENS0_18inequality_wrapperINS9_8equal_toIsEEEEPmJSF_EEE10hipError_tPvRmT3_T4_T5_T6_T7_T9_mT8_P12ihipStream_tbDpT10_ENKUlT_T0_E_clISt17integral_constantIbLb1EES17_IbLb0EEEEDaS13_S14_EUlS13_E_NS1_11comp_targetILNS1_3genE4ELNS1_11target_archE910ELNS1_3gpuE8ELNS1_3repE0EEENS1_30default_config_static_selectorELNS0_4arch9wavefront6targetE0EEEvT1_
; %bb.0:
	.section	.rodata,"a",@progbits
	.p2align	6, 0x0
	.amdhsa_kernel _ZN7rocprim17ROCPRIM_400000_NS6detail17trampoline_kernelINS0_14default_configENS1_25partition_config_selectorILNS1_17partition_subalgoE9EssbEEZZNS1_14partition_implILS5_9ELb0ES3_jN6thrust23THRUST_200600_302600_NS6detail15normal_iteratorINS9_10device_ptrIsEEEESE_PNS0_10empty_typeENS0_5tupleIJSE_SF_EEENSH_IJSE_SG_EEENS0_18inequality_wrapperINS9_8equal_toIsEEEEPmJSF_EEE10hipError_tPvRmT3_T4_T5_T6_T7_T9_mT8_P12ihipStream_tbDpT10_ENKUlT_T0_E_clISt17integral_constantIbLb1EES17_IbLb0EEEEDaS13_S14_EUlS13_E_NS1_11comp_targetILNS1_3genE4ELNS1_11target_archE910ELNS1_3gpuE8ELNS1_3repE0EEENS1_30default_config_static_selectorELNS0_4arch9wavefront6targetE0EEEvT1_
		.amdhsa_group_segment_fixed_size 0
		.amdhsa_private_segment_fixed_size 0
		.amdhsa_kernarg_size 112
		.amdhsa_user_sgpr_count 15
		.amdhsa_user_sgpr_dispatch_ptr 0
		.amdhsa_user_sgpr_queue_ptr 0
		.amdhsa_user_sgpr_kernarg_segment_ptr 1
		.amdhsa_user_sgpr_dispatch_id 0
		.amdhsa_user_sgpr_private_segment_size 0
		.amdhsa_wavefront_size32 1
		.amdhsa_uses_dynamic_stack 0
		.amdhsa_enable_private_segment 0
		.amdhsa_system_sgpr_workgroup_id_x 1
		.amdhsa_system_sgpr_workgroup_id_y 0
		.amdhsa_system_sgpr_workgroup_id_z 0
		.amdhsa_system_sgpr_workgroup_info 0
		.amdhsa_system_vgpr_workitem_id 0
		.amdhsa_next_free_vgpr 1
		.amdhsa_next_free_sgpr 1
		.amdhsa_reserve_vcc 0
		.amdhsa_float_round_mode_32 0
		.amdhsa_float_round_mode_16_64 0
		.amdhsa_float_denorm_mode_32 3
		.amdhsa_float_denorm_mode_16_64 3
		.amdhsa_dx10_clamp 1
		.amdhsa_ieee_mode 1
		.amdhsa_fp16_overflow 0
		.amdhsa_workgroup_processor_mode 1
		.amdhsa_memory_ordered 1
		.amdhsa_forward_progress 0
		.amdhsa_shared_vgpr_count 0
		.amdhsa_exception_fp_ieee_invalid_op 0
		.amdhsa_exception_fp_denorm_src 0
		.amdhsa_exception_fp_ieee_div_zero 0
		.amdhsa_exception_fp_ieee_overflow 0
		.amdhsa_exception_fp_ieee_underflow 0
		.amdhsa_exception_fp_ieee_inexact 0
		.amdhsa_exception_int_div_zero 0
	.end_amdhsa_kernel
	.section	.text._ZN7rocprim17ROCPRIM_400000_NS6detail17trampoline_kernelINS0_14default_configENS1_25partition_config_selectorILNS1_17partition_subalgoE9EssbEEZZNS1_14partition_implILS5_9ELb0ES3_jN6thrust23THRUST_200600_302600_NS6detail15normal_iteratorINS9_10device_ptrIsEEEESE_PNS0_10empty_typeENS0_5tupleIJSE_SF_EEENSH_IJSE_SG_EEENS0_18inequality_wrapperINS9_8equal_toIsEEEEPmJSF_EEE10hipError_tPvRmT3_T4_T5_T6_T7_T9_mT8_P12ihipStream_tbDpT10_ENKUlT_T0_E_clISt17integral_constantIbLb1EES17_IbLb0EEEEDaS13_S14_EUlS13_E_NS1_11comp_targetILNS1_3genE4ELNS1_11target_archE910ELNS1_3gpuE8ELNS1_3repE0EEENS1_30default_config_static_selectorELNS0_4arch9wavefront6targetE0EEEvT1_,"axG",@progbits,_ZN7rocprim17ROCPRIM_400000_NS6detail17trampoline_kernelINS0_14default_configENS1_25partition_config_selectorILNS1_17partition_subalgoE9EssbEEZZNS1_14partition_implILS5_9ELb0ES3_jN6thrust23THRUST_200600_302600_NS6detail15normal_iteratorINS9_10device_ptrIsEEEESE_PNS0_10empty_typeENS0_5tupleIJSE_SF_EEENSH_IJSE_SG_EEENS0_18inequality_wrapperINS9_8equal_toIsEEEEPmJSF_EEE10hipError_tPvRmT3_T4_T5_T6_T7_T9_mT8_P12ihipStream_tbDpT10_ENKUlT_T0_E_clISt17integral_constantIbLb1EES17_IbLb0EEEEDaS13_S14_EUlS13_E_NS1_11comp_targetILNS1_3genE4ELNS1_11target_archE910ELNS1_3gpuE8ELNS1_3repE0EEENS1_30default_config_static_selectorELNS0_4arch9wavefront6targetE0EEEvT1_,comdat
.Lfunc_end487:
	.size	_ZN7rocprim17ROCPRIM_400000_NS6detail17trampoline_kernelINS0_14default_configENS1_25partition_config_selectorILNS1_17partition_subalgoE9EssbEEZZNS1_14partition_implILS5_9ELb0ES3_jN6thrust23THRUST_200600_302600_NS6detail15normal_iteratorINS9_10device_ptrIsEEEESE_PNS0_10empty_typeENS0_5tupleIJSE_SF_EEENSH_IJSE_SG_EEENS0_18inequality_wrapperINS9_8equal_toIsEEEEPmJSF_EEE10hipError_tPvRmT3_T4_T5_T6_T7_T9_mT8_P12ihipStream_tbDpT10_ENKUlT_T0_E_clISt17integral_constantIbLb1EES17_IbLb0EEEEDaS13_S14_EUlS13_E_NS1_11comp_targetILNS1_3genE4ELNS1_11target_archE910ELNS1_3gpuE8ELNS1_3repE0EEENS1_30default_config_static_selectorELNS0_4arch9wavefront6targetE0EEEvT1_, .Lfunc_end487-_ZN7rocprim17ROCPRIM_400000_NS6detail17trampoline_kernelINS0_14default_configENS1_25partition_config_selectorILNS1_17partition_subalgoE9EssbEEZZNS1_14partition_implILS5_9ELb0ES3_jN6thrust23THRUST_200600_302600_NS6detail15normal_iteratorINS9_10device_ptrIsEEEESE_PNS0_10empty_typeENS0_5tupleIJSE_SF_EEENSH_IJSE_SG_EEENS0_18inequality_wrapperINS9_8equal_toIsEEEEPmJSF_EEE10hipError_tPvRmT3_T4_T5_T6_T7_T9_mT8_P12ihipStream_tbDpT10_ENKUlT_T0_E_clISt17integral_constantIbLb1EES17_IbLb0EEEEDaS13_S14_EUlS13_E_NS1_11comp_targetILNS1_3genE4ELNS1_11target_archE910ELNS1_3gpuE8ELNS1_3repE0EEENS1_30default_config_static_selectorELNS0_4arch9wavefront6targetE0EEEvT1_
                                        ; -- End function
	.section	.AMDGPU.csdata,"",@progbits
; Kernel info:
; codeLenInByte = 0
; NumSgprs: 0
; NumVgprs: 0
; ScratchSize: 0
; MemoryBound: 0
; FloatMode: 240
; IeeeMode: 1
; LDSByteSize: 0 bytes/workgroup (compile time only)
; SGPRBlocks: 0
; VGPRBlocks: 0
; NumSGPRsForWavesPerEU: 1
; NumVGPRsForWavesPerEU: 1
; Occupancy: 16
; WaveLimiterHint : 0
; COMPUTE_PGM_RSRC2:SCRATCH_EN: 0
; COMPUTE_PGM_RSRC2:USER_SGPR: 15
; COMPUTE_PGM_RSRC2:TRAP_HANDLER: 0
; COMPUTE_PGM_RSRC2:TGID_X_EN: 1
; COMPUTE_PGM_RSRC2:TGID_Y_EN: 0
; COMPUTE_PGM_RSRC2:TGID_Z_EN: 0
; COMPUTE_PGM_RSRC2:TIDIG_COMP_CNT: 0
	.section	.text._ZN7rocprim17ROCPRIM_400000_NS6detail17trampoline_kernelINS0_14default_configENS1_25partition_config_selectorILNS1_17partition_subalgoE9EssbEEZZNS1_14partition_implILS5_9ELb0ES3_jN6thrust23THRUST_200600_302600_NS6detail15normal_iteratorINS9_10device_ptrIsEEEESE_PNS0_10empty_typeENS0_5tupleIJSE_SF_EEENSH_IJSE_SG_EEENS0_18inequality_wrapperINS9_8equal_toIsEEEEPmJSF_EEE10hipError_tPvRmT3_T4_T5_T6_T7_T9_mT8_P12ihipStream_tbDpT10_ENKUlT_T0_E_clISt17integral_constantIbLb1EES17_IbLb0EEEEDaS13_S14_EUlS13_E_NS1_11comp_targetILNS1_3genE3ELNS1_11target_archE908ELNS1_3gpuE7ELNS1_3repE0EEENS1_30default_config_static_selectorELNS0_4arch9wavefront6targetE0EEEvT1_,"axG",@progbits,_ZN7rocprim17ROCPRIM_400000_NS6detail17trampoline_kernelINS0_14default_configENS1_25partition_config_selectorILNS1_17partition_subalgoE9EssbEEZZNS1_14partition_implILS5_9ELb0ES3_jN6thrust23THRUST_200600_302600_NS6detail15normal_iteratorINS9_10device_ptrIsEEEESE_PNS0_10empty_typeENS0_5tupleIJSE_SF_EEENSH_IJSE_SG_EEENS0_18inequality_wrapperINS9_8equal_toIsEEEEPmJSF_EEE10hipError_tPvRmT3_T4_T5_T6_T7_T9_mT8_P12ihipStream_tbDpT10_ENKUlT_T0_E_clISt17integral_constantIbLb1EES17_IbLb0EEEEDaS13_S14_EUlS13_E_NS1_11comp_targetILNS1_3genE3ELNS1_11target_archE908ELNS1_3gpuE7ELNS1_3repE0EEENS1_30default_config_static_selectorELNS0_4arch9wavefront6targetE0EEEvT1_,comdat
	.protected	_ZN7rocprim17ROCPRIM_400000_NS6detail17trampoline_kernelINS0_14default_configENS1_25partition_config_selectorILNS1_17partition_subalgoE9EssbEEZZNS1_14partition_implILS5_9ELb0ES3_jN6thrust23THRUST_200600_302600_NS6detail15normal_iteratorINS9_10device_ptrIsEEEESE_PNS0_10empty_typeENS0_5tupleIJSE_SF_EEENSH_IJSE_SG_EEENS0_18inequality_wrapperINS9_8equal_toIsEEEEPmJSF_EEE10hipError_tPvRmT3_T4_T5_T6_T7_T9_mT8_P12ihipStream_tbDpT10_ENKUlT_T0_E_clISt17integral_constantIbLb1EES17_IbLb0EEEEDaS13_S14_EUlS13_E_NS1_11comp_targetILNS1_3genE3ELNS1_11target_archE908ELNS1_3gpuE7ELNS1_3repE0EEENS1_30default_config_static_selectorELNS0_4arch9wavefront6targetE0EEEvT1_ ; -- Begin function _ZN7rocprim17ROCPRIM_400000_NS6detail17trampoline_kernelINS0_14default_configENS1_25partition_config_selectorILNS1_17partition_subalgoE9EssbEEZZNS1_14partition_implILS5_9ELb0ES3_jN6thrust23THRUST_200600_302600_NS6detail15normal_iteratorINS9_10device_ptrIsEEEESE_PNS0_10empty_typeENS0_5tupleIJSE_SF_EEENSH_IJSE_SG_EEENS0_18inequality_wrapperINS9_8equal_toIsEEEEPmJSF_EEE10hipError_tPvRmT3_T4_T5_T6_T7_T9_mT8_P12ihipStream_tbDpT10_ENKUlT_T0_E_clISt17integral_constantIbLb1EES17_IbLb0EEEEDaS13_S14_EUlS13_E_NS1_11comp_targetILNS1_3genE3ELNS1_11target_archE908ELNS1_3gpuE7ELNS1_3repE0EEENS1_30default_config_static_selectorELNS0_4arch9wavefront6targetE0EEEvT1_
	.globl	_ZN7rocprim17ROCPRIM_400000_NS6detail17trampoline_kernelINS0_14default_configENS1_25partition_config_selectorILNS1_17partition_subalgoE9EssbEEZZNS1_14partition_implILS5_9ELb0ES3_jN6thrust23THRUST_200600_302600_NS6detail15normal_iteratorINS9_10device_ptrIsEEEESE_PNS0_10empty_typeENS0_5tupleIJSE_SF_EEENSH_IJSE_SG_EEENS0_18inequality_wrapperINS9_8equal_toIsEEEEPmJSF_EEE10hipError_tPvRmT3_T4_T5_T6_T7_T9_mT8_P12ihipStream_tbDpT10_ENKUlT_T0_E_clISt17integral_constantIbLb1EES17_IbLb0EEEEDaS13_S14_EUlS13_E_NS1_11comp_targetILNS1_3genE3ELNS1_11target_archE908ELNS1_3gpuE7ELNS1_3repE0EEENS1_30default_config_static_selectorELNS0_4arch9wavefront6targetE0EEEvT1_
	.p2align	8
	.type	_ZN7rocprim17ROCPRIM_400000_NS6detail17trampoline_kernelINS0_14default_configENS1_25partition_config_selectorILNS1_17partition_subalgoE9EssbEEZZNS1_14partition_implILS5_9ELb0ES3_jN6thrust23THRUST_200600_302600_NS6detail15normal_iteratorINS9_10device_ptrIsEEEESE_PNS0_10empty_typeENS0_5tupleIJSE_SF_EEENSH_IJSE_SG_EEENS0_18inequality_wrapperINS9_8equal_toIsEEEEPmJSF_EEE10hipError_tPvRmT3_T4_T5_T6_T7_T9_mT8_P12ihipStream_tbDpT10_ENKUlT_T0_E_clISt17integral_constantIbLb1EES17_IbLb0EEEEDaS13_S14_EUlS13_E_NS1_11comp_targetILNS1_3genE3ELNS1_11target_archE908ELNS1_3gpuE7ELNS1_3repE0EEENS1_30default_config_static_selectorELNS0_4arch9wavefront6targetE0EEEvT1_,@function
_ZN7rocprim17ROCPRIM_400000_NS6detail17trampoline_kernelINS0_14default_configENS1_25partition_config_selectorILNS1_17partition_subalgoE9EssbEEZZNS1_14partition_implILS5_9ELb0ES3_jN6thrust23THRUST_200600_302600_NS6detail15normal_iteratorINS9_10device_ptrIsEEEESE_PNS0_10empty_typeENS0_5tupleIJSE_SF_EEENSH_IJSE_SG_EEENS0_18inequality_wrapperINS9_8equal_toIsEEEEPmJSF_EEE10hipError_tPvRmT3_T4_T5_T6_T7_T9_mT8_P12ihipStream_tbDpT10_ENKUlT_T0_E_clISt17integral_constantIbLb1EES17_IbLb0EEEEDaS13_S14_EUlS13_E_NS1_11comp_targetILNS1_3genE3ELNS1_11target_archE908ELNS1_3gpuE7ELNS1_3repE0EEENS1_30default_config_static_selectorELNS0_4arch9wavefront6targetE0EEEvT1_: ; @_ZN7rocprim17ROCPRIM_400000_NS6detail17trampoline_kernelINS0_14default_configENS1_25partition_config_selectorILNS1_17partition_subalgoE9EssbEEZZNS1_14partition_implILS5_9ELb0ES3_jN6thrust23THRUST_200600_302600_NS6detail15normal_iteratorINS9_10device_ptrIsEEEESE_PNS0_10empty_typeENS0_5tupleIJSE_SF_EEENSH_IJSE_SG_EEENS0_18inequality_wrapperINS9_8equal_toIsEEEEPmJSF_EEE10hipError_tPvRmT3_T4_T5_T6_T7_T9_mT8_P12ihipStream_tbDpT10_ENKUlT_T0_E_clISt17integral_constantIbLb1EES17_IbLb0EEEEDaS13_S14_EUlS13_E_NS1_11comp_targetILNS1_3genE3ELNS1_11target_archE908ELNS1_3gpuE7ELNS1_3repE0EEENS1_30default_config_static_selectorELNS0_4arch9wavefront6targetE0EEEvT1_
; %bb.0:
	.section	.rodata,"a",@progbits
	.p2align	6, 0x0
	.amdhsa_kernel _ZN7rocprim17ROCPRIM_400000_NS6detail17trampoline_kernelINS0_14default_configENS1_25partition_config_selectorILNS1_17partition_subalgoE9EssbEEZZNS1_14partition_implILS5_9ELb0ES3_jN6thrust23THRUST_200600_302600_NS6detail15normal_iteratorINS9_10device_ptrIsEEEESE_PNS0_10empty_typeENS0_5tupleIJSE_SF_EEENSH_IJSE_SG_EEENS0_18inequality_wrapperINS9_8equal_toIsEEEEPmJSF_EEE10hipError_tPvRmT3_T4_T5_T6_T7_T9_mT8_P12ihipStream_tbDpT10_ENKUlT_T0_E_clISt17integral_constantIbLb1EES17_IbLb0EEEEDaS13_S14_EUlS13_E_NS1_11comp_targetILNS1_3genE3ELNS1_11target_archE908ELNS1_3gpuE7ELNS1_3repE0EEENS1_30default_config_static_selectorELNS0_4arch9wavefront6targetE0EEEvT1_
		.amdhsa_group_segment_fixed_size 0
		.amdhsa_private_segment_fixed_size 0
		.amdhsa_kernarg_size 112
		.amdhsa_user_sgpr_count 15
		.amdhsa_user_sgpr_dispatch_ptr 0
		.amdhsa_user_sgpr_queue_ptr 0
		.amdhsa_user_sgpr_kernarg_segment_ptr 1
		.amdhsa_user_sgpr_dispatch_id 0
		.amdhsa_user_sgpr_private_segment_size 0
		.amdhsa_wavefront_size32 1
		.amdhsa_uses_dynamic_stack 0
		.amdhsa_enable_private_segment 0
		.amdhsa_system_sgpr_workgroup_id_x 1
		.amdhsa_system_sgpr_workgroup_id_y 0
		.amdhsa_system_sgpr_workgroup_id_z 0
		.amdhsa_system_sgpr_workgroup_info 0
		.amdhsa_system_vgpr_workitem_id 0
		.amdhsa_next_free_vgpr 1
		.amdhsa_next_free_sgpr 1
		.amdhsa_reserve_vcc 0
		.amdhsa_float_round_mode_32 0
		.amdhsa_float_round_mode_16_64 0
		.amdhsa_float_denorm_mode_32 3
		.amdhsa_float_denorm_mode_16_64 3
		.amdhsa_dx10_clamp 1
		.amdhsa_ieee_mode 1
		.amdhsa_fp16_overflow 0
		.amdhsa_workgroup_processor_mode 1
		.amdhsa_memory_ordered 1
		.amdhsa_forward_progress 0
		.amdhsa_shared_vgpr_count 0
		.amdhsa_exception_fp_ieee_invalid_op 0
		.amdhsa_exception_fp_denorm_src 0
		.amdhsa_exception_fp_ieee_div_zero 0
		.amdhsa_exception_fp_ieee_overflow 0
		.amdhsa_exception_fp_ieee_underflow 0
		.amdhsa_exception_fp_ieee_inexact 0
		.amdhsa_exception_int_div_zero 0
	.end_amdhsa_kernel
	.section	.text._ZN7rocprim17ROCPRIM_400000_NS6detail17trampoline_kernelINS0_14default_configENS1_25partition_config_selectorILNS1_17partition_subalgoE9EssbEEZZNS1_14partition_implILS5_9ELb0ES3_jN6thrust23THRUST_200600_302600_NS6detail15normal_iteratorINS9_10device_ptrIsEEEESE_PNS0_10empty_typeENS0_5tupleIJSE_SF_EEENSH_IJSE_SG_EEENS0_18inequality_wrapperINS9_8equal_toIsEEEEPmJSF_EEE10hipError_tPvRmT3_T4_T5_T6_T7_T9_mT8_P12ihipStream_tbDpT10_ENKUlT_T0_E_clISt17integral_constantIbLb1EES17_IbLb0EEEEDaS13_S14_EUlS13_E_NS1_11comp_targetILNS1_3genE3ELNS1_11target_archE908ELNS1_3gpuE7ELNS1_3repE0EEENS1_30default_config_static_selectorELNS0_4arch9wavefront6targetE0EEEvT1_,"axG",@progbits,_ZN7rocprim17ROCPRIM_400000_NS6detail17trampoline_kernelINS0_14default_configENS1_25partition_config_selectorILNS1_17partition_subalgoE9EssbEEZZNS1_14partition_implILS5_9ELb0ES3_jN6thrust23THRUST_200600_302600_NS6detail15normal_iteratorINS9_10device_ptrIsEEEESE_PNS0_10empty_typeENS0_5tupleIJSE_SF_EEENSH_IJSE_SG_EEENS0_18inequality_wrapperINS9_8equal_toIsEEEEPmJSF_EEE10hipError_tPvRmT3_T4_T5_T6_T7_T9_mT8_P12ihipStream_tbDpT10_ENKUlT_T0_E_clISt17integral_constantIbLb1EES17_IbLb0EEEEDaS13_S14_EUlS13_E_NS1_11comp_targetILNS1_3genE3ELNS1_11target_archE908ELNS1_3gpuE7ELNS1_3repE0EEENS1_30default_config_static_selectorELNS0_4arch9wavefront6targetE0EEEvT1_,comdat
.Lfunc_end488:
	.size	_ZN7rocprim17ROCPRIM_400000_NS6detail17trampoline_kernelINS0_14default_configENS1_25partition_config_selectorILNS1_17partition_subalgoE9EssbEEZZNS1_14partition_implILS5_9ELb0ES3_jN6thrust23THRUST_200600_302600_NS6detail15normal_iteratorINS9_10device_ptrIsEEEESE_PNS0_10empty_typeENS0_5tupleIJSE_SF_EEENSH_IJSE_SG_EEENS0_18inequality_wrapperINS9_8equal_toIsEEEEPmJSF_EEE10hipError_tPvRmT3_T4_T5_T6_T7_T9_mT8_P12ihipStream_tbDpT10_ENKUlT_T0_E_clISt17integral_constantIbLb1EES17_IbLb0EEEEDaS13_S14_EUlS13_E_NS1_11comp_targetILNS1_3genE3ELNS1_11target_archE908ELNS1_3gpuE7ELNS1_3repE0EEENS1_30default_config_static_selectorELNS0_4arch9wavefront6targetE0EEEvT1_, .Lfunc_end488-_ZN7rocprim17ROCPRIM_400000_NS6detail17trampoline_kernelINS0_14default_configENS1_25partition_config_selectorILNS1_17partition_subalgoE9EssbEEZZNS1_14partition_implILS5_9ELb0ES3_jN6thrust23THRUST_200600_302600_NS6detail15normal_iteratorINS9_10device_ptrIsEEEESE_PNS0_10empty_typeENS0_5tupleIJSE_SF_EEENSH_IJSE_SG_EEENS0_18inequality_wrapperINS9_8equal_toIsEEEEPmJSF_EEE10hipError_tPvRmT3_T4_T5_T6_T7_T9_mT8_P12ihipStream_tbDpT10_ENKUlT_T0_E_clISt17integral_constantIbLb1EES17_IbLb0EEEEDaS13_S14_EUlS13_E_NS1_11comp_targetILNS1_3genE3ELNS1_11target_archE908ELNS1_3gpuE7ELNS1_3repE0EEENS1_30default_config_static_selectorELNS0_4arch9wavefront6targetE0EEEvT1_
                                        ; -- End function
	.section	.AMDGPU.csdata,"",@progbits
; Kernel info:
; codeLenInByte = 0
; NumSgprs: 0
; NumVgprs: 0
; ScratchSize: 0
; MemoryBound: 0
; FloatMode: 240
; IeeeMode: 1
; LDSByteSize: 0 bytes/workgroup (compile time only)
; SGPRBlocks: 0
; VGPRBlocks: 0
; NumSGPRsForWavesPerEU: 1
; NumVGPRsForWavesPerEU: 1
; Occupancy: 16
; WaveLimiterHint : 0
; COMPUTE_PGM_RSRC2:SCRATCH_EN: 0
; COMPUTE_PGM_RSRC2:USER_SGPR: 15
; COMPUTE_PGM_RSRC2:TRAP_HANDLER: 0
; COMPUTE_PGM_RSRC2:TGID_X_EN: 1
; COMPUTE_PGM_RSRC2:TGID_Y_EN: 0
; COMPUTE_PGM_RSRC2:TGID_Z_EN: 0
; COMPUTE_PGM_RSRC2:TIDIG_COMP_CNT: 0
	.section	.text._ZN7rocprim17ROCPRIM_400000_NS6detail17trampoline_kernelINS0_14default_configENS1_25partition_config_selectorILNS1_17partition_subalgoE9EssbEEZZNS1_14partition_implILS5_9ELb0ES3_jN6thrust23THRUST_200600_302600_NS6detail15normal_iteratorINS9_10device_ptrIsEEEESE_PNS0_10empty_typeENS0_5tupleIJSE_SF_EEENSH_IJSE_SG_EEENS0_18inequality_wrapperINS9_8equal_toIsEEEEPmJSF_EEE10hipError_tPvRmT3_T4_T5_T6_T7_T9_mT8_P12ihipStream_tbDpT10_ENKUlT_T0_E_clISt17integral_constantIbLb1EES17_IbLb0EEEEDaS13_S14_EUlS13_E_NS1_11comp_targetILNS1_3genE2ELNS1_11target_archE906ELNS1_3gpuE6ELNS1_3repE0EEENS1_30default_config_static_selectorELNS0_4arch9wavefront6targetE0EEEvT1_,"axG",@progbits,_ZN7rocprim17ROCPRIM_400000_NS6detail17trampoline_kernelINS0_14default_configENS1_25partition_config_selectorILNS1_17partition_subalgoE9EssbEEZZNS1_14partition_implILS5_9ELb0ES3_jN6thrust23THRUST_200600_302600_NS6detail15normal_iteratorINS9_10device_ptrIsEEEESE_PNS0_10empty_typeENS0_5tupleIJSE_SF_EEENSH_IJSE_SG_EEENS0_18inequality_wrapperINS9_8equal_toIsEEEEPmJSF_EEE10hipError_tPvRmT3_T4_T5_T6_T7_T9_mT8_P12ihipStream_tbDpT10_ENKUlT_T0_E_clISt17integral_constantIbLb1EES17_IbLb0EEEEDaS13_S14_EUlS13_E_NS1_11comp_targetILNS1_3genE2ELNS1_11target_archE906ELNS1_3gpuE6ELNS1_3repE0EEENS1_30default_config_static_selectorELNS0_4arch9wavefront6targetE0EEEvT1_,comdat
	.protected	_ZN7rocprim17ROCPRIM_400000_NS6detail17trampoline_kernelINS0_14default_configENS1_25partition_config_selectorILNS1_17partition_subalgoE9EssbEEZZNS1_14partition_implILS5_9ELb0ES3_jN6thrust23THRUST_200600_302600_NS6detail15normal_iteratorINS9_10device_ptrIsEEEESE_PNS0_10empty_typeENS0_5tupleIJSE_SF_EEENSH_IJSE_SG_EEENS0_18inequality_wrapperINS9_8equal_toIsEEEEPmJSF_EEE10hipError_tPvRmT3_T4_T5_T6_T7_T9_mT8_P12ihipStream_tbDpT10_ENKUlT_T0_E_clISt17integral_constantIbLb1EES17_IbLb0EEEEDaS13_S14_EUlS13_E_NS1_11comp_targetILNS1_3genE2ELNS1_11target_archE906ELNS1_3gpuE6ELNS1_3repE0EEENS1_30default_config_static_selectorELNS0_4arch9wavefront6targetE0EEEvT1_ ; -- Begin function _ZN7rocprim17ROCPRIM_400000_NS6detail17trampoline_kernelINS0_14default_configENS1_25partition_config_selectorILNS1_17partition_subalgoE9EssbEEZZNS1_14partition_implILS5_9ELb0ES3_jN6thrust23THRUST_200600_302600_NS6detail15normal_iteratorINS9_10device_ptrIsEEEESE_PNS0_10empty_typeENS0_5tupleIJSE_SF_EEENSH_IJSE_SG_EEENS0_18inequality_wrapperINS9_8equal_toIsEEEEPmJSF_EEE10hipError_tPvRmT3_T4_T5_T6_T7_T9_mT8_P12ihipStream_tbDpT10_ENKUlT_T0_E_clISt17integral_constantIbLb1EES17_IbLb0EEEEDaS13_S14_EUlS13_E_NS1_11comp_targetILNS1_3genE2ELNS1_11target_archE906ELNS1_3gpuE6ELNS1_3repE0EEENS1_30default_config_static_selectorELNS0_4arch9wavefront6targetE0EEEvT1_
	.globl	_ZN7rocprim17ROCPRIM_400000_NS6detail17trampoline_kernelINS0_14default_configENS1_25partition_config_selectorILNS1_17partition_subalgoE9EssbEEZZNS1_14partition_implILS5_9ELb0ES3_jN6thrust23THRUST_200600_302600_NS6detail15normal_iteratorINS9_10device_ptrIsEEEESE_PNS0_10empty_typeENS0_5tupleIJSE_SF_EEENSH_IJSE_SG_EEENS0_18inequality_wrapperINS9_8equal_toIsEEEEPmJSF_EEE10hipError_tPvRmT3_T4_T5_T6_T7_T9_mT8_P12ihipStream_tbDpT10_ENKUlT_T0_E_clISt17integral_constantIbLb1EES17_IbLb0EEEEDaS13_S14_EUlS13_E_NS1_11comp_targetILNS1_3genE2ELNS1_11target_archE906ELNS1_3gpuE6ELNS1_3repE0EEENS1_30default_config_static_selectorELNS0_4arch9wavefront6targetE0EEEvT1_
	.p2align	8
	.type	_ZN7rocprim17ROCPRIM_400000_NS6detail17trampoline_kernelINS0_14default_configENS1_25partition_config_selectorILNS1_17partition_subalgoE9EssbEEZZNS1_14partition_implILS5_9ELb0ES3_jN6thrust23THRUST_200600_302600_NS6detail15normal_iteratorINS9_10device_ptrIsEEEESE_PNS0_10empty_typeENS0_5tupleIJSE_SF_EEENSH_IJSE_SG_EEENS0_18inequality_wrapperINS9_8equal_toIsEEEEPmJSF_EEE10hipError_tPvRmT3_T4_T5_T6_T7_T9_mT8_P12ihipStream_tbDpT10_ENKUlT_T0_E_clISt17integral_constantIbLb1EES17_IbLb0EEEEDaS13_S14_EUlS13_E_NS1_11comp_targetILNS1_3genE2ELNS1_11target_archE906ELNS1_3gpuE6ELNS1_3repE0EEENS1_30default_config_static_selectorELNS0_4arch9wavefront6targetE0EEEvT1_,@function
_ZN7rocprim17ROCPRIM_400000_NS6detail17trampoline_kernelINS0_14default_configENS1_25partition_config_selectorILNS1_17partition_subalgoE9EssbEEZZNS1_14partition_implILS5_9ELb0ES3_jN6thrust23THRUST_200600_302600_NS6detail15normal_iteratorINS9_10device_ptrIsEEEESE_PNS0_10empty_typeENS0_5tupleIJSE_SF_EEENSH_IJSE_SG_EEENS0_18inequality_wrapperINS9_8equal_toIsEEEEPmJSF_EEE10hipError_tPvRmT3_T4_T5_T6_T7_T9_mT8_P12ihipStream_tbDpT10_ENKUlT_T0_E_clISt17integral_constantIbLb1EES17_IbLb0EEEEDaS13_S14_EUlS13_E_NS1_11comp_targetILNS1_3genE2ELNS1_11target_archE906ELNS1_3gpuE6ELNS1_3repE0EEENS1_30default_config_static_selectorELNS0_4arch9wavefront6targetE0EEEvT1_: ; @_ZN7rocprim17ROCPRIM_400000_NS6detail17trampoline_kernelINS0_14default_configENS1_25partition_config_selectorILNS1_17partition_subalgoE9EssbEEZZNS1_14partition_implILS5_9ELb0ES3_jN6thrust23THRUST_200600_302600_NS6detail15normal_iteratorINS9_10device_ptrIsEEEESE_PNS0_10empty_typeENS0_5tupleIJSE_SF_EEENSH_IJSE_SG_EEENS0_18inequality_wrapperINS9_8equal_toIsEEEEPmJSF_EEE10hipError_tPvRmT3_T4_T5_T6_T7_T9_mT8_P12ihipStream_tbDpT10_ENKUlT_T0_E_clISt17integral_constantIbLb1EES17_IbLb0EEEEDaS13_S14_EUlS13_E_NS1_11comp_targetILNS1_3genE2ELNS1_11target_archE906ELNS1_3gpuE6ELNS1_3repE0EEENS1_30default_config_static_selectorELNS0_4arch9wavefront6targetE0EEEvT1_
; %bb.0:
	.section	.rodata,"a",@progbits
	.p2align	6, 0x0
	.amdhsa_kernel _ZN7rocprim17ROCPRIM_400000_NS6detail17trampoline_kernelINS0_14default_configENS1_25partition_config_selectorILNS1_17partition_subalgoE9EssbEEZZNS1_14partition_implILS5_9ELb0ES3_jN6thrust23THRUST_200600_302600_NS6detail15normal_iteratorINS9_10device_ptrIsEEEESE_PNS0_10empty_typeENS0_5tupleIJSE_SF_EEENSH_IJSE_SG_EEENS0_18inequality_wrapperINS9_8equal_toIsEEEEPmJSF_EEE10hipError_tPvRmT3_T4_T5_T6_T7_T9_mT8_P12ihipStream_tbDpT10_ENKUlT_T0_E_clISt17integral_constantIbLb1EES17_IbLb0EEEEDaS13_S14_EUlS13_E_NS1_11comp_targetILNS1_3genE2ELNS1_11target_archE906ELNS1_3gpuE6ELNS1_3repE0EEENS1_30default_config_static_selectorELNS0_4arch9wavefront6targetE0EEEvT1_
		.amdhsa_group_segment_fixed_size 0
		.amdhsa_private_segment_fixed_size 0
		.amdhsa_kernarg_size 112
		.amdhsa_user_sgpr_count 15
		.amdhsa_user_sgpr_dispatch_ptr 0
		.amdhsa_user_sgpr_queue_ptr 0
		.amdhsa_user_sgpr_kernarg_segment_ptr 1
		.amdhsa_user_sgpr_dispatch_id 0
		.amdhsa_user_sgpr_private_segment_size 0
		.amdhsa_wavefront_size32 1
		.amdhsa_uses_dynamic_stack 0
		.amdhsa_enable_private_segment 0
		.amdhsa_system_sgpr_workgroup_id_x 1
		.amdhsa_system_sgpr_workgroup_id_y 0
		.amdhsa_system_sgpr_workgroup_id_z 0
		.amdhsa_system_sgpr_workgroup_info 0
		.amdhsa_system_vgpr_workitem_id 0
		.amdhsa_next_free_vgpr 1
		.amdhsa_next_free_sgpr 1
		.amdhsa_reserve_vcc 0
		.amdhsa_float_round_mode_32 0
		.amdhsa_float_round_mode_16_64 0
		.amdhsa_float_denorm_mode_32 3
		.amdhsa_float_denorm_mode_16_64 3
		.amdhsa_dx10_clamp 1
		.amdhsa_ieee_mode 1
		.amdhsa_fp16_overflow 0
		.amdhsa_workgroup_processor_mode 1
		.amdhsa_memory_ordered 1
		.amdhsa_forward_progress 0
		.amdhsa_shared_vgpr_count 0
		.amdhsa_exception_fp_ieee_invalid_op 0
		.amdhsa_exception_fp_denorm_src 0
		.amdhsa_exception_fp_ieee_div_zero 0
		.amdhsa_exception_fp_ieee_overflow 0
		.amdhsa_exception_fp_ieee_underflow 0
		.amdhsa_exception_fp_ieee_inexact 0
		.amdhsa_exception_int_div_zero 0
	.end_amdhsa_kernel
	.section	.text._ZN7rocprim17ROCPRIM_400000_NS6detail17trampoline_kernelINS0_14default_configENS1_25partition_config_selectorILNS1_17partition_subalgoE9EssbEEZZNS1_14partition_implILS5_9ELb0ES3_jN6thrust23THRUST_200600_302600_NS6detail15normal_iteratorINS9_10device_ptrIsEEEESE_PNS0_10empty_typeENS0_5tupleIJSE_SF_EEENSH_IJSE_SG_EEENS0_18inequality_wrapperINS9_8equal_toIsEEEEPmJSF_EEE10hipError_tPvRmT3_T4_T5_T6_T7_T9_mT8_P12ihipStream_tbDpT10_ENKUlT_T0_E_clISt17integral_constantIbLb1EES17_IbLb0EEEEDaS13_S14_EUlS13_E_NS1_11comp_targetILNS1_3genE2ELNS1_11target_archE906ELNS1_3gpuE6ELNS1_3repE0EEENS1_30default_config_static_selectorELNS0_4arch9wavefront6targetE0EEEvT1_,"axG",@progbits,_ZN7rocprim17ROCPRIM_400000_NS6detail17trampoline_kernelINS0_14default_configENS1_25partition_config_selectorILNS1_17partition_subalgoE9EssbEEZZNS1_14partition_implILS5_9ELb0ES3_jN6thrust23THRUST_200600_302600_NS6detail15normal_iteratorINS9_10device_ptrIsEEEESE_PNS0_10empty_typeENS0_5tupleIJSE_SF_EEENSH_IJSE_SG_EEENS0_18inequality_wrapperINS9_8equal_toIsEEEEPmJSF_EEE10hipError_tPvRmT3_T4_T5_T6_T7_T9_mT8_P12ihipStream_tbDpT10_ENKUlT_T0_E_clISt17integral_constantIbLb1EES17_IbLb0EEEEDaS13_S14_EUlS13_E_NS1_11comp_targetILNS1_3genE2ELNS1_11target_archE906ELNS1_3gpuE6ELNS1_3repE0EEENS1_30default_config_static_selectorELNS0_4arch9wavefront6targetE0EEEvT1_,comdat
.Lfunc_end489:
	.size	_ZN7rocprim17ROCPRIM_400000_NS6detail17trampoline_kernelINS0_14default_configENS1_25partition_config_selectorILNS1_17partition_subalgoE9EssbEEZZNS1_14partition_implILS5_9ELb0ES3_jN6thrust23THRUST_200600_302600_NS6detail15normal_iteratorINS9_10device_ptrIsEEEESE_PNS0_10empty_typeENS0_5tupleIJSE_SF_EEENSH_IJSE_SG_EEENS0_18inequality_wrapperINS9_8equal_toIsEEEEPmJSF_EEE10hipError_tPvRmT3_T4_T5_T6_T7_T9_mT8_P12ihipStream_tbDpT10_ENKUlT_T0_E_clISt17integral_constantIbLb1EES17_IbLb0EEEEDaS13_S14_EUlS13_E_NS1_11comp_targetILNS1_3genE2ELNS1_11target_archE906ELNS1_3gpuE6ELNS1_3repE0EEENS1_30default_config_static_selectorELNS0_4arch9wavefront6targetE0EEEvT1_, .Lfunc_end489-_ZN7rocprim17ROCPRIM_400000_NS6detail17trampoline_kernelINS0_14default_configENS1_25partition_config_selectorILNS1_17partition_subalgoE9EssbEEZZNS1_14partition_implILS5_9ELb0ES3_jN6thrust23THRUST_200600_302600_NS6detail15normal_iteratorINS9_10device_ptrIsEEEESE_PNS0_10empty_typeENS0_5tupleIJSE_SF_EEENSH_IJSE_SG_EEENS0_18inequality_wrapperINS9_8equal_toIsEEEEPmJSF_EEE10hipError_tPvRmT3_T4_T5_T6_T7_T9_mT8_P12ihipStream_tbDpT10_ENKUlT_T0_E_clISt17integral_constantIbLb1EES17_IbLb0EEEEDaS13_S14_EUlS13_E_NS1_11comp_targetILNS1_3genE2ELNS1_11target_archE906ELNS1_3gpuE6ELNS1_3repE0EEENS1_30default_config_static_selectorELNS0_4arch9wavefront6targetE0EEEvT1_
                                        ; -- End function
	.section	.AMDGPU.csdata,"",@progbits
; Kernel info:
; codeLenInByte = 0
; NumSgprs: 0
; NumVgprs: 0
; ScratchSize: 0
; MemoryBound: 0
; FloatMode: 240
; IeeeMode: 1
; LDSByteSize: 0 bytes/workgroup (compile time only)
; SGPRBlocks: 0
; VGPRBlocks: 0
; NumSGPRsForWavesPerEU: 1
; NumVGPRsForWavesPerEU: 1
; Occupancy: 16
; WaveLimiterHint : 0
; COMPUTE_PGM_RSRC2:SCRATCH_EN: 0
; COMPUTE_PGM_RSRC2:USER_SGPR: 15
; COMPUTE_PGM_RSRC2:TRAP_HANDLER: 0
; COMPUTE_PGM_RSRC2:TGID_X_EN: 1
; COMPUTE_PGM_RSRC2:TGID_Y_EN: 0
; COMPUTE_PGM_RSRC2:TGID_Z_EN: 0
; COMPUTE_PGM_RSRC2:TIDIG_COMP_CNT: 0
	.section	.text._ZN7rocprim17ROCPRIM_400000_NS6detail17trampoline_kernelINS0_14default_configENS1_25partition_config_selectorILNS1_17partition_subalgoE9EssbEEZZNS1_14partition_implILS5_9ELb0ES3_jN6thrust23THRUST_200600_302600_NS6detail15normal_iteratorINS9_10device_ptrIsEEEESE_PNS0_10empty_typeENS0_5tupleIJSE_SF_EEENSH_IJSE_SG_EEENS0_18inequality_wrapperINS9_8equal_toIsEEEEPmJSF_EEE10hipError_tPvRmT3_T4_T5_T6_T7_T9_mT8_P12ihipStream_tbDpT10_ENKUlT_T0_E_clISt17integral_constantIbLb1EES17_IbLb0EEEEDaS13_S14_EUlS13_E_NS1_11comp_targetILNS1_3genE10ELNS1_11target_archE1200ELNS1_3gpuE4ELNS1_3repE0EEENS1_30default_config_static_selectorELNS0_4arch9wavefront6targetE0EEEvT1_,"axG",@progbits,_ZN7rocprim17ROCPRIM_400000_NS6detail17trampoline_kernelINS0_14default_configENS1_25partition_config_selectorILNS1_17partition_subalgoE9EssbEEZZNS1_14partition_implILS5_9ELb0ES3_jN6thrust23THRUST_200600_302600_NS6detail15normal_iteratorINS9_10device_ptrIsEEEESE_PNS0_10empty_typeENS0_5tupleIJSE_SF_EEENSH_IJSE_SG_EEENS0_18inequality_wrapperINS9_8equal_toIsEEEEPmJSF_EEE10hipError_tPvRmT3_T4_T5_T6_T7_T9_mT8_P12ihipStream_tbDpT10_ENKUlT_T0_E_clISt17integral_constantIbLb1EES17_IbLb0EEEEDaS13_S14_EUlS13_E_NS1_11comp_targetILNS1_3genE10ELNS1_11target_archE1200ELNS1_3gpuE4ELNS1_3repE0EEENS1_30default_config_static_selectorELNS0_4arch9wavefront6targetE0EEEvT1_,comdat
	.protected	_ZN7rocprim17ROCPRIM_400000_NS6detail17trampoline_kernelINS0_14default_configENS1_25partition_config_selectorILNS1_17partition_subalgoE9EssbEEZZNS1_14partition_implILS5_9ELb0ES3_jN6thrust23THRUST_200600_302600_NS6detail15normal_iteratorINS9_10device_ptrIsEEEESE_PNS0_10empty_typeENS0_5tupleIJSE_SF_EEENSH_IJSE_SG_EEENS0_18inequality_wrapperINS9_8equal_toIsEEEEPmJSF_EEE10hipError_tPvRmT3_T4_T5_T6_T7_T9_mT8_P12ihipStream_tbDpT10_ENKUlT_T0_E_clISt17integral_constantIbLb1EES17_IbLb0EEEEDaS13_S14_EUlS13_E_NS1_11comp_targetILNS1_3genE10ELNS1_11target_archE1200ELNS1_3gpuE4ELNS1_3repE0EEENS1_30default_config_static_selectorELNS0_4arch9wavefront6targetE0EEEvT1_ ; -- Begin function _ZN7rocprim17ROCPRIM_400000_NS6detail17trampoline_kernelINS0_14default_configENS1_25partition_config_selectorILNS1_17partition_subalgoE9EssbEEZZNS1_14partition_implILS5_9ELb0ES3_jN6thrust23THRUST_200600_302600_NS6detail15normal_iteratorINS9_10device_ptrIsEEEESE_PNS0_10empty_typeENS0_5tupleIJSE_SF_EEENSH_IJSE_SG_EEENS0_18inequality_wrapperINS9_8equal_toIsEEEEPmJSF_EEE10hipError_tPvRmT3_T4_T5_T6_T7_T9_mT8_P12ihipStream_tbDpT10_ENKUlT_T0_E_clISt17integral_constantIbLb1EES17_IbLb0EEEEDaS13_S14_EUlS13_E_NS1_11comp_targetILNS1_3genE10ELNS1_11target_archE1200ELNS1_3gpuE4ELNS1_3repE0EEENS1_30default_config_static_selectorELNS0_4arch9wavefront6targetE0EEEvT1_
	.globl	_ZN7rocprim17ROCPRIM_400000_NS6detail17trampoline_kernelINS0_14default_configENS1_25partition_config_selectorILNS1_17partition_subalgoE9EssbEEZZNS1_14partition_implILS5_9ELb0ES3_jN6thrust23THRUST_200600_302600_NS6detail15normal_iteratorINS9_10device_ptrIsEEEESE_PNS0_10empty_typeENS0_5tupleIJSE_SF_EEENSH_IJSE_SG_EEENS0_18inequality_wrapperINS9_8equal_toIsEEEEPmJSF_EEE10hipError_tPvRmT3_T4_T5_T6_T7_T9_mT8_P12ihipStream_tbDpT10_ENKUlT_T0_E_clISt17integral_constantIbLb1EES17_IbLb0EEEEDaS13_S14_EUlS13_E_NS1_11comp_targetILNS1_3genE10ELNS1_11target_archE1200ELNS1_3gpuE4ELNS1_3repE0EEENS1_30default_config_static_selectorELNS0_4arch9wavefront6targetE0EEEvT1_
	.p2align	8
	.type	_ZN7rocprim17ROCPRIM_400000_NS6detail17trampoline_kernelINS0_14default_configENS1_25partition_config_selectorILNS1_17partition_subalgoE9EssbEEZZNS1_14partition_implILS5_9ELb0ES3_jN6thrust23THRUST_200600_302600_NS6detail15normal_iteratorINS9_10device_ptrIsEEEESE_PNS0_10empty_typeENS0_5tupleIJSE_SF_EEENSH_IJSE_SG_EEENS0_18inequality_wrapperINS9_8equal_toIsEEEEPmJSF_EEE10hipError_tPvRmT3_T4_T5_T6_T7_T9_mT8_P12ihipStream_tbDpT10_ENKUlT_T0_E_clISt17integral_constantIbLb1EES17_IbLb0EEEEDaS13_S14_EUlS13_E_NS1_11comp_targetILNS1_3genE10ELNS1_11target_archE1200ELNS1_3gpuE4ELNS1_3repE0EEENS1_30default_config_static_selectorELNS0_4arch9wavefront6targetE0EEEvT1_,@function
_ZN7rocprim17ROCPRIM_400000_NS6detail17trampoline_kernelINS0_14default_configENS1_25partition_config_selectorILNS1_17partition_subalgoE9EssbEEZZNS1_14partition_implILS5_9ELb0ES3_jN6thrust23THRUST_200600_302600_NS6detail15normal_iteratorINS9_10device_ptrIsEEEESE_PNS0_10empty_typeENS0_5tupleIJSE_SF_EEENSH_IJSE_SG_EEENS0_18inequality_wrapperINS9_8equal_toIsEEEEPmJSF_EEE10hipError_tPvRmT3_T4_T5_T6_T7_T9_mT8_P12ihipStream_tbDpT10_ENKUlT_T0_E_clISt17integral_constantIbLb1EES17_IbLb0EEEEDaS13_S14_EUlS13_E_NS1_11comp_targetILNS1_3genE10ELNS1_11target_archE1200ELNS1_3gpuE4ELNS1_3repE0EEENS1_30default_config_static_selectorELNS0_4arch9wavefront6targetE0EEEvT1_: ; @_ZN7rocprim17ROCPRIM_400000_NS6detail17trampoline_kernelINS0_14default_configENS1_25partition_config_selectorILNS1_17partition_subalgoE9EssbEEZZNS1_14partition_implILS5_9ELb0ES3_jN6thrust23THRUST_200600_302600_NS6detail15normal_iteratorINS9_10device_ptrIsEEEESE_PNS0_10empty_typeENS0_5tupleIJSE_SF_EEENSH_IJSE_SG_EEENS0_18inequality_wrapperINS9_8equal_toIsEEEEPmJSF_EEE10hipError_tPvRmT3_T4_T5_T6_T7_T9_mT8_P12ihipStream_tbDpT10_ENKUlT_T0_E_clISt17integral_constantIbLb1EES17_IbLb0EEEEDaS13_S14_EUlS13_E_NS1_11comp_targetILNS1_3genE10ELNS1_11target_archE1200ELNS1_3gpuE4ELNS1_3repE0EEENS1_30default_config_static_selectorELNS0_4arch9wavefront6targetE0EEEvT1_
; %bb.0:
	.section	.rodata,"a",@progbits
	.p2align	6, 0x0
	.amdhsa_kernel _ZN7rocprim17ROCPRIM_400000_NS6detail17trampoline_kernelINS0_14default_configENS1_25partition_config_selectorILNS1_17partition_subalgoE9EssbEEZZNS1_14partition_implILS5_9ELb0ES3_jN6thrust23THRUST_200600_302600_NS6detail15normal_iteratorINS9_10device_ptrIsEEEESE_PNS0_10empty_typeENS0_5tupleIJSE_SF_EEENSH_IJSE_SG_EEENS0_18inequality_wrapperINS9_8equal_toIsEEEEPmJSF_EEE10hipError_tPvRmT3_T4_T5_T6_T7_T9_mT8_P12ihipStream_tbDpT10_ENKUlT_T0_E_clISt17integral_constantIbLb1EES17_IbLb0EEEEDaS13_S14_EUlS13_E_NS1_11comp_targetILNS1_3genE10ELNS1_11target_archE1200ELNS1_3gpuE4ELNS1_3repE0EEENS1_30default_config_static_selectorELNS0_4arch9wavefront6targetE0EEEvT1_
		.amdhsa_group_segment_fixed_size 0
		.amdhsa_private_segment_fixed_size 0
		.amdhsa_kernarg_size 112
		.amdhsa_user_sgpr_count 15
		.amdhsa_user_sgpr_dispatch_ptr 0
		.amdhsa_user_sgpr_queue_ptr 0
		.amdhsa_user_sgpr_kernarg_segment_ptr 1
		.amdhsa_user_sgpr_dispatch_id 0
		.amdhsa_user_sgpr_private_segment_size 0
		.amdhsa_wavefront_size32 1
		.amdhsa_uses_dynamic_stack 0
		.amdhsa_enable_private_segment 0
		.amdhsa_system_sgpr_workgroup_id_x 1
		.amdhsa_system_sgpr_workgroup_id_y 0
		.amdhsa_system_sgpr_workgroup_id_z 0
		.amdhsa_system_sgpr_workgroup_info 0
		.amdhsa_system_vgpr_workitem_id 0
		.amdhsa_next_free_vgpr 1
		.amdhsa_next_free_sgpr 1
		.amdhsa_reserve_vcc 0
		.amdhsa_float_round_mode_32 0
		.amdhsa_float_round_mode_16_64 0
		.amdhsa_float_denorm_mode_32 3
		.amdhsa_float_denorm_mode_16_64 3
		.amdhsa_dx10_clamp 1
		.amdhsa_ieee_mode 1
		.amdhsa_fp16_overflow 0
		.amdhsa_workgroup_processor_mode 1
		.amdhsa_memory_ordered 1
		.amdhsa_forward_progress 0
		.amdhsa_shared_vgpr_count 0
		.amdhsa_exception_fp_ieee_invalid_op 0
		.amdhsa_exception_fp_denorm_src 0
		.amdhsa_exception_fp_ieee_div_zero 0
		.amdhsa_exception_fp_ieee_overflow 0
		.amdhsa_exception_fp_ieee_underflow 0
		.amdhsa_exception_fp_ieee_inexact 0
		.amdhsa_exception_int_div_zero 0
	.end_amdhsa_kernel
	.section	.text._ZN7rocprim17ROCPRIM_400000_NS6detail17trampoline_kernelINS0_14default_configENS1_25partition_config_selectorILNS1_17partition_subalgoE9EssbEEZZNS1_14partition_implILS5_9ELb0ES3_jN6thrust23THRUST_200600_302600_NS6detail15normal_iteratorINS9_10device_ptrIsEEEESE_PNS0_10empty_typeENS0_5tupleIJSE_SF_EEENSH_IJSE_SG_EEENS0_18inequality_wrapperINS9_8equal_toIsEEEEPmJSF_EEE10hipError_tPvRmT3_T4_T5_T6_T7_T9_mT8_P12ihipStream_tbDpT10_ENKUlT_T0_E_clISt17integral_constantIbLb1EES17_IbLb0EEEEDaS13_S14_EUlS13_E_NS1_11comp_targetILNS1_3genE10ELNS1_11target_archE1200ELNS1_3gpuE4ELNS1_3repE0EEENS1_30default_config_static_selectorELNS0_4arch9wavefront6targetE0EEEvT1_,"axG",@progbits,_ZN7rocprim17ROCPRIM_400000_NS6detail17trampoline_kernelINS0_14default_configENS1_25partition_config_selectorILNS1_17partition_subalgoE9EssbEEZZNS1_14partition_implILS5_9ELb0ES3_jN6thrust23THRUST_200600_302600_NS6detail15normal_iteratorINS9_10device_ptrIsEEEESE_PNS0_10empty_typeENS0_5tupleIJSE_SF_EEENSH_IJSE_SG_EEENS0_18inequality_wrapperINS9_8equal_toIsEEEEPmJSF_EEE10hipError_tPvRmT3_T4_T5_T6_T7_T9_mT8_P12ihipStream_tbDpT10_ENKUlT_T0_E_clISt17integral_constantIbLb1EES17_IbLb0EEEEDaS13_S14_EUlS13_E_NS1_11comp_targetILNS1_3genE10ELNS1_11target_archE1200ELNS1_3gpuE4ELNS1_3repE0EEENS1_30default_config_static_selectorELNS0_4arch9wavefront6targetE0EEEvT1_,comdat
.Lfunc_end490:
	.size	_ZN7rocprim17ROCPRIM_400000_NS6detail17trampoline_kernelINS0_14default_configENS1_25partition_config_selectorILNS1_17partition_subalgoE9EssbEEZZNS1_14partition_implILS5_9ELb0ES3_jN6thrust23THRUST_200600_302600_NS6detail15normal_iteratorINS9_10device_ptrIsEEEESE_PNS0_10empty_typeENS0_5tupleIJSE_SF_EEENSH_IJSE_SG_EEENS0_18inequality_wrapperINS9_8equal_toIsEEEEPmJSF_EEE10hipError_tPvRmT3_T4_T5_T6_T7_T9_mT8_P12ihipStream_tbDpT10_ENKUlT_T0_E_clISt17integral_constantIbLb1EES17_IbLb0EEEEDaS13_S14_EUlS13_E_NS1_11comp_targetILNS1_3genE10ELNS1_11target_archE1200ELNS1_3gpuE4ELNS1_3repE0EEENS1_30default_config_static_selectorELNS0_4arch9wavefront6targetE0EEEvT1_, .Lfunc_end490-_ZN7rocprim17ROCPRIM_400000_NS6detail17trampoline_kernelINS0_14default_configENS1_25partition_config_selectorILNS1_17partition_subalgoE9EssbEEZZNS1_14partition_implILS5_9ELb0ES3_jN6thrust23THRUST_200600_302600_NS6detail15normal_iteratorINS9_10device_ptrIsEEEESE_PNS0_10empty_typeENS0_5tupleIJSE_SF_EEENSH_IJSE_SG_EEENS0_18inequality_wrapperINS9_8equal_toIsEEEEPmJSF_EEE10hipError_tPvRmT3_T4_T5_T6_T7_T9_mT8_P12ihipStream_tbDpT10_ENKUlT_T0_E_clISt17integral_constantIbLb1EES17_IbLb0EEEEDaS13_S14_EUlS13_E_NS1_11comp_targetILNS1_3genE10ELNS1_11target_archE1200ELNS1_3gpuE4ELNS1_3repE0EEENS1_30default_config_static_selectorELNS0_4arch9wavefront6targetE0EEEvT1_
                                        ; -- End function
	.section	.AMDGPU.csdata,"",@progbits
; Kernel info:
; codeLenInByte = 0
; NumSgprs: 0
; NumVgprs: 0
; ScratchSize: 0
; MemoryBound: 0
; FloatMode: 240
; IeeeMode: 1
; LDSByteSize: 0 bytes/workgroup (compile time only)
; SGPRBlocks: 0
; VGPRBlocks: 0
; NumSGPRsForWavesPerEU: 1
; NumVGPRsForWavesPerEU: 1
; Occupancy: 16
; WaveLimiterHint : 0
; COMPUTE_PGM_RSRC2:SCRATCH_EN: 0
; COMPUTE_PGM_RSRC2:USER_SGPR: 15
; COMPUTE_PGM_RSRC2:TRAP_HANDLER: 0
; COMPUTE_PGM_RSRC2:TGID_X_EN: 1
; COMPUTE_PGM_RSRC2:TGID_Y_EN: 0
; COMPUTE_PGM_RSRC2:TGID_Z_EN: 0
; COMPUTE_PGM_RSRC2:TIDIG_COMP_CNT: 0
	.section	.text._ZN7rocprim17ROCPRIM_400000_NS6detail17trampoline_kernelINS0_14default_configENS1_25partition_config_selectorILNS1_17partition_subalgoE9EssbEEZZNS1_14partition_implILS5_9ELb0ES3_jN6thrust23THRUST_200600_302600_NS6detail15normal_iteratorINS9_10device_ptrIsEEEESE_PNS0_10empty_typeENS0_5tupleIJSE_SF_EEENSH_IJSE_SG_EEENS0_18inequality_wrapperINS9_8equal_toIsEEEEPmJSF_EEE10hipError_tPvRmT3_T4_T5_T6_T7_T9_mT8_P12ihipStream_tbDpT10_ENKUlT_T0_E_clISt17integral_constantIbLb1EES17_IbLb0EEEEDaS13_S14_EUlS13_E_NS1_11comp_targetILNS1_3genE9ELNS1_11target_archE1100ELNS1_3gpuE3ELNS1_3repE0EEENS1_30default_config_static_selectorELNS0_4arch9wavefront6targetE0EEEvT1_,"axG",@progbits,_ZN7rocprim17ROCPRIM_400000_NS6detail17trampoline_kernelINS0_14default_configENS1_25partition_config_selectorILNS1_17partition_subalgoE9EssbEEZZNS1_14partition_implILS5_9ELb0ES3_jN6thrust23THRUST_200600_302600_NS6detail15normal_iteratorINS9_10device_ptrIsEEEESE_PNS0_10empty_typeENS0_5tupleIJSE_SF_EEENSH_IJSE_SG_EEENS0_18inequality_wrapperINS9_8equal_toIsEEEEPmJSF_EEE10hipError_tPvRmT3_T4_T5_T6_T7_T9_mT8_P12ihipStream_tbDpT10_ENKUlT_T0_E_clISt17integral_constantIbLb1EES17_IbLb0EEEEDaS13_S14_EUlS13_E_NS1_11comp_targetILNS1_3genE9ELNS1_11target_archE1100ELNS1_3gpuE3ELNS1_3repE0EEENS1_30default_config_static_selectorELNS0_4arch9wavefront6targetE0EEEvT1_,comdat
	.protected	_ZN7rocprim17ROCPRIM_400000_NS6detail17trampoline_kernelINS0_14default_configENS1_25partition_config_selectorILNS1_17partition_subalgoE9EssbEEZZNS1_14partition_implILS5_9ELb0ES3_jN6thrust23THRUST_200600_302600_NS6detail15normal_iteratorINS9_10device_ptrIsEEEESE_PNS0_10empty_typeENS0_5tupleIJSE_SF_EEENSH_IJSE_SG_EEENS0_18inequality_wrapperINS9_8equal_toIsEEEEPmJSF_EEE10hipError_tPvRmT3_T4_T5_T6_T7_T9_mT8_P12ihipStream_tbDpT10_ENKUlT_T0_E_clISt17integral_constantIbLb1EES17_IbLb0EEEEDaS13_S14_EUlS13_E_NS1_11comp_targetILNS1_3genE9ELNS1_11target_archE1100ELNS1_3gpuE3ELNS1_3repE0EEENS1_30default_config_static_selectorELNS0_4arch9wavefront6targetE0EEEvT1_ ; -- Begin function _ZN7rocprim17ROCPRIM_400000_NS6detail17trampoline_kernelINS0_14default_configENS1_25partition_config_selectorILNS1_17partition_subalgoE9EssbEEZZNS1_14partition_implILS5_9ELb0ES3_jN6thrust23THRUST_200600_302600_NS6detail15normal_iteratorINS9_10device_ptrIsEEEESE_PNS0_10empty_typeENS0_5tupleIJSE_SF_EEENSH_IJSE_SG_EEENS0_18inequality_wrapperINS9_8equal_toIsEEEEPmJSF_EEE10hipError_tPvRmT3_T4_T5_T6_T7_T9_mT8_P12ihipStream_tbDpT10_ENKUlT_T0_E_clISt17integral_constantIbLb1EES17_IbLb0EEEEDaS13_S14_EUlS13_E_NS1_11comp_targetILNS1_3genE9ELNS1_11target_archE1100ELNS1_3gpuE3ELNS1_3repE0EEENS1_30default_config_static_selectorELNS0_4arch9wavefront6targetE0EEEvT1_
	.globl	_ZN7rocprim17ROCPRIM_400000_NS6detail17trampoline_kernelINS0_14default_configENS1_25partition_config_selectorILNS1_17partition_subalgoE9EssbEEZZNS1_14partition_implILS5_9ELb0ES3_jN6thrust23THRUST_200600_302600_NS6detail15normal_iteratorINS9_10device_ptrIsEEEESE_PNS0_10empty_typeENS0_5tupleIJSE_SF_EEENSH_IJSE_SG_EEENS0_18inequality_wrapperINS9_8equal_toIsEEEEPmJSF_EEE10hipError_tPvRmT3_T4_T5_T6_T7_T9_mT8_P12ihipStream_tbDpT10_ENKUlT_T0_E_clISt17integral_constantIbLb1EES17_IbLb0EEEEDaS13_S14_EUlS13_E_NS1_11comp_targetILNS1_3genE9ELNS1_11target_archE1100ELNS1_3gpuE3ELNS1_3repE0EEENS1_30default_config_static_selectorELNS0_4arch9wavefront6targetE0EEEvT1_
	.p2align	8
	.type	_ZN7rocprim17ROCPRIM_400000_NS6detail17trampoline_kernelINS0_14default_configENS1_25partition_config_selectorILNS1_17partition_subalgoE9EssbEEZZNS1_14partition_implILS5_9ELb0ES3_jN6thrust23THRUST_200600_302600_NS6detail15normal_iteratorINS9_10device_ptrIsEEEESE_PNS0_10empty_typeENS0_5tupleIJSE_SF_EEENSH_IJSE_SG_EEENS0_18inequality_wrapperINS9_8equal_toIsEEEEPmJSF_EEE10hipError_tPvRmT3_T4_T5_T6_T7_T9_mT8_P12ihipStream_tbDpT10_ENKUlT_T0_E_clISt17integral_constantIbLb1EES17_IbLb0EEEEDaS13_S14_EUlS13_E_NS1_11comp_targetILNS1_3genE9ELNS1_11target_archE1100ELNS1_3gpuE3ELNS1_3repE0EEENS1_30default_config_static_selectorELNS0_4arch9wavefront6targetE0EEEvT1_,@function
_ZN7rocprim17ROCPRIM_400000_NS6detail17trampoline_kernelINS0_14default_configENS1_25partition_config_selectorILNS1_17partition_subalgoE9EssbEEZZNS1_14partition_implILS5_9ELb0ES3_jN6thrust23THRUST_200600_302600_NS6detail15normal_iteratorINS9_10device_ptrIsEEEESE_PNS0_10empty_typeENS0_5tupleIJSE_SF_EEENSH_IJSE_SG_EEENS0_18inequality_wrapperINS9_8equal_toIsEEEEPmJSF_EEE10hipError_tPvRmT3_T4_T5_T6_T7_T9_mT8_P12ihipStream_tbDpT10_ENKUlT_T0_E_clISt17integral_constantIbLb1EES17_IbLb0EEEEDaS13_S14_EUlS13_E_NS1_11comp_targetILNS1_3genE9ELNS1_11target_archE1100ELNS1_3gpuE3ELNS1_3repE0EEENS1_30default_config_static_selectorELNS0_4arch9wavefront6targetE0EEEvT1_: ; @_ZN7rocprim17ROCPRIM_400000_NS6detail17trampoline_kernelINS0_14default_configENS1_25partition_config_selectorILNS1_17partition_subalgoE9EssbEEZZNS1_14partition_implILS5_9ELb0ES3_jN6thrust23THRUST_200600_302600_NS6detail15normal_iteratorINS9_10device_ptrIsEEEESE_PNS0_10empty_typeENS0_5tupleIJSE_SF_EEENSH_IJSE_SG_EEENS0_18inequality_wrapperINS9_8equal_toIsEEEEPmJSF_EEE10hipError_tPvRmT3_T4_T5_T6_T7_T9_mT8_P12ihipStream_tbDpT10_ENKUlT_T0_E_clISt17integral_constantIbLb1EES17_IbLb0EEEEDaS13_S14_EUlS13_E_NS1_11comp_targetILNS1_3genE9ELNS1_11target_archE1100ELNS1_3gpuE3ELNS1_3repE0EEENS1_30default_config_static_selectorELNS0_4arch9wavefront6targetE0EEEvT1_
; %bb.0:
	s_clause 0x4
	s_load_b128 s[4:7], s[0:1], 0x8
	s_load_b32 s12, s[0:1], 0x68
	s_load_b128 s[16:19], s[0:1], 0x40
	s_load_b64 s[2:3], s[0:1], 0x50
	s_load_b64 s[8:9], s[0:1], 0x18
	s_waitcnt lgkmcnt(0)
	s_lshl_b64 s[10:11], s[6:7], 1
	s_mul_i32 s13, s12, 0x600
	s_add_u32 s22, s4, s10
	s_addc_u32 s23, s5, s11
	s_add_i32 s4, s13, s6
	s_load_b64 s[18:19], s[18:19], 0x0
	s_sub_i32 s20, s2, s4
	s_add_i32 s12, s12, -1
	s_addk_i32 s20, 0x600
	s_add_u32 s4, s6, s13
	s_addc_u32 s5, s7, 0
	s_cmp_eq_u32 s15, s12
	v_cmp_ge_u64_e64 s4, s[4:5], s[2:3]
	s_cselect_b32 s13, -1, 0
	s_mov_b32 s3, 0
	s_mul_i32 s2, s15, 0x600
	s_delay_alu instid0(VALU_DEP_1)
	s_and_b32 s21, s13, s4
	s_lshl_b64 s[4:5], s[2:3], 1
	s_xor_b32 s14, s21, -1
	s_add_u32 s12, s22, s4
	s_addc_u32 s3, s23, s5
	s_and_b32 vcc_lo, exec_lo, s14
	s_mov_b32 s22, -1
	s_cbranch_vccz .LBB491_2
; %bb.1:
	v_lshlrev_b32_e32 v3, 1, v0
	s_mov_b32 s22, 0
	s_delay_alu instid0(VALU_DEP_1) | instskip(NEXT) | instid1(VALU_DEP_1)
	v_add_co_u32 v1, s2, s12, v3
	v_add_co_ci_u32_e64 v2, null, s3, 0, s2
	s_clause 0xb
	flat_load_u16 v4, v[1:2]
	flat_load_u16 v5, v[1:2] offset:256
	flat_load_u16 v6, v[1:2] offset:512
	;; [unrolled: 1-line block ×11, first 2 shown]
	s_waitcnt vmcnt(11) lgkmcnt(0)
	ds_store_b16 v3, v4
	s_waitcnt vmcnt(10)
	ds_store_b16 v3, v5 offset:256
	s_waitcnt vmcnt(9)
	ds_store_b16 v3, v6 offset:512
	;; [unrolled: 2-line block ×11, first 2 shown]
	s_waitcnt lgkmcnt(0)
	s_barrier
.LBB491_2:
	v_cmp_gt_u32_e64 s2, s20, v0
	s_and_not1_b32 vcc_lo, exec_lo, s22
	s_cbranch_vccnz .LBB491_28
; %bb.3:
                                        ; implicit-def: $vgpr1_vgpr2_vgpr3_vgpr4_vgpr5_vgpr6_vgpr7_vgpr8
	s_delay_alu instid0(VALU_DEP_1)
	s_and_saveexec_b32 s22, s2
	s_cbranch_execz .LBB491_5
; %bb.4:
	v_lshlrev_b32_e32 v1, 1, v0
	s_delay_alu instid0(VALU_DEP_1) | instskip(NEXT) | instid1(VALU_DEP_1)
	v_add_co_u32 v1, s2, s12, v1
	v_add_co_ci_u32_e64 v2, null, s3, 0, s2
	flat_load_d16_b16 v1, v[1:2]
.LBB491_5:
	s_or_b32 exec_lo, exec_lo, s22
	v_or_b32_e32 v7, 0x80, v0
	s_mov_b32 s2, exec_lo
	s_delay_alu instid0(VALU_DEP_1)
	v_cmpx_gt_u32_e64 s20, v7
	s_cbranch_execz .LBB491_7
; %bb.6:
	v_lshlrev_b32_e32 v7, 1, v0
	s_delay_alu instid0(VALU_DEP_1) | instskip(NEXT) | instid1(VALU_DEP_1)
	v_add_co_u32 v7, s22, s12, v7
	v_add_co_ci_u32_e64 v8, null, s3, 0, s22
	s_waitcnt vmcnt(0) lgkmcnt(0)
	flat_load_d16_hi_b16 v1, v[7:8] offset:256
.LBB491_7:
	s_or_b32 exec_lo, exec_lo, s2
	v_or_b32_e32 v7, 0x100, v0
	s_mov_b32 s2, exec_lo
	s_delay_alu instid0(VALU_DEP_1)
	v_cmpx_gt_u32_e64 s20, v7
	s_cbranch_execz .LBB491_9
; %bb.8:
	v_lshlrev_b32_e32 v7, 1, v0
	s_delay_alu instid0(VALU_DEP_1) | instskip(NEXT) | instid1(VALU_DEP_1)
	v_add_co_u32 v7, s22, s12, v7
	v_add_co_ci_u32_e64 v8, null, s3, 0, s22
	flat_load_d16_b16 v2, v[7:8] offset:512
.LBB491_9:
	s_or_b32 exec_lo, exec_lo, s2
	v_or_b32_e32 v7, 0x180, v0
	s_mov_b32 s2, exec_lo
	s_delay_alu instid0(VALU_DEP_1)
	v_cmpx_gt_u32_e64 s20, v7
	s_cbranch_execz .LBB491_11
; %bb.10:
	v_lshlrev_b32_e32 v7, 1, v0
	s_delay_alu instid0(VALU_DEP_1) | instskip(NEXT) | instid1(VALU_DEP_1)
	v_add_co_u32 v7, s22, s12, v7
	v_add_co_ci_u32_e64 v8, null, s3, 0, s22
	s_waitcnt vmcnt(0) lgkmcnt(0)
	flat_load_d16_hi_b16 v2, v[7:8] offset:768
.LBB491_11:
	s_or_b32 exec_lo, exec_lo, s2
	v_or_b32_e32 v7, 0x200, v0
	s_mov_b32 s2, exec_lo
	s_delay_alu instid0(VALU_DEP_1)
	v_cmpx_gt_u32_e64 s20, v7
	s_cbranch_execz .LBB491_13
; %bb.12:
	v_lshlrev_b32_e32 v7, 1, v0
	s_delay_alu instid0(VALU_DEP_1) | instskip(NEXT) | instid1(VALU_DEP_1)
	v_add_co_u32 v7, s22, s12, v7
	v_add_co_ci_u32_e64 v8, null, s3, 0, s22
	flat_load_d16_b16 v3, v[7:8] offset:1024
.LBB491_13:
	;; [unrolled: 27-line block ×5, first 2 shown]
	s_or_b32 exec_lo, exec_lo, s2
	v_or_b32_e32 v7, 0x580, v0
	s_mov_b32 s2, exec_lo
	s_delay_alu instid0(VALU_DEP_1)
	v_cmpx_gt_u32_e64 s20, v7
	s_cbranch_execz .LBB491_27
; %bb.26:
	v_lshlrev_b32_e32 v7, 1, v0
	s_delay_alu instid0(VALU_DEP_1) | instskip(NEXT) | instid1(VALU_DEP_1)
	v_add_co_u32 v7, s22, s12, v7
	v_add_co_ci_u32_e64 v8, null, s3, 0, s22
	s_waitcnt vmcnt(0) lgkmcnt(0)
	flat_load_d16_hi_b16 v6, v[7:8] offset:2816
.LBB491_27:
	s_or_b32 exec_lo, exec_lo, s2
	v_lshlrev_b32_e32 v7, 1, v0
	s_waitcnt vmcnt(0) lgkmcnt(0)
	ds_store_b16 v7, v1
	ds_store_b16_d16_hi v7, v1 offset:256
	ds_store_b16 v7, v2 offset:512
	ds_store_b16_d16_hi v7, v2 offset:768
	ds_store_b16 v7, v3 offset:1024
	;; [unrolled: 2-line block ×5, first 2 shown]
	ds_store_b16_d16_hi v7, v6 offset:2816
	s_waitcnt lgkmcnt(0)
	s_barrier
.LBB491_28:
	v_mul_u32_u24_e32 v1, 12, v0
	s_waitcnt lgkmcnt(0)
	buffer_gl0_inv
	s_add_u32 s2, s8, s10
	s_addc_u32 s8, s9, s11
	s_add_u32 s2, s2, s4
	v_lshlrev_b32_e32 v8, 1, v1
	s_addc_u32 s4, s8, s5
	s_and_b32 vcc_lo, exec_lo, s14
	s_mov_b32 s5, -1
	ds_load_2addr_b64 v[18:21], v8 offset1:1
	ds_load_b64 v[27:28], v8 offset:16
	s_waitcnt lgkmcnt(0)
	s_barrier
	buffer_gl0_inv
	s_cbranch_vccz .LBB491_30
; %bb.29:
	v_lshlrev_b32_e32 v4, 1, v0
	s_delay_alu instid0(VALU_DEP_1) | instskip(NEXT) | instid1(VALU_DEP_1)
	v_add_co_u32 v2, s5, s2, v4
	v_add_co_ci_u32_e64 v3, null, s4, 0, s5
	s_mov_b32 s5, 0
	s_clause 0xb
	flat_load_u16 v5, v[2:3]
	flat_load_u16 v6, v[2:3] offset:256
	flat_load_u16 v7, v[2:3] offset:512
	;; [unrolled: 1-line block ×11, first 2 shown]
	s_waitcnt vmcnt(11) lgkmcnt(11)
	ds_store_b16 v4, v5
	s_waitcnt vmcnt(10) lgkmcnt(11)
	ds_store_b16 v4, v6 offset:256
	s_waitcnt vmcnt(9) lgkmcnt(11)
	ds_store_b16 v4, v7 offset:512
	;; [unrolled: 2-line block ×11, first 2 shown]
	s_waitcnt lgkmcnt(0)
	s_barrier
.LBB491_30:
	s_and_not1_b32 vcc_lo, exec_lo, s5
	s_cbranch_vccnz .LBB491_56
; %bb.31:
	s_mov_b32 s5, exec_lo
                                        ; implicit-def: $vgpr2
	v_cmpx_gt_u32_e64 s20, v0
	s_cbranch_execz .LBB491_33
; %bb.32:
	v_lshlrev_b32_e32 v2, 1, v0
	s_delay_alu instid0(VALU_DEP_1) | instskip(NEXT) | instid1(VALU_DEP_1)
	v_add_co_u32 v2, s8, s2, v2
	v_add_co_ci_u32_e64 v3, null, s4, 0, s8
	flat_load_u16 v2, v[2:3]
.LBB491_33:
	s_or_b32 exec_lo, exec_lo, s5
	v_or_b32_e32 v3, 0x80, v0
	s_delay_alu instid0(VALU_DEP_1)
	v_cmp_gt_u32_e32 vcc_lo, s20, v3
                                        ; implicit-def: $vgpr3
	s_and_saveexec_b32 s5, vcc_lo
	s_cbranch_execz .LBB491_35
; %bb.34:
	v_lshlrev_b32_e32 v3, 1, v0
	s_delay_alu instid0(VALU_DEP_1) | instskip(NEXT) | instid1(VALU_DEP_1)
	v_add_co_u32 v3, s8, s2, v3
	v_add_co_ci_u32_e64 v4, null, s4, 0, s8
	flat_load_u16 v3, v[3:4] offset:256
.LBB491_35:
	s_or_b32 exec_lo, exec_lo, s5
	v_or_b32_e32 v4, 0x100, v0
	s_delay_alu instid0(VALU_DEP_1)
	v_cmp_gt_u32_e32 vcc_lo, s20, v4
                                        ; implicit-def: $vgpr4
	s_and_saveexec_b32 s5, vcc_lo
	s_cbranch_execz .LBB491_37
; %bb.36:
	v_lshlrev_b32_e32 v4, 1, v0
	s_delay_alu instid0(VALU_DEP_1) | instskip(NEXT) | instid1(VALU_DEP_1)
	v_add_co_u32 v4, s8, s2, v4
	v_add_co_ci_u32_e64 v5, null, s4, 0, s8
	flat_load_u16 v4, v[4:5] offset:512
.LBB491_37:
	s_or_b32 exec_lo, exec_lo, s5
	v_or_b32_e32 v5, 0x180, v0
	s_delay_alu instid0(VALU_DEP_1)
	v_cmp_gt_u32_e32 vcc_lo, s20, v5
                                        ; implicit-def: $vgpr5
	s_and_saveexec_b32 s5, vcc_lo
	s_cbranch_execz .LBB491_39
; %bb.38:
	v_lshlrev_b32_e32 v5, 1, v0
	s_delay_alu instid0(VALU_DEP_1) | instskip(NEXT) | instid1(VALU_DEP_1)
	v_add_co_u32 v5, s8, s2, v5
	v_add_co_ci_u32_e64 v6, null, s4, 0, s8
	flat_load_u16 v5, v[5:6] offset:768
.LBB491_39:
	s_or_b32 exec_lo, exec_lo, s5
	v_or_b32_e32 v6, 0x200, v0
	s_delay_alu instid0(VALU_DEP_1)
	v_cmp_gt_u32_e32 vcc_lo, s20, v6
                                        ; implicit-def: $vgpr6
	s_and_saveexec_b32 s5, vcc_lo
	s_cbranch_execz .LBB491_41
; %bb.40:
	v_lshlrev_b32_e32 v6, 1, v0
	s_delay_alu instid0(VALU_DEP_1) | instskip(NEXT) | instid1(VALU_DEP_1)
	v_add_co_u32 v6, s8, s2, v6
	v_add_co_ci_u32_e64 v7, null, s4, 0, s8
	flat_load_u16 v6, v[6:7] offset:1024
.LBB491_41:
	s_or_b32 exec_lo, exec_lo, s5
	v_or_b32_e32 v7, 0x280, v0
	s_delay_alu instid0(VALU_DEP_1)
	v_cmp_gt_u32_e32 vcc_lo, s20, v7
                                        ; implicit-def: $vgpr7
	s_and_saveexec_b32 s5, vcc_lo
	s_cbranch_execz .LBB491_43
; %bb.42:
	v_lshlrev_b32_e32 v7, 1, v0
	s_delay_alu instid0(VALU_DEP_1) | instskip(NEXT) | instid1(VALU_DEP_1)
	v_add_co_u32 v9, s8, s2, v7
	v_add_co_ci_u32_e64 v10, null, s4, 0, s8
	flat_load_u16 v7, v[9:10] offset:1280
.LBB491_43:
	s_or_b32 exec_lo, exec_lo, s5
	v_or_b32_e32 v9, 0x300, v0
	s_delay_alu instid0(VALU_DEP_1)
	v_cmp_gt_u32_e32 vcc_lo, s20, v9
                                        ; implicit-def: $vgpr9
	s_and_saveexec_b32 s5, vcc_lo
	s_cbranch_execz .LBB491_45
; %bb.44:
	v_lshlrev_b32_e32 v9, 1, v0
	s_delay_alu instid0(VALU_DEP_1) | instskip(NEXT) | instid1(VALU_DEP_1)
	v_add_co_u32 v9, s8, s2, v9
	v_add_co_ci_u32_e64 v10, null, s4, 0, s8
	flat_load_u16 v9, v[9:10] offset:1536
.LBB491_45:
	s_or_b32 exec_lo, exec_lo, s5
	v_or_b32_e32 v10, 0x380, v0
	s_delay_alu instid0(VALU_DEP_1)
	v_cmp_gt_u32_e32 vcc_lo, s20, v10
                                        ; implicit-def: $vgpr10
	s_and_saveexec_b32 s5, vcc_lo
	s_cbranch_execz .LBB491_47
; %bb.46:
	v_lshlrev_b32_e32 v10, 1, v0
	s_delay_alu instid0(VALU_DEP_1) | instskip(NEXT) | instid1(VALU_DEP_1)
	v_add_co_u32 v10, s8, s2, v10
	v_add_co_ci_u32_e64 v11, null, s4, 0, s8
	flat_load_u16 v10, v[10:11] offset:1792
.LBB491_47:
	s_or_b32 exec_lo, exec_lo, s5
	v_or_b32_e32 v11, 0x400, v0
	s_delay_alu instid0(VALU_DEP_1)
	v_cmp_gt_u32_e32 vcc_lo, s20, v11
                                        ; implicit-def: $vgpr11
	s_and_saveexec_b32 s5, vcc_lo
	s_cbranch_execz .LBB491_49
; %bb.48:
	v_lshlrev_b32_e32 v11, 1, v0
	s_delay_alu instid0(VALU_DEP_1) | instskip(NEXT) | instid1(VALU_DEP_1)
	v_add_co_u32 v11, s8, s2, v11
	v_add_co_ci_u32_e64 v12, null, s4, 0, s8
	flat_load_u16 v11, v[11:12] offset:2048
.LBB491_49:
	s_or_b32 exec_lo, exec_lo, s5
	v_or_b32_e32 v12, 0x480, v0
	s_delay_alu instid0(VALU_DEP_1)
	v_cmp_gt_u32_e32 vcc_lo, s20, v12
                                        ; implicit-def: $vgpr12
	s_and_saveexec_b32 s5, vcc_lo
	s_cbranch_execz .LBB491_51
; %bb.50:
	v_lshlrev_b32_e32 v12, 1, v0
	s_delay_alu instid0(VALU_DEP_1) | instskip(NEXT) | instid1(VALU_DEP_1)
	v_add_co_u32 v12, s8, s2, v12
	v_add_co_ci_u32_e64 v13, null, s4, 0, s8
	flat_load_u16 v12, v[12:13] offset:2304
.LBB491_51:
	s_or_b32 exec_lo, exec_lo, s5
	v_or_b32_e32 v13, 0x500, v0
	s_delay_alu instid0(VALU_DEP_1)
	v_cmp_gt_u32_e32 vcc_lo, s20, v13
                                        ; implicit-def: $vgpr13
	s_and_saveexec_b32 s5, vcc_lo
	s_cbranch_execz .LBB491_53
; %bb.52:
	v_lshlrev_b32_e32 v13, 1, v0
	s_delay_alu instid0(VALU_DEP_1) | instskip(NEXT) | instid1(VALU_DEP_1)
	v_add_co_u32 v13, s8, s2, v13
	v_add_co_ci_u32_e64 v14, null, s4, 0, s8
	flat_load_u16 v13, v[13:14] offset:2560
.LBB491_53:
	s_or_b32 exec_lo, exec_lo, s5
	v_or_b32_e32 v14, 0x580, v0
	s_delay_alu instid0(VALU_DEP_1)
	v_cmp_gt_u32_e32 vcc_lo, s20, v14
                                        ; implicit-def: $vgpr14
	s_and_saveexec_b32 s5, vcc_lo
	s_cbranch_execz .LBB491_55
; %bb.54:
	v_lshlrev_b32_e32 v14, 1, v0
	s_delay_alu instid0(VALU_DEP_1) | instskip(NEXT) | instid1(VALU_DEP_1)
	v_add_co_u32 v14, s2, s2, v14
	v_add_co_ci_u32_e64 v15, null, s4, 0, s2
	flat_load_u16 v14, v[14:15] offset:2816
.LBB491_55:
	s_or_b32 exec_lo, exec_lo, s5
	v_mad_i32_i24 v15, 0xffffffea, v0, v8
	s_waitcnt vmcnt(0) lgkmcnt(0)
	ds_store_b16 v15, v2
	ds_store_b16 v15, v3 offset:256
	ds_store_b16 v15, v4 offset:512
	;; [unrolled: 1-line block ×11, first 2 shown]
	s_waitcnt lgkmcnt(0)
	s_barrier
.LBB491_56:
	buffer_gl0_inv
	ds_load_2addr_b64 v[14:17], v8 offset1:1
	ds_load_b64 v[25:26], v8 offset:16
	s_cmp_lg_u32 s15, 0
	v_lshrrev_b32_e32 v41, 16, v18
	s_cselect_b32 s22, -1, 0
	s_cmp_lg_u64 s[6:7], 0
	v_lshrrev_b32_e32 v40, 16, v19
	s_cselect_b32 s2, -1, 0
	v_lshrrev_b32_e32 v39, 16, v20
	v_lshrrev_b32_e32 v38, 16, v21
	v_or_b32_e32 v12, 1, v1
	v_or_b32_e32 v6, 2, v1
	;; [unrolled: 1-line block ×3, first 2 shown]
	v_add_nc_u32_e32 v7, 4, v1
	v_add_nc_u32_e32 v5, 5, v1
	;; [unrolled: 1-line block ×5, first 2 shown]
	v_lshrrev_b32_e32 v37, 16, v27
	v_lshrrev_b32_e32 v31, 16, v28
	v_add_nc_u32_e32 v10, 9, v1
	v_add_nc_u32_e32 v8, 10, v1
	;; [unrolled: 1-line block ×3, first 2 shown]
	s_or_b32 s2, s22, s2
	s_mov_b32 s23, 0
	s_and_b32 vcc_lo, exec_lo, s2
	s_waitcnt lgkmcnt(0)
	s_barrier
	buffer_gl0_inv
	s_cbranch_vccz .LBB491_61
; %bb.57:
	v_add_co_u32 v22, s2, -2, s12
	s_delay_alu instid0(VALU_DEP_1)
	v_add_co_ci_u32_e64 v23, null, -1, s3, s2
	v_lshlrev_b32_e32 v29, 1, v0
	s_mov_b32 s3, -1
	s_and_b32 vcc_lo, exec_lo, s14
	flat_load_u16 v13, v[22:23]
	ds_store_b16 v29, v31
	s_cbranch_vccz .LBB491_62
; %bb.58:
	s_waitcnt vmcnt(0) lgkmcnt(1)
	v_mov_b32_e32 v22, v13
	s_mov_b32 s3, 0
	s_mov_b32 s2, exec_lo
	s_waitcnt lgkmcnt(0)
	s_barrier
	buffer_gl0_inv
	v_cmpx_ne_u32_e32 0, v0
	s_cbranch_execz .LBB491_60
; %bb.59:
	v_add_nc_u32_e32 v22, -2, v29
	ds_load_u16 v22, v22
.LBB491_60:
	s_or_b32 exec_lo, exec_lo, s2
	v_cmp_ne_u16_e32 vcc_lo, v28, v31
	s_waitcnt lgkmcnt(0)
	v_cmp_ne_u16_e64 s2, v22, v18
	v_cndmask_b32_e64 v23, 0, 1, vcc_lo
	v_cmp_ne_u16_e32 vcc_lo, v37, v28
	s_delay_alu instid0(VALU_DEP_2) | instskip(SKIP_2) | instid1(VALU_DEP_2)
	v_lshlrev_b16 v23, 8, v23
	v_cndmask_b32_e64 v24, 0, 1, vcc_lo
	v_cmp_ne_u16_e32 vcc_lo, v27, v37
	v_or_b32_e32 v23, v24, v23
	v_cndmask_b32_e64 v30, 0, 1, vcc_lo
	v_cmp_ne_u16_e32 vcc_lo, v38, v27
	s_delay_alu instid0(VALU_DEP_2) | instskip(SKIP_2) | instid1(VALU_DEP_2)
	v_lshlrev_b16 v30, 8, v30
	v_cndmask_b32_e64 v32, 0, 1, vcc_lo
	v_cmp_ne_u16_e32 vcc_lo, v19, v40
	v_or_b32_e32 v30, v32, v30
	v_cndmask_b32_e64 v33, 0, 1, vcc_lo
	v_cmp_ne_u16_e32 vcc_lo, v21, v38
	s_delay_alu instid0(VALU_DEP_3) | instskip(NEXT) | instid1(VALU_DEP_3)
	v_and_b32_e32 v30, 0xffff, v30
	v_lshlrev_b16 v33, 8, v33
	v_cndmask_b32_e64 v34, 0, 1, vcc_lo
	v_cmp_ne_u16_e32 vcc_lo, v41, v19
	s_delay_alu instid0(VALU_DEP_2) | instskip(SKIP_2) | instid1(VALU_DEP_2)
	v_lshlrev_b16 v34, 8, v34
	v_cndmask_b32_e64 v35, 0, 1, vcc_lo
	v_cmp_ne_u16_e32 vcc_lo, v39, v21
	v_or_b32_e32 v33, v35, v33
	v_cndmask_b32_e64 v36, 0, 1, vcc_lo
	v_cmp_ne_u16_e32 vcc_lo, v20, v39
	s_delay_alu instid0(VALU_DEP_3) | instskip(NEXT) | instid1(VALU_DEP_3)
	v_lshlrev_b32_e32 v33, 16, v33
	v_or_b32_e32 v34, v36, v34
	v_cndmask_b32_e64 v42, 0, 1, vcc_lo
	v_cmp_ne_u16_e32 vcc_lo, v40, v20
	s_delay_alu instid0(VALU_DEP_3) | instskip(NEXT) | instid1(VALU_DEP_3)
	v_lshlrev_b32_e32 v34, 16, v34
	v_lshlrev_b16 v42, 8, v42
	v_cndmask_b32_e64 v35, 0, 1, vcc_lo
	v_cmp_ne_u16_e32 vcc_lo, v18, v41
	s_delay_alu instid0(VALU_DEP_2) | instskip(SKIP_1) | instid1(VALU_DEP_2)
	v_or_b32_e32 v35, v35, v42
	v_cndmask_b32_e64 v43, 0, 1, vcc_lo
	v_and_b32_e32 v32, 0xffff, v35
	s_delay_alu instid0(VALU_DEP_2) | instskip(SKIP_1) | instid1(VALU_DEP_3)
	v_lshlrev_b16 v43, 8, v43
	v_lshlrev_b32_e32 v35, 16, v23
	v_or_b32_e32 v23, v32, v34
	s_delay_alu instid0(VALU_DEP_3) | instskip(NEXT) | instid1(VALU_DEP_3)
	v_and_b32_e32 v24, 0xffff, v43
	v_or_b32_e32 v36, v30, v35
	s_delay_alu instid0(VALU_DEP_2)
	v_or_b32_e32 v22, v24, v33
	s_and_b32 vcc_lo, exec_lo, s3
	s_cbranch_vccnz .LBB491_63
	s_branch .LBB491_66
.LBB491_61:
                                        ; implicit-def: $sgpr2
                                        ; implicit-def: $vgpr36
                                        ; implicit-def: $vgpr22_vgpr23_vgpr24
	s_branch .LBB491_67
.LBB491_62:
                                        ; implicit-def: $sgpr2
                                        ; implicit-def: $vgpr36
                                        ; implicit-def: $vgpr22_vgpr23_vgpr24
	s_and_b32 vcc_lo, exec_lo, s3
	s_cbranch_vccz .LBB491_66
.LBB491_63:
	s_mov_b32 s2, exec_lo
	s_waitcnt vmcnt(0) lgkmcnt(0)
	s_barrier
	buffer_gl0_inv
	v_cmpx_ne_u32_e32 0, v0
	s_cbranch_execz .LBB491_65
; %bb.64:
	v_add_nc_u32_e32 v13, -2, v29
	ds_load_u16 v13, v13
.LBB491_65:
	s_or_b32 exec_lo, exec_lo, s2
	v_cmp_gt_u32_e32 vcc_lo, s20, v9
	v_cmp_ne_u16_e64 s2, v28, v31
	v_cmp_gt_u32_e64 s3, s20, v8
	v_cmp_ne_u16_e64 s4, v37, v28
	v_cmp_gt_u32_e64 s5, s20, v10
	v_cmp_ne_u16_e64 s6, v27, v37
	s_and_b32 s2, vcc_lo, s2
	v_cmp_gt_u32_e32 vcc_lo, s20, v11
	v_cndmask_b32_e64 v22, 0, 1, s2
	s_and_b32 s2, s3, s4
	v_cmp_gt_u32_e64 s3, s20, v2
	v_cndmask_b32_e64 v23, 0, 1, s2
	s_and_b32 s2, s5, s6
	v_cmp_ne_u16_e64 s4, v21, v38
	v_cndmask_b32_e64 v24, 0, 1, s2
	v_cmp_ne_u16_e64 s2, v38, v27
	v_cmp_gt_u32_e64 s5, s20, v3
	v_cmp_ne_u16_e64 s6, v39, v21
	v_lshlrev_b16 v22, 8, v22
	v_lshlrev_b16 v24, 8, v24
	s_and_b32 s2, vcc_lo, s2
	v_cmp_gt_u32_e32 vcc_lo, s20, v4
	v_cndmask_b32_e64 v29, 0, 1, s2
	s_and_b32 s2, s3, s4
	v_cmp_gt_u32_e64 s3, s20, v5
	v_cndmask_b32_e64 v30, 0, 1, s2
	s_and_b32 s2, s5, s6
	v_cmp_gt_u32_e64 s5, s20, v6
	v_cndmask_b32_e64 v32, 0, 1, s2
	v_cmp_ne_u16_e64 s2, v19, v40
	v_cmp_ne_u16_e64 s6, v41, v19
	;; [unrolled: 1-line block ×3, first 2 shown]
	v_lshlrev_b16 v30, 8, v30
	v_or_b32_e32 v24, v29, v24
	s_and_b32 s2, vcc_lo, s2
	v_cmp_gt_u32_e32 vcc_lo, s20, v7
	v_cndmask_b32_e64 v33, 0, 1, s2
	v_cmp_ne_u16_e64 s2, v40, v20
	s_and_b32 s5, s5, s6
	v_cmp_ne_u16_e64 s6, v18, v41
	v_cndmask_b32_e64 v34, 0, 1, s5
	v_lshlrev_b16 v33, 8, v33
	v_cmp_gt_u32_e64 s5, s20, v12
	s_and_b32 s3, s3, s4
	s_and_b32 s2, vcc_lo, s2
	v_cndmask_b32_e64 v35, 0, 1, s3
	v_or_b32_e32 v33, v34, v33
	v_cndmask_b32_e64 v34, 0, 1, s2
	s_and_b32 s2, s5, s6
	v_or_b32_e32 v30, v32, v30
	v_cndmask_b32_e64 v36, 0, 1, s2
	v_lshlrev_b16 v35, 8, v35
	v_or_b32_e32 v22, v23, v22
	v_lshlrev_b32_e32 v33, 16, v33
	v_lshlrev_b32_e32 v30, 16, v30
	v_lshlrev_b16 v36, 8, v36
	v_or_b32_e32 v34, v34, v35
	v_and_b32_e32 v24, 0xffff, v24
	v_lshlrev_b32_e32 v32, 16, v22
	v_cmp_gt_u32_e32 vcc_lo, s20, v1
	v_and_b32_e32 v23, 0xffff, v36
	v_and_b32_e32 v29, 0xffff, v34
	s_waitcnt lgkmcnt(0)
	v_cmp_ne_u16_e64 s2, v13, v18
	v_or_b32_e32 v36, v24, v32
	v_or_b32_e32 v22, v23, v33
	;; [unrolled: 1-line block ×3, first 2 shown]
	s_delay_alu instid0(VALU_DEP_4)
	s_and_b32 s2, vcc_lo, s2
.LBB491_66:
	s_mov_b32 s23, -1
	s_cbranch_execnz .LBB491_75
.LBB491_67:
	s_waitcnt vmcnt(0) lgkmcnt(1)
	v_lshlrev_b32_e32 v13, 1, v0
	v_cmp_ne_u16_e64 s8, v28, v31
	v_cmp_ne_u16_e64 s9, v37, v28
	;; [unrolled: 1-line block ×11, first 2 shown]
	s_and_b32 vcc_lo, exec_lo, s14
	ds_store_b16 v13, v31
	s_cbranch_vccz .LBB491_71
; %bb.68:
	v_cndmask_b32_e64 v22, 0, 1, s12
	v_cndmask_b32_e64 v23, 0, 1, s8
	;; [unrolled: 1-line block ×5, first 2 shown]
	v_lshlrev_b16 v22, 8, v22
	v_cndmask_b32_e64 v35, 0, 1, s7
	v_cndmask_b32_e64 v36, 0, 1, s3
	;; [unrolled: 1-line block ×5, first 2 shown]
	v_or_b32_e32 v22, v29, v22
	v_cndmask_b32_e64 v29, 0, 1, s2
	v_lshlrev_b16 v23, 8, v23
	v_lshlrev_b16 v33, 8, v33
	;; [unrolled: 1-line block ×5, first 2 shown]
	v_or_b32_e32 v23, v24, v23
	v_or_b32_e32 v24, v34, v33
	;; [unrolled: 1-line block ×5, first 2 shown]
	v_and_b32_e32 v22, 0xffff, v22
	v_lshlrev_b32_e32 v23, 16, v23
	v_and_b32_e32 v24, 0xffff, v24
	v_lshlrev_b32_e32 v30, 16, v30
	v_lshlrev_b32_e32 v29, 16, v29
	v_and_b32_e32 v32, 0xffff, v32
	v_or_b32_e32 v36, v22, v23
	s_mov_b32 s3, 0
	v_or_b32_e32 v23, v24, v30
	s_mov_b32 s4, exec_lo
	v_or_b32_e32 v22, v32, v29
	s_waitcnt lgkmcnt(0)
	s_barrier
	buffer_gl0_inv
                                        ; implicit-def: $sgpr2
	v_cmpx_ne_u32_e32 0, v0
	s_xor_b32 s4, exec_lo, s4
	s_cbranch_execz .LBB491_70
; %bb.69:
	v_add_nc_u32_e32 v24, -2, v13
	s_or_b32 s23, s23, exec_lo
	ds_load_u16 v24, v24
	s_waitcnt lgkmcnt(0)
	v_cmp_ne_u16_e32 vcc_lo, v24, v18
	s_and_b32 s2, vcc_lo, exec_lo
.LBB491_70:
	s_or_b32 exec_lo, exec_lo, s4
	s_delay_alu instid0(SALU_CYCLE_1)
	s_and_b32 vcc_lo, exec_lo, s3
	s_cbranch_vccnz .LBB491_72
	s_branch .LBB491_75
.LBB491_71:
                                        ; implicit-def: $sgpr2
                                        ; implicit-def: $vgpr36
                                        ; implicit-def: $vgpr22_vgpr23_vgpr24
	s_cbranch_execz .LBB491_75
.LBB491_72:
	v_cmp_gt_u32_e32 vcc_lo, s20, v9
	v_cmp_ne_u16_e64 s2, v28, v31
	v_cmp_gt_u32_e64 s3, s20, v8
	v_cmp_ne_u16_e64 s4, v37, v28
	v_cmp_gt_u32_e64 s5, s20, v2
	v_cmp_ne_u16_e64 s6, v21, v38
	s_and_b32 s2, vcc_lo, s2
	v_cmp_gt_u32_e32 vcc_lo, s20, v10
	v_cndmask_b32_e64 v22, 0, 1, s2
	s_and_b32 s2, s3, s4
	v_cmp_gt_u32_e64 s3, s20, v11
	v_cndmask_b32_e64 v23, 0, 1, s2
	v_cmp_ne_u16_e64 s2, v27, v37
	v_cmp_ne_u16_e64 s4, v38, v27
	v_lshlrev_b16 v22, 8, v22
	s_waitcnt lgkmcnt(0)
	s_barrier
	s_and_b32 s2, vcc_lo, s2
	v_cmp_gt_u32_e32 vcc_lo, s20, v3
	v_cndmask_b32_e64 v24, 0, 1, s2
	s_and_b32 s2, s3, s4
	v_cmp_gt_u32_e64 s3, s20, v5
	v_cndmask_b32_e64 v29, 0, 1, s2
	s_and_b32 s2, s5, s6
	v_cmp_ne_u16_e64 s4, v20, v39
	v_cndmask_b32_e64 v30, 0, 1, s2
	v_cmp_ne_u16_e64 s2, v39, v21
	v_cmp_gt_u32_e64 s5, s20, v7
	v_cmp_ne_u16_e64 s6, v40, v20
	v_lshlrev_b16 v24, 8, v24
	v_lshlrev_b16 v30, 8, v30
	s_and_b32 s2, vcc_lo, s2
	v_cmp_gt_u32_e32 vcc_lo, s20, v4
	v_cndmask_b32_e64 v32, 0, 1, s2
	s_and_b32 s2, s3, s4
	v_cmp_gt_u32_e64 s3, s20, v6
	v_cndmask_b32_e64 v33, 0, 1, s2
	s_and_b32 s2, s5, s6
	v_cmp_ne_u16_e64 s4, v41, v19
	v_cndmask_b32_e64 v34, 0, 1, s2
	v_cmp_ne_u16_e64 s2, v19, v40
	v_cmp_gt_u32_e64 s5, s20, v12
	v_cmp_ne_u16_e64 s6, v18, v41
	v_or_b32_e32 v24, v29, v24
	v_lshlrev_b16 v33, 8, v33
	s_and_b32 s2, vcc_lo, s2
	v_or_b32_e32 v22, v23, v22
	v_cndmask_b32_e64 v35, 0, 1, s2
	s_and_b32 s2, s3, s4
	v_or_b32_e32 v23, v34, v33
	v_cndmask_b32_e64 v29, 0, 1, s2
	s_and_b32 s2, s5, s6
	v_lshlrev_b16 v35, 8, v35
	v_cndmask_b32_e64 v36, 0, 1, s2
	v_or_b32_e32 v30, v32, v30
	v_and_b32_e32 v24, 0xffff, v24
	v_lshlrev_b32_e32 v22, 16, v22
	v_or_b32_e32 v29, v29, v35
	v_lshlrev_b16 v36, 8, v36
	v_and_b32_e32 v23, 0xffff, v23
	v_lshlrev_b32_e32 v30, 16, v30
	s_mov_b32 s3, exec_lo
	v_lshlrev_b32_e32 v29, 16, v29
	v_or_b32_e32 v32, 1, v36
	v_or_b32_e32 v36, v24, v22
	;; [unrolled: 1-line block ×3, first 2 shown]
	buffer_gl0_inv
                                        ; implicit-def: $sgpr2
	v_and_b32_e32 v32, 0xffff, v32
	s_delay_alu instid0(VALU_DEP_1)
	v_or_b32_e32 v22, v32, v29
	v_cmpx_ne_u32_e32 0, v0
	s_cbranch_execz .LBB491_74
; %bb.73:
	v_add_nc_u32_e32 v13, -2, v13
	v_cmp_gt_u32_e32 vcc_lo, s20, v1
	s_or_b32 s23, s23, exec_lo
	ds_load_u16 v13, v13
	s_waitcnt lgkmcnt(0)
	v_cmp_ne_u16_e64 s2, v13, v18
	s_delay_alu instid0(VALU_DEP_1) | instskip(NEXT) | instid1(SALU_CYCLE_1)
	s_and_b32 s2, vcc_lo, s2
	s_and_b32 s2, s2, exec_lo
.LBB491_74:
	s_or_b32 exec_lo, exec_lo, s3
.LBB491_75:
	s_and_saveexec_b32 s3, s23
	s_cbranch_execz .LBB491_77
; %bb.76:
	s_waitcnt vmcnt(0) lgkmcnt(1)
	v_and_b32_e32 v13, 0xffffff00, v22
	v_cndmask_b32_e64 v24, 0, 1, s2
	s_delay_alu instid0(VALU_DEP_1) | instskip(NEXT) | instid1(VALU_DEP_1)
	v_or_b32_e32 v13, v24, v13
	v_and_b32_e32 v13, 0xffff, v13
	s_delay_alu instid0(VALU_DEP_1)
	v_and_or_b32 v22, 0xffff0000, v22, v13
.LBB491_77:
	s_or_b32 exec_lo, exec_lo, s3
	s_load_b64 s[10:11], s[0:1], 0x60
	s_and_not1_b32 vcc_lo, exec_lo, s21
	s_cbranch_vccnz .LBB491_79
; %bb.78:
	v_cmp_gt_u32_e32 vcc_lo, s20, v1
	v_cmp_gt_u32_e64 s3, s20, v6
	v_cmp_gt_u32_e64 s5, s20, v4
	;; [unrolled: 1-line block ×4, first 2 shown]
	v_cndmask_b32_e32 v1, 0, v22, vcc_lo
	v_cmp_gt_u32_e32 vcc_lo, s20, v12
	v_and_b32_e32 v12, 0xffffff00, v23
	v_cmp_gt_u32_e64 s6, s20, v3
	s_delay_alu instid0(VALU_DEP_4) | instskip(NEXT) | instid1(VALU_DEP_3)
	v_and_b32_e32 v1, 0xff, v1
	v_cndmask_b32_e64 v7, v12, v23, s2
	s_delay_alu instid0(VALU_DEP_2) | instskip(SKIP_1) | instid1(VALU_DEP_3)
	v_cndmask_b32_e32 v1, v1, v22, vcc_lo
	v_cmp_gt_u32_e32 vcc_lo, s20, v11
	v_and_b32_e32 v7, 0xffff00ff, v7
	s_delay_alu instid0(VALU_DEP_3) | instskip(SKIP_1) | instid1(VALU_DEP_3)
	v_and_b32_e32 v1, 0xffff, v1
	v_cndmask_b32_e32 v11, 0, v36, vcc_lo
	v_cndmask_b32_e64 v5, v7, v23, s4
	s_delay_alu instid0(VALU_DEP_3) | instskip(SKIP_1) | instid1(VALU_DEP_3)
	v_cndmask_b32_e64 v1, v1, v22, s3
	v_cmp_gt_u32_e64 s3, s20, v10
	v_and_b32_e32 v5, 0xff00ffff, v5
	s_delay_alu instid0(VALU_DEP_3) | instskip(NEXT) | instid1(VALU_DEP_2)
	v_and_b32_e32 v1, 0xffffff, v1
	v_cndmask_b32_e64 v3, v5, v23, s6
	s_delay_alu instid0(VALU_DEP_2) | instskip(SKIP_1) | instid1(VALU_DEP_2)
	v_cndmask_b32_e64 v1, v1, v22, s5
	v_cmp_gt_u32_e64 s5, s20, v8
	v_cndmask_b32_e64 v1, v1, v22, s2
	v_cmp_gt_u32_e64 s2, s20, v9
	s_delay_alu instid0(VALU_DEP_2) | instskip(SKIP_2) | instid1(VALU_DEP_3)
	v_cndmask_b32_e64 v1, v1, v22, s4
	v_cmp_gt_u32_e64 s4, s20, v2
	v_and_b32_e32 v2, 0xffffff, v3
	v_cndmask_b32_e64 v1, v1, v22, s6
	v_and_b32_e32 v11, 0xff, v11
	s_delay_alu instid0(VALU_DEP_1) | instskip(NEXT) | instid1(VALU_DEP_1)
	v_cndmask_b32_e64 v6, v11, v36, s3
	v_and_b32_e32 v6, 0xffff, v6
	s_delay_alu instid0(VALU_DEP_1) | instskip(NEXT) | instid1(VALU_DEP_1)
	v_cndmask_b32_e64 v4, v6, v36, s5
	v_and_b32_e32 v4, 0xffffff, v4
	s_delay_alu instid0(VALU_DEP_1) | instskip(SKIP_1) | instid1(SALU_CYCLE_1)
	v_cndmask_b32_e64 v36, v4, v36, s2
	s_or_b32 s2, s2, s5
	s_or_b32 s2, s2, s3
	s_delay_alu instid0(SALU_CYCLE_1) | instskip(NEXT) | instid1(SALU_CYCLE_1)
	s_or_b32 s2, s2, vcc_lo
	s_or_b32 vcc_lo, s2, s4
	v_dual_cndmask_b32 v22, v1, v22 :: v_dual_cndmask_b32 v23, v2, v23
.LBB491_79:
	s_delay_alu instid0(VALU_DEP_1) | instskip(NEXT) | instid1(VALU_DEP_2)
	v_and_b32_e32 v42, 0xff, v22
	v_alignbit_b32 v1, v23, v22, 24
	v_bfe_u32 v43, v22, 8, 8
	v_bfe_u32 v44, v22, 16, 8
	v_and_b32_e32 v46, 0xff, v23
	v_bfe_u32 v47, v23, 8, 8
	v_and_b32_e32 v45, 0xff, v1
	v_dual_mov_b32 v1, v36 :: v_dual_add_nc_u32 v2, v43, v42
	v_bfe_u32 v48, v23, 16, 8
	v_lshrrev_b32_e32 v24, 24, v23
	v_and_b32_e32 v49, 0xff, v36
	v_mbcnt_lo_u32_b32 v52, -1, 0
	v_add3_u32 v2, v2, v44, v45
	v_bfe_u32 v50, v36, 8, 8
	v_alignbit_b32 v3, s0, v36, 24
	v_bfe_u32 v51, v36, 16, 8
	v_and_b32_e32 v4, 15, v52
	v_add3_u32 v2, v2, v46, v47
	v_or_b32_e32 v5, 31, v0
	v_and_b32_e32 v3, 0xff, v3
	v_and_b32_e32 v6, 16, v52
	v_cmp_eq_u32_e64 s7, 0, v4
	v_add3_u32 v2, v2, v48, v24
	v_cmp_lt_u32_e64 s6, 1, v4
	v_cmp_lt_u32_e64 s5, 3, v4
	;; [unrolled: 1-line block ×3, first 2 shown]
	v_cmp_eq_u32_e64 s3, 0, v6
	v_add3_u32 v2, v2, v49, v50
	v_lshrrev_b32_e32 v53, 5, v0
	v_cmp_eq_u32_e64 s2, v5, v0
	s_and_b32 vcc_lo, exec_lo, s22
	s_mov_b32 s8, -1
	v_add3_u32 v54, v2, v51, v3
	s_waitcnt vmcnt(0) lgkmcnt(0)
	s_barrier
	buffer_gl0_inv
	s_cbranch_vccz .LBB491_110
; %bb.80:
	v_mov_b32_dpp v2, v54 row_shr:1 row_mask:0xf bank_mask:0xf
	s_delay_alu instid0(VALU_DEP_1) | instskip(NEXT) | instid1(VALU_DEP_1)
	v_cndmask_b32_e64 v2, v2, 0, s7
	v_add_nc_u32_e32 v2, v2, v54
	s_delay_alu instid0(VALU_DEP_1) | instskip(NEXT) | instid1(VALU_DEP_1)
	v_mov_b32_dpp v3, v2 row_shr:2 row_mask:0xf bank_mask:0xf
	v_cndmask_b32_e64 v3, 0, v3, s6
	s_delay_alu instid0(VALU_DEP_1) | instskip(NEXT) | instid1(VALU_DEP_1)
	v_add_nc_u32_e32 v2, v2, v3
	v_mov_b32_dpp v3, v2 row_shr:4 row_mask:0xf bank_mask:0xf
	s_delay_alu instid0(VALU_DEP_1) | instskip(NEXT) | instid1(VALU_DEP_1)
	v_cndmask_b32_e64 v3, 0, v3, s5
	v_add_nc_u32_e32 v2, v2, v3
	s_delay_alu instid0(VALU_DEP_1) | instskip(NEXT) | instid1(VALU_DEP_1)
	v_mov_b32_dpp v3, v2 row_shr:8 row_mask:0xf bank_mask:0xf
	v_cndmask_b32_e64 v3, 0, v3, s4
	s_delay_alu instid0(VALU_DEP_1) | instskip(SKIP_3) | instid1(VALU_DEP_1)
	v_add_nc_u32_e32 v2, v2, v3
	ds_swizzle_b32 v3, v2 offset:swizzle(BROADCAST,32,15)
	s_waitcnt lgkmcnt(0)
	v_cndmask_b32_e64 v3, v3, 0, s3
	v_add_nc_u32_e32 v2, v2, v3
	s_and_saveexec_b32 s8, s2
	s_cbranch_execz .LBB491_82
; %bb.81:
	v_lshlrev_b32_e32 v3, 2, v53
	ds_store_b32 v3, v2
.LBB491_82:
	s_or_b32 exec_lo, exec_lo, s8
	s_delay_alu instid0(SALU_CYCLE_1)
	s_mov_b32 s8, exec_lo
	s_waitcnt lgkmcnt(0)
	s_barrier
	buffer_gl0_inv
	v_cmpx_gt_u32_e32 4, v0
	s_cbranch_execz .LBB491_84
; %bb.83:
	v_and_b32_e32 v5, 3, v52
	s_delay_alu instid0(VALU_DEP_1) | instskip(SKIP_4) | instid1(VALU_DEP_1)
	v_cmp_ne_u32_e32 vcc_lo, 0, v5
	v_lshlrev_b32_e32 v3, 2, v0
	ds_load_b32 v4, v3
	s_waitcnt lgkmcnt(0)
	v_mov_b32_dpp v6, v4 row_shr:1 row_mask:0xf bank_mask:0xf
	v_cndmask_b32_e32 v6, 0, v6, vcc_lo
	v_cmp_lt_u32_e32 vcc_lo, 1, v5
	s_delay_alu instid0(VALU_DEP_2) | instskip(NEXT) | instid1(VALU_DEP_1)
	v_add_nc_u32_e32 v4, v6, v4
	v_mov_b32_dpp v6, v4 row_shr:2 row_mask:0xf bank_mask:0xf
	s_delay_alu instid0(VALU_DEP_1) | instskip(NEXT) | instid1(VALU_DEP_1)
	v_cndmask_b32_e32 v5, 0, v6, vcc_lo
	v_add_nc_u32_e32 v4, v4, v5
	ds_store_b32 v3, v4
.LBB491_84:
	s_or_b32 exec_lo, exec_lo, s8
	v_cmp_gt_u32_e32 vcc_lo, 32, v0
	s_mov_b32 s9, exec_lo
	s_waitcnt lgkmcnt(0)
	s_barrier
	buffer_gl0_inv
                                        ; implicit-def: $vgpr10
	v_cmpx_lt_u32_e32 31, v0
	s_cbranch_execz .LBB491_86
; %bb.85:
	v_lshl_add_u32 v3, v53, 2, -4
	ds_load_b32 v10, v3
	s_waitcnt lgkmcnt(0)
	v_add_nc_u32_e32 v2, v10, v2
.LBB491_86:
	s_or_b32 exec_lo, exec_lo, s9
	v_add_nc_u32_e32 v3, -1, v52
	s_delay_alu instid0(VALU_DEP_1) | instskip(NEXT) | instid1(VALU_DEP_1)
	v_cmp_gt_i32_e64 s8, 0, v3
	v_cndmask_b32_e64 v3, v3, v52, s8
	v_cmp_eq_u32_e64 s8, 0, v52
	s_delay_alu instid0(VALU_DEP_2)
	v_lshlrev_b32_e32 v3, 2, v3
	ds_bpermute_b32 v11, v3, v2
	s_and_saveexec_b32 s9, vcc_lo
	s_cbranch_execz .LBB491_109
; %bb.87:
	v_mov_b32_e32 v6, 0
	ds_load_b32 v2, v6 offset:12
	s_and_saveexec_b32 s12, s8
	s_cbranch_execz .LBB491_89
; %bb.88:
	s_add_i32 s20, s15, 32
	s_mov_b32 s21, 0
	v_mov_b32_e32 v3, 1
	s_lshl_b64 s[20:21], s[20:21], 3
	s_delay_alu instid0(SALU_CYCLE_1)
	s_add_u32 s20, s10, s20
	s_addc_u32 s21, s11, s21
	s_waitcnt lgkmcnt(0)
	global_store_b64 v6, v[2:3], s[20:21]
.LBB491_89:
	s_or_b32 exec_lo, exec_lo, s12
	v_xad_u32 v4, v52, -1, s15
	s_mov_b32 s20, 0
	s_mov_b32 s12, exec_lo
	s_delay_alu instid0(VALU_DEP_1) | instskip(NEXT) | instid1(VALU_DEP_1)
	v_add_nc_u32_e32 v5, 32, v4
	v_lshlrev_b64 v[5:6], 3, v[5:6]
	s_delay_alu instid0(VALU_DEP_1) | instskip(NEXT) | instid1(VALU_DEP_2)
	v_add_co_u32 v8, vcc_lo, s10, v5
	v_add_co_ci_u32_e32 v9, vcc_lo, s11, v6, vcc_lo
	global_load_b64 v[6:7], v[8:9], off glc
	s_waitcnt vmcnt(0)
	v_and_b32_e32 v3, 0xff, v7
	s_delay_alu instid0(VALU_DEP_1)
	v_cmpx_eq_u16_e32 0, v3
	s_cbranch_execz .LBB491_95
; %bb.90:
	s_mov_b32 s21, 1
	.p2align	6
.LBB491_91:                             ; =>This Loop Header: Depth=1
                                        ;     Child Loop BB491_92 Depth 2
	s_delay_alu instid0(SALU_CYCLE_1)
	s_max_u32 s22, s21, 1
.LBB491_92:                             ;   Parent Loop BB491_91 Depth=1
                                        ; =>  This Inner Loop Header: Depth=2
	s_delay_alu instid0(SALU_CYCLE_1)
	s_add_i32 s22, s22, -1
	s_sleep 1
	s_cmp_eq_u32 s22, 0
	s_cbranch_scc0 .LBB491_92
; %bb.93:                               ;   in Loop: Header=BB491_91 Depth=1
	global_load_b64 v[6:7], v[8:9], off glc
	s_cmp_lt_u32 s21, 32
	s_cselect_b32 s22, -1, 0
	s_delay_alu instid0(SALU_CYCLE_1) | instskip(SKIP_3) | instid1(VALU_DEP_1)
	s_cmp_lg_u32 s22, 0
	s_addc_u32 s21, s21, 0
	s_waitcnt vmcnt(0)
	v_and_b32_e32 v3, 0xff, v7
	v_cmp_ne_u16_e32 vcc_lo, 0, v3
	s_or_b32 s20, vcc_lo, s20
	s_delay_alu instid0(SALU_CYCLE_1)
	s_and_not1_b32 exec_lo, exec_lo, s20
	s_cbranch_execnz .LBB491_91
; %bb.94:
	s_or_b32 exec_lo, exec_lo, s20
.LBB491_95:
	s_delay_alu instid0(SALU_CYCLE_1)
	s_or_b32 exec_lo, exec_lo, s12
	v_cmp_ne_u32_e32 vcc_lo, 31, v52
	v_lshlrev_b32_e64 v13, v52, -1
	v_add_nc_u32_e32 v30, 2, v52
	v_add_nc_u32_e32 v56, 16, v52
	v_add_co_ci_u32_e32 v3, vcc_lo, 0, v52, vcc_lo
	s_delay_alu instid0(VALU_DEP_1)
	v_lshlrev_b32_e32 v12, 2, v3
	v_and_b32_e32 v3, 0xff, v7
	ds_bpermute_b32 v5, v12, v6
	v_cmp_eq_u16_e32 vcc_lo, 2, v3
	v_and_or_b32 v3, vcc_lo, v13, 0x80000000
	v_cmp_gt_u32_e32 vcc_lo, 30, v52
	s_delay_alu instid0(VALU_DEP_2) | instskip(SKIP_1) | instid1(VALU_DEP_2)
	v_ctz_i32_b32_e32 v3, v3
	v_cndmask_b32_e64 v8, 0, 1, vcc_lo
	v_cmp_lt_u32_e32 vcc_lo, v52, v3
	s_waitcnt lgkmcnt(0)
	s_delay_alu instid0(VALU_DEP_2) | instskip(NEXT) | instid1(VALU_DEP_1)
	v_dual_cndmask_b32 v5, 0, v5 :: v_dual_lshlrev_b32 v8, 1, v8
	v_add_lshl_u32 v29, v8, v52, 2
	v_cmp_gt_u32_e32 vcc_lo, 28, v52
	s_delay_alu instid0(VALU_DEP_3) | instskip(SKIP_4) | instid1(VALU_DEP_1)
	v_add_nc_u32_e32 v5, v5, v6
	v_cndmask_b32_e64 v8, 0, 1, vcc_lo
	v_cmp_le_u32_e32 vcc_lo, v30, v3
	ds_bpermute_b32 v6, v29, v5
	v_lshlrev_b32_e32 v8, 2, v8
	v_add_lshl_u32 v32, v8, v52, 2
	s_waitcnt lgkmcnt(0)
	v_cndmask_b32_e32 v6, 0, v6, vcc_lo
	v_cmp_gt_u32_e32 vcc_lo, 24, v52
	s_delay_alu instid0(VALU_DEP_2) | instskip(SKIP_4) | instid1(VALU_DEP_2)
	v_add_nc_u32_e32 v5, v5, v6
	v_cndmask_b32_e64 v8, 0, 1, vcc_lo
	ds_bpermute_b32 v6, v32, v5
	v_add_nc_u32_e32 v33, 4, v52
	v_lshlrev_b32_e32 v8, 3, v8
	v_cmp_le_u32_e32 vcc_lo, v33, v3
	s_delay_alu instid0(VALU_DEP_2) | instskip(SKIP_3) | instid1(VALU_DEP_2)
	v_add_lshl_u32 v34, v8, v52, 2
	s_waitcnt lgkmcnt(0)
	v_cndmask_b32_e32 v6, 0, v6, vcc_lo
	v_cmp_gt_u32_e32 vcc_lo, 16, v52
	v_add_nc_u32_e32 v5, v5, v6
	v_cndmask_b32_e64 v8, 0, 1, vcc_lo
	ds_bpermute_b32 v6, v34, v5
	v_add_nc_u32_e32 v35, 8, v52
	v_lshlrev_b32_e32 v8, 4, v8
	s_delay_alu instid0(VALU_DEP_2) | instskip(NEXT) | instid1(VALU_DEP_2)
	v_cmp_le_u32_e32 vcc_lo, v35, v3
	v_add_lshl_u32 v55, v8, v52, 2
	s_waitcnt lgkmcnt(0)
	v_cndmask_b32_e32 v6, 0, v6, vcc_lo
	v_cmp_le_u32_e32 vcc_lo, v56, v3
	s_delay_alu instid0(VALU_DEP_2) | instskip(SKIP_3) | instid1(VALU_DEP_1)
	v_add_nc_u32_e32 v5, v5, v6
	ds_bpermute_b32 v6, v55, v5
	s_waitcnt lgkmcnt(0)
	v_cndmask_b32_e32 v3, 0, v6, vcc_lo
	v_dual_mov_b32 v5, 0 :: v_dual_add_nc_u32 v6, v5, v3
	s_branch .LBB491_97
.LBB491_96:                             ;   in Loop: Header=BB491_97 Depth=1
	s_or_b32 exec_lo, exec_lo, s12
	ds_bpermute_b32 v9, v12, v6
	v_and_b32_e32 v8, 0xff, v7
	v_subrev_nc_u32_e32 v4, 32, v4
	s_delay_alu instid0(VALU_DEP_2) | instskip(SKIP_1) | instid1(VALU_DEP_1)
	v_cmp_eq_u16_e32 vcc_lo, 2, v8
	v_and_or_b32 v8, vcc_lo, v13, 0x80000000
	v_ctz_i32_b32_e32 v8, v8
	s_delay_alu instid0(VALU_DEP_1) | instskip(SKIP_3) | instid1(VALU_DEP_2)
	v_cmp_lt_u32_e32 vcc_lo, v52, v8
	s_waitcnt lgkmcnt(0)
	v_cndmask_b32_e32 v9, 0, v9, vcc_lo
	v_cmp_le_u32_e32 vcc_lo, v30, v8
	v_add_nc_u32_e32 v6, v9, v6
	ds_bpermute_b32 v9, v29, v6
	s_waitcnt lgkmcnt(0)
	v_cndmask_b32_e32 v9, 0, v9, vcc_lo
	v_cmp_le_u32_e32 vcc_lo, v33, v8
	s_delay_alu instid0(VALU_DEP_2) | instskip(SKIP_4) | instid1(VALU_DEP_2)
	v_add_nc_u32_e32 v6, v6, v9
	ds_bpermute_b32 v9, v32, v6
	s_waitcnt lgkmcnt(0)
	v_cndmask_b32_e32 v9, 0, v9, vcc_lo
	v_cmp_le_u32_e32 vcc_lo, v35, v8
	v_add_nc_u32_e32 v6, v6, v9
	ds_bpermute_b32 v9, v34, v6
	s_waitcnt lgkmcnt(0)
	v_cndmask_b32_e32 v9, 0, v9, vcc_lo
	v_cmp_le_u32_e32 vcc_lo, v56, v8
	s_delay_alu instid0(VALU_DEP_2) | instskip(SKIP_3) | instid1(VALU_DEP_1)
	v_add_nc_u32_e32 v6, v6, v9
	ds_bpermute_b32 v9, v55, v6
	s_waitcnt lgkmcnt(0)
	v_cndmask_b32_e32 v8, 0, v9, vcc_lo
	v_add3_u32 v6, v8, v3, v6
.LBB491_97:                             ; =>This Loop Header: Depth=1
                                        ;     Child Loop BB491_100 Depth 2
                                        ;       Child Loop BB491_101 Depth 3
	v_and_b32_e32 v3, 0xff, v7
	s_delay_alu instid0(VALU_DEP_1) | instskip(SKIP_2) | instid1(VALU_DEP_1)
	v_cmp_ne_u16_e32 vcc_lo, 2, v3
	v_cndmask_b32_e64 v3, 0, 1, vcc_lo
	;;#ASMSTART
	;;#ASMEND
	v_cmp_ne_u32_e32 vcc_lo, 0, v3
	v_mov_b32_e32 v3, v6
	s_cmp_lg_u32 vcc_lo, exec_lo
	s_cbranch_scc1 .LBB491_104
; %bb.98:                               ;   in Loop: Header=BB491_97 Depth=1
	v_lshlrev_b64 v[6:7], 3, v[4:5]
	s_mov_b32 s12, exec_lo
	s_delay_alu instid0(VALU_DEP_1) | instskip(NEXT) | instid1(VALU_DEP_2)
	v_add_co_u32 v8, vcc_lo, s10, v6
	v_add_co_ci_u32_e32 v9, vcc_lo, s11, v7, vcc_lo
	global_load_b64 v[6:7], v[8:9], off glc
	s_waitcnt vmcnt(0)
	v_and_b32_e32 v57, 0xff, v7
	s_delay_alu instid0(VALU_DEP_1)
	v_cmpx_eq_u16_e32 0, v57
	s_cbranch_execz .LBB491_96
; %bb.99:                               ;   in Loop: Header=BB491_97 Depth=1
	s_mov_b32 s21, 1
	s_mov_b32 s20, 0
	.p2align	6
.LBB491_100:                            ;   Parent Loop BB491_97 Depth=1
                                        ; =>  This Loop Header: Depth=2
                                        ;       Child Loop BB491_101 Depth 3
	s_max_u32 s22, s21, 1
.LBB491_101:                            ;   Parent Loop BB491_97 Depth=1
                                        ;     Parent Loop BB491_100 Depth=2
                                        ; =>    This Inner Loop Header: Depth=3
	s_delay_alu instid0(SALU_CYCLE_1)
	s_add_i32 s22, s22, -1
	s_sleep 1
	s_cmp_eq_u32 s22, 0
	s_cbranch_scc0 .LBB491_101
; %bb.102:                              ;   in Loop: Header=BB491_100 Depth=2
	global_load_b64 v[6:7], v[8:9], off glc
	s_cmp_lt_u32 s21, 32
	s_cselect_b32 s22, -1, 0
	s_delay_alu instid0(SALU_CYCLE_1) | instskip(SKIP_3) | instid1(VALU_DEP_1)
	s_cmp_lg_u32 s22, 0
	s_addc_u32 s21, s21, 0
	s_waitcnt vmcnt(0)
	v_and_b32_e32 v57, 0xff, v7
	v_cmp_ne_u16_e32 vcc_lo, 0, v57
	s_or_b32 s20, vcc_lo, s20
	s_delay_alu instid0(SALU_CYCLE_1)
	s_and_not1_b32 exec_lo, exec_lo, s20
	s_cbranch_execnz .LBB491_100
; %bb.103:                              ;   in Loop: Header=BB491_97 Depth=1
	s_or_b32 exec_lo, exec_lo, s20
	s_branch .LBB491_96
.LBB491_104:                            ;   in Loop: Header=BB491_97 Depth=1
                                        ; implicit-def: $vgpr6
                                        ; implicit-def: $vgpr7
	s_cbranch_execz .LBB491_97
; %bb.105:
	s_and_saveexec_b32 s12, s8
	s_cbranch_execz .LBB491_107
; %bb.106:
	s_add_i32 s20, s15, 32
	s_mov_b32 s21, 0
	v_dual_mov_b32 v5, 2 :: v_dual_add_nc_u32 v4, v3, v2
	s_lshl_b64 s[20:21], s[20:21], 3
	v_mov_b32_e32 v6, 0
	s_add_u32 s20, s10, s20
	s_addc_u32 s21, s11, s21
	global_store_b64 v6, v[4:5], s[20:21]
	ds_store_b64 v6, v[2:3] offset:3072
.LBB491_107:
	s_or_b32 exec_lo, exec_lo, s12
	v_cmp_eq_u32_e32 vcc_lo, 0, v0
	s_and_b32 exec_lo, exec_lo, vcc_lo
	s_cbranch_execz .LBB491_109
; %bb.108:
	v_mov_b32_e32 v2, 0
	ds_store_b32 v2, v3 offset:12
.LBB491_109:
	s_or_b32 exec_lo, exec_lo, s9
	s_waitcnt lgkmcnt(0)
	v_cndmask_b32_e64 v3, v11, v10, s8
	v_cmp_ne_u32_e32 vcc_lo, 0, v0
	v_mov_b32_e32 v12, 0
	s_waitcnt_vscnt null, 0x0
	s_barrier
	buffer_gl0_inv
	v_cndmask_b32_e32 v3, 0, v3, vcc_lo
	ds_load_b32 v2, v12 offset:12
	s_waitcnt lgkmcnt(0)
	s_barrier
	buffer_gl0_inv
	ds_load_b64 v[29:30], v12 offset:3072
	v_add_nc_u32_e32 v2, v2, v3
	s_delay_alu instid0(VALU_DEP_1) | instskip(NEXT) | instid1(VALU_DEP_1)
	v_add_nc_u32_e32 v3, v2, v42
	v_add_nc_u32_e32 v4, v3, v43
	s_delay_alu instid0(VALU_DEP_1) | instskip(NEXT) | instid1(VALU_DEP_1)
	v_add_nc_u32_e32 v5, v4, v44
	;; [unrolled: 3-line block ×5, first 2 shown]
	v_add_nc_u32_e32 v12, v11, v50
	s_delay_alu instid0(VALU_DEP_1)
	v_add_nc_u32_e32 v13, v12, v51
	v_lshrrev_b64 v[34:35], 24, v[22:23]
	v_lshrrev_b64 v[32:33], 24, v[1:2]
	s_branch .LBB491_120
.LBB491_110:
                                        ; implicit-def: $vgpr30
                                        ; implicit-def: $vgpr2_vgpr3_vgpr4_vgpr5_vgpr6_vgpr7_vgpr8_vgpr9_vgpr10_vgpr11_vgpr12_vgpr13
                                        ; implicit-def: $vgpr29
	v_lshrrev_b64 v[34:35], 24, v[22:23]
	v_lshrrev_b64 v[32:33], 24, v[1:2]
	s_and_b32 vcc_lo, exec_lo, s8
	s_cbranch_vccz .LBB491_120
; %bb.111:
	v_mov_b32_dpp v1, v54 row_shr:1 row_mask:0xf bank_mask:0xf
	s_delay_alu instid0(VALU_DEP_1) | instskip(NEXT) | instid1(VALU_DEP_1)
	v_cndmask_b32_e64 v1, v1, 0, s7
	v_add_nc_u32_e32 v1, v1, v54
	s_delay_alu instid0(VALU_DEP_1) | instskip(NEXT) | instid1(VALU_DEP_1)
	v_mov_b32_dpp v2, v1 row_shr:2 row_mask:0xf bank_mask:0xf
	v_cndmask_b32_e64 v2, 0, v2, s6
	s_delay_alu instid0(VALU_DEP_1) | instskip(NEXT) | instid1(VALU_DEP_1)
	v_add_nc_u32_e32 v1, v1, v2
	v_mov_b32_dpp v2, v1 row_shr:4 row_mask:0xf bank_mask:0xf
	s_delay_alu instid0(VALU_DEP_1) | instskip(NEXT) | instid1(VALU_DEP_1)
	v_cndmask_b32_e64 v2, 0, v2, s5
	v_add_nc_u32_e32 v1, v1, v2
	s_delay_alu instid0(VALU_DEP_1) | instskip(NEXT) | instid1(VALU_DEP_1)
	v_mov_b32_dpp v2, v1 row_shr:8 row_mask:0xf bank_mask:0xf
	v_cndmask_b32_e64 v2, 0, v2, s4
	s_delay_alu instid0(VALU_DEP_1) | instskip(SKIP_3) | instid1(VALU_DEP_1)
	v_add_nc_u32_e32 v1, v1, v2
	ds_swizzle_b32 v2, v1 offset:swizzle(BROADCAST,32,15)
	s_waitcnt lgkmcnt(0)
	v_cndmask_b32_e64 v2, v2, 0, s3
	v_add_nc_u32_e32 v1, v1, v2
	s_and_saveexec_b32 s3, s2
	s_cbranch_execz .LBB491_113
; %bb.112:
	v_lshlrev_b32_e32 v2, 2, v53
	ds_store_b32 v2, v1
.LBB491_113:
	s_or_b32 exec_lo, exec_lo, s3
	s_delay_alu instid0(SALU_CYCLE_1)
	s_mov_b32 s2, exec_lo
	s_waitcnt lgkmcnt(0)
	s_barrier
	buffer_gl0_inv
	v_cmpx_gt_u32_e32 4, v0
	s_cbranch_execz .LBB491_115
; %bb.114:
	v_and_b32_e32 v4, 3, v52
	s_delay_alu instid0(VALU_DEP_1) | instskip(SKIP_4) | instid1(VALU_DEP_1)
	v_cmp_ne_u32_e32 vcc_lo, 0, v4
	v_lshlrev_b32_e32 v2, 2, v0
	ds_load_b32 v3, v2
	s_waitcnt lgkmcnt(0)
	v_mov_b32_dpp v5, v3 row_shr:1 row_mask:0xf bank_mask:0xf
	v_cndmask_b32_e32 v5, 0, v5, vcc_lo
	v_cmp_lt_u32_e32 vcc_lo, 1, v4
	s_delay_alu instid0(VALU_DEP_2) | instskip(NEXT) | instid1(VALU_DEP_1)
	v_add_nc_u32_e32 v3, v5, v3
	v_mov_b32_dpp v5, v3 row_shr:2 row_mask:0xf bank_mask:0xf
	s_delay_alu instid0(VALU_DEP_1) | instskip(NEXT) | instid1(VALU_DEP_1)
	v_cndmask_b32_e32 v4, 0, v5, vcc_lo
	v_add_nc_u32_e32 v3, v3, v4
	ds_store_b32 v2, v3
.LBB491_115:
	s_or_b32 exec_lo, exec_lo, s2
	v_dual_mov_b32 v3, 0 :: v_dual_mov_b32 v2, 0
	s_mov_b32 s2, exec_lo
	s_waitcnt lgkmcnt(0)
	s_barrier
	buffer_gl0_inv
	v_cmpx_lt_u32_e32 31, v0
	s_cbranch_execz .LBB491_117
; %bb.116:
	v_lshl_add_u32 v2, v53, 2, -4
	ds_load_b32 v2, v2
.LBB491_117:
	s_or_b32 exec_lo, exec_lo, s2
	v_add_nc_u32_e32 v4, -1, v52
	ds_load_b32 v29, v3 offset:12
	s_waitcnt lgkmcnt(1)
	v_add_nc_u32_e32 v1, v2, v1
	v_cmp_gt_i32_e32 vcc_lo, 0, v4
	v_cndmask_b32_e32 v4, v4, v52, vcc_lo
	v_cmp_eq_u32_e32 vcc_lo, 0, v0
	s_delay_alu instid0(VALU_DEP_2)
	v_lshlrev_b32_e32 v4, 2, v4
	ds_bpermute_b32 v1, v4, v1
	s_and_saveexec_b32 s2, vcc_lo
	s_cbranch_execz .LBB491_119
; %bb.118:
	v_dual_mov_b32 v3, 0 :: v_dual_mov_b32 v30, 2
	s_waitcnt lgkmcnt(1)
	global_store_b64 v3, v[29:30], s[10:11] offset:256
.LBB491_119:
	s_or_b32 exec_lo, exec_lo, s2
	v_cmp_eq_u32_e64 s2, 0, v52
	s_waitcnt lgkmcnt(0)
	s_waitcnt_vscnt null, 0x0
	s_barrier
	buffer_gl0_inv
	v_mov_b32_e32 v30, 0
	v_cndmask_b32_e64 v1, v1, v2, s2
	s_delay_alu instid0(VALU_DEP_1) | instskip(NEXT) | instid1(VALU_DEP_1)
	v_cndmask_b32_e64 v2, v1, 0, vcc_lo
	v_add_nc_u32_e32 v3, v2, v42
	s_delay_alu instid0(VALU_DEP_1) | instskip(NEXT) | instid1(VALU_DEP_1)
	v_add_nc_u32_e32 v4, v3, v43
	v_add_nc_u32_e32 v5, v4, v44
	s_delay_alu instid0(VALU_DEP_1) | instskip(NEXT) | instid1(VALU_DEP_1)
	v_add_nc_u32_e32 v6, v5, v45
	;; [unrolled: 3-line block ×5, first 2 shown]
	v_add_nc_u32_e32 v13, v12, v51
.LBB491_120:
	s_load_b128 s[4:7], s[0:1], 0x28
	s_waitcnt lgkmcnt(0)
	v_add_nc_u32_e32 v46, v30, v29
	v_cmp_gt_u32_e64 s0, 0x81, v29
	v_lshrrev_b32_e32 v33, 16, v36
	v_lshrrev_b32_e32 v44, 16, v22
	;; [unrolled: 1-line block ×6, first 2 shown]
	v_cmp_lt_u32_e64 s1, v2, v46
	s_and_b32 vcc_lo, exec_lo, s0
	s_mov_b32 s2, -1
	s_cbranch_vccz .LBB491_158
; %bb.121:
	s_lshl_b64 s[2:3], s[18:19], 1
	s_delay_alu instid0(SALU_CYCLE_1) | instskip(SKIP_2) | instid1(SALU_CYCLE_1)
	s_add_u32 s2, s4, s2
	s_addc_u32 s3, s5, s3
	s_or_b32 s8, s14, s1
	s_and_saveexec_b32 s1, s8
	s_cbranch_execz .LBB491_124
; %bb.122:
	v_and_b32_e32 v1, 1, v22
	s_delay_alu instid0(VALU_DEP_1)
	v_cmp_eq_u32_e32 vcc_lo, 1, v1
	s_and_b32 exec_lo, exec_lo, vcc_lo
	s_cbranch_execz .LBB491_124
; %bb.123:
	v_dual_mov_b32 v48, 0 :: v_dual_mov_b32 v47, v2
	s_delay_alu instid0(VALU_DEP_1) | instskip(NEXT) | instid1(VALU_DEP_1)
	v_lshlrev_b64 v[47:48], 1, v[47:48]
	v_add_co_u32 v47, vcc_lo, s2, v47
	s_delay_alu instid0(VALU_DEP_2)
	v_add_co_ci_u32_e32 v48, vcc_lo, s3, v48, vcc_lo
	global_store_b16 v[47:48], v18, off
.LBB491_124:
	s_or_b32 exec_lo, exec_lo, s1
	v_cmp_lt_u32_e32 vcc_lo, v3, v46
	s_or_b32 s8, s14, vcc_lo
	s_delay_alu instid0(SALU_CYCLE_1)
	s_and_saveexec_b32 s1, s8
	s_cbranch_execz .LBB491_127
; %bb.125:
	v_and_b32_e32 v1, 1, v45
	s_delay_alu instid0(VALU_DEP_1)
	v_cmp_eq_u32_e32 vcc_lo, 1, v1
	s_and_b32 exec_lo, exec_lo, vcc_lo
	s_cbranch_execz .LBB491_127
; %bb.126:
	v_dual_mov_b32 v48, 0 :: v_dual_mov_b32 v47, v3
	s_delay_alu instid0(VALU_DEP_1) | instskip(NEXT) | instid1(VALU_DEP_1)
	v_lshlrev_b64 v[47:48], 1, v[47:48]
	v_add_co_u32 v47, vcc_lo, s2, v47
	s_delay_alu instid0(VALU_DEP_2)
	v_add_co_ci_u32_e32 v48, vcc_lo, s3, v48, vcc_lo
	global_store_b16 v[47:48], v41, off
.LBB491_127:
	s_or_b32 exec_lo, exec_lo, s1
	v_cmp_lt_u32_e32 vcc_lo, v4, v46
	s_or_b32 s8, s14, vcc_lo
	s_delay_alu instid0(SALU_CYCLE_1)
	;; [unrolled: 21-line block ×11, first 2 shown]
	s_and_saveexec_b32 s1, s8
	s_cbranch_execz .LBB491_157
; %bb.155:
	v_and_b32_e32 v1, 1, v32
	s_delay_alu instid0(VALU_DEP_1)
	v_cmp_eq_u32_e32 vcc_lo, 1, v1
	s_and_b32 exec_lo, exec_lo, vcc_lo
	s_cbranch_execz .LBB491_157
; %bb.156:
	v_dual_mov_b32 v48, 0 :: v_dual_mov_b32 v47, v13
	s_delay_alu instid0(VALU_DEP_1) | instskip(NEXT) | instid1(VALU_DEP_1)
	v_lshlrev_b64 v[47:48], 1, v[47:48]
	v_add_co_u32 v47, vcc_lo, s2, v47
	s_delay_alu instid0(VALU_DEP_2)
	v_add_co_ci_u32_e32 v48, vcc_lo, s3, v48, vcc_lo
	global_store_b16 v[47:48], v31, off
.LBB491_157:
	s_or_b32 exec_lo, exec_lo, s1
	s_mov_b32 s2, 0
.LBB491_158:
	v_and_b32_e32 v22, 1, v22
	s_and_b32 vcc_lo, exec_lo, s2
	s_delay_alu instid0(VALU_DEP_1)
	v_cmp_eq_u32_e64 s1, 1, v22
	s_cbranch_vccz .LBB491_199
; %bb.159:
	s_delay_alu instid0(VALU_DEP_1)
	s_and_saveexec_b32 s2, s1
	s_cbranch_execz .LBB491_161
; %bb.160:
	v_sub_nc_u32_e32 v1, v2, v30
	s_delay_alu instid0(VALU_DEP_1)
	v_lshlrev_b32_e32 v1, 1, v1
	ds_store_b16 v1, v18
.LBB491_161:
	s_or_b32 exec_lo, exec_lo, s2
	v_and_b32_e32 v1, 1, v45
	s_mov_b32 s1, exec_lo
	s_delay_alu instid0(VALU_DEP_1)
	v_cmpx_eq_u32_e32 1, v1
	s_cbranch_execz .LBB491_163
; %bb.162:
	v_sub_nc_u32_e32 v1, v3, v30
	s_delay_alu instid0(VALU_DEP_1)
	v_lshlrev_b32_e32 v1, 1, v1
	ds_store_b16 v1, v41
.LBB491_163:
	s_or_b32 exec_lo, exec_lo, s1
	v_and_b32_e32 v1, 1, v44
	s_mov_b32 s1, exec_lo
	s_delay_alu instid0(VALU_DEP_1)
	v_cmpx_eq_u32_e32 1, v1
	;; [unrolled: 12-line block ×11, first 2 shown]
	s_cbranch_execz .LBB491_183
; %bb.182:
	v_sub_nc_u32_e32 v1, v13, v30
	s_delay_alu instid0(VALU_DEP_1)
	v_lshlrev_b32_e32 v1, 1, v1
	ds_store_b16 v1, v31
.LBB491_183:
	s_or_b32 exec_lo, exec_lo, s1
	s_delay_alu instid0(SALU_CYCLE_1)
	s_mov_b32 s3, exec_lo
	s_waitcnt lgkmcnt(0)
	s_waitcnt_vscnt null, 0x0
	s_barrier
	buffer_gl0_inv
	v_cmpx_lt_u32_e64 v0, v29
	s_cbranch_execz .LBB491_198
; %bb.184:
	v_mov_b32_e32 v31, 0
	s_lshl_b64 s[8:9], s[18:19], 1
	v_xad_u32 v1, v0, -1, v29
	s_add_u32 s2, s4, s8
	s_addc_u32 s4, s5, s9
	v_lshlrev_b64 v[18:19], 1, v[30:31]
	s_delay_alu instid0(VALU_DEP_2) | instskip(NEXT) | instid1(VALU_DEP_2)
	v_cmp_gt_u32_e32 vcc_lo, 0xc80, v1
	v_add_co_u32 v27, s2, s2, v18
	v_mov_b32_e32 v18, v0
	s_delay_alu instid0(VALU_DEP_4)
	v_add_co_ci_u32_e64 v28, s2, s4, v19, s2
	s_mov_b32 s2, -1
	s_mov_b32 s4, exec_lo
	v_cmpx_lt_u32_e32 0xc7f, v1
	s_cbranch_execz .LBB491_195
; %bb.185:
	v_sub_nc_u32_e32 v18, v0, v29
	s_delay_alu instid0(VALU_DEP_1) | instskip(NEXT) | instid1(VALU_DEP_1)
	v_or_b32_e32 v18, 0x7f, v18
	v_cmp_ge_u32_e64 s1, v18, v0
	v_mov_b32_e32 v18, v0
	s_delay_alu instid0(VALU_DEP_2)
	s_and_saveexec_b32 s5, s1
	s_cbranch_execz .LBB491_194
; %bb.186:
	v_lshrrev_b32_e32 v31, 7, v1
	v_or_b32_e32 v1, 0x80, v0
	s_delay_alu instid0(VALU_DEP_2) | instskip(NEXT) | instid1(VALU_DEP_1)
	v_add_nc_u32_e32 v18, -1, v31
	v_lshrrev_b32_e32 v19, 1, v18
	v_mov_b32_e32 v40, 0
	v_cmp_lt_u32_e64 s1, 13, v18
	s_delay_alu instid0(VALU_DEP_3) | instskip(SKIP_1) | instid1(VALU_DEP_3)
	v_add_nc_u32_e32 v37, 1, v19
	v_dual_mov_b32 v19, v1 :: v_dual_mov_b32 v18, v0
	s_and_saveexec_b32 s2, s1
	s_cbranch_execz .LBB491_190
; %bb.187:
	s_delay_alu instid0(VALU_DEP_2)
	v_dual_mov_b32 v19, v1 :: v_dual_and_b32 v38, -8, v37
	v_mov_b32_e32 v21, 0
	v_dual_mov_b32 v18, v0 :: v_dual_lshlrev_b32 v39, 1, v0
	s_mov_b32 s8, 0
	s_mov_b32 s9, 0
.LBB491_188:                            ; =>This Inner Loop Header: Depth=1
	s_delay_alu instid0(VALU_DEP_1) | instskip(SKIP_2) | instid1(VALU_DEP_3)
	v_dual_mov_b32 v20, v18 :: v_dual_add_nc_u32 v47, 0x100, v19
	v_add_nc_u32_e32 v38, -8, v38
	v_dual_mov_b32 v48, v21 :: v_dual_add_nc_u32 v49, 0x200, v19
	v_lshlrev_b64 v[61:62], 1, v[20:21]
	v_dual_mov_b32 v50, v21 :: v_dual_add_nc_u32 v51, 0x300, v19
	s_delay_alu instid0(VALU_DEP_4) | instskip(NEXT) | instid1(VALU_DEP_4)
	v_cmp_eq_u32_e64 s1, 0, v38
	v_lshlrev_b64 v[47:48], 1, v[47:48]
	v_dual_mov_b32 v52, v21 :: v_dual_add_nc_u32 v53, 0x400, v19
	s_add_i32 s9, s9, 16
	v_lshlrev_b64 v[49:50], 1, v[49:50]
	s_or_b32 s8, s1, s8
	v_add_co_u32 v61, s1, v27, v61
	v_dual_mov_b32 v54, v21 :: v_dual_add_nc_u32 v55, 0x500, v19
	v_add_co_ci_u32_e64 v62, s1, v28, v62, s1
	v_lshlrev_b64 v[51:52], 1, v[51:52]
	v_add_co_u32 v47, s1, v27, v47
	v_dual_mov_b32 v56, v21 :: v_dual_add_nc_u32 v57, 0x600, v19
	v_add_co_ci_u32_e64 v48, s1, v28, v48, s1
	v_lshlrev_b64 v[53:54], 1, v[53:54]
	v_add_co_u32 v49, s1, v27, v49
	v_dual_mov_b32 v58, v21 :: v_dual_add_nc_u32 v59, 0x700, v19
	v_add_co_ci_u32_e64 v50, s1, v28, v50, s1
	v_lshlrev_b64 v[55:56], 1, v[55:56]
	v_add_co_u32 v51, s1, v27, v51
	v_mov_b32_e32 v60, v21
	v_mov_b32_e32 v20, v19
	v_add_co_ci_u32_e64 v52, s1, v28, v52, s1
	v_lshlrev_b64 v[57:58], 1, v[57:58]
	v_add_co_u32 v53, s1, v27, v53
	ds_load_u16 v1, v39
	ds_load_u16 v41, v39 offset:256
	ds_load_u16 v67, v39 offset:512
	;; [unrolled: 1-line block ×7, first 2 shown]
	v_add_co_ci_u32_e64 v54, s1, v28, v54, s1
	ds_load_u16 v73, v39 offset:2048
	ds_load_u16 v74, v39 offset:2304
	;; [unrolled: 1-line block ×8, first 2 shown]
	v_add_nc_u32_e32 v39, 0x1000, v39
	v_lshlrev_b64 v[59:60], 1, v[59:60]
	v_add_co_u32 v55, s1, v27, v55
	v_lshlrev_b64 v[63:64], 1, v[20:21]
	v_add_nc_u32_e32 v20, 0x100, v18
	v_add_co_ci_u32_e64 v56, s1, v28, v56, s1
	v_add_co_u32 v57, s1, v27, v57
	s_delay_alu instid0(VALU_DEP_1)
	v_add_co_ci_u32_e64 v58, s1, v28, v58, s1
	v_add_co_u32 v59, s1, v27, v59
	v_lshlrev_b64 v[65:66], 1, v[20:21]
	v_add_nc_u32_e32 v20, 0x200, v18
	v_add_co_ci_u32_e64 v60, s1, v28, v60, s1
	v_add_co_u32 v63, s1, v27, v63
	s_delay_alu instid0(VALU_DEP_1)
	v_add_co_ci_u32_e64 v64, s1, v28, v64, s1
	s_waitcnt lgkmcnt(15)
	global_store_b16 v[61:62], v1, off
	v_lshlrev_b64 v[61:62], 1, v[20:21]
	v_add_nc_u32_e32 v20, 0x300, v18
	v_add_co_u32 v65, s1, v27, v65
	s_delay_alu instid0(VALU_DEP_1)
	v_add_co_ci_u32_e64 v66, s1, v28, v66, s1
	s_waitcnt lgkmcnt(14)
	global_store_b16 v[63:64], v41, off
	v_lshlrev_b64 v[63:64], 1, v[20:21]
	v_add_nc_u32_e32 v20, 0x400, v18
	s_waitcnt lgkmcnt(13)
	global_store_b16 v[65:66], v67, off
	s_waitcnt lgkmcnt(12)
	global_store_b16 v[47:48], v68, off
	v_add_co_u32 v47, s1, v27, v61
	s_delay_alu instid0(VALU_DEP_1) | instskip(SKIP_3) | instid1(VALU_DEP_1)
	v_add_co_ci_u32_e64 v48, s1, v28, v62, s1
	v_lshlrev_b64 v[61:62], 1, v[20:21]
	v_add_nc_u32_e32 v20, 0x500, v18
	v_add_co_u32 v63, s1, v27, v63
	v_add_co_ci_u32_e64 v64, s1, v28, v64, s1
	s_waitcnt lgkmcnt(11)
	global_store_b16 v[47:48], v69, off
	s_waitcnt lgkmcnt(10)
	global_store_b16 v[49:50], v70, off
	v_lshlrev_b64 v[47:48], 1, v[20:21]
	v_add_nc_u32_e32 v20, 0x600, v18
	v_add_co_u32 v49, s1, v27, v61
	s_waitcnt lgkmcnt(9)
	global_store_b16 v[63:64], v71, off
	s_waitcnt lgkmcnt(8)
	global_store_b16 v[51:52], v72, off
	v_add_co_ci_u32_e64 v50, s1, v28, v62, s1
	v_lshlrev_b64 v[51:52], 1, v[20:21]
	v_add_nc_u32_e32 v20, 0x700, v18
	v_add_co_u32 v47, s1, v27, v47
	s_delay_alu instid0(VALU_DEP_1)
	v_add_co_ci_u32_e64 v48, s1, v28, v48, s1
	s_waitcnt lgkmcnt(7)
	global_store_b16 v[49:50], v73, off
	s_waitcnt lgkmcnt(6)
	global_store_b16 v[53:54], v74, off
	v_lshlrev_b64 v[49:50], 1, v[20:21]
	v_dual_mov_b32 v40, s9 :: v_dual_add_nc_u32 v19, 0x800, v19
	s_waitcnt lgkmcnt(5)
	global_store_b16 v[47:48], v75, off
	v_add_co_u32 v47, s1, v27, v51
	v_add_nc_u32_e32 v18, 0x800, v18
	v_add_co_ci_u32_e64 v48, s1, v28, v52, s1
	v_add_co_u32 v49, s1, v27, v49
	s_delay_alu instid0(VALU_DEP_1)
	v_add_co_ci_u32_e64 v50, s1, v28, v50, s1
	s_waitcnt lgkmcnt(4)
	global_store_b16 v[55:56], v76, off
	s_waitcnt lgkmcnt(3)
	global_store_b16 v[47:48], v77, off
	;; [unrolled: 2-line block ×5, first 2 shown]
	s_and_not1_b32 exec_lo, exec_lo, s8
	s_cbranch_execnz .LBB491_188
; %bb.189:
	s_or_b32 exec_lo, exec_lo, s8
.LBB491_190:
	s_delay_alu instid0(SALU_CYCLE_1) | instskip(SKIP_3) | instid1(VALU_DEP_1)
	s_or_b32 exec_lo, exec_lo, s2
	v_and_b32_e32 v1, 7, v37
	s_mov_b32 s9, 0
	s_mov_b32 s8, exec_lo
	v_cmpx_ne_u32_e32 0, v1
	s_cbranch_execz .LBB491_193
; %bb.191:
	v_dual_mov_b32 v21, 0 :: v_dual_lshlrev_b32 v20, 1, v0
	s_delay_alu instid0(VALU_DEP_1)
	v_lshl_or_b32 v37, v40, 8, v20
	s_set_inst_prefetch_distance 0x1
	.p2align	6
.LBB491_192:                            ; =>This Inner Loop Header: Depth=1
	v_dual_mov_b32 v20, v18 :: v_dual_add_nc_u32 v1, -1, v1
	ds_load_u16 v47, v37
	ds_load_u16 v48, v37 offset:256
	v_add_nc_u32_e32 v18, 0x100, v18
	v_add_nc_u32_e32 v37, 0x200, v37
	v_lshlrev_b64 v[38:39], 1, v[20:21]
	v_mov_b32_e32 v20, v19
	v_cmp_eq_u32_e64 s1, 0, v1
	v_add_nc_u32_e32 v19, 0x100, v19
	s_delay_alu instid0(VALU_DEP_3) | instskip(SKIP_1) | instid1(VALU_DEP_1)
	v_lshlrev_b64 v[40:41], 1, v[20:21]
	v_add_co_u32 v38, s2, v27, v38
	v_add_co_ci_u32_e64 v39, s2, v28, v39, s2
	s_or_b32 s9, s1, s9
	s_delay_alu instid0(VALU_DEP_3) | instskip(NEXT) | instid1(VALU_DEP_1)
	v_add_co_u32 v40, s2, v27, v40
	v_add_co_ci_u32_e64 v41, s2, v28, v41, s2
	s_waitcnt lgkmcnt(1)
	global_store_b16 v[38:39], v47, off
	s_waitcnt lgkmcnt(0)
	global_store_b16 v[40:41], v48, off
	s_and_not1_b32 exec_lo, exec_lo, s9
	s_cbranch_execnz .LBB491_192
.LBB491_193:
	s_set_inst_prefetch_distance 0x2
	s_or_b32 exec_lo, exec_lo, s8
	v_add_nc_u32_e32 v1, 1, v31
	s_delay_alu instid0(VALU_DEP_1) | instskip(NEXT) | instid1(VALU_DEP_1)
	v_and_b32_e32 v18, 0x3fffffe, v1
	v_cmp_ne_u32_e64 s1, v1, v18
	v_lshl_or_b32 v18, v18, 7, v0
	s_delay_alu instid0(VALU_DEP_2)
	s_or_not1_b32 s2, s1, exec_lo
.LBB491_194:
	s_or_b32 exec_lo, exec_lo, s5
	s_delay_alu instid0(SALU_CYCLE_1) | instskip(SKIP_1) | instid1(SALU_CYCLE_1)
	s_and_not1_b32 s1, vcc_lo, exec_lo
	s_and_b32 s2, s2, exec_lo
	s_or_b32 vcc_lo, s1, s2
.LBB491_195:
	s_or_b32 exec_lo, exec_lo, s4
	s_delay_alu instid0(SALU_CYCLE_1)
	s_and_b32 exec_lo, exec_lo, vcc_lo
	s_cbranch_execz .LBB491_198
; %bb.196:
	v_lshlrev_b32_e32 v1, 1, v18
	v_mov_b32_e32 v19, 0
	s_mov_b32 s2, 0
	.p2align	6
.LBB491_197:                            ; =>This Inner Loop Header: Depth=1
	ds_load_u16 v31, v1
	v_lshlrev_b64 v[20:21], 1, v[18:19]
	v_add_nc_u32_e32 v18, 0x80, v18
	v_add_nc_u32_e32 v1, 0x100, v1
	s_delay_alu instid0(VALU_DEP_2) | instskip(NEXT) | instid1(VALU_DEP_4)
	v_cmp_ge_u32_e32 vcc_lo, v18, v29
	v_add_co_u32 v20, s1, v27, v20
	s_delay_alu instid0(VALU_DEP_1)
	v_add_co_ci_u32_e64 v21, s1, v28, v21, s1
	s_or_b32 s2, vcc_lo, s2
	s_waitcnt lgkmcnt(0)
	global_store_b16 v[20:21], v31, off
	s_and_not1_b32 exec_lo, exec_lo, s2
	s_cbranch_execnz .LBB491_197
.LBB491_198:
	s_or_b32 exec_lo, exec_lo, s3
.LBB491_199:
	v_lshrrev_b32_e32 v27, 16, v14
	v_lshrrev_b32_e32 v21, 16, v15
	;; [unrolled: 1-line block ×6, first 2 shown]
	s_and_b32 vcc_lo, exec_lo, s0
	s_mov_b32 s0, -1
	s_waitcnt_vscnt null, 0x0
	s_barrier
	buffer_gl0_inv
	s_cbranch_vccnz .LBB491_203
; %bb.200:
	s_and_b32 vcc_lo, exec_lo, s0
	s_cbranch_vccnz .LBB491_240
.LBB491_201:
	v_cmp_eq_u32_e32 vcc_lo, 0, v0
	s_and_b32 s0, vcc_lo, s13
	s_delay_alu instid0(SALU_CYCLE_1)
	s_and_saveexec_b32 s1, s0
	s_cbranch_execnz .LBB491_280
.LBB491_202:
	s_nop 0
	s_sendmsg sendmsg(MSG_DEALLOC_VGPRS)
	s_endpgm
.LBB491_203:
	v_cmp_lt_u32_e32 vcc_lo, v2, v46
	s_lshl_b64 s[0:1], s[18:19], 1
	s_delay_alu instid0(SALU_CYCLE_1) | instskip(SKIP_2) | instid1(SALU_CYCLE_1)
	s_add_u32 s0, s6, s0
	s_addc_u32 s1, s7, s1
	s_or_b32 s3, s14, vcc_lo
	s_and_saveexec_b32 s2, s3
	s_cbranch_execz .LBB491_206
; %bb.204:
	v_cmp_eq_u32_e32 vcc_lo, 1, v22
	s_and_b32 exec_lo, exec_lo, vcc_lo
	s_cbranch_execz .LBB491_206
; %bb.205:
	v_dual_mov_b32 v38, 0 :: v_dual_mov_b32 v37, v2
	s_delay_alu instid0(VALU_DEP_1) | instskip(NEXT) | instid1(VALU_DEP_1)
	v_lshlrev_b64 v[37:38], 1, v[37:38]
	v_add_co_u32 v37, vcc_lo, s0, v37
	s_delay_alu instid0(VALU_DEP_2)
	v_add_co_ci_u32_e32 v38, vcc_lo, s1, v38, vcc_lo
	global_store_b16 v[37:38], v14, off
.LBB491_206:
	s_or_b32 exec_lo, exec_lo, s2
	v_cmp_lt_u32_e32 vcc_lo, v3, v46
	s_or_b32 s3, s14, vcc_lo
	s_delay_alu instid0(SALU_CYCLE_1)
	s_and_saveexec_b32 s2, s3
	s_cbranch_execz .LBB491_209
; %bb.207:
	v_and_b32_e32 v28, 1, v45
	s_delay_alu instid0(VALU_DEP_1)
	v_cmp_eq_u32_e32 vcc_lo, 1, v28
	s_and_b32 exec_lo, exec_lo, vcc_lo
	s_cbranch_execz .LBB491_209
; %bb.208:
	v_dual_mov_b32 v38, 0 :: v_dual_mov_b32 v37, v3
	s_delay_alu instid0(VALU_DEP_1) | instskip(NEXT) | instid1(VALU_DEP_1)
	v_lshlrev_b64 v[37:38], 1, v[37:38]
	v_add_co_u32 v37, vcc_lo, s0, v37
	s_delay_alu instid0(VALU_DEP_2)
	v_add_co_ci_u32_e32 v38, vcc_lo, s1, v38, vcc_lo
	global_store_b16 v[37:38], v27, off
.LBB491_209:
	s_or_b32 exec_lo, exec_lo, s2
	v_cmp_lt_u32_e32 vcc_lo, v4, v46
	s_or_b32 s3, s14, vcc_lo
	s_delay_alu instid0(SALU_CYCLE_1)
	s_and_saveexec_b32 s2, s3
	s_cbranch_execz .LBB491_212
; %bb.210:
	v_and_b32_e32 v28, 1, v44
	s_delay_alu instid0(VALU_DEP_1)
	v_cmp_eq_u32_e32 vcc_lo, 1, v28
	s_and_b32 exec_lo, exec_lo, vcc_lo
	s_cbranch_execz .LBB491_212
; %bb.211:
	v_dual_mov_b32 v38, 0 :: v_dual_mov_b32 v37, v4
	s_delay_alu instid0(VALU_DEP_1) | instskip(NEXT) | instid1(VALU_DEP_1)
	v_lshlrev_b64 v[37:38], 1, v[37:38]
	v_add_co_u32 v37, vcc_lo, s0, v37
	s_delay_alu instid0(VALU_DEP_2)
	v_add_co_ci_u32_e32 v38, vcc_lo, s1, v38, vcc_lo
	global_store_b16 v[37:38], v15, off
.LBB491_212:
	;; [unrolled: 21-line block ×11, first 2 shown]
	s_or_b32 exec_lo, exec_lo, s2
	s_branch .LBB491_201
.LBB491_240:
	s_mov_b32 s0, exec_lo
	v_cmpx_eq_u32_e32 1, v22
	s_cbranch_execz .LBB491_242
; %bb.241:
	v_sub_nc_u32_e32 v2, v2, v30
	s_delay_alu instid0(VALU_DEP_1)
	v_lshlrev_b32_e32 v2, 1, v2
	ds_store_b16 v2, v14
.LBB491_242:
	s_or_b32 exec_lo, exec_lo, s0
	v_and_b32_e32 v2, 1, v45
	s_mov_b32 s0, exec_lo
	s_delay_alu instid0(VALU_DEP_1)
	v_cmpx_eq_u32_e32 1, v2
	s_cbranch_execz .LBB491_244
; %bb.243:
	v_sub_nc_u32_e32 v2, v3, v30
	s_delay_alu instid0(VALU_DEP_1)
	v_lshlrev_b32_e32 v2, 1, v2
	ds_store_b16 v2, v27
.LBB491_244:
	s_or_b32 exec_lo, exec_lo, s0
	v_and_b32_e32 v2, 1, v44
	s_mov_b32 s0, exec_lo
	s_delay_alu instid0(VALU_DEP_1)
	;; [unrolled: 12-line block ×11, first 2 shown]
	v_cmpx_eq_u32_e32 1, v2
	s_cbranch_execz .LBB491_264
; %bb.263:
	v_sub_nc_u32_e32 v2, v13, v30
	s_delay_alu instid0(VALU_DEP_1)
	v_lshlrev_b32_e32 v2, 1, v2
	ds_store_b16 v2, v1
.LBB491_264:
	s_or_b32 exec_lo, exec_lo, s0
	s_delay_alu instid0(SALU_CYCLE_1)
	s_mov_b32 s2, exec_lo
	s_waitcnt lgkmcnt(0)
	s_waitcnt_vscnt null, 0x0
	s_barrier
	buffer_gl0_inv
	v_cmpx_lt_u32_e64 v0, v29
	s_cbranch_execz .LBB491_279
; %bb.265:
	v_mov_b32_e32 v31, 0
	s_lshl_b64 s[0:1], s[18:19], 1
	v_xad_u32 v2, v0, -1, v29
	s_add_u32 s3, s6, s0
	s_addc_u32 s4, s7, s1
	v_lshlrev_b64 v[3:4], 1, v[30:31]
	v_mov_b32_e32 v1, v0
	v_cmp_gt_u32_e32 vcc_lo, 0xc80, v2
	s_delay_alu instid0(VALU_DEP_3) | instskip(NEXT) | instid1(VALU_DEP_1)
	v_add_co_u32 v6, s1, s3, v3
	v_add_co_ci_u32_e64 v7, s1, s4, v4, s1
	s_mov_b32 s1, -1
	s_mov_b32 s3, exec_lo
	v_cmpx_lt_u32_e32 0xc7f, v2
	s_cbranch_execz .LBB491_276
; %bb.266:
	v_sub_nc_u32_e32 v1, v0, v29
	s_delay_alu instid0(VALU_DEP_1) | instskip(NEXT) | instid1(VALU_DEP_1)
	v_or_b32_e32 v1, 0x7f, v1
	v_cmp_ge_u32_e64 s0, v1, v0
	v_mov_b32_e32 v1, v0
	s_delay_alu instid0(VALU_DEP_2)
	s_and_saveexec_b32 s4, s0
	s_cbranch_execz .LBB491_275
; %bb.267:
	v_lshrrev_b32_e32 v8, 7, v2
	v_or_b32_e32 v1, 0x80, v0
	v_lshlrev_b32_e32 v9, 1, v0
	s_delay_alu instid0(VALU_DEP_3) | instskip(NEXT) | instid1(VALU_DEP_1)
	v_dual_mov_b32 v13, 0 :: v_dual_add_nc_u32 v2, -1, v8
	v_lshrrev_b32_e32 v3, 1, v2
	v_cmp_lt_u32_e64 s0, 13, v2
	s_delay_alu instid0(VALU_DEP_2) | instskip(SKIP_1) | instid1(VALU_DEP_3)
	v_dual_mov_b32 v3, v1 :: v_dual_add_nc_u32 v10, 1, v3
	v_mov_b32_e32 v2, v0
	s_and_saveexec_b32 s1, s0
	s_cbranch_execz .LBB491_271
; %bb.268:
	v_mov_b32_e32 v3, v1
	v_dual_mov_b32 v12, v9 :: v_dual_and_b32 v11, -8, v10
	v_dual_mov_b32 v5, 0 :: v_dual_mov_b32 v2, v0
	s_mov_b32 s5, 0
	s_mov_b32 s6, 0
.LBB491_269:                            ; =>This Inner Loop Header: Depth=1
	s_delay_alu instid0(VALU_DEP_1) | instskip(SKIP_2) | instid1(VALU_DEP_3)
	v_dual_mov_b32 v4, v2 :: v_dual_mov_b32 v15, v5
	v_add_nc_u32_e32 v11, -8, v11
	v_dual_mov_b32 v17, v5 :: v_dual_add_nc_u32 v14, 0x100, v3
	v_lshlrev_b64 v[31:32], 1, v[4:5]
	v_dual_mov_b32 v19, v5 :: v_dual_add_nc_u32 v16, 0x200, v3
	v_mov_b32_e32 v4, v3
	v_cmp_eq_u32_e64 s0, 0, v11
	v_lshlrev_b64 v[14:15], 1, v[14:15]
	v_dual_mov_b32 v21, v5 :: v_dual_add_nc_u32 v18, 0x300, v3
	s_add_i32 s6, s6, 16
	v_lshlrev_b64 v[16:17], 1, v[16:17]
	s_or_b32 s5, s0, s5
	v_add_co_u32 v31, s0, v6, v31
	v_dual_mov_b32 v23, v5 :: v_dual_add_nc_u32 v20, 0x400, v3
	v_add_co_ci_u32_e64 v32, s0, v7, v32, s0
	v_lshlrev_b64 v[18:19], 1, v[18:19]
	v_add_co_u32 v14, s0, v6, v14
	v_dual_mov_b32 v25, v5 :: v_dual_add_nc_u32 v22, 0x500, v3
	v_add_co_ci_u32_e64 v15, s0, v7, v15, s0
	v_lshlrev_b64 v[20:21], 1, v[20:21]
	;; [unrolled: 4-line block ×4, first 2 shown]
	v_add_co_u32 v20, s0, v6, v20
	ds_load_u16 v1, v12
	ds_load_u16 v28, v12 offset:256
	ds_load_u16 v37, v12 offset:512
	ds_load_u16 v38, v12 offset:768
	ds_load_u16 v39, v12 offset:1024
	ds_load_u16 v40, v12 offset:1280
	ds_load_u16 v41, v12 offset:1536
	ds_load_u16 v42, v12 offset:1792
	v_add_co_ci_u32_e64 v21, s0, v7, v21, s0
	v_lshlrev_b64 v[26:27], 1, v[26:27]
	v_add_co_u32 v22, s0, v6, v22
	v_lshlrev_b64 v[33:34], 1, v[4:5]
	v_add_nc_u32_e32 v4, 0x100, v2
	v_add_co_ci_u32_e64 v23, s0, v7, v23, s0
	v_add_co_u32 v24, s0, v6, v24
	s_delay_alu instid0(VALU_DEP_1)
	v_add_co_ci_u32_e64 v25, s0, v7, v25, s0
	v_add_co_u32 v26, s0, v6, v26
	v_lshlrev_b64 v[35:36], 1, v[4:5]
	v_add_nc_u32_e32 v4, 0x200, v2
	v_add_co_ci_u32_e64 v27, s0, v7, v27, s0
	v_add_co_u32 v33, s0, v6, v33
	ds_load_u16 v43, v12 offset:2048
	ds_load_u16 v44, v12 offset:2304
	;; [unrolled: 1-line block ×8, first 2 shown]
	v_add_co_ci_u32_e64 v34, s0, v7, v34, s0
	s_waitcnt lgkmcnt(15)
	global_store_b16 v[31:32], v1, off
	v_lshlrev_b64 v[31:32], 1, v[4:5]
	v_add_nc_u32_e32 v4, 0x300, v2
	v_add_co_u32 v35, s0, v6, v35
	s_delay_alu instid0(VALU_DEP_1)
	v_add_co_ci_u32_e64 v36, s0, v7, v36, s0
	s_waitcnt lgkmcnt(14)
	global_store_b16 v[33:34], v28, off
	v_lshlrev_b64 v[33:34], 1, v[4:5]
	v_add_nc_u32_e32 v4, 0x400, v2
	s_waitcnt lgkmcnt(13)
	global_store_b16 v[35:36], v37, off
	s_waitcnt lgkmcnt(12)
	global_store_b16 v[14:15], v38, off
	v_add_co_u32 v14, s0, v6, v31
	s_delay_alu instid0(VALU_DEP_1) | instskip(SKIP_3) | instid1(VALU_DEP_1)
	v_add_co_ci_u32_e64 v15, s0, v7, v32, s0
	v_lshlrev_b64 v[31:32], 1, v[4:5]
	v_add_nc_u32_e32 v4, 0x500, v2
	v_add_co_u32 v33, s0, v6, v33
	v_add_co_ci_u32_e64 v34, s0, v7, v34, s0
	s_waitcnt lgkmcnt(11)
	global_store_b16 v[14:15], v39, off
	s_waitcnt lgkmcnt(10)
	global_store_b16 v[16:17], v40, off
	v_lshlrev_b64 v[14:15], 1, v[4:5]
	v_add_nc_u32_e32 v4, 0x600, v2
	v_add_co_u32 v16, s0, v6, v31
	s_waitcnt lgkmcnt(9)
	global_store_b16 v[33:34], v41, off
	s_waitcnt lgkmcnt(8)
	global_store_b16 v[18:19], v42, off
	v_add_co_ci_u32_e64 v17, s0, v7, v32, s0
	v_lshlrev_b64 v[18:19], 1, v[4:5]
	v_add_nc_u32_e32 v4, 0x700, v2
	v_add_co_u32 v14, s0, v6, v14
	s_delay_alu instid0(VALU_DEP_1)
	v_add_co_ci_u32_e64 v15, s0, v7, v15, s0
	s_waitcnt lgkmcnt(7)
	global_store_b16 v[16:17], v43, off
	s_waitcnt lgkmcnt(6)
	global_store_b16 v[20:21], v44, off
	v_lshlrev_b64 v[16:17], 1, v[4:5]
	v_add_nc_u32_e32 v12, 0x1000, v12
	s_waitcnt lgkmcnt(5)
	global_store_b16 v[14:15], v45, off
	v_add_co_u32 v14, s0, v6, v18
	v_add_nc_u32_e32 v3, 0x800, v3
	v_add_nc_u32_e32 v2, 0x800, v2
	v_add_co_ci_u32_e64 v15, s0, v7, v19, s0
	v_add_co_u32 v16, s0, v6, v16
	s_delay_alu instid0(VALU_DEP_1)
	v_add_co_ci_u32_e64 v17, s0, v7, v17, s0
	s_waitcnt lgkmcnt(4)
	global_store_b16 v[22:23], v46, off
	s_waitcnt lgkmcnt(3)
	global_store_b16 v[14:15], v47, off
	;; [unrolled: 2-line block ×5, first 2 shown]
	s_and_not1_b32 exec_lo, exec_lo, s5
	s_cbranch_execnz .LBB491_269
; %bb.270:
	s_or_b32 exec_lo, exec_lo, s5
.LBB491_271:
	s_delay_alu instid0(SALU_CYCLE_1) | instskip(SKIP_3) | instid1(VALU_DEP_1)
	s_or_b32 exec_lo, exec_lo, s1
	v_and_b32_e32 v1, 7, v10
	s_mov_b32 s6, 0
	s_mov_b32 s5, exec_lo
	v_cmpx_ne_u32_e32 0, v1
	s_cbranch_execz .LBB491_274
; %bb.272:
	v_lshl_or_b32 v9, v13, 8, v9
	v_mov_b32_e32 v5, 0
	s_set_inst_prefetch_distance 0x1
	.p2align	6
.LBB491_273:                            ; =>This Inner Loop Header: Depth=1
	v_dual_mov_b32 v4, v2 :: v_dual_add_nc_u32 v1, -1, v1
	ds_load_u16 v14, v9
	ds_load_u16 v15, v9 offset:256
	v_add_nc_u32_e32 v2, 0x100, v2
	v_add_nc_u32_e32 v9, 0x200, v9
	v_lshlrev_b64 v[10:11], 1, v[4:5]
	v_mov_b32_e32 v4, v3
	v_cmp_eq_u32_e64 s0, 0, v1
	v_add_nc_u32_e32 v3, 0x100, v3
	s_delay_alu instid0(VALU_DEP_3) | instskip(SKIP_1) | instid1(VALU_DEP_1)
	v_lshlrev_b64 v[12:13], 1, v[4:5]
	v_add_co_u32 v10, s1, v6, v10
	v_add_co_ci_u32_e64 v11, s1, v7, v11, s1
	s_or_b32 s6, s0, s6
	s_delay_alu instid0(VALU_DEP_3) | instskip(NEXT) | instid1(VALU_DEP_1)
	v_add_co_u32 v12, s1, v6, v12
	v_add_co_ci_u32_e64 v13, s1, v7, v13, s1
	s_waitcnt lgkmcnt(1)
	global_store_b16 v[10:11], v14, off
	s_waitcnt lgkmcnt(0)
	global_store_b16 v[12:13], v15, off
	s_and_not1_b32 exec_lo, exec_lo, s6
	s_cbranch_execnz .LBB491_273
.LBB491_274:
	s_set_inst_prefetch_distance 0x2
	s_or_b32 exec_lo, exec_lo, s5
	v_add_nc_u32_e32 v1, 1, v8
	s_delay_alu instid0(VALU_DEP_1) | instskip(NEXT) | instid1(VALU_DEP_1)
	v_and_b32_e32 v2, 0x3fffffe, v1
	v_cmp_ne_u32_e64 s0, v1, v2
	v_lshl_or_b32 v1, v2, 7, v0
	s_delay_alu instid0(VALU_DEP_2)
	s_or_not1_b32 s1, s0, exec_lo
.LBB491_275:
	s_or_b32 exec_lo, exec_lo, s4
	s_delay_alu instid0(SALU_CYCLE_1) | instskip(SKIP_1) | instid1(SALU_CYCLE_1)
	s_and_not1_b32 s0, vcc_lo, exec_lo
	s_and_b32 s1, s1, exec_lo
	s_or_b32 vcc_lo, s0, s1
.LBB491_276:
	s_or_b32 exec_lo, exec_lo, s3
	s_delay_alu instid0(SALU_CYCLE_1)
	s_and_b32 exec_lo, exec_lo, vcc_lo
	s_cbranch_execz .LBB491_279
; %bb.277:
	v_dual_mov_b32 v2, 0 :: v_dual_lshlrev_b32 v3, 1, v1
	s_mov_b32 s1, 0
	.p2align	6
.LBB491_278:                            ; =>This Inner Loop Header: Depth=1
	ds_load_u16 v8, v3
	v_lshlrev_b64 v[4:5], 1, v[1:2]
	v_add_nc_u32_e32 v1, 0x80, v1
	v_add_nc_u32_e32 v3, 0x100, v3
	s_delay_alu instid0(VALU_DEP_2) | instskip(NEXT) | instid1(VALU_DEP_4)
	v_cmp_ge_u32_e32 vcc_lo, v1, v29
	v_add_co_u32 v4, s0, v6, v4
	s_delay_alu instid0(VALU_DEP_1)
	v_add_co_ci_u32_e64 v5, s0, v7, v5, s0
	s_or_b32 s1, vcc_lo, s1
	s_waitcnt lgkmcnt(0)
	global_store_b16 v[4:5], v8, off
	s_and_not1_b32 exec_lo, exec_lo, s1
	s_cbranch_execnz .LBB491_278
.LBB491_279:
	s_or_b32 exec_lo, exec_lo, s2
	v_cmp_eq_u32_e32 vcc_lo, 0, v0
	s_and_b32 s0, vcc_lo, s13
	s_delay_alu instid0(SALU_CYCLE_1)
	s_and_saveexec_b32 s1, s0
	s_cbranch_execz .LBB491_202
.LBB491_280:
	v_add_co_u32 v0, s0, s18, v29
	s_delay_alu instid0(VALU_DEP_1) | instskip(SKIP_1) | instid1(VALU_DEP_3)
	v_add_co_ci_u32_e64 v1, null, s19, 0, s0
	v_mov_b32_e32 v2, 0
	v_add_co_u32 v0, vcc_lo, v0, v30
	s_delay_alu instid0(VALU_DEP_3)
	v_add_co_ci_u32_e32 v1, vcc_lo, 0, v1, vcc_lo
	global_store_b64 v2, v[0:1], s[16:17]
	s_nop 0
	s_sendmsg sendmsg(MSG_DEALLOC_VGPRS)
	s_endpgm
	.section	.rodata,"a",@progbits
	.p2align	6, 0x0
	.amdhsa_kernel _ZN7rocprim17ROCPRIM_400000_NS6detail17trampoline_kernelINS0_14default_configENS1_25partition_config_selectorILNS1_17partition_subalgoE9EssbEEZZNS1_14partition_implILS5_9ELb0ES3_jN6thrust23THRUST_200600_302600_NS6detail15normal_iteratorINS9_10device_ptrIsEEEESE_PNS0_10empty_typeENS0_5tupleIJSE_SF_EEENSH_IJSE_SG_EEENS0_18inequality_wrapperINS9_8equal_toIsEEEEPmJSF_EEE10hipError_tPvRmT3_T4_T5_T6_T7_T9_mT8_P12ihipStream_tbDpT10_ENKUlT_T0_E_clISt17integral_constantIbLb1EES17_IbLb0EEEEDaS13_S14_EUlS13_E_NS1_11comp_targetILNS1_3genE9ELNS1_11target_archE1100ELNS1_3gpuE3ELNS1_3repE0EEENS1_30default_config_static_selectorELNS0_4arch9wavefront6targetE0EEEvT1_
		.amdhsa_group_segment_fixed_size 3080
		.amdhsa_private_segment_fixed_size 0
		.amdhsa_kernarg_size 112
		.amdhsa_user_sgpr_count 15
		.amdhsa_user_sgpr_dispatch_ptr 0
		.amdhsa_user_sgpr_queue_ptr 0
		.amdhsa_user_sgpr_kernarg_segment_ptr 1
		.amdhsa_user_sgpr_dispatch_id 0
		.amdhsa_user_sgpr_private_segment_size 0
		.amdhsa_wavefront_size32 1
		.amdhsa_uses_dynamic_stack 0
		.amdhsa_enable_private_segment 0
		.amdhsa_system_sgpr_workgroup_id_x 1
		.amdhsa_system_sgpr_workgroup_id_y 0
		.amdhsa_system_sgpr_workgroup_id_z 0
		.amdhsa_system_sgpr_workgroup_info 0
		.amdhsa_system_vgpr_workitem_id 0
		.amdhsa_next_free_vgpr 81
		.amdhsa_next_free_sgpr 24
		.amdhsa_reserve_vcc 1
		.amdhsa_float_round_mode_32 0
		.amdhsa_float_round_mode_16_64 0
		.amdhsa_float_denorm_mode_32 3
		.amdhsa_float_denorm_mode_16_64 3
		.amdhsa_dx10_clamp 1
		.amdhsa_ieee_mode 1
		.amdhsa_fp16_overflow 0
		.amdhsa_workgroup_processor_mode 1
		.amdhsa_memory_ordered 1
		.amdhsa_forward_progress 0
		.amdhsa_shared_vgpr_count 0
		.amdhsa_exception_fp_ieee_invalid_op 0
		.amdhsa_exception_fp_denorm_src 0
		.amdhsa_exception_fp_ieee_div_zero 0
		.amdhsa_exception_fp_ieee_overflow 0
		.amdhsa_exception_fp_ieee_underflow 0
		.amdhsa_exception_fp_ieee_inexact 0
		.amdhsa_exception_int_div_zero 0
	.end_amdhsa_kernel
	.section	.text._ZN7rocprim17ROCPRIM_400000_NS6detail17trampoline_kernelINS0_14default_configENS1_25partition_config_selectorILNS1_17partition_subalgoE9EssbEEZZNS1_14partition_implILS5_9ELb0ES3_jN6thrust23THRUST_200600_302600_NS6detail15normal_iteratorINS9_10device_ptrIsEEEESE_PNS0_10empty_typeENS0_5tupleIJSE_SF_EEENSH_IJSE_SG_EEENS0_18inequality_wrapperINS9_8equal_toIsEEEEPmJSF_EEE10hipError_tPvRmT3_T4_T5_T6_T7_T9_mT8_P12ihipStream_tbDpT10_ENKUlT_T0_E_clISt17integral_constantIbLb1EES17_IbLb0EEEEDaS13_S14_EUlS13_E_NS1_11comp_targetILNS1_3genE9ELNS1_11target_archE1100ELNS1_3gpuE3ELNS1_3repE0EEENS1_30default_config_static_selectorELNS0_4arch9wavefront6targetE0EEEvT1_,"axG",@progbits,_ZN7rocprim17ROCPRIM_400000_NS6detail17trampoline_kernelINS0_14default_configENS1_25partition_config_selectorILNS1_17partition_subalgoE9EssbEEZZNS1_14partition_implILS5_9ELb0ES3_jN6thrust23THRUST_200600_302600_NS6detail15normal_iteratorINS9_10device_ptrIsEEEESE_PNS0_10empty_typeENS0_5tupleIJSE_SF_EEENSH_IJSE_SG_EEENS0_18inequality_wrapperINS9_8equal_toIsEEEEPmJSF_EEE10hipError_tPvRmT3_T4_T5_T6_T7_T9_mT8_P12ihipStream_tbDpT10_ENKUlT_T0_E_clISt17integral_constantIbLb1EES17_IbLb0EEEEDaS13_S14_EUlS13_E_NS1_11comp_targetILNS1_3genE9ELNS1_11target_archE1100ELNS1_3gpuE3ELNS1_3repE0EEENS1_30default_config_static_selectorELNS0_4arch9wavefront6targetE0EEEvT1_,comdat
.Lfunc_end491:
	.size	_ZN7rocprim17ROCPRIM_400000_NS6detail17trampoline_kernelINS0_14default_configENS1_25partition_config_selectorILNS1_17partition_subalgoE9EssbEEZZNS1_14partition_implILS5_9ELb0ES3_jN6thrust23THRUST_200600_302600_NS6detail15normal_iteratorINS9_10device_ptrIsEEEESE_PNS0_10empty_typeENS0_5tupleIJSE_SF_EEENSH_IJSE_SG_EEENS0_18inequality_wrapperINS9_8equal_toIsEEEEPmJSF_EEE10hipError_tPvRmT3_T4_T5_T6_T7_T9_mT8_P12ihipStream_tbDpT10_ENKUlT_T0_E_clISt17integral_constantIbLb1EES17_IbLb0EEEEDaS13_S14_EUlS13_E_NS1_11comp_targetILNS1_3genE9ELNS1_11target_archE1100ELNS1_3gpuE3ELNS1_3repE0EEENS1_30default_config_static_selectorELNS0_4arch9wavefront6targetE0EEEvT1_, .Lfunc_end491-_ZN7rocprim17ROCPRIM_400000_NS6detail17trampoline_kernelINS0_14default_configENS1_25partition_config_selectorILNS1_17partition_subalgoE9EssbEEZZNS1_14partition_implILS5_9ELb0ES3_jN6thrust23THRUST_200600_302600_NS6detail15normal_iteratorINS9_10device_ptrIsEEEESE_PNS0_10empty_typeENS0_5tupleIJSE_SF_EEENSH_IJSE_SG_EEENS0_18inequality_wrapperINS9_8equal_toIsEEEEPmJSF_EEE10hipError_tPvRmT3_T4_T5_T6_T7_T9_mT8_P12ihipStream_tbDpT10_ENKUlT_T0_E_clISt17integral_constantIbLb1EES17_IbLb0EEEEDaS13_S14_EUlS13_E_NS1_11comp_targetILNS1_3genE9ELNS1_11target_archE1100ELNS1_3gpuE3ELNS1_3repE0EEENS1_30default_config_static_selectorELNS0_4arch9wavefront6targetE0EEEvT1_
                                        ; -- End function
	.section	.AMDGPU.csdata,"",@progbits
; Kernel info:
; codeLenInByte = 13908
; NumSgprs: 26
; NumVgprs: 81
; ScratchSize: 0
; MemoryBound: 0
; FloatMode: 240
; IeeeMode: 1
; LDSByteSize: 3080 bytes/workgroup (compile time only)
; SGPRBlocks: 3
; VGPRBlocks: 10
; NumSGPRsForWavesPerEU: 26
; NumVGPRsForWavesPerEU: 81
; Occupancy: 16
; WaveLimiterHint : 1
; COMPUTE_PGM_RSRC2:SCRATCH_EN: 0
; COMPUTE_PGM_RSRC2:USER_SGPR: 15
; COMPUTE_PGM_RSRC2:TRAP_HANDLER: 0
; COMPUTE_PGM_RSRC2:TGID_X_EN: 1
; COMPUTE_PGM_RSRC2:TGID_Y_EN: 0
; COMPUTE_PGM_RSRC2:TGID_Z_EN: 0
; COMPUTE_PGM_RSRC2:TIDIG_COMP_CNT: 0
	.section	.text._ZN7rocprim17ROCPRIM_400000_NS6detail17trampoline_kernelINS0_14default_configENS1_25partition_config_selectorILNS1_17partition_subalgoE9EssbEEZZNS1_14partition_implILS5_9ELb0ES3_jN6thrust23THRUST_200600_302600_NS6detail15normal_iteratorINS9_10device_ptrIsEEEESE_PNS0_10empty_typeENS0_5tupleIJSE_SF_EEENSH_IJSE_SG_EEENS0_18inequality_wrapperINS9_8equal_toIsEEEEPmJSF_EEE10hipError_tPvRmT3_T4_T5_T6_T7_T9_mT8_P12ihipStream_tbDpT10_ENKUlT_T0_E_clISt17integral_constantIbLb1EES17_IbLb0EEEEDaS13_S14_EUlS13_E_NS1_11comp_targetILNS1_3genE8ELNS1_11target_archE1030ELNS1_3gpuE2ELNS1_3repE0EEENS1_30default_config_static_selectorELNS0_4arch9wavefront6targetE0EEEvT1_,"axG",@progbits,_ZN7rocprim17ROCPRIM_400000_NS6detail17trampoline_kernelINS0_14default_configENS1_25partition_config_selectorILNS1_17partition_subalgoE9EssbEEZZNS1_14partition_implILS5_9ELb0ES3_jN6thrust23THRUST_200600_302600_NS6detail15normal_iteratorINS9_10device_ptrIsEEEESE_PNS0_10empty_typeENS0_5tupleIJSE_SF_EEENSH_IJSE_SG_EEENS0_18inequality_wrapperINS9_8equal_toIsEEEEPmJSF_EEE10hipError_tPvRmT3_T4_T5_T6_T7_T9_mT8_P12ihipStream_tbDpT10_ENKUlT_T0_E_clISt17integral_constantIbLb1EES17_IbLb0EEEEDaS13_S14_EUlS13_E_NS1_11comp_targetILNS1_3genE8ELNS1_11target_archE1030ELNS1_3gpuE2ELNS1_3repE0EEENS1_30default_config_static_selectorELNS0_4arch9wavefront6targetE0EEEvT1_,comdat
	.protected	_ZN7rocprim17ROCPRIM_400000_NS6detail17trampoline_kernelINS0_14default_configENS1_25partition_config_selectorILNS1_17partition_subalgoE9EssbEEZZNS1_14partition_implILS5_9ELb0ES3_jN6thrust23THRUST_200600_302600_NS6detail15normal_iteratorINS9_10device_ptrIsEEEESE_PNS0_10empty_typeENS0_5tupleIJSE_SF_EEENSH_IJSE_SG_EEENS0_18inequality_wrapperINS9_8equal_toIsEEEEPmJSF_EEE10hipError_tPvRmT3_T4_T5_T6_T7_T9_mT8_P12ihipStream_tbDpT10_ENKUlT_T0_E_clISt17integral_constantIbLb1EES17_IbLb0EEEEDaS13_S14_EUlS13_E_NS1_11comp_targetILNS1_3genE8ELNS1_11target_archE1030ELNS1_3gpuE2ELNS1_3repE0EEENS1_30default_config_static_selectorELNS0_4arch9wavefront6targetE0EEEvT1_ ; -- Begin function _ZN7rocprim17ROCPRIM_400000_NS6detail17trampoline_kernelINS0_14default_configENS1_25partition_config_selectorILNS1_17partition_subalgoE9EssbEEZZNS1_14partition_implILS5_9ELb0ES3_jN6thrust23THRUST_200600_302600_NS6detail15normal_iteratorINS9_10device_ptrIsEEEESE_PNS0_10empty_typeENS0_5tupleIJSE_SF_EEENSH_IJSE_SG_EEENS0_18inequality_wrapperINS9_8equal_toIsEEEEPmJSF_EEE10hipError_tPvRmT3_T4_T5_T6_T7_T9_mT8_P12ihipStream_tbDpT10_ENKUlT_T0_E_clISt17integral_constantIbLb1EES17_IbLb0EEEEDaS13_S14_EUlS13_E_NS1_11comp_targetILNS1_3genE8ELNS1_11target_archE1030ELNS1_3gpuE2ELNS1_3repE0EEENS1_30default_config_static_selectorELNS0_4arch9wavefront6targetE0EEEvT1_
	.globl	_ZN7rocprim17ROCPRIM_400000_NS6detail17trampoline_kernelINS0_14default_configENS1_25partition_config_selectorILNS1_17partition_subalgoE9EssbEEZZNS1_14partition_implILS5_9ELb0ES3_jN6thrust23THRUST_200600_302600_NS6detail15normal_iteratorINS9_10device_ptrIsEEEESE_PNS0_10empty_typeENS0_5tupleIJSE_SF_EEENSH_IJSE_SG_EEENS0_18inequality_wrapperINS9_8equal_toIsEEEEPmJSF_EEE10hipError_tPvRmT3_T4_T5_T6_T7_T9_mT8_P12ihipStream_tbDpT10_ENKUlT_T0_E_clISt17integral_constantIbLb1EES17_IbLb0EEEEDaS13_S14_EUlS13_E_NS1_11comp_targetILNS1_3genE8ELNS1_11target_archE1030ELNS1_3gpuE2ELNS1_3repE0EEENS1_30default_config_static_selectorELNS0_4arch9wavefront6targetE0EEEvT1_
	.p2align	8
	.type	_ZN7rocprim17ROCPRIM_400000_NS6detail17trampoline_kernelINS0_14default_configENS1_25partition_config_selectorILNS1_17partition_subalgoE9EssbEEZZNS1_14partition_implILS5_9ELb0ES3_jN6thrust23THRUST_200600_302600_NS6detail15normal_iteratorINS9_10device_ptrIsEEEESE_PNS0_10empty_typeENS0_5tupleIJSE_SF_EEENSH_IJSE_SG_EEENS0_18inequality_wrapperINS9_8equal_toIsEEEEPmJSF_EEE10hipError_tPvRmT3_T4_T5_T6_T7_T9_mT8_P12ihipStream_tbDpT10_ENKUlT_T0_E_clISt17integral_constantIbLb1EES17_IbLb0EEEEDaS13_S14_EUlS13_E_NS1_11comp_targetILNS1_3genE8ELNS1_11target_archE1030ELNS1_3gpuE2ELNS1_3repE0EEENS1_30default_config_static_selectorELNS0_4arch9wavefront6targetE0EEEvT1_,@function
_ZN7rocprim17ROCPRIM_400000_NS6detail17trampoline_kernelINS0_14default_configENS1_25partition_config_selectorILNS1_17partition_subalgoE9EssbEEZZNS1_14partition_implILS5_9ELb0ES3_jN6thrust23THRUST_200600_302600_NS6detail15normal_iteratorINS9_10device_ptrIsEEEESE_PNS0_10empty_typeENS0_5tupleIJSE_SF_EEENSH_IJSE_SG_EEENS0_18inequality_wrapperINS9_8equal_toIsEEEEPmJSF_EEE10hipError_tPvRmT3_T4_T5_T6_T7_T9_mT8_P12ihipStream_tbDpT10_ENKUlT_T0_E_clISt17integral_constantIbLb1EES17_IbLb0EEEEDaS13_S14_EUlS13_E_NS1_11comp_targetILNS1_3genE8ELNS1_11target_archE1030ELNS1_3gpuE2ELNS1_3repE0EEENS1_30default_config_static_selectorELNS0_4arch9wavefront6targetE0EEEvT1_: ; @_ZN7rocprim17ROCPRIM_400000_NS6detail17trampoline_kernelINS0_14default_configENS1_25partition_config_selectorILNS1_17partition_subalgoE9EssbEEZZNS1_14partition_implILS5_9ELb0ES3_jN6thrust23THRUST_200600_302600_NS6detail15normal_iteratorINS9_10device_ptrIsEEEESE_PNS0_10empty_typeENS0_5tupleIJSE_SF_EEENSH_IJSE_SG_EEENS0_18inequality_wrapperINS9_8equal_toIsEEEEPmJSF_EEE10hipError_tPvRmT3_T4_T5_T6_T7_T9_mT8_P12ihipStream_tbDpT10_ENKUlT_T0_E_clISt17integral_constantIbLb1EES17_IbLb0EEEEDaS13_S14_EUlS13_E_NS1_11comp_targetILNS1_3genE8ELNS1_11target_archE1030ELNS1_3gpuE2ELNS1_3repE0EEENS1_30default_config_static_selectorELNS0_4arch9wavefront6targetE0EEEvT1_
; %bb.0:
	.section	.rodata,"a",@progbits
	.p2align	6, 0x0
	.amdhsa_kernel _ZN7rocprim17ROCPRIM_400000_NS6detail17trampoline_kernelINS0_14default_configENS1_25partition_config_selectorILNS1_17partition_subalgoE9EssbEEZZNS1_14partition_implILS5_9ELb0ES3_jN6thrust23THRUST_200600_302600_NS6detail15normal_iteratorINS9_10device_ptrIsEEEESE_PNS0_10empty_typeENS0_5tupleIJSE_SF_EEENSH_IJSE_SG_EEENS0_18inequality_wrapperINS9_8equal_toIsEEEEPmJSF_EEE10hipError_tPvRmT3_T4_T5_T6_T7_T9_mT8_P12ihipStream_tbDpT10_ENKUlT_T0_E_clISt17integral_constantIbLb1EES17_IbLb0EEEEDaS13_S14_EUlS13_E_NS1_11comp_targetILNS1_3genE8ELNS1_11target_archE1030ELNS1_3gpuE2ELNS1_3repE0EEENS1_30default_config_static_selectorELNS0_4arch9wavefront6targetE0EEEvT1_
		.amdhsa_group_segment_fixed_size 0
		.amdhsa_private_segment_fixed_size 0
		.amdhsa_kernarg_size 112
		.amdhsa_user_sgpr_count 15
		.amdhsa_user_sgpr_dispatch_ptr 0
		.amdhsa_user_sgpr_queue_ptr 0
		.amdhsa_user_sgpr_kernarg_segment_ptr 1
		.amdhsa_user_sgpr_dispatch_id 0
		.amdhsa_user_sgpr_private_segment_size 0
		.amdhsa_wavefront_size32 1
		.amdhsa_uses_dynamic_stack 0
		.amdhsa_enable_private_segment 0
		.amdhsa_system_sgpr_workgroup_id_x 1
		.amdhsa_system_sgpr_workgroup_id_y 0
		.amdhsa_system_sgpr_workgroup_id_z 0
		.amdhsa_system_sgpr_workgroup_info 0
		.amdhsa_system_vgpr_workitem_id 0
		.amdhsa_next_free_vgpr 1
		.amdhsa_next_free_sgpr 1
		.amdhsa_reserve_vcc 0
		.amdhsa_float_round_mode_32 0
		.amdhsa_float_round_mode_16_64 0
		.amdhsa_float_denorm_mode_32 3
		.amdhsa_float_denorm_mode_16_64 3
		.amdhsa_dx10_clamp 1
		.amdhsa_ieee_mode 1
		.amdhsa_fp16_overflow 0
		.amdhsa_workgroup_processor_mode 1
		.amdhsa_memory_ordered 1
		.amdhsa_forward_progress 0
		.amdhsa_shared_vgpr_count 0
		.amdhsa_exception_fp_ieee_invalid_op 0
		.amdhsa_exception_fp_denorm_src 0
		.amdhsa_exception_fp_ieee_div_zero 0
		.amdhsa_exception_fp_ieee_overflow 0
		.amdhsa_exception_fp_ieee_underflow 0
		.amdhsa_exception_fp_ieee_inexact 0
		.amdhsa_exception_int_div_zero 0
	.end_amdhsa_kernel
	.section	.text._ZN7rocprim17ROCPRIM_400000_NS6detail17trampoline_kernelINS0_14default_configENS1_25partition_config_selectorILNS1_17partition_subalgoE9EssbEEZZNS1_14partition_implILS5_9ELb0ES3_jN6thrust23THRUST_200600_302600_NS6detail15normal_iteratorINS9_10device_ptrIsEEEESE_PNS0_10empty_typeENS0_5tupleIJSE_SF_EEENSH_IJSE_SG_EEENS0_18inequality_wrapperINS9_8equal_toIsEEEEPmJSF_EEE10hipError_tPvRmT3_T4_T5_T6_T7_T9_mT8_P12ihipStream_tbDpT10_ENKUlT_T0_E_clISt17integral_constantIbLb1EES17_IbLb0EEEEDaS13_S14_EUlS13_E_NS1_11comp_targetILNS1_3genE8ELNS1_11target_archE1030ELNS1_3gpuE2ELNS1_3repE0EEENS1_30default_config_static_selectorELNS0_4arch9wavefront6targetE0EEEvT1_,"axG",@progbits,_ZN7rocprim17ROCPRIM_400000_NS6detail17trampoline_kernelINS0_14default_configENS1_25partition_config_selectorILNS1_17partition_subalgoE9EssbEEZZNS1_14partition_implILS5_9ELb0ES3_jN6thrust23THRUST_200600_302600_NS6detail15normal_iteratorINS9_10device_ptrIsEEEESE_PNS0_10empty_typeENS0_5tupleIJSE_SF_EEENSH_IJSE_SG_EEENS0_18inequality_wrapperINS9_8equal_toIsEEEEPmJSF_EEE10hipError_tPvRmT3_T4_T5_T6_T7_T9_mT8_P12ihipStream_tbDpT10_ENKUlT_T0_E_clISt17integral_constantIbLb1EES17_IbLb0EEEEDaS13_S14_EUlS13_E_NS1_11comp_targetILNS1_3genE8ELNS1_11target_archE1030ELNS1_3gpuE2ELNS1_3repE0EEENS1_30default_config_static_selectorELNS0_4arch9wavefront6targetE0EEEvT1_,comdat
.Lfunc_end492:
	.size	_ZN7rocprim17ROCPRIM_400000_NS6detail17trampoline_kernelINS0_14default_configENS1_25partition_config_selectorILNS1_17partition_subalgoE9EssbEEZZNS1_14partition_implILS5_9ELb0ES3_jN6thrust23THRUST_200600_302600_NS6detail15normal_iteratorINS9_10device_ptrIsEEEESE_PNS0_10empty_typeENS0_5tupleIJSE_SF_EEENSH_IJSE_SG_EEENS0_18inequality_wrapperINS9_8equal_toIsEEEEPmJSF_EEE10hipError_tPvRmT3_T4_T5_T6_T7_T9_mT8_P12ihipStream_tbDpT10_ENKUlT_T0_E_clISt17integral_constantIbLb1EES17_IbLb0EEEEDaS13_S14_EUlS13_E_NS1_11comp_targetILNS1_3genE8ELNS1_11target_archE1030ELNS1_3gpuE2ELNS1_3repE0EEENS1_30default_config_static_selectorELNS0_4arch9wavefront6targetE0EEEvT1_, .Lfunc_end492-_ZN7rocprim17ROCPRIM_400000_NS6detail17trampoline_kernelINS0_14default_configENS1_25partition_config_selectorILNS1_17partition_subalgoE9EssbEEZZNS1_14partition_implILS5_9ELb0ES3_jN6thrust23THRUST_200600_302600_NS6detail15normal_iteratorINS9_10device_ptrIsEEEESE_PNS0_10empty_typeENS0_5tupleIJSE_SF_EEENSH_IJSE_SG_EEENS0_18inequality_wrapperINS9_8equal_toIsEEEEPmJSF_EEE10hipError_tPvRmT3_T4_T5_T6_T7_T9_mT8_P12ihipStream_tbDpT10_ENKUlT_T0_E_clISt17integral_constantIbLb1EES17_IbLb0EEEEDaS13_S14_EUlS13_E_NS1_11comp_targetILNS1_3genE8ELNS1_11target_archE1030ELNS1_3gpuE2ELNS1_3repE0EEENS1_30default_config_static_selectorELNS0_4arch9wavefront6targetE0EEEvT1_
                                        ; -- End function
	.section	.AMDGPU.csdata,"",@progbits
; Kernel info:
; codeLenInByte = 0
; NumSgprs: 0
; NumVgprs: 0
; ScratchSize: 0
; MemoryBound: 0
; FloatMode: 240
; IeeeMode: 1
; LDSByteSize: 0 bytes/workgroup (compile time only)
; SGPRBlocks: 0
; VGPRBlocks: 0
; NumSGPRsForWavesPerEU: 1
; NumVGPRsForWavesPerEU: 1
; Occupancy: 15
; WaveLimiterHint : 0
; COMPUTE_PGM_RSRC2:SCRATCH_EN: 0
; COMPUTE_PGM_RSRC2:USER_SGPR: 15
; COMPUTE_PGM_RSRC2:TRAP_HANDLER: 0
; COMPUTE_PGM_RSRC2:TGID_X_EN: 1
; COMPUTE_PGM_RSRC2:TGID_Y_EN: 0
; COMPUTE_PGM_RSRC2:TGID_Z_EN: 0
; COMPUTE_PGM_RSRC2:TIDIG_COMP_CNT: 0
	.section	.text._ZN7rocprim17ROCPRIM_400000_NS6detail17trampoline_kernelINS0_14default_configENS1_25partition_config_selectorILNS1_17partition_subalgoE9EssbEEZZNS1_14partition_implILS5_9ELb0ES3_jN6thrust23THRUST_200600_302600_NS6detail15normal_iteratorINS9_10device_ptrIsEEEESE_PNS0_10empty_typeENS0_5tupleIJSE_SF_EEENSH_IJSE_SG_EEENS0_18inequality_wrapperINS9_8equal_toIsEEEEPmJSF_EEE10hipError_tPvRmT3_T4_T5_T6_T7_T9_mT8_P12ihipStream_tbDpT10_ENKUlT_T0_E_clISt17integral_constantIbLb0EES17_IbLb1EEEEDaS13_S14_EUlS13_E_NS1_11comp_targetILNS1_3genE0ELNS1_11target_archE4294967295ELNS1_3gpuE0ELNS1_3repE0EEENS1_30default_config_static_selectorELNS0_4arch9wavefront6targetE0EEEvT1_,"axG",@progbits,_ZN7rocprim17ROCPRIM_400000_NS6detail17trampoline_kernelINS0_14default_configENS1_25partition_config_selectorILNS1_17partition_subalgoE9EssbEEZZNS1_14partition_implILS5_9ELb0ES3_jN6thrust23THRUST_200600_302600_NS6detail15normal_iteratorINS9_10device_ptrIsEEEESE_PNS0_10empty_typeENS0_5tupleIJSE_SF_EEENSH_IJSE_SG_EEENS0_18inequality_wrapperINS9_8equal_toIsEEEEPmJSF_EEE10hipError_tPvRmT3_T4_T5_T6_T7_T9_mT8_P12ihipStream_tbDpT10_ENKUlT_T0_E_clISt17integral_constantIbLb0EES17_IbLb1EEEEDaS13_S14_EUlS13_E_NS1_11comp_targetILNS1_3genE0ELNS1_11target_archE4294967295ELNS1_3gpuE0ELNS1_3repE0EEENS1_30default_config_static_selectorELNS0_4arch9wavefront6targetE0EEEvT1_,comdat
	.protected	_ZN7rocprim17ROCPRIM_400000_NS6detail17trampoline_kernelINS0_14default_configENS1_25partition_config_selectorILNS1_17partition_subalgoE9EssbEEZZNS1_14partition_implILS5_9ELb0ES3_jN6thrust23THRUST_200600_302600_NS6detail15normal_iteratorINS9_10device_ptrIsEEEESE_PNS0_10empty_typeENS0_5tupleIJSE_SF_EEENSH_IJSE_SG_EEENS0_18inequality_wrapperINS9_8equal_toIsEEEEPmJSF_EEE10hipError_tPvRmT3_T4_T5_T6_T7_T9_mT8_P12ihipStream_tbDpT10_ENKUlT_T0_E_clISt17integral_constantIbLb0EES17_IbLb1EEEEDaS13_S14_EUlS13_E_NS1_11comp_targetILNS1_3genE0ELNS1_11target_archE4294967295ELNS1_3gpuE0ELNS1_3repE0EEENS1_30default_config_static_selectorELNS0_4arch9wavefront6targetE0EEEvT1_ ; -- Begin function _ZN7rocprim17ROCPRIM_400000_NS6detail17trampoline_kernelINS0_14default_configENS1_25partition_config_selectorILNS1_17partition_subalgoE9EssbEEZZNS1_14partition_implILS5_9ELb0ES3_jN6thrust23THRUST_200600_302600_NS6detail15normal_iteratorINS9_10device_ptrIsEEEESE_PNS0_10empty_typeENS0_5tupleIJSE_SF_EEENSH_IJSE_SG_EEENS0_18inequality_wrapperINS9_8equal_toIsEEEEPmJSF_EEE10hipError_tPvRmT3_T4_T5_T6_T7_T9_mT8_P12ihipStream_tbDpT10_ENKUlT_T0_E_clISt17integral_constantIbLb0EES17_IbLb1EEEEDaS13_S14_EUlS13_E_NS1_11comp_targetILNS1_3genE0ELNS1_11target_archE4294967295ELNS1_3gpuE0ELNS1_3repE0EEENS1_30default_config_static_selectorELNS0_4arch9wavefront6targetE0EEEvT1_
	.globl	_ZN7rocprim17ROCPRIM_400000_NS6detail17trampoline_kernelINS0_14default_configENS1_25partition_config_selectorILNS1_17partition_subalgoE9EssbEEZZNS1_14partition_implILS5_9ELb0ES3_jN6thrust23THRUST_200600_302600_NS6detail15normal_iteratorINS9_10device_ptrIsEEEESE_PNS0_10empty_typeENS0_5tupleIJSE_SF_EEENSH_IJSE_SG_EEENS0_18inequality_wrapperINS9_8equal_toIsEEEEPmJSF_EEE10hipError_tPvRmT3_T4_T5_T6_T7_T9_mT8_P12ihipStream_tbDpT10_ENKUlT_T0_E_clISt17integral_constantIbLb0EES17_IbLb1EEEEDaS13_S14_EUlS13_E_NS1_11comp_targetILNS1_3genE0ELNS1_11target_archE4294967295ELNS1_3gpuE0ELNS1_3repE0EEENS1_30default_config_static_selectorELNS0_4arch9wavefront6targetE0EEEvT1_
	.p2align	8
	.type	_ZN7rocprim17ROCPRIM_400000_NS6detail17trampoline_kernelINS0_14default_configENS1_25partition_config_selectorILNS1_17partition_subalgoE9EssbEEZZNS1_14partition_implILS5_9ELb0ES3_jN6thrust23THRUST_200600_302600_NS6detail15normal_iteratorINS9_10device_ptrIsEEEESE_PNS0_10empty_typeENS0_5tupleIJSE_SF_EEENSH_IJSE_SG_EEENS0_18inequality_wrapperINS9_8equal_toIsEEEEPmJSF_EEE10hipError_tPvRmT3_T4_T5_T6_T7_T9_mT8_P12ihipStream_tbDpT10_ENKUlT_T0_E_clISt17integral_constantIbLb0EES17_IbLb1EEEEDaS13_S14_EUlS13_E_NS1_11comp_targetILNS1_3genE0ELNS1_11target_archE4294967295ELNS1_3gpuE0ELNS1_3repE0EEENS1_30default_config_static_selectorELNS0_4arch9wavefront6targetE0EEEvT1_,@function
_ZN7rocprim17ROCPRIM_400000_NS6detail17trampoline_kernelINS0_14default_configENS1_25partition_config_selectorILNS1_17partition_subalgoE9EssbEEZZNS1_14partition_implILS5_9ELb0ES3_jN6thrust23THRUST_200600_302600_NS6detail15normal_iteratorINS9_10device_ptrIsEEEESE_PNS0_10empty_typeENS0_5tupleIJSE_SF_EEENSH_IJSE_SG_EEENS0_18inequality_wrapperINS9_8equal_toIsEEEEPmJSF_EEE10hipError_tPvRmT3_T4_T5_T6_T7_T9_mT8_P12ihipStream_tbDpT10_ENKUlT_T0_E_clISt17integral_constantIbLb0EES17_IbLb1EEEEDaS13_S14_EUlS13_E_NS1_11comp_targetILNS1_3genE0ELNS1_11target_archE4294967295ELNS1_3gpuE0ELNS1_3repE0EEENS1_30default_config_static_selectorELNS0_4arch9wavefront6targetE0EEEvT1_: ; @_ZN7rocprim17ROCPRIM_400000_NS6detail17trampoline_kernelINS0_14default_configENS1_25partition_config_selectorILNS1_17partition_subalgoE9EssbEEZZNS1_14partition_implILS5_9ELb0ES3_jN6thrust23THRUST_200600_302600_NS6detail15normal_iteratorINS9_10device_ptrIsEEEESE_PNS0_10empty_typeENS0_5tupleIJSE_SF_EEENSH_IJSE_SG_EEENS0_18inequality_wrapperINS9_8equal_toIsEEEEPmJSF_EEE10hipError_tPvRmT3_T4_T5_T6_T7_T9_mT8_P12ihipStream_tbDpT10_ENKUlT_T0_E_clISt17integral_constantIbLb0EES17_IbLb1EEEEDaS13_S14_EUlS13_E_NS1_11comp_targetILNS1_3genE0ELNS1_11target_archE4294967295ELNS1_3gpuE0ELNS1_3repE0EEENS1_30default_config_static_selectorELNS0_4arch9wavefront6targetE0EEEvT1_
; %bb.0:
	.section	.rodata,"a",@progbits
	.p2align	6, 0x0
	.amdhsa_kernel _ZN7rocprim17ROCPRIM_400000_NS6detail17trampoline_kernelINS0_14default_configENS1_25partition_config_selectorILNS1_17partition_subalgoE9EssbEEZZNS1_14partition_implILS5_9ELb0ES3_jN6thrust23THRUST_200600_302600_NS6detail15normal_iteratorINS9_10device_ptrIsEEEESE_PNS0_10empty_typeENS0_5tupleIJSE_SF_EEENSH_IJSE_SG_EEENS0_18inequality_wrapperINS9_8equal_toIsEEEEPmJSF_EEE10hipError_tPvRmT3_T4_T5_T6_T7_T9_mT8_P12ihipStream_tbDpT10_ENKUlT_T0_E_clISt17integral_constantIbLb0EES17_IbLb1EEEEDaS13_S14_EUlS13_E_NS1_11comp_targetILNS1_3genE0ELNS1_11target_archE4294967295ELNS1_3gpuE0ELNS1_3repE0EEENS1_30default_config_static_selectorELNS0_4arch9wavefront6targetE0EEEvT1_
		.amdhsa_group_segment_fixed_size 0
		.amdhsa_private_segment_fixed_size 0
		.amdhsa_kernarg_size 128
		.amdhsa_user_sgpr_count 15
		.amdhsa_user_sgpr_dispatch_ptr 0
		.amdhsa_user_sgpr_queue_ptr 0
		.amdhsa_user_sgpr_kernarg_segment_ptr 1
		.amdhsa_user_sgpr_dispatch_id 0
		.amdhsa_user_sgpr_private_segment_size 0
		.amdhsa_wavefront_size32 1
		.amdhsa_uses_dynamic_stack 0
		.amdhsa_enable_private_segment 0
		.amdhsa_system_sgpr_workgroup_id_x 1
		.amdhsa_system_sgpr_workgroup_id_y 0
		.amdhsa_system_sgpr_workgroup_id_z 0
		.amdhsa_system_sgpr_workgroup_info 0
		.amdhsa_system_vgpr_workitem_id 0
		.amdhsa_next_free_vgpr 1
		.amdhsa_next_free_sgpr 1
		.amdhsa_reserve_vcc 0
		.amdhsa_float_round_mode_32 0
		.amdhsa_float_round_mode_16_64 0
		.amdhsa_float_denorm_mode_32 3
		.amdhsa_float_denorm_mode_16_64 3
		.amdhsa_dx10_clamp 1
		.amdhsa_ieee_mode 1
		.amdhsa_fp16_overflow 0
		.amdhsa_workgroup_processor_mode 1
		.amdhsa_memory_ordered 1
		.amdhsa_forward_progress 0
		.amdhsa_shared_vgpr_count 0
		.amdhsa_exception_fp_ieee_invalid_op 0
		.amdhsa_exception_fp_denorm_src 0
		.amdhsa_exception_fp_ieee_div_zero 0
		.amdhsa_exception_fp_ieee_overflow 0
		.amdhsa_exception_fp_ieee_underflow 0
		.amdhsa_exception_fp_ieee_inexact 0
		.amdhsa_exception_int_div_zero 0
	.end_amdhsa_kernel
	.section	.text._ZN7rocprim17ROCPRIM_400000_NS6detail17trampoline_kernelINS0_14default_configENS1_25partition_config_selectorILNS1_17partition_subalgoE9EssbEEZZNS1_14partition_implILS5_9ELb0ES3_jN6thrust23THRUST_200600_302600_NS6detail15normal_iteratorINS9_10device_ptrIsEEEESE_PNS0_10empty_typeENS0_5tupleIJSE_SF_EEENSH_IJSE_SG_EEENS0_18inequality_wrapperINS9_8equal_toIsEEEEPmJSF_EEE10hipError_tPvRmT3_T4_T5_T6_T7_T9_mT8_P12ihipStream_tbDpT10_ENKUlT_T0_E_clISt17integral_constantIbLb0EES17_IbLb1EEEEDaS13_S14_EUlS13_E_NS1_11comp_targetILNS1_3genE0ELNS1_11target_archE4294967295ELNS1_3gpuE0ELNS1_3repE0EEENS1_30default_config_static_selectorELNS0_4arch9wavefront6targetE0EEEvT1_,"axG",@progbits,_ZN7rocprim17ROCPRIM_400000_NS6detail17trampoline_kernelINS0_14default_configENS1_25partition_config_selectorILNS1_17partition_subalgoE9EssbEEZZNS1_14partition_implILS5_9ELb0ES3_jN6thrust23THRUST_200600_302600_NS6detail15normal_iteratorINS9_10device_ptrIsEEEESE_PNS0_10empty_typeENS0_5tupleIJSE_SF_EEENSH_IJSE_SG_EEENS0_18inequality_wrapperINS9_8equal_toIsEEEEPmJSF_EEE10hipError_tPvRmT3_T4_T5_T6_T7_T9_mT8_P12ihipStream_tbDpT10_ENKUlT_T0_E_clISt17integral_constantIbLb0EES17_IbLb1EEEEDaS13_S14_EUlS13_E_NS1_11comp_targetILNS1_3genE0ELNS1_11target_archE4294967295ELNS1_3gpuE0ELNS1_3repE0EEENS1_30default_config_static_selectorELNS0_4arch9wavefront6targetE0EEEvT1_,comdat
.Lfunc_end493:
	.size	_ZN7rocprim17ROCPRIM_400000_NS6detail17trampoline_kernelINS0_14default_configENS1_25partition_config_selectorILNS1_17partition_subalgoE9EssbEEZZNS1_14partition_implILS5_9ELb0ES3_jN6thrust23THRUST_200600_302600_NS6detail15normal_iteratorINS9_10device_ptrIsEEEESE_PNS0_10empty_typeENS0_5tupleIJSE_SF_EEENSH_IJSE_SG_EEENS0_18inequality_wrapperINS9_8equal_toIsEEEEPmJSF_EEE10hipError_tPvRmT3_T4_T5_T6_T7_T9_mT8_P12ihipStream_tbDpT10_ENKUlT_T0_E_clISt17integral_constantIbLb0EES17_IbLb1EEEEDaS13_S14_EUlS13_E_NS1_11comp_targetILNS1_3genE0ELNS1_11target_archE4294967295ELNS1_3gpuE0ELNS1_3repE0EEENS1_30default_config_static_selectorELNS0_4arch9wavefront6targetE0EEEvT1_, .Lfunc_end493-_ZN7rocprim17ROCPRIM_400000_NS6detail17trampoline_kernelINS0_14default_configENS1_25partition_config_selectorILNS1_17partition_subalgoE9EssbEEZZNS1_14partition_implILS5_9ELb0ES3_jN6thrust23THRUST_200600_302600_NS6detail15normal_iteratorINS9_10device_ptrIsEEEESE_PNS0_10empty_typeENS0_5tupleIJSE_SF_EEENSH_IJSE_SG_EEENS0_18inequality_wrapperINS9_8equal_toIsEEEEPmJSF_EEE10hipError_tPvRmT3_T4_T5_T6_T7_T9_mT8_P12ihipStream_tbDpT10_ENKUlT_T0_E_clISt17integral_constantIbLb0EES17_IbLb1EEEEDaS13_S14_EUlS13_E_NS1_11comp_targetILNS1_3genE0ELNS1_11target_archE4294967295ELNS1_3gpuE0ELNS1_3repE0EEENS1_30default_config_static_selectorELNS0_4arch9wavefront6targetE0EEEvT1_
                                        ; -- End function
	.section	.AMDGPU.csdata,"",@progbits
; Kernel info:
; codeLenInByte = 0
; NumSgprs: 0
; NumVgprs: 0
; ScratchSize: 0
; MemoryBound: 0
; FloatMode: 240
; IeeeMode: 1
; LDSByteSize: 0 bytes/workgroup (compile time only)
; SGPRBlocks: 0
; VGPRBlocks: 0
; NumSGPRsForWavesPerEU: 1
; NumVGPRsForWavesPerEU: 1
; Occupancy: 16
; WaveLimiterHint : 0
; COMPUTE_PGM_RSRC2:SCRATCH_EN: 0
; COMPUTE_PGM_RSRC2:USER_SGPR: 15
; COMPUTE_PGM_RSRC2:TRAP_HANDLER: 0
; COMPUTE_PGM_RSRC2:TGID_X_EN: 1
; COMPUTE_PGM_RSRC2:TGID_Y_EN: 0
; COMPUTE_PGM_RSRC2:TGID_Z_EN: 0
; COMPUTE_PGM_RSRC2:TIDIG_COMP_CNT: 0
	.section	.text._ZN7rocprim17ROCPRIM_400000_NS6detail17trampoline_kernelINS0_14default_configENS1_25partition_config_selectorILNS1_17partition_subalgoE9EssbEEZZNS1_14partition_implILS5_9ELb0ES3_jN6thrust23THRUST_200600_302600_NS6detail15normal_iteratorINS9_10device_ptrIsEEEESE_PNS0_10empty_typeENS0_5tupleIJSE_SF_EEENSH_IJSE_SG_EEENS0_18inequality_wrapperINS9_8equal_toIsEEEEPmJSF_EEE10hipError_tPvRmT3_T4_T5_T6_T7_T9_mT8_P12ihipStream_tbDpT10_ENKUlT_T0_E_clISt17integral_constantIbLb0EES17_IbLb1EEEEDaS13_S14_EUlS13_E_NS1_11comp_targetILNS1_3genE5ELNS1_11target_archE942ELNS1_3gpuE9ELNS1_3repE0EEENS1_30default_config_static_selectorELNS0_4arch9wavefront6targetE0EEEvT1_,"axG",@progbits,_ZN7rocprim17ROCPRIM_400000_NS6detail17trampoline_kernelINS0_14default_configENS1_25partition_config_selectorILNS1_17partition_subalgoE9EssbEEZZNS1_14partition_implILS5_9ELb0ES3_jN6thrust23THRUST_200600_302600_NS6detail15normal_iteratorINS9_10device_ptrIsEEEESE_PNS0_10empty_typeENS0_5tupleIJSE_SF_EEENSH_IJSE_SG_EEENS0_18inequality_wrapperINS9_8equal_toIsEEEEPmJSF_EEE10hipError_tPvRmT3_T4_T5_T6_T7_T9_mT8_P12ihipStream_tbDpT10_ENKUlT_T0_E_clISt17integral_constantIbLb0EES17_IbLb1EEEEDaS13_S14_EUlS13_E_NS1_11comp_targetILNS1_3genE5ELNS1_11target_archE942ELNS1_3gpuE9ELNS1_3repE0EEENS1_30default_config_static_selectorELNS0_4arch9wavefront6targetE0EEEvT1_,comdat
	.protected	_ZN7rocprim17ROCPRIM_400000_NS6detail17trampoline_kernelINS0_14default_configENS1_25partition_config_selectorILNS1_17partition_subalgoE9EssbEEZZNS1_14partition_implILS5_9ELb0ES3_jN6thrust23THRUST_200600_302600_NS6detail15normal_iteratorINS9_10device_ptrIsEEEESE_PNS0_10empty_typeENS0_5tupleIJSE_SF_EEENSH_IJSE_SG_EEENS0_18inequality_wrapperINS9_8equal_toIsEEEEPmJSF_EEE10hipError_tPvRmT3_T4_T5_T6_T7_T9_mT8_P12ihipStream_tbDpT10_ENKUlT_T0_E_clISt17integral_constantIbLb0EES17_IbLb1EEEEDaS13_S14_EUlS13_E_NS1_11comp_targetILNS1_3genE5ELNS1_11target_archE942ELNS1_3gpuE9ELNS1_3repE0EEENS1_30default_config_static_selectorELNS0_4arch9wavefront6targetE0EEEvT1_ ; -- Begin function _ZN7rocprim17ROCPRIM_400000_NS6detail17trampoline_kernelINS0_14default_configENS1_25partition_config_selectorILNS1_17partition_subalgoE9EssbEEZZNS1_14partition_implILS5_9ELb0ES3_jN6thrust23THRUST_200600_302600_NS6detail15normal_iteratorINS9_10device_ptrIsEEEESE_PNS0_10empty_typeENS0_5tupleIJSE_SF_EEENSH_IJSE_SG_EEENS0_18inequality_wrapperINS9_8equal_toIsEEEEPmJSF_EEE10hipError_tPvRmT3_T4_T5_T6_T7_T9_mT8_P12ihipStream_tbDpT10_ENKUlT_T0_E_clISt17integral_constantIbLb0EES17_IbLb1EEEEDaS13_S14_EUlS13_E_NS1_11comp_targetILNS1_3genE5ELNS1_11target_archE942ELNS1_3gpuE9ELNS1_3repE0EEENS1_30default_config_static_selectorELNS0_4arch9wavefront6targetE0EEEvT1_
	.globl	_ZN7rocprim17ROCPRIM_400000_NS6detail17trampoline_kernelINS0_14default_configENS1_25partition_config_selectorILNS1_17partition_subalgoE9EssbEEZZNS1_14partition_implILS5_9ELb0ES3_jN6thrust23THRUST_200600_302600_NS6detail15normal_iteratorINS9_10device_ptrIsEEEESE_PNS0_10empty_typeENS0_5tupleIJSE_SF_EEENSH_IJSE_SG_EEENS0_18inequality_wrapperINS9_8equal_toIsEEEEPmJSF_EEE10hipError_tPvRmT3_T4_T5_T6_T7_T9_mT8_P12ihipStream_tbDpT10_ENKUlT_T0_E_clISt17integral_constantIbLb0EES17_IbLb1EEEEDaS13_S14_EUlS13_E_NS1_11comp_targetILNS1_3genE5ELNS1_11target_archE942ELNS1_3gpuE9ELNS1_3repE0EEENS1_30default_config_static_selectorELNS0_4arch9wavefront6targetE0EEEvT1_
	.p2align	8
	.type	_ZN7rocprim17ROCPRIM_400000_NS6detail17trampoline_kernelINS0_14default_configENS1_25partition_config_selectorILNS1_17partition_subalgoE9EssbEEZZNS1_14partition_implILS5_9ELb0ES3_jN6thrust23THRUST_200600_302600_NS6detail15normal_iteratorINS9_10device_ptrIsEEEESE_PNS0_10empty_typeENS0_5tupleIJSE_SF_EEENSH_IJSE_SG_EEENS0_18inequality_wrapperINS9_8equal_toIsEEEEPmJSF_EEE10hipError_tPvRmT3_T4_T5_T6_T7_T9_mT8_P12ihipStream_tbDpT10_ENKUlT_T0_E_clISt17integral_constantIbLb0EES17_IbLb1EEEEDaS13_S14_EUlS13_E_NS1_11comp_targetILNS1_3genE5ELNS1_11target_archE942ELNS1_3gpuE9ELNS1_3repE0EEENS1_30default_config_static_selectorELNS0_4arch9wavefront6targetE0EEEvT1_,@function
_ZN7rocprim17ROCPRIM_400000_NS6detail17trampoline_kernelINS0_14default_configENS1_25partition_config_selectorILNS1_17partition_subalgoE9EssbEEZZNS1_14partition_implILS5_9ELb0ES3_jN6thrust23THRUST_200600_302600_NS6detail15normal_iteratorINS9_10device_ptrIsEEEESE_PNS0_10empty_typeENS0_5tupleIJSE_SF_EEENSH_IJSE_SG_EEENS0_18inequality_wrapperINS9_8equal_toIsEEEEPmJSF_EEE10hipError_tPvRmT3_T4_T5_T6_T7_T9_mT8_P12ihipStream_tbDpT10_ENKUlT_T0_E_clISt17integral_constantIbLb0EES17_IbLb1EEEEDaS13_S14_EUlS13_E_NS1_11comp_targetILNS1_3genE5ELNS1_11target_archE942ELNS1_3gpuE9ELNS1_3repE0EEENS1_30default_config_static_selectorELNS0_4arch9wavefront6targetE0EEEvT1_: ; @_ZN7rocprim17ROCPRIM_400000_NS6detail17trampoline_kernelINS0_14default_configENS1_25partition_config_selectorILNS1_17partition_subalgoE9EssbEEZZNS1_14partition_implILS5_9ELb0ES3_jN6thrust23THRUST_200600_302600_NS6detail15normal_iteratorINS9_10device_ptrIsEEEESE_PNS0_10empty_typeENS0_5tupleIJSE_SF_EEENSH_IJSE_SG_EEENS0_18inequality_wrapperINS9_8equal_toIsEEEEPmJSF_EEE10hipError_tPvRmT3_T4_T5_T6_T7_T9_mT8_P12ihipStream_tbDpT10_ENKUlT_T0_E_clISt17integral_constantIbLb0EES17_IbLb1EEEEDaS13_S14_EUlS13_E_NS1_11comp_targetILNS1_3genE5ELNS1_11target_archE942ELNS1_3gpuE9ELNS1_3repE0EEENS1_30default_config_static_selectorELNS0_4arch9wavefront6targetE0EEEvT1_
; %bb.0:
	.section	.rodata,"a",@progbits
	.p2align	6, 0x0
	.amdhsa_kernel _ZN7rocprim17ROCPRIM_400000_NS6detail17trampoline_kernelINS0_14default_configENS1_25partition_config_selectorILNS1_17partition_subalgoE9EssbEEZZNS1_14partition_implILS5_9ELb0ES3_jN6thrust23THRUST_200600_302600_NS6detail15normal_iteratorINS9_10device_ptrIsEEEESE_PNS0_10empty_typeENS0_5tupleIJSE_SF_EEENSH_IJSE_SG_EEENS0_18inequality_wrapperINS9_8equal_toIsEEEEPmJSF_EEE10hipError_tPvRmT3_T4_T5_T6_T7_T9_mT8_P12ihipStream_tbDpT10_ENKUlT_T0_E_clISt17integral_constantIbLb0EES17_IbLb1EEEEDaS13_S14_EUlS13_E_NS1_11comp_targetILNS1_3genE5ELNS1_11target_archE942ELNS1_3gpuE9ELNS1_3repE0EEENS1_30default_config_static_selectorELNS0_4arch9wavefront6targetE0EEEvT1_
		.amdhsa_group_segment_fixed_size 0
		.amdhsa_private_segment_fixed_size 0
		.amdhsa_kernarg_size 128
		.amdhsa_user_sgpr_count 15
		.amdhsa_user_sgpr_dispatch_ptr 0
		.amdhsa_user_sgpr_queue_ptr 0
		.amdhsa_user_sgpr_kernarg_segment_ptr 1
		.amdhsa_user_sgpr_dispatch_id 0
		.amdhsa_user_sgpr_private_segment_size 0
		.amdhsa_wavefront_size32 1
		.amdhsa_uses_dynamic_stack 0
		.amdhsa_enable_private_segment 0
		.amdhsa_system_sgpr_workgroup_id_x 1
		.amdhsa_system_sgpr_workgroup_id_y 0
		.amdhsa_system_sgpr_workgroup_id_z 0
		.amdhsa_system_sgpr_workgroup_info 0
		.amdhsa_system_vgpr_workitem_id 0
		.amdhsa_next_free_vgpr 1
		.amdhsa_next_free_sgpr 1
		.amdhsa_reserve_vcc 0
		.amdhsa_float_round_mode_32 0
		.amdhsa_float_round_mode_16_64 0
		.amdhsa_float_denorm_mode_32 3
		.amdhsa_float_denorm_mode_16_64 3
		.amdhsa_dx10_clamp 1
		.amdhsa_ieee_mode 1
		.amdhsa_fp16_overflow 0
		.amdhsa_workgroup_processor_mode 1
		.amdhsa_memory_ordered 1
		.amdhsa_forward_progress 0
		.amdhsa_shared_vgpr_count 0
		.amdhsa_exception_fp_ieee_invalid_op 0
		.amdhsa_exception_fp_denorm_src 0
		.amdhsa_exception_fp_ieee_div_zero 0
		.amdhsa_exception_fp_ieee_overflow 0
		.amdhsa_exception_fp_ieee_underflow 0
		.amdhsa_exception_fp_ieee_inexact 0
		.amdhsa_exception_int_div_zero 0
	.end_amdhsa_kernel
	.section	.text._ZN7rocprim17ROCPRIM_400000_NS6detail17trampoline_kernelINS0_14default_configENS1_25partition_config_selectorILNS1_17partition_subalgoE9EssbEEZZNS1_14partition_implILS5_9ELb0ES3_jN6thrust23THRUST_200600_302600_NS6detail15normal_iteratorINS9_10device_ptrIsEEEESE_PNS0_10empty_typeENS0_5tupleIJSE_SF_EEENSH_IJSE_SG_EEENS0_18inequality_wrapperINS9_8equal_toIsEEEEPmJSF_EEE10hipError_tPvRmT3_T4_T5_T6_T7_T9_mT8_P12ihipStream_tbDpT10_ENKUlT_T0_E_clISt17integral_constantIbLb0EES17_IbLb1EEEEDaS13_S14_EUlS13_E_NS1_11comp_targetILNS1_3genE5ELNS1_11target_archE942ELNS1_3gpuE9ELNS1_3repE0EEENS1_30default_config_static_selectorELNS0_4arch9wavefront6targetE0EEEvT1_,"axG",@progbits,_ZN7rocprim17ROCPRIM_400000_NS6detail17trampoline_kernelINS0_14default_configENS1_25partition_config_selectorILNS1_17partition_subalgoE9EssbEEZZNS1_14partition_implILS5_9ELb0ES3_jN6thrust23THRUST_200600_302600_NS6detail15normal_iteratorINS9_10device_ptrIsEEEESE_PNS0_10empty_typeENS0_5tupleIJSE_SF_EEENSH_IJSE_SG_EEENS0_18inequality_wrapperINS9_8equal_toIsEEEEPmJSF_EEE10hipError_tPvRmT3_T4_T5_T6_T7_T9_mT8_P12ihipStream_tbDpT10_ENKUlT_T0_E_clISt17integral_constantIbLb0EES17_IbLb1EEEEDaS13_S14_EUlS13_E_NS1_11comp_targetILNS1_3genE5ELNS1_11target_archE942ELNS1_3gpuE9ELNS1_3repE0EEENS1_30default_config_static_selectorELNS0_4arch9wavefront6targetE0EEEvT1_,comdat
.Lfunc_end494:
	.size	_ZN7rocprim17ROCPRIM_400000_NS6detail17trampoline_kernelINS0_14default_configENS1_25partition_config_selectorILNS1_17partition_subalgoE9EssbEEZZNS1_14partition_implILS5_9ELb0ES3_jN6thrust23THRUST_200600_302600_NS6detail15normal_iteratorINS9_10device_ptrIsEEEESE_PNS0_10empty_typeENS0_5tupleIJSE_SF_EEENSH_IJSE_SG_EEENS0_18inequality_wrapperINS9_8equal_toIsEEEEPmJSF_EEE10hipError_tPvRmT3_T4_T5_T6_T7_T9_mT8_P12ihipStream_tbDpT10_ENKUlT_T0_E_clISt17integral_constantIbLb0EES17_IbLb1EEEEDaS13_S14_EUlS13_E_NS1_11comp_targetILNS1_3genE5ELNS1_11target_archE942ELNS1_3gpuE9ELNS1_3repE0EEENS1_30default_config_static_selectorELNS0_4arch9wavefront6targetE0EEEvT1_, .Lfunc_end494-_ZN7rocprim17ROCPRIM_400000_NS6detail17trampoline_kernelINS0_14default_configENS1_25partition_config_selectorILNS1_17partition_subalgoE9EssbEEZZNS1_14partition_implILS5_9ELb0ES3_jN6thrust23THRUST_200600_302600_NS6detail15normal_iteratorINS9_10device_ptrIsEEEESE_PNS0_10empty_typeENS0_5tupleIJSE_SF_EEENSH_IJSE_SG_EEENS0_18inequality_wrapperINS9_8equal_toIsEEEEPmJSF_EEE10hipError_tPvRmT3_T4_T5_T6_T7_T9_mT8_P12ihipStream_tbDpT10_ENKUlT_T0_E_clISt17integral_constantIbLb0EES17_IbLb1EEEEDaS13_S14_EUlS13_E_NS1_11comp_targetILNS1_3genE5ELNS1_11target_archE942ELNS1_3gpuE9ELNS1_3repE0EEENS1_30default_config_static_selectorELNS0_4arch9wavefront6targetE0EEEvT1_
                                        ; -- End function
	.section	.AMDGPU.csdata,"",@progbits
; Kernel info:
; codeLenInByte = 0
; NumSgprs: 0
; NumVgprs: 0
; ScratchSize: 0
; MemoryBound: 0
; FloatMode: 240
; IeeeMode: 1
; LDSByteSize: 0 bytes/workgroup (compile time only)
; SGPRBlocks: 0
; VGPRBlocks: 0
; NumSGPRsForWavesPerEU: 1
; NumVGPRsForWavesPerEU: 1
; Occupancy: 16
; WaveLimiterHint : 0
; COMPUTE_PGM_RSRC2:SCRATCH_EN: 0
; COMPUTE_PGM_RSRC2:USER_SGPR: 15
; COMPUTE_PGM_RSRC2:TRAP_HANDLER: 0
; COMPUTE_PGM_RSRC2:TGID_X_EN: 1
; COMPUTE_PGM_RSRC2:TGID_Y_EN: 0
; COMPUTE_PGM_RSRC2:TGID_Z_EN: 0
; COMPUTE_PGM_RSRC2:TIDIG_COMP_CNT: 0
	.section	.text._ZN7rocprim17ROCPRIM_400000_NS6detail17trampoline_kernelINS0_14default_configENS1_25partition_config_selectorILNS1_17partition_subalgoE9EssbEEZZNS1_14partition_implILS5_9ELb0ES3_jN6thrust23THRUST_200600_302600_NS6detail15normal_iteratorINS9_10device_ptrIsEEEESE_PNS0_10empty_typeENS0_5tupleIJSE_SF_EEENSH_IJSE_SG_EEENS0_18inequality_wrapperINS9_8equal_toIsEEEEPmJSF_EEE10hipError_tPvRmT3_T4_T5_T6_T7_T9_mT8_P12ihipStream_tbDpT10_ENKUlT_T0_E_clISt17integral_constantIbLb0EES17_IbLb1EEEEDaS13_S14_EUlS13_E_NS1_11comp_targetILNS1_3genE4ELNS1_11target_archE910ELNS1_3gpuE8ELNS1_3repE0EEENS1_30default_config_static_selectorELNS0_4arch9wavefront6targetE0EEEvT1_,"axG",@progbits,_ZN7rocprim17ROCPRIM_400000_NS6detail17trampoline_kernelINS0_14default_configENS1_25partition_config_selectorILNS1_17partition_subalgoE9EssbEEZZNS1_14partition_implILS5_9ELb0ES3_jN6thrust23THRUST_200600_302600_NS6detail15normal_iteratorINS9_10device_ptrIsEEEESE_PNS0_10empty_typeENS0_5tupleIJSE_SF_EEENSH_IJSE_SG_EEENS0_18inequality_wrapperINS9_8equal_toIsEEEEPmJSF_EEE10hipError_tPvRmT3_T4_T5_T6_T7_T9_mT8_P12ihipStream_tbDpT10_ENKUlT_T0_E_clISt17integral_constantIbLb0EES17_IbLb1EEEEDaS13_S14_EUlS13_E_NS1_11comp_targetILNS1_3genE4ELNS1_11target_archE910ELNS1_3gpuE8ELNS1_3repE0EEENS1_30default_config_static_selectorELNS0_4arch9wavefront6targetE0EEEvT1_,comdat
	.protected	_ZN7rocprim17ROCPRIM_400000_NS6detail17trampoline_kernelINS0_14default_configENS1_25partition_config_selectorILNS1_17partition_subalgoE9EssbEEZZNS1_14partition_implILS5_9ELb0ES3_jN6thrust23THRUST_200600_302600_NS6detail15normal_iteratorINS9_10device_ptrIsEEEESE_PNS0_10empty_typeENS0_5tupleIJSE_SF_EEENSH_IJSE_SG_EEENS0_18inequality_wrapperINS9_8equal_toIsEEEEPmJSF_EEE10hipError_tPvRmT3_T4_T5_T6_T7_T9_mT8_P12ihipStream_tbDpT10_ENKUlT_T0_E_clISt17integral_constantIbLb0EES17_IbLb1EEEEDaS13_S14_EUlS13_E_NS1_11comp_targetILNS1_3genE4ELNS1_11target_archE910ELNS1_3gpuE8ELNS1_3repE0EEENS1_30default_config_static_selectorELNS0_4arch9wavefront6targetE0EEEvT1_ ; -- Begin function _ZN7rocprim17ROCPRIM_400000_NS6detail17trampoline_kernelINS0_14default_configENS1_25partition_config_selectorILNS1_17partition_subalgoE9EssbEEZZNS1_14partition_implILS5_9ELb0ES3_jN6thrust23THRUST_200600_302600_NS6detail15normal_iteratorINS9_10device_ptrIsEEEESE_PNS0_10empty_typeENS0_5tupleIJSE_SF_EEENSH_IJSE_SG_EEENS0_18inequality_wrapperINS9_8equal_toIsEEEEPmJSF_EEE10hipError_tPvRmT3_T4_T5_T6_T7_T9_mT8_P12ihipStream_tbDpT10_ENKUlT_T0_E_clISt17integral_constantIbLb0EES17_IbLb1EEEEDaS13_S14_EUlS13_E_NS1_11comp_targetILNS1_3genE4ELNS1_11target_archE910ELNS1_3gpuE8ELNS1_3repE0EEENS1_30default_config_static_selectorELNS0_4arch9wavefront6targetE0EEEvT1_
	.globl	_ZN7rocprim17ROCPRIM_400000_NS6detail17trampoline_kernelINS0_14default_configENS1_25partition_config_selectorILNS1_17partition_subalgoE9EssbEEZZNS1_14partition_implILS5_9ELb0ES3_jN6thrust23THRUST_200600_302600_NS6detail15normal_iteratorINS9_10device_ptrIsEEEESE_PNS0_10empty_typeENS0_5tupleIJSE_SF_EEENSH_IJSE_SG_EEENS0_18inequality_wrapperINS9_8equal_toIsEEEEPmJSF_EEE10hipError_tPvRmT3_T4_T5_T6_T7_T9_mT8_P12ihipStream_tbDpT10_ENKUlT_T0_E_clISt17integral_constantIbLb0EES17_IbLb1EEEEDaS13_S14_EUlS13_E_NS1_11comp_targetILNS1_3genE4ELNS1_11target_archE910ELNS1_3gpuE8ELNS1_3repE0EEENS1_30default_config_static_selectorELNS0_4arch9wavefront6targetE0EEEvT1_
	.p2align	8
	.type	_ZN7rocprim17ROCPRIM_400000_NS6detail17trampoline_kernelINS0_14default_configENS1_25partition_config_selectorILNS1_17partition_subalgoE9EssbEEZZNS1_14partition_implILS5_9ELb0ES3_jN6thrust23THRUST_200600_302600_NS6detail15normal_iteratorINS9_10device_ptrIsEEEESE_PNS0_10empty_typeENS0_5tupleIJSE_SF_EEENSH_IJSE_SG_EEENS0_18inequality_wrapperINS9_8equal_toIsEEEEPmJSF_EEE10hipError_tPvRmT3_T4_T5_T6_T7_T9_mT8_P12ihipStream_tbDpT10_ENKUlT_T0_E_clISt17integral_constantIbLb0EES17_IbLb1EEEEDaS13_S14_EUlS13_E_NS1_11comp_targetILNS1_3genE4ELNS1_11target_archE910ELNS1_3gpuE8ELNS1_3repE0EEENS1_30default_config_static_selectorELNS0_4arch9wavefront6targetE0EEEvT1_,@function
_ZN7rocprim17ROCPRIM_400000_NS6detail17trampoline_kernelINS0_14default_configENS1_25partition_config_selectorILNS1_17partition_subalgoE9EssbEEZZNS1_14partition_implILS5_9ELb0ES3_jN6thrust23THRUST_200600_302600_NS6detail15normal_iteratorINS9_10device_ptrIsEEEESE_PNS0_10empty_typeENS0_5tupleIJSE_SF_EEENSH_IJSE_SG_EEENS0_18inequality_wrapperINS9_8equal_toIsEEEEPmJSF_EEE10hipError_tPvRmT3_T4_T5_T6_T7_T9_mT8_P12ihipStream_tbDpT10_ENKUlT_T0_E_clISt17integral_constantIbLb0EES17_IbLb1EEEEDaS13_S14_EUlS13_E_NS1_11comp_targetILNS1_3genE4ELNS1_11target_archE910ELNS1_3gpuE8ELNS1_3repE0EEENS1_30default_config_static_selectorELNS0_4arch9wavefront6targetE0EEEvT1_: ; @_ZN7rocprim17ROCPRIM_400000_NS6detail17trampoline_kernelINS0_14default_configENS1_25partition_config_selectorILNS1_17partition_subalgoE9EssbEEZZNS1_14partition_implILS5_9ELb0ES3_jN6thrust23THRUST_200600_302600_NS6detail15normal_iteratorINS9_10device_ptrIsEEEESE_PNS0_10empty_typeENS0_5tupleIJSE_SF_EEENSH_IJSE_SG_EEENS0_18inequality_wrapperINS9_8equal_toIsEEEEPmJSF_EEE10hipError_tPvRmT3_T4_T5_T6_T7_T9_mT8_P12ihipStream_tbDpT10_ENKUlT_T0_E_clISt17integral_constantIbLb0EES17_IbLb1EEEEDaS13_S14_EUlS13_E_NS1_11comp_targetILNS1_3genE4ELNS1_11target_archE910ELNS1_3gpuE8ELNS1_3repE0EEENS1_30default_config_static_selectorELNS0_4arch9wavefront6targetE0EEEvT1_
; %bb.0:
	.section	.rodata,"a",@progbits
	.p2align	6, 0x0
	.amdhsa_kernel _ZN7rocprim17ROCPRIM_400000_NS6detail17trampoline_kernelINS0_14default_configENS1_25partition_config_selectorILNS1_17partition_subalgoE9EssbEEZZNS1_14partition_implILS5_9ELb0ES3_jN6thrust23THRUST_200600_302600_NS6detail15normal_iteratorINS9_10device_ptrIsEEEESE_PNS0_10empty_typeENS0_5tupleIJSE_SF_EEENSH_IJSE_SG_EEENS0_18inequality_wrapperINS9_8equal_toIsEEEEPmJSF_EEE10hipError_tPvRmT3_T4_T5_T6_T7_T9_mT8_P12ihipStream_tbDpT10_ENKUlT_T0_E_clISt17integral_constantIbLb0EES17_IbLb1EEEEDaS13_S14_EUlS13_E_NS1_11comp_targetILNS1_3genE4ELNS1_11target_archE910ELNS1_3gpuE8ELNS1_3repE0EEENS1_30default_config_static_selectorELNS0_4arch9wavefront6targetE0EEEvT1_
		.amdhsa_group_segment_fixed_size 0
		.amdhsa_private_segment_fixed_size 0
		.amdhsa_kernarg_size 128
		.amdhsa_user_sgpr_count 15
		.amdhsa_user_sgpr_dispatch_ptr 0
		.amdhsa_user_sgpr_queue_ptr 0
		.amdhsa_user_sgpr_kernarg_segment_ptr 1
		.amdhsa_user_sgpr_dispatch_id 0
		.amdhsa_user_sgpr_private_segment_size 0
		.amdhsa_wavefront_size32 1
		.amdhsa_uses_dynamic_stack 0
		.amdhsa_enable_private_segment 0
		.amdhsa_system_sgpr_workgroup_id_x 1
		.amdhsa_system_sgpr_workgroup_id_y 0
		.amdhsa_system_sgpr_workgroup_id_z 0
		.amdhsa_system_sgpr_workgroup_info 0
		.amdhsa_system_vgpr_workitem_id 0
		.amdhsa_next_free_vgpr 1
		.amdhsa_next_free_sgpr 1
		.amdhsa_reserve_vcc 0
		.amdhsa_float_round_mode_32 0
		.amdhsa_float_round_mode_16_64 0
		.amdhsa_float_denorm_mode_32 3
		.amdhsa_float_denorm_mode_16_64 3
		.amdhsa_dx10_clamp 1
		.amdhsa_ieee_mode 1
		.amdhsa_fp16_overflow 0
		.amdhsa_workgroup_processor_mode 1
		.amdhsa_memory_ordered 1
		.amdhsa_forward_progress 0
		.amdhsa_shared_vgpr_count 0
		.amdhsa_exception_fp_ieee_invalid_op 0
		.amdhsa_exception_fp_denorm_src 0
		.amdhsa_exception_fp_ieee_div_zero 0
		.amdhsa_exception_fp_ieee_overflow 0
		.amdhsa_exception_fp_ieee_underflow 0
		.amdhsa_exception_fp_ieee_inexact 0
		.amdhsa_exception_int_div_zero 0
	.end_amdhsa_kernel
	.section	.text._ZN7rocprim17ROCPRIM_400000_NS6detail17trampoline_kernelINS0_14default_configENS1_25partition_config_selectorILNS1_17partition_subalgoE9EssbEEZZNS1_14partition_implILS5_9ELb0ES3_jN6thrust23THRUST_200600_302600_NS6detail15normal_iteratorINS9_10device_ptrIsEEEESE_PNS0_10empty_typeENS0_5tupleIJSE_SF_EEENSH_IJSE_SG_EEENS0_18inequality_wrapperINS9_8equal_toIsEEEEPmJSF_EEE10hipError_tPvRmT3_T4_T5_T6_T7_T9_mT8_P12ihipStream_tbDpT10_ENKUlT_T0_E_clISt17integral_constantIbLb0EES17_IbLb1EEEEDaS13_S14_EUlS13_E_NS1_11comp_targetILNS1_3genE4ELNS1_11target_archE910ELNS1_3gpuE8ELNS1_3repE0EEENS1_30default_config_static_selectorELNS0_4arch9wavefront6targetE0EEEvT1_,"axG",@progbits,_ZN7rocprim17ROCPRIM_400000_NS6detail17trampoline_kernelINS0_14default_configENS1_25partition_config_selectorILNS1_17partition_subalgoE9EssbEEZZNS1_14partition_implILS5_9ELb0ES3_jN6thrust23THRUST_200600_302600_NS6detail15normal_iteratorINS9_10device_ptrIsEEEESE_PNS0_10empty_typeENS0_5tupleIJSE_SF_EEENSH_IJSE_SG_EEENS0_18inequality_wrapperINS9_8equal_toIsEEEEPmJSF_EEE10hipError_tPvRmT3_T4_T5_T6_T7_T9_mT8_P12ihipStream_tbDpT10_ENKUlT_T0_E_clISt17integral_constantIbLb0EES17_IbLb1EEEEDaS13_S14_EUlS13_E_NS1_11comp_targetILNS1_3genE4ELNS1_11target_archE910ELNS1_3gpuE8ELNS1_3repE0EEENS1_30default_config_static_selectorELNS0_4arch9wavefront6targetE0EEEvT1_,comdat
.Lfunc_end495:
	.size	_ZN7rocprim17ROCPRIM_400000_NS6detail17trampoline_kernelINS0_14default_configENS1_25partition_config_selectorILNS1_17partition_subalgoE9EssbEEZZNS1_14partition_implILS5_9ELb0ES3_jN6thrust23THRUST_200600_302600_NS6detail15normal_iteratorINS9_10device_ptrIsEEEESE_PNS0_10empty_typeENS0_5tupleIJSE_SF_EEENSH_IJSE_SG_EEENS0_18inequality_wrapperINS9_8equal_toIsEEEEPmJSF_EEE10hipError_tPvRmT3_T4_T5_T6_T7_T9_mT8_P12ihipStream_tbDpT10_ENKUlT_T0_E_clISt17integral_constantIbLb0EES17_IbLb1EEEEDaS13_S14_EUlS13_E_NS1_11comp_targetILNS1_3genE4ELNS1_11target_archE910ELNS1_3gpuE8ELNS1_3repE0EEENS1_30default_config_static_selectorELNS0_4arch9wavefront6targetE0EEEvT1_, .Lfunc_end495-_ZN7rocprim17ROCPRIM_400000_NS6detail17trampoline_kernelINS0_14default_configENS1_25partition_config_selectorILNS1_17partition_subalgoE9EssbEEZZNS1_14partition_implILS5_9ELb0ES3_jN6thrust23THRUST_200600_302600_NS6detail15normal_iteratorINS9_10device_ptrIsEEEESE_PNS0_10empty_typeENS0_5tupleIJSE_SF_EEENSH_IJSE_SG_EEENS0_18inequality_wrapperINS9_8equal_toIsEEEEPmJSF_EEE10hipError_tPvRmT3_T4_T5_T6_T7_T9_mT8_P12ihipStream_tbDpT10_ENKUlT_T0_E_clISt17integral_constantIbLb0EES17_IbLb1EEEEDaS13_S14_EUlS13_E_NS1_11comp_targetILNS1_3genE4ELNS1_11target_archE910ELNS1_3gpuE8ELNS1_3repE0EEENS1_30default_config_static_selectorELNS0_4arch9wavefront6targetE0EEEvT1_
                                        ; -- End function
	.section	.AMDGPU.csdata,"",@progbits
; Kernel info:
; codeLenInByte = 0
; NumSgprs: 0
; NumVgprs: 0
; ScratchSize: 0
; MemoryBound: 0
; FloatMode: 240
; IeeeMode: 1
; LDSByteSize: 0 bytes/workgroup (compile time only)
; SGPRBlocks: 0
; VGPRBlocks: 0
; NumSGPRsForWavesPerEU: 1
; NumVGPRsForWavesPerEU: 1
; Occupancy: 16
; WaveLimiterHint : 0
; COMPUTE_PGM_RSRC2:SCRATCH_EN: 0
; COMPUTE_PGM_RSRC2:USER_SGPR: 15
; COMPUTE_PGM_RSRC2:TRAP_HANDLER: 0
; COMPUTE_PGM_RSRC2:TGID_X_EN: 1
; COMPUTE_PGM_RSRC2:TGID_Y_EN: 0
; COMPUTE_PGM_RSRC2:TGID_Z_EN: 0
; COMPUTE_PGM_RSRC2:TIDIG_COMP_CNT: 0
	.section	.text._ZN7rocprim17ROCPRIM_400000_NS6detail17trampoline_kernelINS0_14default_configENS1_25partition_config_selectorILNS1_17partition_subalgoE9EssbEEZZNS1_14partition_implILS5_9ELb0ES3_jN6thrust23THRUST_200600_302600_NS6detail15normal_iteratorINS9_10device_ptrIsEEEESE_PNS0_10empty_typeENS0_5tupleIJSE_SF_EEENSH_IJSE_SG_EEENS0_18inequality_wrapperINS9_8equal_toIsEEEEPmJSF_EEE10hipError_tPvRmT3_T4_T5_T6_T7_T9_mT8_P12ihipStream_tbDpT10_ENKUlT_T0_E_clISt17integral_constantIbLb0EES17_IbLb1EEEEDaS13_S14_EUlS13_E_NS1_11comp_targetILNS1_3genE3ELNS1_11target_archE908ELNS1_3gpuE7ELNS1_3repE0EEENS1_30default_config_static_selectorELNS0_4arch9wavefront6targetE0EEEvT1_,"axG",@progbits,_ZN7rocprim17ROCPRIM_400000_NS6detail17trampoline_kernelINS0_14default_configENS1_25partition_config_selectorILNS1_17partition_subalgoE9EssbEEZZNS1_14partition_implILS5_9ELb0ES3_jN6thrust23THRUST_200600_302600_NS6detail15normal_iteratorINS9_10device_ptrIsEEEESE_PNS0_10empty_typeENS0_5tupleIJSE_SF_EEENSH_IJSE_SG_EEENS0_18inequality_wrapperINS9_8equal_toIsEEEEPmJSF_EEE10hipError_tPvRmT3_T4_T5_T6_T7_T9_mT8_P12ihipStream_tbDpT10_ENKUlT_T0_E_clISt17integral_constantIbLb0EES17_IbLb1EEEEDaS13_S14_EUlS13_E_NS1_11comp_targetILNS1_3genE3ELNS1_11target_archE908ELNS1_3gpuE7ELNS1_3repE0EEENS1_30default_config_static_selectorELNS0_4arch9wavefront6targetE0EEEvT1_,comdat
	.protected	_ZN7rocprim17ROCPRIM_400000_NS6detail17trampoline_kernelINS0_14default_configENS1_25partition_config_selectorILNS1_17partition_subalgoE9EssbEEZZNS1_14partition_implILS5_9ELb0ES3_jN6thrust23THRUST_200600_302600_NS6detail15normal_iteratorINS9_10device_ptrIsEEEESE_PNS0_10empty_typeENS0_5tupleIJSE_SF_EEENSH_IJSE_SG_EEENS0_18inequality_wrapperINS9_8equal_toIsEEEEPmJSF_EEE10hipError_tPvRmT3_T4_T5_T6_T7_T9_mT8_P12ihipStream_tbDpT10_ENKUlT_T0_E_clISt17integral_constantIbLb0EES17_IbLb1EEEEDaS13_S14_EUlS13_E_NS1_11comp_targetILNS1_3genE3ELNS1_11target_archE908ELNS1_3gpuE7ELNS1_3repE0EEENS1_30default_config_static_selectorELNS0_4arch9wavefront6targetE0EEEvT1_ ; -- Begin function _ZN7rocprim17ROCPRIM_400000_NS6detail17trampoline_kernelINS0_14default_configENS1_25partition_config_selectorILNS1_17partition_subalgoE9EssbEEZZNS1_14partition_implILS5_9ELb0ES3_jN6thrust23THRUST_200600_302600_NS6detail15normal_iteratorINS9_10device_ptrIsEEEESE_PNS0_10empty_typeENS0_5tupleIJSE_SF_EEENSH_IJSE_SG_EEENS0_18inequality_wrapperINS9_8equal_toIsEEEEPmJSF_EEE10hipError_tPvRmT3_T4_T5_T6_T7_T9_mT8_P12ihipStream_tbDpT10_ENKUlT_T0_E_clISt17integral_constantIbLb0EES17_IbLb1EEEEDaS13_S14_EUlS13_E_NS1_11comp_targetILNS1_3genE3ELNS1_11target_archE908ELNS1_3gpuE7ELNS1_3repE0EEENS1_30default_config_static_selectorELNS0_4arch9wavefront6targetE0EEEvT1_
	.globl	_ZN7rocprim17ROCPRIM_400000_NS6detail17trampoline_kernelINS0_14default_configENS1_25partition_config_selectorILNS1_17partition_subalgoE9EssbEEZZNS1_14partition_implILS5_9ELb0ES3_jN6thrust23THRUST_200600_302600_NS6detail15normal_iteratorINS9_10device_ptrIsEEEESE_PNS0_10empty_typeENS0_5tupleIJSE_SF_EEENSH_IJSE_SG_EEENS0_18inequality_wrapperINS9_8equal_toIsEEEEPmJSF_EEE10hipError_tPvRmT3_T4_T5_T6_T7_T9_mT8_P12ihipStream_tbDpT10_ENKUlT_T0_E_clISt17integral_constantIbLb0EES17_IbLb1EEEEDaS13_S14_EUlS13_E_NS1_11comp_targetILNS1_3genE3ELNS1_11target_archE908ELNS1_3gpuE7ELNS1_3repE0EEENS1_30default_config_static_selectorELNS0_4arch9wavefront6targetE0EEEvT1_
	.p2align	8
	.type	_ZN7rocprim17ROCPRIM_400000_NS6detail17trampoline_kernelINS0_14default_configENS1_25partition_config_selectorILNS1_17partition_subalgoE9EssbEEZZNS1_14partition_implILS5_9ELb0ES3_jN6thrust23THRUST_200600_302600_NS6detail15normal_iteratorINS9_10device_ptrIsEEEESE_PNS0_10empty_typeENS0_5tupleIJSE_SF_EEENSH_IJSE_SG_EEENS0_18inequality_wrapperINS9_8equal_toIsEEEEPmJSF_EEE10hipError_tPvRmT3_T4_T5_T6_T7_T9_mT8_P12ihipStream_tbDpT10_ENKUlT_T0_E_clISt17integral_constantIbLb0EES17_IbLb1EEEEDaS13_S14_EUlS13_E_NS1_11comp_targetILNS1_3genE3ELNS1_11target_archE908ELNS1_3gpuE7ELNS1_3repE0EEENS1_30default_config_static_selectorELNS0_4arch9wavefront6targetE0EEEvT1_,@function
_ZN7rocprim17ROCPRIM_400000_NS6detail17trampoline_kernelINS0_14default_configENS1_25partition_config_selectorILNS1_17partition_subalgoE9EssbEEZZNS1_14partition_implILS5_9ELb0ES3_jN6thrust23THRUST_200600_302600_NS6detail15normal_iteratorINS9_10device_ptrIsEEEESE_PNS0_10empty_typeENS0_5tupleIJSE_SF_EEENSH_IJSE_SG_EEENS0_18inequality_wrapperINS9_8equal_toIsEEEEPmJSF_EEE10hipError_tPvRmT3_T4_T5_T6_T7_T9_mT8_P12ihipStream_tbDpT10_ENKUlT_T0_E_clISt17integral_constantIbLb0EES17_IbLb1EEEEDaS13_S14_EUlS13_E_NS1_11comp_targetILNS1_3genE3ELNS1_11target_archE908ELNS1_3gpuE7ELNS1_3repE0EEENS1_30default_config_static_selectorELNS0_4arch9wavefront6targetE0EEEvT1_: ; @_ZN7rocprim17ROCPRIM_400000_NS6detail17trampoline_kernelINS0_14default_configENS1_25partition_config_selectorILNS1_17partition_subalgoE9EssbEEZZNS1_14partition_implILS5_9ELb0ES3_jN6thrust23THRUST_200600_302600_NS6detail15normal_iteratorINS9_10device_ptrIsEEEESE_PNS0_10empty_typeENS0_5tupleIJSE_SF_EEENSH_IJSE_SG_EEENS0_18inequality_wrapperINS9_8equal_toIsEEEEPmJSF_EEE10hipError_tPvRmT3_T4_T5_T6_T7_T9_mT8_P12ihipStream_tbDpT10_ENKUlT_T0_E_clISt17integral_constantIbLb0EES17_IbLb1EEEEDaS13_S14_EUlS13_E_NS1_11comp_targetILNS1_3genE3ELNS1_11target_archE908ELNS1_3gpuE7ELNS1_3repE0EEENS1_30default_config_static_selectorELNS0_4arch9wavefront6targetE0EEEvT1_
; %bb.0:
	.section	.rodata,"a",@progbits
	.p2align	6, 0x0
	.amdhsa_kernel _ZN7rocprim17ROCPRIM_400000_NS6detail17trampoline_kernelINS0_14default_configENS1_25partition_config_selectorILNS1_17partition_subalgoE9EssbEEZZNS1_14partition_implILS5_9ELb0ES3_jN6thrust23THRUST_200600_302600_NS6detail15normal_iteratorINS9_10device_ptrIsEEEESE_PNS0_10empty_typeENS0_5tupleIJSE_SF_EEENSH_IJSE_SG_EEENS0_18inequality_wrapperINS9_8equal_toIsEEEEPmJSF_EEE10hipError_tPvRmT3_T4_T5_T6_T7_T9_mT8_P12ihipStream_tbDpT10_ENKUlT_T0_E_clISt17integral_constantIbLb0EES17_IbLb1EEEEDaS13_S14_EUlS13_E_NS1_11comp_targetILNS1_3genE3ELNS1_11target_archE908ELNS1_3gpuE7ELNS1_3repE0EEENS1_30default_config_static_selectorELNS0_4arch9wavefront6targetE0EEEvT1_
		.amdhsa_group_segment_fixed_size 0
		.amdhsa_private_segment_fixed_size 0
		.amdhsa_kernarg_size 128
		.amdhsa_user_sgpr_count 15
		.amdhsa_user_sgpr_dispatch_ptr 0
		.amdhsa_user_sgpr_queue_ptr 0
		.amdhsa_user_sgpr_kernarg_segment_ptr 1
		.amdhsa_user_sgpr_dispatch_id 0
		.amdhsa_user_sgpr_private_segment_size 0
		.amdhsa_wavefront_size32 1
		.amdhsa_uses_dynamic_stack 0
		.amdhsa_enable_private_segment 0
		.amdhsa_system_sgpr_workgroup_id_x 1
		.amdhsa_system_sgpr_workgroup_id_y 0
		.amdhsa_system_sgpr_workgroup_id_z 0
		.amdhsa_system_sgpr_workgroup_info 0
		.amdhsa_system_vgpr_workitem_id 0
		.amdhsa_next_free_vgpr 1
		.amdhsa_next_free_sgpr 1
		.amdhsa_reserve_vcc 0
		.amdhsa_float_round_mode_32 0
		.amdhsa_float_round_mode_16_64 0
		.amdhsa_float_denorm_mode_32 3
		.amdhsa_float_denorm_mode_16_64 3
		.amdhsa_dx10_clamp 1
		.amdhsa_ieee_mode 1
		.amdhsa_fp16_overflow 0
		.amdhsa_workgroup_processor_mode 1
		.amdhsa_memory_ordered 1
		.amdhsa_forward_progress 0
		.amdhsa_shared_vgpr_count 0
		.amdhsa_exception_fp_ieee_invalid_op 0
		.amdhsa_exception_fp_denorm_src 0
		.amdhsa_exception_fp_ieee_div_zero 0
		.amdhsa_exception_fp_ieee_overflow 0
		.amdhsa_exception_fp_ieee_underflow 0
		.amdhsa_exception_fp_ieee_inexact 0
		.amdhsa_exception_int_div_zero 0
	.end_amdhsa_kernel
	.section	.text._ZN7rocprim17ROCPRIM_400000_NS6detail17trampoline_kernelINS0_14default_configENS1_25partition_config_selectorILNS1_17partition_subalgoE9EssbEEZZNS1_14partition_implILS5_9ELb0ES3_jN6thrust23THRUST_200600_302600_NS6detail15normal_iteratorINS9_10device_ptrIsEEEESE_PNS0_10empty_typeENS0_5tupleIJSE_SF_EEENSH_IJSE_SG_EEENS0_18inequality_wrapperINS9_8equal_toIsEEEEPmJSF_EEE10hipError_tPvRmT3_T4_T5_T6_T7_T9_mT8_P12ihipStream_tbDpT10_ENKUlT_T0_E_clISt17integral_constantIbLb0EES17_IbLb1EEEEDaS13_S14_EUlS13_E_NS1_11comp_targetILNS1_3genE3ELNS1_11target_archE908ELNS1_3gpuE7ELNS1_3repE0EEENS1_30default_config_static_selectorELNS0_4arch9wavefront6targetE0EEEvT1_,"axG",@progbits,_ZN7rocprim17ROCPRIM_400000_NS6detail17trampoline_kernelINS0_14default_configENS1_25partition_config_selectorILNS1_17partition_subalgoE9EssbEEZZNS1_14partition_implILS5_9ELb0ES3_jN6thrust23THRUST_200600_302600_NS6detail15normal_iteratorINS9_10device_ptrIsEEEESE_PNS0_10empty_typeENS0_5tupleIJSE_SF_EEENSH_IJSE_SG_EEENS0_18inequality_wrapperINS9_8equal_toIsEEEEPmJSF_EEE10hipError_tPvRmT3_T4_T5_T6_T7_T9_mT8_P12ihipStream_tbDpT10_ENKUlT_T0_E_clISt17integral_constantIbLb0EES17_IbLb1EEEEDaS13_S14_EUlS13_E_NS1_11comp_targetILNS1_3genE3ELNS1_11target_archE908ELNS1_3gpuE7ELNS1_3repE0EEENS1_30default_config_static_selectorELNS0_4arch9wavefront6targetE0EEEvT1_,comdat
.Lfunc_end496:
	.size	_ZN7rocprim17ROCPRIM_400000_NS6detail17trampoline_kernelINS0_14default_configENS1_25partition_config_selectorILNS1_17partition_subalgoE9EssbEEZZNS1_14partition_implILS5_9ELb0ES3_jN6thrust23THRUST_200600_302600_NS6detail15normal_iteratorINS9_10device_ptrIsEEEESE_PNS0_10empty_typeENS0_5tupleIJSE_SF_EEENSH_IJSE_SG_EEENS0_18inequality_wrapperINS9_8equal_toIsEEEEPmJSF_EEE10hipError_tPvRmT3_T4_T5_T6_T7_T9_mT8_P12ihipStream_tbDpT10_ENKUlT_T0_E_clISt17integral_constantIbLb0EES17_IbLb1EEEEDaS13_S14_EUlS13_E_NS1_11comp_targetILNS1_3genE3ELNS1_11target_archE908ELNS1_3gpuE7ELNS1_3repE0EEENS1_30default_config_static_selectorELNS0_4arch9wavefront6targetE0EEEvT1_, .Lfunc_end496-_ZN7rocprim17ROCPRIM_400000_NS6detail17trampoline_kernelINS0_14default_configENS1_25partition_config_selectorILNS1_17partition_subalgoE9EssbEEZZNS1_14partition_implILS5_9ELb0ES3_jN6thrust23THRUST_200600_302600_NS6detail15normal_iteratorINS9_10device_ptrIsEEEESE_PNS0_10empty_typeENS0_5tupleIJSE_SF_EEENSH_IJSE_SG_EEENS0_18inequality_wrapperINS9_8equal_toIsEEEEPmJSF_EEE10hipError_tPvRmT3_T4_T5_T6_T7_T9_mT8_P12ihipStream_tbDpT10_ENKUlT_T0_E_clISt17integral_constantIbLb0EES17_IbLb1EEEEDaS13_S14_EUlS13_E_NS1_11comp_targetILNS1_3genE3ELNS1_11target_archE908ELNS1_3gpuE7ELNS1_3repE0EEENS1_30default_config_static_selectorELNS0_4arch9wavefront6targetE0EEEvT1_
                                        ; -- End function
	.section	.AMDGPU.csdata,"",@progbits
; Kernel info:
; codeLenInByte = 0
; NumSgprs: 0
; NumVgprs: 0
; ScratchSize: 0
; MemoryBound: 0
; FloatMode: 240
; IeeeMode: 1
; LDSByteSize: 0 bytes/workgroup (compile time only)
; SGPRBlocks: 0
; VGPRBlocks: 0
; NumSGPRsForWavesPerEU: 1
; NumVGPRsForWavesPerEU: 1
; Occupancy: 16
; WaveLimiterHint : 0
; COMPUTE_PGM_RSRC2:SCRATCH_EN: 0
; COMPUTE_PGM_RSRC2:USER_SGPR: 15
; COMPUTE_PGM_RSRC2:TRAP_HANDLER: 0
; COMPUTE_PGM_RSRC2:TGID_X_EN: 1
; COMPUTE_PGM_RSRC2:TGID_Y_EN: 0
; COMPUTE_PGM_RSRC2:TGID_Z_EN: 0
; COMPUTE_PGM_RSRC2:TIDIG_COMP_CNT: 0
	.section	.text._ZN7rocprim17ROCPRIM_400000_NS6detail17trampoline_kernelINS0_14default_configENS1_25partition_config_selectorILNS1_17partition_subalgoE9EssbEEZZNS1_14partition_implILS5_9ELb0ES3_jN6thrust23THRUST_200600_302600_NS6detail15normal_iteratorINS9_10device_ptrIsEEEESE_PNS0_10empty_typeENS0_5tupleIJSE_SF_EEENSH_IJSE_SG_EEENS0_18inequality_wrapperINS9_8equal_toIsEEEEPmJSF_EEE10hipError_tPvRmT3_T4_T5_T6_T7_T9_mT8_P12ihipStream_tbDpT10_ENKUlT_T0_E_clISt17integral_constantIbLb0EES17_IbLb1EEEEDaS13_S14_EUlS13_E_NS1_11comp_targetILNS1_3genE2ELNS1_11target_archE906ELNS1_3gpuE6ELNS1_3repE0EEENS1_30default_config_static_selectorELNS0_4arch9wavefront6targetE0EEEvT1_,"axG",@progbits,_ZN7rocprim17ROCPRIM_400000_NS6detail17trampoline_kernelINS0_14default_configENS1_25partition_config_selectorILNS1_17partition_subalgoE9EssbEEZZNS1_14partition_implILS5_9ELb0ES3_jN6thrust23THRUST_200600_302600_NS6detail15normal_iteratorINS9_10device_ptrIsEEEESE_PNS0_10empty_typeENS0_5tupleIJSE_SF_EEENSH_IJSE_SG_EEENS0_18inequality_wrapperINS9_8equal_toIsEEEEPmJSF_EEE10hipError_tPvRmT3_T4_T5_T6_T7_T9_mT8_P12ihipStream_tbDpT10_ENKUlT_T0_E_clISt17integral_constantIbLb0EES17_IbLb1EEEEDaS13_S14_EUlS13_E_NS1_11comp_targetILNS1_3genE2ELNS1_11target_archE906ELNS1_3gpuE6ELNS1_3repE0EEENS1_30default_config_static_selectorELNS0_4arch9wavefront6targetE0EEEvT1_,comdat
	.protected	_ZN7rocprim17ROCPRIM_400000_NS6detail17trampoline_kernelINS0_14default_configENS1_25partition_config_selectorILNS1_17partition_subalgoE9EssbEEZZNS1_14partition_implILS5_9ELb0ES3_jN6thrust23THRUST_200600_302600_NS6detail15normal_iteratorINS9_10device_ptrIsEEEESE_PNS0_10empty_typeENS0_5tupleIJSE_SF_EEENSH_IJSE_SG_EEENS0_18inequality_wrapperINS9_8equal_toIsEEEEPmJSF_EEE10hipError_tPvRmT3_T4_T5_T6_T7_T9_mT8_P12ihipStream_tbDpT10_ENKUlT_T0_E_clISt17integral_constantIbLb0EES17_IbLb1EEEEDaS13_S14_EUlS13_E_NS1_11comp_targetILNS1_3genE2ELNS1_11target_archE906ELNS1_3gpuE6ELNS1_3repE0EEENS1_30default_config_static_selectorELNS0_4arch9wavefront6targetE0EEEvT1_ ; -- Begin function _ZN7rocprim17ROCPRIM_400000_NS6detail17trampoline_kernelINS0_14default_configENS1_25partition_config_selectorILNS1_17partition_subalgoE9EssbEEZZNS1_14partition_implILS5_9ELb0ES3_jN6thrust23THRUST_200600_302600_NS6detail15normal_iteratorINS9_10device_ptrIsEEEESE_PNS0_10empty_typeENS0_5tupleIJSE_SF_EEENSH_IJSE_SG_EEENS0_18inequality_wrapperINS9_8equal_toIsEEEEPmJSF_EEE10hipError_tPvRmT3_T4_T5_T6_T7_T9_mT8_P12ihipStream_tbDpT10_ENKUlT_T0_E_clISt17integral_constantIbLb0EES17_IbLb1EEEEDaS13_S14_EUlS13_E_NS1_11comp_targetILNS1_3genE2ELNS1_11target_archE906ELNS1_3gpuE6ELNS1_3repE0EEENS1_30default_config_static_selectorELNS0_4arch9wavefront6targetE0EEEvT1_
	.globl	_ZN7rocprim17ROCPRIM_400000_NS6detail17trampoline_kernelINS0_14default_configENS1_25partition_config_selectorILNS1_17partition_subalgoE9EssbEEZZNS1_14partition_implILS5_9ELb0ES3_jN6thrust23THRUST_200600_302600_NS6detail15normal_iteratorINS9_10device_ptrIsEEEESE_PNS0_10empty_typeENS0_5tupleIJSE_SF_EEENSH_IJSE_SG_EEENS0_18inequality_wrapperINS9_8equal_toIsEEEEPmJSF_EEE10hipError_tPvRmT3_T4_T5_T6_T7_T9_mT8_P12ihipStream_tbDpT10_ENKUlT_T0_E_clISt17integral_constantIbLb0EES17_IbLb1EEEEDaS13_S14_EUlS13_E_NS1_11comp_targetILNS1_3genE2ELNS1_11target_archE906ELNS1_3gpuE6ELNS1_3repE0EEENS1_30default_config_static_selectorELNS0_4arch9wavefront6targetE0EEEvT1_
	.p2align	8
	.type	_ZN7rocprim17ROCPRIM_400000_NS6detail17trampoline_kernelINS0_14default_configENS1_25partition_config_selectorILNS1_17partition_subalgoE9EssbEEZZNS1_14partition_implILS5_9ELb0ES3_jN6thrust23THRUST_200600_302600_NS6detail15normal_iteratorINS9_10device_ptrIsEEEESE_PNS0_10empty_typeENS0_5tupleIJSE_SF_EEENSH_IJSE_SG_EEENS0_18inequality_wrapperINS9_8equal_toIsEEEEPmJSF_EEE10hipError_tPvRmT3_T4_T5_T6_T7_T9_mT8_P12ihipStream_tbDpT10_ENKUlT_T0_E_clISt17integral_constantIbLb0EES17_IbLb1EEEEDaS13_S14_EUlS13_E_NS1_11comp_targetILNS1_3genE2ELNS1_11target_archE906ELNS1_3gpuE6ELNS1_3repE0EEENS1_30default_config_static_selectorELNS0_4arch9wavefront6targetE0EEEvT1_,@function
_ZN7rocprim17ROCPRIM_400000_NS6detail17trampoline_kernelINS0_14default_configENS1_25partition_config_selectorILNS1_17partition_subalgoE9EssbEEZZNS1_14partition_implILS5_9ELb0ES3_jN6thrust23THRUST_200600_302600_NS6detail15normal_iteratorINS9_10device_ptrIsEEEESE_PNS0_10empty_typeENS0_5tupleIJSE_SF_EEENSH_IJSE_SG_EEENS0_18inequality_wrapperINS9_8equal_toIsEEEEPmJSF_EEE10hipError_tPvRmT3_T4_T5_T6_T7_T9_mT8_P12ihipStream_tbDpT10_ENKUlT_T0_E_clISt17integral_constantIbLb0EES17_IbLb1EEEEDaS13_S14_EUlS13_E_NS1_11comp_targetILNS1_3genE2ELNS1_11target_archE906ELNS1_3gpuE6ELNS1_3repE0EEENS1_30default_config_static_selectorELNS0_4arch9wavefront6targetE0EEEvT1_: ; @_ZN7rocprim17ROCPRIM_400000_NS6detail17trampoline_kernelINS0_14default_configENS1_25partition_config_selectorILNS1_17partition_subalgoE9EssbEEZZNS1_14partition_implILS5_9ELb0ES3_jN6thrust23THRUST_200600_302600_NS6detail15normal_iteratorINS9_10device_ptrIsEEEESE_PNS0_10empty_typeENS0_5tupleIJSE_SF_EEENSH_IJSE_SG_EEENS0_18inequality_wrapperINS9_8equal_toIsEEEEPmJSF_EEE10hipError_tPvRmT3_T4_T5_T6_T7_T9_mT8_P12ihipStream_tbDpT10_ENKUlT_T0_E_clISt17integral_constantIbLb0EES17_IbLb1EEEEDaS13_S14_EUlS13_E_NS1_11comp_targetILNS1_3genE2ELNS1_11target_archE906ELNS1_3gpuE6ELNS1_3repE0EEENS1_30default_config_static_selectorELNS0_4arch9wavefront6targetE0EEEvT1_
; %bb.0:
	.section	.rodata,"a",@progbits
	.p2align	6, 0x0
	.amdhsa_kernel _ZN7rocprim17ROCPRIM_400000_NS6detail17trampoline_kernelINS0_14default_configENS1_25partition_config_selectorILNS1_17partition_subalgoE9EssbEEZZNS1_14partition_implILS5_9ELb0ES3_jN6thrust23THRUST_200600_302600_NS6detail15normal_iteratorINS9_10device_ptrIsEEEESE_PNS0_10empty_typeENS0_5tupleIJSE_SF_EEENSH_IJSE_SG_EEENS0_18inequality_wrapperINS9_8equal_toIsEEEEPmJSF_EEE10hipError_tPvRmT3_T4_T5_T6_T7_T9_mT8_P12ihipStream_tbDpT10_ENKUlT_T0_E_clISt17integral_constantIbLb0EES17_IbLb1EEEEDaS13_S14_EUlS13_E_NS1_11comp_targetILNS1_3genE2ELNS1_11target_archE906ELNS1_3gpuE6ELNS1_3repE0EEENS1_30default_config_static_selectorELNS0_4arch9wavefront6targetE0EEEvT1_
		.amdhsa_group_segment_fixed_size 0
		.amdhsa_private_segment_fixed_size 0
		.amdhsa_kernarg_size 128
		.amdhsa_user_sgpr_count 15
		.amdhsa_user_sgpr_dispatch_ptr 0
		.amdhsa_user_sgpr_queue_ptr 0
		.amdhsa_user_sgpr_kernarg_segment_ptr 1
		.amdhsa_user_sgpr_dispatch_id 0
		.amdhsa_user_sgpr_private_segment_size 0
		.amdhsa_wavefront_size32 1
		.amdhsa_uses_dynamic_stack 0
		.amdhsa_enable_private_segment 0
		.amdhsa_system_sgpr_workgroup_id_x 1
		.amdhsa_system_sgpr_workgroup_id_y 0
		.amdhsa_system_sgpr_workgroup_id_z 0
		.amdhsa_system_sgpr_workgroup_info 0
		.amdhsa_system_vgpr_workitem_id 0
		.amdhsa_next_free_vgpr 1
		.amdhsa_next_free_sgpr 1
		.amdhsa_reserve_vcc 0
		.amdhsa_float_round_mode_32 0
		.amdhsa_float_round_mode_16_64 0
		.amdhsa_float_denorm_mode_32 3
		.amdhsa_float_denorm_mode_16_64 3
		.amdhsa_dx10_clamp 1
		.amdhsa_ieee_mode 1
		.amdhsa_fp16_overflow 0
		.amdhsa_workgroup_processor_mode 1
		.amdhsa_memory_ordered 1
		.amdhsa_forward_progress 0
		.amdhsa_shared_vgpr_count 0
		.amdhsa_exception_fp_ieee_invalid_op 0
		.amdhsa_exception_fp_denorm_src 0
		.amdhsa_exception_fp_ieee_div_zero 0
		.amdhsa_exception_fp_ieee_overflow 0
		.amdhsa_exception_fp_ieee_underflow 0
		.amdhsa_exception_fp_ieee_inexact 0
		.amdhsa_exception_int_div_zero 0
	.end_amdhsa_kernel
	.section	.text._ZN7rocprim17ROCPRIM_400000_NS6detail17trampoline_kernelINS0_14default_configENS1_25partition_config_selectorILNS1_17partition_subalgoE9EssbEEZZNS1_14partition_implILS5_9ELb0ES3_jN6thrust23THRUST_200600_302600_NS6detail15normal_iteratorINS9_10device_ptrIsEEEESE_PNS0_10empty_typeENS0_5tupleIJSE_SF_EEENSH_IJSE_SG_EEENS0_18inequality_wrapperINS9_8equal_toIsEEEEPmJSF_EEE10hipError_tPvRmT3_T4_T5_T6_T7_T9_mT8_P12ihipStream_tbDpT10_ENKUlT_T0_E_clISt17integral_constantIbLb0EES17_IbLb1EEEEDaS13_S14_EUlS13_E_NS1_11comp_targetILNS1_3genE2ELNS1_11target_archE906ELNS1_3gpuE6ELNS1_3repE0EEENS1_30default_config_static_selectorELNS0_4arch9wavefront6targetE0EEEvT1_,"axG",@progbits,_ZN7rocprim17ROCPRIM_400000_NS6detail17trampoline_kernelINS0_14default_configENS1_25partition_config_selectorILNS1_17partition_subalgoE9EssbEEZZNS1_14partition_implILS5_9ELb0ES3_jN6thrust23THRUST_200600_302600_NS6detail15normal_iteratorINS9_10device_ptrIsEEEESE_PNS0_10empty_typeENS0_5tupleIJSE_SF_EEENSH_IJSE_SG_EEENS0_18inequality_wrapperINS9_8equal_toIsEEEEPmJSF_EEE10hipError_tPvRmT3_T4_T5_T6_T7_T9_mT8_P12ihipStream_tbDpT10_ENKUlT_T0_E_clISt17integral_constantIbLb0EES17_IbLb1EEEEDaS13_S14_EUlS13_E_NS1_11comp_targetILNS1_3genE2ELNS1_11target_archE906ELNS1_3gpuE6ELNS1_3repE0EEENS1_30default_config_static_selectorELNS0_4arch9wavefront6targetE0EEEvT1_,comdat
.Lfunc_end497:
	.size	_ZN7rocprim17ROCPRIM_400000_NS6detail17trampoline_kernelINS0_14default_configENS1_25partition_config_selectorILNS1_17partition_subalgoE9EssbEEZZNS1_14partition_implILS5_9ELb0ES3_jN6thrust23THRUST_200600_302600_NS6detail15normal_iteratorINS9_10device_ptrIsEEEESE_PNS0_10empty_typeENS0_5tupleIJSE_SF_EEENSH_IJSE_SG_EEENS0_18inequality_wrapperINS9_8equal_toIsEEEEPmJSF_EEE10hipError_tPvRmT3_T4_T5_T6_T7_T9_mT8_P12ihipStream_tbDpT10_ENKUlT_T0_E_clISt17integral_constantIbLb0EES17_IbLb1EEEEDaS13_S14_EUlS13_E_NS1_11comp_targetILNS1_3genE2ELNS1_11target_archE906ELNS1_3gpuE6ELNS1_3repE0EEENS1_30default_config_static_selectorELNS0_4arch9wavefront6targetE0EEEvT1_, .Lfunc_end497-_ZN7rocprim17ROCPRIM_400000_NS6detail17trampoline_kernelINS0_14default_configENS1_25partition_config_selectorILNS1_17partition_subalgoE9EssbEEZZNS1_14partition_implILS5_9ELb0ES3_jN6thrust23THRUST_200600_302600_NS6detail15normal_iteratorINS9_10device_ptrIsEEEESE_PNS0_10empty_typeENS0_5tupleIJSE_SF_EEENSH_IJSE_SG_EEENS0_18inequality_wrapperINS9_8equal_toIsEEEEPmJSF_EEE10hipError_tPvRmT3_T4_T5_T6_T7_T9_mT8_P12ihipStream_tbDpT10_ENKUlT_T0_E_clISt17integral_constantIbLb0EES17_IbLb1EEEEDaS13_S14_EUlS13_E_NS1_11comp_targetILNS1_3genE2ELNS1_11target_archE906ELNS1_3gpuE6ELNS1_3repE0EEENS1_30default_config_static_selectorELNS0_4arch9wavefront6targetE0EEEvT1_
                                        ; -- End function
	.section	.AMDGPU.csdata,"",@progbits
; Kernel info:
; codeLenInByte = 0
; NumSgprs: 0
; NumVgprs: 0
; ScratchSize: 0
; MemoryBound: 0
; FloatMode: 240
; IeeeMode: 1
; LDSByteSize: 0 bytes/workgroup (compile time only)
; SGPRBlocks: 0
; VGPRBlocks: 0
; NumSGPRsForWavesPerEU: 1
; NumVGPRsForWavesPerEU: 1
; Occupancy: 16
; WaveLimiterHint : 0
; COMPUTE_PGM_RSRC2:SCRATCH_EN: 0
; COMPUTE_PGM_RSRC2:USER_SGPR: 15
; COMPUTE_PGM_RSRC2:TRAP_HANDLER: 0
; COMPUTE_PGM_RSRC2:TGID_X_EN: 1
; COMPUTE_PGM_RSRC2:TGID_Y_EN: 0
; COMPUTE_PGM_RSRC2:TGID_Z_EN: 0
; COMPUTE_PGM_RSRC2:TIDIG_COMP_CNT: 0
	.section	.text._ZN7rocprim17ROCPRIM_400000_NS6detail17trampoline_kernelINS0_14default_configENS1_25partition_config_selectorILNS1_17partition_subalgoE9EssbEEZZNS1_14partition_implILS5_9ELb0ES3_jN6thrust23THRUST_200600_302600_NS6detail15normal_iteratorINS9_10device_ptrIsEEEESE_PNS0_10empty_typeENS0_5tupleIJSE_SF_EEENSH_IJSE_SG_EEENS0_18inequality_wrapperINS9_8equal_toIsEEEEPmJSF_EEE10hipError_tPvRmT3_T4_T5_T6_T7_T9_mT8_P12ihipStream_tbDpT10_ENKUlT_T0_E_clISt17integral_constantIbLb0EES17_IbLb1EEEEDaS13_S14_EUlS13_E_NS1_11comp_targetILNS1_3genE10ELNS1_11target_archE1200ELNS1_3gpuE4ELNS1_3repE0EEENS1_30default_config_static_selectorELNS0_4arch9wavefront6targetE0EEEvT1_,"axG",@progbits,_ZN7rocprim17ROCPRIM_400000_NS6detail17trampoline_kernelINS0_14default_configENS1_25partition_config_selectorILNS1_17partition_subalgoE9EssbEEZZNS1_14partition_implILS5_9ELb0ES3_jN6thrust23THRUST_200600_302600_NS6detail15normal_iteratorINS9_10device_ptrIsEEEESE_PNS0_10empty_typeENS0_5tupleIJSE_SF_EEENSH_IJSE_SG_EEENS0_18inequality_wrapperINS9_8equal_toIsEEEEPmJSF_EEE10hipError_tPvRmT3_T4_T5_T6_T7_T9_mT8_P12ihipStream_tbDpT10_ENKUlT_T0_E_clISt17integral_constantIbLb0EES17_IbLb1EEEEDaS13_S14_EUlS13_E_NS1_11comp_targetILNS1_3genE10ELNS1_11target_archE1200ELNS1_3gpuE4ELNS1_3repE0EEENS1_30default_config_static_selectorELNS0_4arch9wavefront6targetE0EEEvT1_,comdat
	.protected	_ZN7rocprim17ROCPRIM_400000_NS6detail17trampoline_kernelINS0_14default_configENS1_25partition_config_selectorILNS1_17partition_subalgoE9EssbEEZZNS1_14partition_implILS5_9ELb0ES3_jN6thrust23THRUST_200600_302600_NS6detail15normal_iteratorINS9_10device_ptrIsEEEESE_PNS0_10empty_typeENS0_5tupleIJSE_SF_EEENSH_IJSE_SG_EEENS0_18inequality_wrapperINS9_8equal_toIsEEEEPmJSF_EEE10hipError_tPvRmT3_T4_T5_T6_T7_T9_mT8_P12ihipStream_tbDpT10_ENKUlT_T0_E_clISt17integral_constantIbLb0EES17_IbLb1EEEEDaS13_S14_EUlS13_E_NS1_11comp_targetILNS1_3genE10ELNS1_11target_archE1200ELNS1_3gpuE4ELNS1_3repE0EEENS1_30default_config_static_selectorELNS0_4arch9wavefront6targetE0EEEvT1_ ; -- Begin function _ZN7rocprim17ROCPRIM_400000_NS6detail17trampoline_kernelINS0_14default_configENS1_25partition_config_selectorILNS1_17partition_subalgoE9EssbEEZZNS1_14partition_implILS5_9ELb0ES3_jN6thrust23THRUST_200600_302600_NS6detail15normal_iteratorINS9_10device_ptrIsEEEESE_PNS0_10empty_typeENS0_5tupleIJSE_SF_EEENSH_IJSE_SG_EEENS0_18inequality_wrapperINS9_8equal_toIsEEEEPmJSF_EEE10hipError_tPvRmT3_T4_T5_T6_T7_T9_mT8_P12ihipStream_tbDpT10_ENKUlT_T0_E_clISt17integral_constantIbLb0EES17_IbLb1EEEEDaS13_S14_EUlS13_E_NS1_11comp_targetILNS1_3genE10ELNS1_11target_archE1200ELNS1_3gpuE4ELNS1_3repE0EEENS1_30default_config_static_selectorELNS0_4arch9wavefront6targetE0EEEvT1_
	.globl	_ZN7rocprim17ROCPRIM_400000_NS6detail17trampoline_kernelINS0_14default_configENS1_25partition_config_selectorILNS1_17partition_subalgoE9EssbEEZZNS1_14partition_implILS5_9ELb0ES3_jN6thrust23THRUST_200600_302600_NS6detail15normal_iteratorINS9_10device_ptrIsEEEESE_PNS0_10empty_typeENS0_5tupleIJSE_SF_EEENSH_IJSE_SG_EEENS0_18inequality_wrapperINS9_8equal_toIsEEEEPmJSF_EEE10hipError_tPvRmT3_T4_T5_T6_T7_T9_mT8_P12ihipStream_tbDpT10_ENKUlT_T0_E_clISt17integral_constantIbLb0EES17_IbLb1EEEEDaS13_S14_EUlS13_E_NS1_11comp_targetILNS1_3genE10ELNS1_11target_archE1200ELNS1_3gpuE4ELNS1_3repE0EEENS1_30default_config_static_selectorELNS0_4arch9wavefront6targetE0EEEvT1_
	.p2align	8
	.type	_ZN7rocprim17ROCPRIM_400000_NS6detail17trampoline_kernelINS0_14default_configENS1_25partition_config_selectorILNS1_17partition_subalgoE9EssbEEZZNS1_14partition_implILS5_9ELb0ES3_jN6thrust23THRUST_200600_302600_NS6detail15normal_iteratorINS9_10device_ptrIsEEEESE_PNS0_10empty_typeENS0_5tupleIJSE_SF_EEENSH_IJSE_SG_EEENS0_18inequality_wrapperINS9_8equal_toIsEEEEPmJSF_EEE10hipError_tPvRmT3_T4_T5_T6_T7_T9_mT8_P12ihipStream_tbDpT10_ENKUlT_T0_E_clISt17integral_constantIbLb0EES17_IbLb1EEEEDaS13_S14_EUlS13_E_NS1_11comp_targetILNS1_3genE10ELNS1_11target_archE1200ELNS1_3gpuE4ELNS1_3repE0EEENS1_30default_config_static_selectorELNS0_4arch9wavefront6targetE0EEEvT1_,@function
_ZN7rocprim17ROCPRIM_400000_NS6detail17trampoline_kernelINS0_14default_configENS1_25partition_config_selectorILNS1_17partition_subalgoE9EssbEEZZNS1_14partition_implILS5_9ELb0ES3_jN6thrust23THRUST_200600_302600_NS6detail15normal_iteratorINS9_10device_ptrIsEEEESE_PNS0_10empty_typeENS0_5tupleIJSE_SF_EEENSH_IJSE_SG_EEENS0_18inequality_wrapperINS9_8equal_toIsEEEEPmJSF_EEE10hipError_tPvRmT3_T4_T5_T6_T7_T9_mT8_P12ihipStream_tbDpT10_ENKUlT_T0_E_clISt17integral_constantIbLb0EES17_IbLb1EEEEDaS13_S14_EUlS13_E_NS1_11comp_targetILNS1_3genE10ELNS1_11target_archE1200ELNS1_3gpuE4ELNS1_3repE0EEENS1_30default_config_static_selectorELNS0_4arch9wavefront6targetE0EEEvT1_: ; @_ZN7rocprim17ROCPRIM_400000_NS6detail17trampoline_kernelINS0_14default_configENS1_25partition_config_selectorILNS1_17partition_subalgoE9EssbEEZZNS1_14partition_implILS5_9ELb0ES3_jN6thrust23THRUST_200600_302600_NS6detail15normal_iteratorINS9_10device_ptrIsEEEESE_PNS0_10empty_typeENS0_5tupleIJSE_SF_EEENSH_IJSE_SG_EEENS0_18inequality_wrapperINS9_8equal_toIsEEEEPmJSF_EEE10hipError_tPvRmT3_T4_T5_T6_T7_T9_mT8_P12ihipStream_tbDpT10_ENKUlT_T0_E_clISt17integral_constantIbLb0EES17_IbLb1EEEEDaS13_S14_EUlS13_E_NS1_11comp_targetILNS1_3genE10ELNS1_11target_archE1200ELNS1_3gpuE4ELNS1_3repE0EEENS1_30default_config_static_selectorELNS0_4arch9wavefront6targetE0EEEvT1_
; %bb.0:
	.section	.rodata,"a",@progbits
	.p2align	6, 0x0
	.amdhsa_kernel _ZN7rocprim17ROCPRIM_400000_NS6detail17trampoline_kernelINS0_14default_configENS1_25partition_config_selectorILNS1_17partition_subalgoE9EssbEEZZNS1_14partition_implILS5_9ELb0ES3_jN6thrust23THRUST_200600_302600_NS6detail15normal_iteratorINS9_10device_ptrIsEEEESE_PNS0_10empty_typeENS0_5tupleIJSE_SF_EEENSH_IJSE_SG_EEENS0_18inequality_wrapperINS9_8equal_toIsEEEEPmJSF_EEE10hipError_tPvRmT3_T4_T5_T6_T7_T9_mT8_P12ihipStream_tbDpT10_ENKUlT_T0_E_clISt17integral_constantIbLb0EES17_IbLb1EEEEDaS13_S14_EUlS13_E_NS1_11comp_targetILNS1_3genE10ELNS1_11target_archE1200ELNS1_3gpuE4ELNS1_3repE0EEENS1_30default_config_static_selectorELNS0_4arch9wavefront6targetE0EEEvT1_
		.amdhsa_group_segment_fixed_size 0
		.amdhsa_private_segment_fixed_size 0
		.amdhsa_kernarg_size 128
		.amdhsa_user_sgpr_count 15
		.amdhsa_user_sgpr_dispatch_ptr 0
		.amdhsa_user_sgpr_queue_ptr 0
		.amdhsa_user_sgpr_kernarg_segment_ptr 1
		.amdhsa_user_sgpr_dispatch_id 0
		.amdhsa_user_sgpr_private_segment_size 0
		.amdhsa_wavefront_size32 1
		.amdhsa_uses_dynamic_stack 0
		.amdhsa_enable_private_segment 0
		.amdhsa_system_sgpr_workgroup_id_x 1
		.amdhsa_system_sgpr_workgroup_id_y 0
		.amdhsa_system_sgpr_workgroup_id_z 0
		.amdhsa_system_sgpr_workgroup_info 0
		.amdhsa_system_vgpr_workitem_id 0
		.amdhsa_next_free_vgpr 1
		.amdhsa_next_free_sgpr 1
		.amdhsa_reserve_vcc 0
		.amdhsa_float_round_mode_32 0
		.amdhsa_float_round_mode_16_64 0
		.amdhsa_float_denorm_mode_32 3
		.amdhsa_float_denorm_mode_16_64 3
		.amdhsa_dx10_clamp 1
		.amdhsa_ieee_mode 1
		.amdhsa_fp16_overflow 0
		.amdhsa_workgroup_processor_mode 1
		.amdhsa_memory_ordered 1
		.amdhsa_forward_progress 0
		.amdhsa_shared_vgpr_count 0
		.amdhsa_exception_fp_ieee_invalid_op 0
		.amdhsa_exception_fp_denorm_src 0
		.amdhsa_exception_fp_ieee_div_zero 0
		.amdhsa_exception_fp_ieee_overflow 0
		.amdhsa_exception_fp_ieee_underflow 0
		.amdhsa_exception_fp_ieee_inexact 0
		.amdhsa_exception_int_div_zero 0
	.end_amdhsa_kernel
	.section	.text._ZN7rocprim17ROCPRIM_400000_NS6detail17trampoline_kernelINS0_14default_configENS1_25partition_config_selectorILNS1_17partition_subalgoE9EssbEEZZNS1_14partition_implILS5_9ELb0ES3_jN6thrust23THRUST_200600_302600_NS6detail15normal_iteratorINS9_10device_ptrIsEEEESE_PNS0_10empty_typeENS0_5tupleIJSE_SF_EEENSH_IJSE_SG_EEENS0_18inequality_wrapperINS9_8equal_toIsEEEEPmJSF_EEE10hipError_tPvRmT3_T4_T5_T6_T7_T9_mT8_P12ihipStream_tbDpT10_ENKUlT_T0_E_clISt17integral_constantIbLb0EES17_IbLb1EEEEDaS13_S14_EUlS13_E_NS1_11comp_targetILNS1_3genE10ELNS1_11target_archE1200ELNS1_3gpuE4ELNS1_3repE0EEENS1_30default_config_static_selectorELNS0_4arch9wavefront6targetE0EEEvT1_,"axG",@progbits,_ZN7rocprim17ROCPRIM_400000_NS6detail17trampoline_kernelINS0_14default_configENS1_25partition_config_selectorILNS1_17partition_subalgoE9EssbEEZZNS1_14partition_implILS5_9ELb0ES3_jN6thrust23THRUST_200600_302600_NS6detail15normal_iteratorINS9_10device_ptrIsEEEESE_PNS0_10empty_typeENS0_5tupleIJSE_SF_EEENSH_IJSE_SG_EEENS0_18inequality_wrapperINS9_8equal_toIsEEEEPmJSF_EEE10hipError_tPvRmT3_T4_T5_T6_T7_T9_mT8_P12ihipStream_tbDpT10_ENKUlT_T0_E_clISt17integral_constantIbLb0EES17_IbLb1EEEEDaS13_S14_EUlS13_E_NS1_11comp_targetILNS1_3genE10ELNS1_11target_archE1200ELNS1_3gpuE4ELNS1_3repE0EEENS1_30default_config_static_selectorELNS0_4arch9wavefront6targetE0EEEvT1_,comdat
.Lfunc_end498:
	.size	_ZN7rocprim17ROCPRIM_400000_NS6detail17trampoline_kernelINS0_14default_configENS1_25partition_config_selectorILNS1_17partition_subalgoE9EssbEEZZNS1_14partition_implILS5_9ELb0ES3_jN6thrust23THRUST_200600_302600_NS6detail15normal_iteratorINS9_10device_ptrIsEEEESE_PNS0_10empty_typeENS0_5tupleIJSE_SF_EEENSH_IJSE_SG_EEENS0_18inequality_wrapperINS9_8equal_toIsEEEEPmJSF_EEE10hipError_tPvRmT3_T4_T5_T6_T7_T9_mT8_P12ihipStream_tbDpT10_ENKUlT_T0_E_clISt17integral_constantIbLb0EES17_IbLb1EEEEDaS13_S14_EUlS13_E_NS1_11comp_targetILNS1_3genE10ELNS1_11target_archE1200ELNS1_3gpuE4ELNS1_3repE0EEENS1_30default_config_static_selectorELNS0_4arch9wavefront6targetE0EEEvT1_, .Lfunc_end498-_ZN7rocprim17ROCPRIM_400000_NS6detail17trampoline_kernelINS0_14default_configENS1_25partition_config_selectorILNS1_17partition_subalgoE9EssbEEZZNS1_14partition_implILS5_9ELb0ES3_jN6thrust23THRUST_200600_302600_NS6detail15normal_iteratorINS9_10device_ptrIsEEEESE_PNS0_10empty_typeENS0_5tupleIJSE_SF_EEENSH_IJSE_SG_EEENS0_18inequality_wrapperINS9_8equal_toIsEEEEPmJSF_EEE10hipError_tPvRmT3_T4_T5_T6_T7_T9_mT8_P12ihipStream_tbDpT10_ENKUlT_T0_E_clISt17integral_constantIbLb0EES17_IbLb1EEEEDaS13_S14_EUlS13_E_NS1_11comp_targetILNS1_3genE10ELNS1_11target_archE1200ELNS1_3gpuE4ELNS1_3repE0EEENS1_30default_config_static_selectorELNS0_4arch9wavefront6targetE0EEEvT1_
                                        ; -- End function
	.section	.AMDGPU.csdata,"",@progbits
; Kernel info:
; codeLenInByte = 0
; NumSgprs: 0
; NumVgprs: 0
; ScratchSize: 0
; MemoryBound: 0
; FloatMode: 240
; IeeeMode: 1
; LDSByteSize: 0 bytes/workgroup (compile time only)
; SGPRBlocks: 0
; VGPRBlocks: 0
; NumSGPRsForWavesPerEU: 1
; NumVGPRsForWavesPerEU: 1
; Occupancy: 16
; WaveLimiterHint : 0
; COMPUTE_PGM_RSRC2:SCRATCH_EN: 0
; COMPUTE_PGM_RSRC2:USER_SGPR: 15
; COMPUTE_PGM_RSRC2:TRAP_HANDLER: 0
; COMPUTE_PGM_RSRC2:TGID_X_EN: 1
; COMPUTE_PGM_RSRC2:TGID_Y_EN: 0
; COMPUTE_PGM_RSRC2:TGID_Z_EN: 0
; COMPUTE_PGM_RSRC2:TIDIG_COMP_CNT: 0
	.section	.text._ZN7rocprim17ROCPRIM_400000_NS6detail17trampoline_kernelINS0_14default_configENS1_25partition_config_selectorILNS1_17partition_subalgoE9EssbEEZZNS1_14partition_implILS5_9ELb0ES3_jN6thrust23THRUST_200600_302600_NS6detail15normal_iteratorINS9_10device_ptrIsEEEESE_PNS0_10empty_typeENS0_5tupleIJSE_SF_EEENSH_IJSE_SG_EEENS0_18inequality_wrapperINS9_8equal_toIsEEEEPmJSF_EEE10hipError_tPvRmT3_T4_T5_T6_T7_T9_mT8_P12ihipStream_tbDpT10_ENKUlT_T0_E_clISt17integral_constantIbLb0EES17_IbLb1EEEEDaS13_S14_EUlS13_E_NS1_11comp_targetILNS1_3genE9ELNS1_11target_archE1100ELNS1_3gpuE3ELNS1_3repE0EEENS1_30default_config_static_selectorELNS0_4arch9wavefront6targetE0EEEvT1_,"axG",@progbits,_ZN7rocprim17ROCPRIM_400000_NS6detail17trampoline_kernelINS0_14default_configENS1_25partition_config_selectorILNS1_17partition_subalgoE9EssbEEZZNS1_14partition_implILS5_9ELb0ES3_jN6thrust23THRUST_200600_302600_NS6detail15normal_iteratorINS9_10device_ptrIsEEEESE_PNS0_10empty_typeENS0_5tupleIJSE_SF_EEENSH_IJSE_SG_EEENS0_18inequality_wrapperINS9_8equal_toIsEEEEPmJSF_EEE10hipError_tPvRmT3_T4_T5_T6_T7_T9_mT8_P12ihipStream_tbDpT10_ENKUlT_T0_E_clISt17integral_constantIbLb0EES17_IbLb1EEEEDaS13_S14_EUlS13_E_NS1_11comp_targetILNS1_3genE9ELNS1_11target_archE1100ELNS1_3gpuE3ELNS1_3repE0EEENS1_30default_config_static_selectorELNS0_4arch9wavefront6targetE0EEEvT1_,comdat
	.protected	_ZN7rocprim17ROCPRIM_400000_NS6detail17trampoline_kernelINS0_14default_configENS1_25partition_config_selectorILNS1_17partition_subalgoE9EssbEEZZNS1_14partition_implILS5_9ELb0ES3_jN6thrust23THRUST_200600_302600_NS6detail15normal_iteratorINS9_10device_ptrIsEEEESE_PNS0_10empty_typeENS0_5tupleIJSE_SF_EEENSH_IJSE_SG_EEENS0_18inequality_wrapperINS9_8equal_toIsEEEEPmJSF_EEE10hipError_tPvRmT3_T4_T5_T6_T7_T9_mT8_P12ihipStream_tbDpT10_ENKUlT_T0_E_clISt17integral_constantIbLb0EES17_IbLb1EEEEDaS13_S14_EUlS13_E_NS1_11comp_targetILNS1_3genE9ELNS1_11target_archE1100ELNS1_3gpuE3ELNS1_3repE0EEENS1_30default_config_static_selectorELNS0_4arch9wavefront6targetE0EEEvT1_ ; -- Begin function _ZN7rocprim17ROCPRIM_400000_NS6detail17trampoline_kernelINS0_14default_configENS1_25partition_config_selectorILNS1_17partition_subalgoE9EssbEEZZNS1_14partition_implILS5_9ELb0ES3_jN6thrust23THRUST_200600_302600_NS6detail15normal_iteratorINS9_10device_ptrIsEEEESE_PNS0_10empty_typeENS0_5tupleIJSE_SF_EEENSH_IJSE_SG_EEENS0_18inequality_wrapperINS9_8equal_toIsEEEEPmJSF_EEE10hipError_tPvRmT3_T4_T5_T6_T7_T9_mT8_P12ihipStream_tbDpT10_ENKUlT_T0_E_clISt17integral_constantIbLb0EES17_IbLb1EEEEDaS13_S14_EUlS13_E_NS1_11comp_targetILNS1_3genE9ELNS1_11target_archE1100ELNS1_3gpuE3ELNS1_3repE0EEENS1_30default_config_static_selectorELNS0_4arch9wavefront6targetE0EEEvT1_
	.globl	_ZN7rocprim17ROCPRIM_400000_NS6detail17trampoline_kernelINS0_14default_configENS1_25partition_config_selectorILNS1_17partition_subalgoE9EssbEEZZNS1_14partition_implILS5_9ELb0ES3_jN6thrust23THRUST_200600_302600_NS6detail15normal_iteratorINS9_10device_ptrIsEEEESE_PNS0_10empty_typeENS0_5tupleIJSE_SF_EEENSH_IJSE_SG_EEENS0_18inequality_wrapperINS9_8equal_toIsEEEEPmJSF_EEE10hipError_tPvRmT3_T4_T5_T6_T7_T9_mT8_P12ihipStream_tbDpT10_ENKUlT_T0_E_clISt17integral_constantIbLb0EES17_IbLb1EEEEDaS13_S14_EUlS13_E_NS1_11comp_targetILNS1_3genE9ELNS1_11target_archE1100ELNS1_3gpuE3ELNS1_3repE0EEENS1_30default_config_static_selectorELNS0_4arch9wavefront6targetE0EEEvT1_
	.p2align	8
	.type	_ZN7rocprim17ROCPRIM_400000_NS6detail17trampoline_kernelINS0_14default_configENS1_25partition_config_selectorILNS1_17partition_subalgoE9EssbEEZZNS1_14partition_implILS5_9ELb0ES3_jN6thrust23THRUST_200600_302600_NS6detail15normal_iteratorINS9_10device_ptrIsEEEESE_PNS0_10empty_typeENS0_5tupleIJSE_SF_EEENSH_IJSE_SG_EEENS0_18inequality_wrapperINS9_8equal_toIsEEEEPmJSF_EEE10hipError_tPvRmT3_T4_T5_T6_T7_T9_mT8_P12ihipStream_tbDpT10_ENKUlT_T0_E_clISt17integral_constantIbLb0EES17_IbLb1EEEEDaS13_S14_EUlS13_E_NS1_11comp_targetILNS1_3genE9ELNS1_11target_archE1100ELNS1_3gpuE3ELNS1_3repE0EEENS1_30default_config_static_selectorELNS0_4arch9wavefront6targetE0EEEvT1_,@function
_ZN7rocprim17ROCPRIM_400000_NS6detail17trampoline_kernelINS0_14default_configENS1_25partition_config_selectorILNS1_17partition_subalgoE9EssbEEZZNS1_14partition_implILS5_9ELb0ES3_jN6thrust23THRUST_200600_302600_NS6detail15normal_iteratorINS9_10device_ptrIsEEEESE_PNS0_10empty_typeENS0_5tupleIJSE_SF_EEENSH_IJSE_SG_EEENS0_18inequality_wrapperINS9_8equal_toIsEEEEPmJSF_EEE10hipError_tPvRmT3_T4_T5_T6_T7_T9_mT8_P12ihipStream_tbDpT10_ENKUlT_T0_E_clISt17integral_constantIbLb0EES17_IbLb1EEEEDaS13_S14_EUlS13_E_NS1_11comp_targetILNS1_3genE9ELNS1_11target_archE1100ELNS1_3gpuE3ELNS1_3repE0EEENS1_30default_config_static_selectorELNS0_4arch9wavefront6targetE0EEEvT1_: ; @_ZN7rocprim17ROCPRIM_400000_NS6detail17trampoline_kernelINS0_14default_configENS1_25partition_config_selectorILNS1_17partition_subalgoE9EssbEEZZNS1_14partition_implILS5_9ELb0ES3_jN6thrust23THRUST_200600_302600_NS6detail15normal_iteratorINS9_10device_ptrIsEEEESE_PNS0_10empty_typeENS0_5tupleIJSE_SF_EEENSH_IJSE_SG_EEENS0_18inequality_wrapperINS9_8equal_toIsEEEEPmJSF_EEE10hipError_tPvRmT3_T4_T5_T6_T7_T9_mT8_P12ihipStream_tbDpT10_ENKUlT_T0_E_clISt17integral_constantIbLb0EES17_IbLb1EEEEDaS13_S14_EUlS13_E_NS1_11comp_targetILNS1_3genE9ELNS1_11target_archE1100ELNS1_3gpuE3ELNS1_3repE0EEENS1_30default_config_static_selectorELNS0_4arch9wavefront6targetE0EEEvT1_
; %bb.0:
	s_clause 0x4
	s_load_b128 s[4:7], s[0:1], 0x8
	s_load_b64 s[8:9], s[0:1], 0x18
	s_load_b128 s[16:19], s[0:1], 0x40
	s_load_b64 s[12:13], s[0:1], 0x50
	s_load_b64 s[24:25], s[0:1], 0x60
	v_cmp_ne_u32_e64 s3, 0, v0
	v_cmp_eq_u32_e64 s2, 0, v0
	s_delay_alu instid0(VALU_DEP_1)
	s_and_saveexec_b32 s10, s2
	s_cbranch_execz .LBB499_4
; %bb.1:
	s_mov_b32 s14, exec_lo
	s_mov_b32 s11, exec_lo
	v_mbcnt_lo_u32_b32 v1, s14, 0
                                        ; implicit-def: $vgpr2
	s_delay_alu instid0(VALU_DEP_1)
	v_cmpx_eq_u32_e32 0, v1
	s_cbranch_execz .LBB499_3
; %bb.2:
	s_load_b64 s[20:21], s[0:1], 0x70
	s_bcnt1_i32_b32 s14, s14
	s_delay_alu instid0(SALU_CYCLE_1)
	v_dual_mov_b32 v2, 0 :: v_dual_mov_b32 v3, s14
	s_waitcnt lgkmcnt(0)
	global_atomic_add_u32 v2, v2, v3, s[20:21] glc
.LBB499_3:
	s_or_b32 exec_lo, exec_lo, s11
	s_waitcnt vmcnt(0)
	v_readfirstlane_b32 s11, v2
	s_delay_alu instid0(VALU_DEP_1)
	v_dual_mov_b32 v2, 0 :: v_dual_add_nc_u32 v1, s11, v1
	ds_store_b32 v2, v1
.LBB499_4:
	s_or_b32 exec_lo, exec_lo, s10
	v_mov_b32_e32 v1, 0
	s_clause 0x1
	s_load_b128 s[20:23], s[0:1], 0x28
	s_load_b32 s0, s[0:1], 0x68
	s_waitcnt lgkmcnt(0)
	s_barrier
	buffer_gl0_inv
	ds_load_b32 v3, v1
	s_waitcnt lgkmcnt(0)
	s_barrier
	buffer_gl0_inv
	global_load_b64 v[1:2], v1, s[18:19]
	s_lshl_b64 s[10:11], s[6:7], 1
	s_mov_b32 s28, -1
	s_add_u32 s14, s4, s10
	s_addc_u32 s15, s5, s11
	s_mul_i32 s1, s0, 0x600
	s_delay_alu instid0(SALU_CYCLE_1) | instskip(NEXT) | instid1(SALU_CYCLE_1)
	s_add_i32 s4, s1, s6
	s_sub_i32 s26, s12, s4
	s_add_i32 s4, s0, -1
	s_addk_i32 s26, 0x600
	s_add_u32 s0, s6, s1
	v_readfirstlane_b32 s19, v3
	s_addc_u32 s1, s7, 0
	s_delay_alu instid0(SALU_CYCLE_1) | instskip(SKIP_1) | instid1(VALU_DEP_2)
	v_cmp_ge_u64_e64 s5, s[0:1], s[12:13]
	s_mov_b32 s1, 0
	s_cmp_eq_u32 s19, s4
	s_mul_i32 s0, s19, 0x600
	s_cselect_b32 s13, -1, 0
	s_delay_alu instid0(VALU_DEP_1) | instid1(SALU_CYCLE_1)
	s_and_b32 s27, s5, s13
	s_lshl_b64 s[4:5], s[0:1], 1
	s_xor_b32 s18, s27, -1
	s_add_u32 s12, s14, s4
	s_addc_u32 s1, s15, s5
	s_and_b32 vcc_lo, exec_lo, s18
	s_waitcnt vmcnt(0)
	v_readfirstlane_b32 s14, v1
	v_readfirstlane_b32 s15, v2
	s_cbranch_vccz .LBB499_6
; %bb.5:
	v_lshlrev_b32_e32 v3, 1, v0
	s_mov_b32 s28, 0
	s_delay_alu instid0(VALU_DEP_1) | instskip(NEXT) | instid1(VALU_DEP_1)
	v_add_co_u32 v1, s0, s12, v3
	v_add_co_ci_u32_e64 v2, null, s1, 0, s0
	s_clause 0xb
	flat_load_u16 v4, v[1:2]
	flat_load_u16 v5, v[1:2] offset:256
	flat_load_u16 v6, v[1:2] offset:512
	;; [unrolled: 1-line block ×11, first 2 shown]
	s_waitcnt vmcnt(11) lgkmcnt(11)
	ds_store_b16 v3, v4
	s_waitcnt vmcnt(10) lgkmcnt(11)
	ds_store_b16 v3, v5 offset:256
	s_waitcnt vmcnt(9) lgkmcnt(11)
	ds_store_b16 v3, v6 offset:512
	s_waitcnt vmcnt(8) lgkmcnt(11)
	ds_store_b16 v3, v7 offset:768
	s_waitcnt vmcnt(7) lgkmcnt(11)
	ds_store_b16 v3, v8 offset:1024
	s_waitcnt vmcnt(6) lgkmcnt(11)
	ds_store_b16 v3, v9 offset:1280
	s_waitcnt vmcnt(5) lgkmcnt(11)
	ds_store_b16 v3, v10 offset:1536
	s_waitcnt vmcnt(4) lgkmcnt(11)
	ds_store_b16 v3, v11 offset:1792
	s_waitcnt vmcnt(3) lgkmcnt(11)
	ds_store_b16 v3, v12 offset:2048
	s_waitcnt vmcnt(2) lgkmcnt(11)
	ds_store_b16 v3, v13 offset:2304
	s_waitcnt vmcnt(1) lgkmcnt(11)
	ds_store_b16 v3, v14 offset:2560
	s_waitcnt vmcnt(0) lgkmcnt(11)
	ds_store_b16 v3, v1 offset:2816
	s_waitcnt lgkmcnt(0)
	s_barrier
.LBB499_6:
	v_cmp_gt_u32_e64 s0, s26, v0
	s_and_not1_b32 vcc_lo, exec_lo, s28
	s_cbranch_vccnz .LBB499_32
; %bb.7:
                                        ; implicit-def: $vgpr1_vgpr2_vgpr3_vgpr4_vgpr5_vgpr6_vgpr7_vgpr8
	s_delay_alu instid0(VALU_DEP_1)
	s_and_saveexec_b32 s28, s0
	s_cbranch_execz .LBB499_9
; %bb.8:
	v_lshlrev_b32_e32 v1, 1, v0
	s_delay_alu instid0(VALU_DEP_1) | instskip(NEXT) | instid1(VALU_DEP_1)
	v_add_co_u32 v1, s0, s12, v1
	v_add_co_ci_u32_e64 v2, null, s1, 0, s0
	flat_load_d16_b16 v1, v[1:2]
.LBB499_9:
	s_or_b32 exec_lo, exec_lo, s28
	v_or_b32_e32 v7, 0x80, v0
	s_mov_b32 s0, exec_lo
	s_delay_alu instid0(VALU_DEP_1)
	v_cmpx_gt_u32_e64 s26, v7
	s_cbranch_execz .LBB499_11
; %bb.10:
	v_lshlrev_b32_e32 v7, 1, v0
	s_delay_alu instid0(VALU_DEP_1) | instskip(NEXT) | instid1(VALU_DEP_1)
	v_add_co_u32 v7, s28, s12, v7
	v_add_co_ci_u32_e64 v8, null, s1, 0, s28
	s_waitcnt vmcnt(0) lgkmcnt(0)
	flat_load_d16_hi_b16 v1, v[7:8] offset:256
.LBB499_11:
	s_or_b32 exec_lo, exec_lo, s0
	v_or_b32_e32 v7, 0x100, v0
	s_mov_b32 s0, exec_lo
	s_delay_alu instid0(VALU_DEP_1)
	v_cmpx_gt_u32_e64 s26, v7
	s_cbranch_execz .LBB499_13
; %bb.12:
	v_lshlrev_b32_e32 v7, 1, v0
	s_delay_alu instid0(VALU_DEP_1) | instskip(NEXT) | instid1(VALU_DEP_1)
	v_add_co_u32 v7, s28, s12, v7
	v_add_co_ci_u32_e64 v8, null, s1, 0, s28
	flat_load_d16_b16 v2, v[7:8] offset:512
.LBB499_13:
	s_or_b32 exec_lo, exec_lo, s0
	v_or_b32_e32 v7, 0x180, v0
	s_mov_b32 s0, exec_lo
	s_delay_alu instid0(VALU_DEP_1)
	v_cmpx_gt_u32_e64 s26, v7
	s_cbranch_execz .LBB499_15
; %bb.14:
	v_lshlrev_b32_e32 v7, 1, v0
	s_delay_alu instid0(VALU_DEP_1) | instskip(NEXT) | instid1(VALU_DEP_1)
	v_add_co_u32 v7, s28, s12, v7
	v_add_co_ci_u32_e64 v8, null, s1, 0, s28
	s_waitcnt vmcnt(0) lgkmcnt(0)
	flat_load_d16_hi_b16 v2, v[7:8] offset:768
.LBB499_15:
	s_or_b32 exec_lo, exec_lo, s0
	v_or_b32_e32 v7, 0x200, v0
	s_mov_b32 s0, exec_lo
	s_delay_alu instid0(VALU_DEP_1)
	v_cmpx_gt_u32_e64 s26, v7
	s_cbranch_execz .LBB499_17
; %bb.16:
	v_lshlrev_b32_e32 v7, 1, v0
	s_delay_alu instid0(VALU_DEP_1) | instskip(NEXT) | instid1(VALU_DEP_1)
	v_add_co_u32 v7, s28, s12, v7
	v_add_co_ci_u32_e64 v8, null, s1, 0, s28
	flat_load_d16_b16 v3, v[7:8] offset:1024
.LBB499_17:
	;; [unrolled: 27-line block ×5, first 2 shown]
	s_or_b32 exec_lo, exec_lo, s0
	v_or_b32_e32 v7, 0x580, v0
	s_mov_b32 s0, exec_lo
	s_delay_alu instid0(VALU_DEP_1)
	v_cmpx_gt_u32_e64 s26, v7
	s_cbranch_execz .LBB499_31
; %bb.30:
	v_lshlrev_b32_e32 v7, 1, v0
	s_delay_alu instid0(VALU_DEP_1) | instskip(NEXT) | instid1(VALU_DEP_1)
	v_add_co_u32 v7, s28, s12, v7
	v_add_co_ci_u32_e64 v8, null, s1, 0, s28
	s_waitcnt vmcnt(0) lgkmcnt(0)
	flat_load_d16_hi_b16 v6, v[7:8] offset:2816
.LBB499_31:
	s_or_b32 exec_lo, exec_lo, s0
	v_lshlrev_b32_e32 v7, 1, v0
	s_waitcnt vmcnt(0) lgkmcnt(0)
	ds_store_b16 v7, v1
	ds_store_b16_d16_hi v7, v1 offset:256
	ds_store_b16 v7, v2 offset:512
	ds_store_b16_d16_hi v7, v2 offset:768
	ds_store_b16 v7, v3 offset:1024
	;; [unrolled: 2-line block ×5, first 2 shown]
	ds_store_b16_d16_hi v7, v6 offset:2816
	s_waitcnt lgkmcnt(0)
	s_barrier
.LBB499_32:
	v_mul_u32_u24_e32 v1, 12, v0
	buffer_gl0_inv
	s_add_u32 s0, s8, s10
	s_addc_u32 s8, s9, s11
	s_add_u32 s0, s0, s4
	v_lshlrev_b32_e32 v8, 1, v1
	s_addc_u32 s4, s8, s5
	s_and_b32 vcc_lo, exec_lo, s18
	s_mov_b32 s5, -1
	ds_load_2addr_b64 v[18:21], v8 offset1:1
	ds_load_b64 v[27:28], v8 offset:16
	s_waitcnt lgkmcnt(0)
	s_barrier
	buffer_gl0_inv
	s_cbranch_vccz .LBB499_34
; %bb.33:
	v_lshlrev_b32_e32 v4, 1, v0
	s_delay_alu instid0(VALU_DEP_1) | instskip(NEXT) | instid1(VALU_DEP_1)
	v_add_co_u32 v2, s5, s0, v4
	v_add_co_ci_u32_e64 v3, null, s4, 0, s5
	s_mov_b32 s5, 0
	s_clause 0xb
	flat_load_u16 v5, v[2:3]
	flat_load_u16 v6, v[2:3] offset:256
	flat_load_u16 v7, v[2:3] offset:512
	;; [unrolled: 1-line block ×11, first 2 shown]
	s_waitcnt vmcnt(11) lgkmcnt(11)
	ds_store_b16 v4, v5
	s_waitcnt vmcnt(10) lgkmcnt(11)
	ds_store_b16 v4, v6 offset:256
	s_waitcnt vmcnt(9) lgkmcnt(11)
	ds_store_b16 v4, v7 offset:512
	;; [unrolled: 2-line block ×11, first 2 shown]
	s_waitcnt lgkmcnt(0)
	s_barrier
.LBB499_34:
	s_and_not1_b32 vcc_lo, exec_lo, s5
	s_cbranch_vccnz .LBB499_60
; %bb.35:
	s_mov_b32 s5, exec_lo
                                        ; implicit-def: $vgpr2
	v_cmpx_gt_u32_e64 s26, v0
	s_cbranch_execz .LBB499_37
; %bb.36:
	v_lshlrev_b32_e32 v2, 1, v0
	s_delay_alu instid0(VALU_DEP_1) | instskip(NEXT) | instid1(VALU_DEP_1)
	v_add_co_u32 v2, s8, s0, v2
	v_add_co_ci_u32_e64 v3, null, s4, 0, s8
	flat_load_u16 v2, v[2:3]
.LBB499_37:
	s_or_b32 exec_lo, exec_lo, s5
	v_or_b32_e32 v3, 0x80, v0
	s_delay_alu instid0(VALU_DEP_1)
	v_cmp_gt_u32_e32 vcc_lo, s26, v3
                                        ; implicit-def: $vgpr3
	s_and_saveexec_b32 s5, vcc_lo
	s_cbranch_execz .LBB499_39
; %bb.38:
	v_lshlrev_b32_e32 v3, 1, v0
	s_delay_alu instid0(VALU_DEP_1) | instskip(NEXT) | instid1(VALU_DEP_1)
	v_add_co_u32 v3, s8, s0, v3
	v_add_co_ci_u32_e64 v4, null, s4, 0, s8
	flat_load_u16 v3, v[3:4] offset:256
.LBB499_39:
	s_or_b32 exec_lo, exec_lo, s5
	v_or_b32_e32 v4, 0x100, v0
	s_delay_alu instid0(VALU_DEP_1)
	v_cmp_gt_u32_e32 vcc_lo, s26, v4
                                        ; implicit-def: $vgpr4
	s_and_saveexec_b32 s5, vcc_lo
	s_cbranch_execz .LBB499_41
; %bb.40:
	v_lshlrev_b32_e32 v4, 1, v0
	s_delay_alu instid0(VALU_DEP_1) | instskip(NEXT) | instid1(VALU_DEP_1)
	v_add_co_u32 v4, s8, s0, v4
	v_add_co_ci_u32_e64 v5, null, s4, 0, s8
	flat_load_u16 v4, v[4:5] offset:512
.LBB499_41:
	s_or_b32 exec_lo, exec_lo, s5
	v_or_b32_e32 v5, 0x180, v0
	s_delay_alu instid0(VALU_DEP_1)
	v_cmp_gt_u32_e32 vcc_lo, s26, v5
                                        ; implicit-def: $vgpr5
	s_and_saveexec_b32 s5, vcc_lo
	s_cbranch_execz .LBB499_43
; %bb.42:
	v_lshlrev_b32_e32 v5, 1, v0
	s_delay_alu instid0(VALU_DEP_1) | instskip(NEXT) | instid1(VALU_DEP_1)
	v_add_co_u32 v5, s8, s0, v5
	v_add_co_ci_u32_e64 v6, null, s4, 0, s8
	flat_load_u16 v5, v[5:6] offset:768
.LBB499_43:
	s_or_b32 exec_lo, exec_lo, s5
	v_or_b32_e32 v6, 0x200, v0
	s_delay_alu instid0(VALU_DEP_1)
	v_cmp_gt_u32_e32 vcc_lo, s26, v6
                                        ; implicit-def: $vgpr6
	s_and_saveexec_b32 s5, vcc_lo
	s_cbranch_execz .LBB499_45
; %bb.44:
	v_lshlrev_b32_e32 v6, 1, v0
	s_delay_alu instid0(VALU_DEP_1) | instskip(NEXT) | instid1(VALU_DEP_1)
	v_add_co_u32 v6, s8, s0, v6
	v_add_co_ci_u32_e64 v7, null, s4, 0, s8
	flat_load_u16 v6, v[6:7] offset:1024
.LBB499_45:
	s_or_b32 exec_lo, exec_lo, s5
	v_or_b32_e32 v7, 0x280, v0
	s_delay_alu instid0(VALU_DEP_1)
	v_cmp_gt_u32_e32 vcc_lo, s26, v7
                                        ; implicit-def: $vgpr7
	s_and_saveexec_b32 s5, vcc_lo
	s_cbranch_execz .LBB499_47
; %bb.46:
	v_lshlrev_b32_e32 v7, 1, v0
	s_delay_alu instid0(VALU_DEP_1) | instskip(NEXT) | instid1(VALU_DEP_1)
	v_add_co_u32 v9, s8, s0, v7
	v_add_co_ci_u32_e64 v10, null, s4, 0, s8
	flat_load_u16 v7, v[9:10] offset:1280
.LBB499_47:
	s_or_b32 exec_lo, exec_lo, s5
	v_or_b32_e32 v9, 0x300, v0
	s_delay_alu instid0(VALU_DEP_1)
	v_cmp_gt_u32_e32 vcc_lo, s26, v9
                                        ; implicit-def: $vgpr9
	s_and_saveexec_b32 s5, vcc_lo
	s_cbranch_execz .LBB499_49
; %bb.48:
	v_lshlrev_b32_e32 v9, 1, v0
	s_delay_alu instid0(VALU_DEP_1) | instskip(NEXT) | instid1(VALU_DEP_1)
	v_add_co_u32 v9, s8, s0, v9
	v_add_co_ci_u32_e64 v10, null, s4, 0, s8
	flat_load_u16 v9, v[9:10] offset:1536
.LBB499_49:
	s_or_b32 exec_lo, exec_lo, s5
	v_or_b32_e32 v10, 0x380, v0
	s_delay_alu instid0(VALU_DEP_1)
	v_cmp_gt_u32_e32 vcc_lo, s26, v10
                                        ; implicit-def: $vgpr10
	s_and_saveexec_b32 s5, vcc_lo
	s_cbranch_execz .LBB499_51
; %bb.50:
	v_lshlrev_b32_e32 v10, 1, v0
	s_delay_alu instid0(VALU_DEP_1) | instskip(NEXT) | instid1(VALU_DEP_1)
	v_add_co_u32 v10, s8, s0, v10
	v_add_co_ci_u32_e64 v11, null, s4, 0, s8
	flat_load_u16 v10, v[10:11] offset:1792
.LBB499_51:
	s_or_b32 exec_lo, exec_lo, s5
	v_or_b32_e32 v11, 0x400, v0
	s_delay_alu instid0(VALU_DEP_1)
	v_cmp_gt_u32_e32 vcc_lo, s26, v11
                                        ; implicit-def: $vgpr11
	s_and_saveexec_b32 s5, vcc_lo
	s_cbranch_execz .LBB499_53
; %bb.52:
	v_lshlrev_b32_e32 v11, 1, v0
	s_delay_alu instid0(VALU_DEP_1) | instskip(NEXT) | instid1(VALU_DEP_1)
	v_add_co_u32 v11, s8, s0, v11
	v_add_co_ci_u32_e64 v12, null, s4, 0, s8
	flat_load_u16 v11, v[11:12] offset:2048
.LBB499_53:
	s_or_b32 exec_lo, exec_lo, s5
	v_or_b32_e32 v12, 0x480, v0
	s_delay_alu instid0(VALU_DEP_1)
	v_cmp_gt_u32_e32 vcc_lo, s26, v12
                                        ; implicit-def: $vgpr12
	s_and_saveexec_b32 s5, vcc_lo
	s_cbranch_execz .LBB499_55
; %bb.54:
	v_lshlrev_b32_e32 v12, 1, v0
	s_delay_alu instid0(VALU_DEP_1) | instskip(NEXT) | instid1(VALU_DEP_1)
	v_add_co_u32 v12, s8, s0, v12
	v_add_co_ci_u32_e64 v13, null, s4, 0, s8
	flat_load_u16 v12, v[12:13] offset:2304
.LBB499_55:
	s_or_b32 exec_lo, exec_lo, s5
	v_or_b32_e32 v13, 0x500, v0
	s_delay_alu instid0(VALU_DEP_1)
	v_cmp_gt_u32_e32 vcc_lo, s26, v13
                                        ; implicit-def: $vgpr13
	s_and_saveexec_b32 s5, vcc_lo
	s_cbranch_execz .LBB499_57
; %bb.56:
	v_lshlrev_b32_e32 v13, 1, v0
	s_delay_alu instid0(VALU_DEP_1) | instskip(NEXT) | instid1(VALU_DEP_1)
	v_add_co_u32 v13, s8, s0, v13
	v_add_co_ci_u32_e64 v14, null, s4, 0, s8
	flat_load_u16 v13, v[13:14] offset:2560
.LBB499_57:
	s_or_b32 exec_lo, exec_lo, s5
	v_or_b32_e32 v14, 0x580, v0
	s_delay_alu instid0(VALU_DEP_1)
	v_cmp_gt_u32_e32 vcc_lo, s26, v14
                                        ; implicit-def: $vgpr14
	s_and_saveexec_b32 s5, vcc_lo
	s_cbranch_execz .LBB499_59
; %bb.58:
	v_lshlrev_b32_e32 v14, 1, v0
	s_delay_alu instid0(VALU_DEP_1) | instskip(NEXT) | instid1(VALU_DEP_1)
	v_add_co_u32 v14, s0, s0, v14
	v_add_co_ci_u32_e64 v15, null, s4, 0, s0
	flat_load_u16 v14, v[14:15] offset:2816
.LBB499_59:
	s_or_b32 exec_lo, exec_lo, s5
	v_mad_i32_i24 v15, 0xffffffea, v0, v8
	s_waitcnt vmcnt(0) lgkmcnt(0)
	ds_store_b16 v15, v2
	ds_store_b16 v15, v3 offset:256
	ds_store_b16 v15, v4 offset:512
	ds_store_b16 v15, v5 offset:768
	ds_store_b16 v15, v6 offset:1024
	ds_store_b16 v15, v7 offset:1280
	ds_store_b16 v15, v9 offset:1536
	ds_store_b16 v15, v10 offset:1792
	ds_store_b16 v15, v11 offset:2048
	ds_store_b16 v15, v12 offset:2304
	ds_store_b16 v15, v13 offset:2560
	ds_store_b16 v15, v14 offset:2816
	s_waitcnt lgkmcnt(0)
	s_barrier
.LBB499_60:
	buffer_gl0_inv
	ds_load_2addr_b64 v[14:17], v8 offset1:1
	ds_load_b64 v[25:26], v8 offset:16
	s_cmp_lg_u32 s19, 0
	v_lshrrev_b32_e32 v41, 16, v18
	s_cselect_b32 s28, -1, 0
	s_cmp_lg_u64 s[6:7], 0
	v_lshrrev_b32_e32 v40, 16, v19
	s_cselect_b32 s0, -1, 0
	v_lshrrev_b32_e32 v39, 16, v20
	v_lshrrev_b32_e32 v38, 16, v21
	v_or_b32_e32 v12, 1, v1
	v_or_b32_e32 v6, 2, v1
	;; [unrolled: 1-line block ×3, first 2 shown]
	v_add_nc_u32_e32 v7, 4, v1
	v_add_nc_u32_e32 v5, 5, v1
	;; [unrolled: 1-line block ×5, first 2 shown]
	v_lshrrev_b32_e32 v37, 16, v27
	v_lshrrev_b32_e32 v31, 16, v28
	v_add_nc_u32_e32 v10, 9, v1
	v_add_nc_u32_e32 v8, 10, v1
	v_add_nc_u32_e32 v9, 11, v1
	s_or_b32 s0, s0, s28
	s_mov_b32 s29, 0
	s_and_b32 vcc_lo, exec_lo, s0
	s_waitcnt lgkmcnt(0)
	s_barrier
	buffer_gl0_inv
	s_cbranch_vccz .LBB499_65
; %bb.61:
	v_add_co_u32 v22, s0, -2, s12
	s_delay_alu instid0(VALU_DEP_1)
	v_add_co_ci_u32_e64 v23, null, -1, s1, s0
	v_lshlrev_b32_e32 v29, 1, v0
	s_mov_b32 s1, -1
	s_and_b32 vcc_lo, exec_lo, s18
	flat_load_u16 v13, v[22:23]
	ds_store_b16 v29, v31
	s_cbranch_vccz .LBB499_66
; %bb.62:
	s_waitcnt vmcnt(0) lgkmcnt(1)
	v_mov_b32_e32 v22, v13
	s_waitcnt lgkmcnt(0)
	s_barrier
	buffer_gl0_inv
	s_and_saveexec_b32 s0, s3
	s_cbranch_execz .LBB499_64
; %bb.63:
	v_add_nc_u32_e32 v22, -2, v29
	ds_load_u16 v22, v22
.LBB499_64:
	s_or_b32 exec_lo, exec_lo, s0
	v_cmp_ne_u16_e32 vcc_lo, v28, v31
	s_waitcnt lgkmcnt(0)
	v_cmp_ne_u16_e64 s0, v22, v18
	v_cndmask_b32_e64 v23, 0, 1, vcc_lo
	v_cmp_ne_u16_e32 vcc_lo, v37, v28
	s_delay_alu instid0(VALU_DEP_2) | instskip(SKIP_2) | instid1(VALU_DEP_2)
	v_lshlrev_b16 v23, 8, v23
	v_cndmask_b32_e64 v24, 0, 1, vcc_lo
	v_cmp_ne_u16_e32 vcc_lo, v27, v37
	v_or_b32_e32 v23, v24, v23
	v_cndmask_b32_e64 v30, 0, 1, vcc_lo
	v_cmp_ne_u16_e32 vcc_lo, v38, v27
	s_delay_alu instid0(VALU_DEP_2) | instskip(SKIP_2) | instid1(VALU_DEP_2)
	v_lshlrev_b16 v30, 8, v30
	v_cndmask_b32_e64 v32, 0, 1, vcc_lo
	v_cmp_ne_u16_e32 vcc_lo, v19, v40
	v_or_b32_e32 v30, v32, v30
	v_cndmask_b32_e64 v33, 0, 1, vcc_lo
	v_cmp_ne_u16_e32 vcc_lo, v21, v38
	s_delay_alu instid0(VALU_DEP_3) | instskip(NEXT) | instid1(VALU_DEP_3)
	v_and_b32_e32 v30, 0xffff, v30
	v_lshlrev_b16 v33, 8, v33
	v_cndmask_b32_e64 v34, 0, 1, vcc_lo
	v_cmp_ne_u16_e32 vcc_lo, v41, v19
	s_delay_alu instid0(VALU_DEP_2) | instskip(SKIP_2) | instid1(VALU_DEP_2)
	v_lshlrev_b16 v34, 8, v34
	v_cndmask_b32_e64 v35, 0, 1, vcc_lo
	v_cmp_ne_u16_e32 vcc_lo, v39, v21
	v_or_b32_e32 v33, v35, v33
	v_cndmask_b32_e64 v36, 0, 1, vcc_lo
	v_cmp_ne_u16_e32 vcc_lo, v20, v39
	s_delay_alu instid0(VALU_DEP_3) | instskip(NEXT) | instid1(VALU_DEP_3)
	v_lshlrev_b32_e32 v33, 16, v33
	v_or_b32_e32 v34, v36, v34
	v_cndmask_b32_e64 v42, 0, 1, vcc_lo
	v_cmp_ne_u16_e32 vcc_lo, v40, v20
	s_delay_alu instid0(VALU_DEP_3) | instskip(NEXT) | instid1(VALU_DEP_3)
	v_lshlrev_b32_e32 v34, 16, v34
	v_lshlrev_b16 v42, 8, v42
	v_cndmask_b32_e64 v35, 0, 1, vcc_lo
	v_cmp_ne_u16_e32 vcc_lo, v18, v41
	s_delay_alu instid0(VALU_DEP_2) | instskip(SKIP_1) | instid1(VALU_DEP_2)
	v_or_b32_e32 v35, v35, v42
	v_cndmask_b32_e64 v43, 0, 1, vcc_lo
	v_and_b32_e32 v32, 0xffff, v35
	s_delay_alu instid0(VALU_DEP_2) | instskip(SKIP_1) | instid1(VALU_DEP_3)
	v_lshlrev_b16 v43, 8, v43
	v_lshlrev_b32_e32 v35, 16, v23
	v_or_b32_e32 v23, v32, v34
	s_delay_alu instid0(VALU_DEP_3) | instskip(NEXT) | instid1(VALU_DEP_3)
	v_and_b32_e32 v24, 0xffff, v43
	v_or_b32_e32 v36, v30, v35
	s_delay_alu instid0(VALU_DEP_2)
	v_or_b32_e32 v22, v24, v33
	s_branch .LBB499_70
.LBB499_65:
                                        ; implicit-def: $sgpr0
                                        ; implicit-def: $vgpr36
                                        ; implicit-def: $vgpr22_vgpr23_vgpr24
	s_branch .LBB499_71
.LBB499_66:
                                        ; implicit-def: $sgpr0
                                        ; implicit-def: $vgpr36
                                        ; implicit-def: $vgpr22_vgpr23_vgpr24
	s_and_b32 vcc_lo, exec_lo, s1
	s_cbranch_vccz .LBB499_70
; %bb.67:
	s_waitcnt vmcnt(0) lgkmcnt(0)
	s_barrier
	buffer_gl0_inv
	s_and_saveexec_b32 s0, s3
	s_cbranch_execz .LBB499_69
; %bb.68:
	v_add_nc_u32_e32 v13, -2, v29
	ds_load_u16 v13, v13
.LBB499_69:
	s_or_b32 exec_lo, exec_lo, s0
	v_cmp_gt_u32_e32 vcc_lo, s26, v9
	v_cmp_ne_u16_e64 s0, v28, v31
	v_cmp_gt_u32_e64 s1, s26, v8
	v_cmp_ne_u16_e64 s4, v37, v28
	v_cmp_gt_u32_e64 s5, s26, v10
	v_cmp_ne_u16_e64 s6, v27, v37
	s_and_b32 s0, vcc_lo, s0
	v_cmp_gt_u32_e32 vcc_lo, s26, v11
	v_cndmask_b32_e64 v22, 0, 1, s0
	s_and_b32 s0, s1, s4
	v_cmp_gt_u32_e64 s1, s26, v2
	v_cndmask_b32_e64 v23, 0, 1, s0
	s_and_b32 s0, s5, s6
	v_cmp_ne_u16_e64 s4, v21, v38
	v_cndmask_b32_e64 v24, 0, 1, s0
	v_cmp_ne_u16_e64 s0, v38, v27
	v_cmp_gt_u32_e64 s5, s26, v3
	v_cmp_ne_u16_e64 s6, v39, v21
	v_lshlrev_b16 v22, 8, v22
	v_lshlrev_b16 v24, 8, v24
	s_and_b32 s0, vcc_lo, s0
	v_cmp_gt_u32_e32 vcc_lo, s26, v4
	v_cndmask_b32_e64 v29, 0, 1, s0
	s_and_b32 s0, s1, s4
	v_cmp_gt_u32_e64 s1, s26, v5
	v_cndmask_b32_e64 v30, 0, 1, s0
	s_and_b32 s0, s5, s6
	v_cmp_gt_u32_e64 s5, s26, v6
	v_cndmask_b32_e64 v32, 0, 1, s0
	v_cmp_ne_u16_e64 s0, v19, v40
	v_cmp_ne_u16_e64 s6, v41, v19
	;; [unrolled: 1-line block ×3, first 2 shown]
	v_lshlrev_b16 v30, 8, v30
	v_or_b32_e32 v24, v29, v24
	s_and_b32 s0, vcc_lo, s0
	v_cmp_gt_u32_e32 vcc_lo, s26, v7
	v_cndmask_b32_e64 v33, 0, 1, s0
	v_cmp_ne_u16_e64 s0, v40, v20
	s_and_b32 s5, s5, s6
	v_cmp_ne_u16_e64 s6, v18, v41
	v_cndmask_b32_e64 v34, 0, 1, s5
	v_lshlrev_b16 v33, 8, v33
	v_cmp_gt_u32_e64 s5, s26, v12
	s_and_b32 s1, s1, s4
	s_and_b32 s0, vcc_lo, s0
	v_cndmask_b32_e64 v35, 0, 1, s1
	v_or_b32_e32 v33, v34, v33
	v_cndmask_b32_e64 v34, 0, 1, s0
	s_and_b32 s0, s5, s6
	v_or_b32_e32 v30, v32, v30
	v_cndmask_b32_e64 v36, 0, 1, s0
	v_lshlrev_b16 v35, 8, v35
	v_or_b32_e32 v22, v23, v22
	v_lshlrev_b32_e32 v33, 16, v33
	v_lshlrev_b32_e32 v30, 16, v30
	v_lshlrev_b16 v36, 8, v36
	v_or_b32_e32 v34, v34, v35
	v_and_b32_e32 v24, 0xffff, v24
	v_lshlrev_b32_e32 v32, 16, v22
	v_cmp_gt_u32_e32 vcc_lo, s26, v1
	v_and_b32_e32 v23, 0xffff, v36
	v_and_b32_e32 v29, 0xffff, v34
	s_waitcnt lgkmcnt(0)
	v_cmp_ne_u16_e64 s0, v13, v18
	v_or_b32_e32 v36, v24, v32
	v_or_b32_e32 v22, v23, v33
	;; [unrolled: 1-line block ×3, first 2 shown]
	s_delay_alu instid0(VALU_DEP_4)
	s_and_b32 s0, vcc_lo, s0
.LBB499_70:
	s_mov_b32 s29, -1
	s_cbranch_execnz .LBB499_79
.LBB499_71:
	s_waitcnt vmcnt(0) lgkmcnt(1)
	v_lshlrev_b32_e32 v13, 1, v0
	v_cmp_ne_u16_e64 s8, v28, v31
	v_cmp_ne_u16_e64 s9, v37, v28
	;; [unrolled: 1-line block ×11, first 2 shown]
	s_and_b32 vcc_lo, exec_lo, s18
	ds_store_b16 v13, v31
	s_cbranch_vccz .LBB499_75
; %bb.72:
	v_cndmask_b32_e64 v22, 0, 1, s12
	v_cndmask_b32_e64 v23, 0, 1, s8
	;; [unrolled: 1-line block ×5, first 2 shown]
	v_lshlrev_b16 v22, 8, v22
	v_cndmask_b32_e64 v35, 0, 1, s7
	v_cndmask_b32_e64 v36, 0, 1, s1
	;; [unrolled: 1-line block ×5, first 2 shown]
	v_or_b32_e32 v22, v29, v22
	v_cndmask_b32_e64 v29, 0, 1, s0
	v_lshlrev_b16 v23, 8, v23
	v_lshlrev_b16 v33, 8, v33
	;; [unrolled: 1-line block ×5, first 2 shown]
	v_or_b32_e32 v23, v24, v23
	v_or_b32_e32 v24, v34, v33
	;; [unrolled: 1-line block ×5, first 2 shown]
	v_and_b32_e32 v22, 0xffff, v22
	v_lshlrev_b32_e32 v23, 16, v23
	v_and_b32_e32 v24, 0xffff, v24
	v_lshlrev_b32_e32 v30, 16, v30
	v_lshlrev_b32_e32 v29, 16, v29
	v_and_b32_e32 v32, 0xffff, v32
	v_or_b32_e32 v36, v22, v23
	s_waitcnt lgkmcnt(0)
	v_or_b32_e32 v23, v24, v30
	s_barrier
	v_or_b32_e32 v22, v32, v29
	buffer_gl0_inv
                                        ; implicit-def: $sgpr0
	s_and_saveexec_b32 s1, s3
	s_delay_alu instid0(SALU_CYCLE_1)
	s_xor_b32 s1, exec_lo, s1
	s_cbranch_execz .LBB499_74
; %bb.73:
	v_add_nc_u32_e32 v24, -2, v13
	s_or_b32 s29, s29, exec_lo
	ds_load_u16 v24, v24
	s_waitcnt lgkmcnt(0)
	v_cmp_ne_u16_e32 vcc_lo, v24, v18
	s_and_b32 s0, vcc_lo, exec_lo
.LBB499_74:
	s_or_b32 exec_lo, exec_lo, s1
	s_branch .LBB499_79
.LBB499_75:
                                        ; implicit-def: $sgpr0
                                        ; implicit-def: $vgpr36
                                        ; implicit-def: $vgpr22_vgpr23_vgpr24
	s_cbranch_execz .LBB499_79
; %bb.76:
	v_cmp_gt_u32_e32 vcc_lo, s26, v9
	v_cmp_ne_u16_e64 s0, v28, v31
	v_cmp_gt_u32_e64 s1, s26, v8
	v_cmp_ne_u16_e64 s4, v37, v28
	v_cmp_gt_u32_e64 s5, s26, v2
	v_cmp_ne_u16_e64 s6, v21, v38
	s_and_b32 s0, vcc_lo, s0
	v_cmp_gt_u32_e32 vcc_lo, s26, v10
	v_cndmask_b32_e64 v22, 0, 1, s0
	s_and_b32 s0, s1, s4
	v_cmp_gt_u32_e64 s1, s26, v11
	v_cndmask_b32_e64 v23, 0, 1, s0
	v_cmp_ne_u16_e64 s0, v27, v37
	v_cmp_ne_u16_e64 s4, v38, v27
	v_lshlrev_b16 v22, 8, v22
	s_waitcnt lgkmcnt(0)
	s_barrier
	s_and_b32 s0, vcc_lo, s0
	v_cmp_gt_u32_e32 vcc_lo, s26, v3
	v_cndmask_b32_e64 v24, 0, 1, s0
	s_and_b32 s0, s1, s4
	v_cmp_gt_u32_e64 s1, s26, v5
	v_cndmask_b32_e64 v29, 0, 1, s0
	s_and_b32 s0, s5, s6
	v_cmp_ne_u16_e64 s4, v20, v39
	v_cndmask_b32_e64 v30, 0, 1, s0
	v_cmp_ne_u16_e64 s0, v39, v21
	v_cmp_gt_u32_e64 s5, s26, v7
	v_cmp_ne_u16_e64 s6, v40, v20
	v_lshlrev_b16 v24, 8, v24
	v_lshlrev_b16 v30, 8, v30
	s_and_b32 s0, vcc_lo, s0
	v_cmp_gt_u32_e32 vcc_lo, s26, v4
	v_cndmask_b32_e64 v32, 0, 1, s0
	s_and_b32 s0, s1, s4
	v_cmp_gt_u32_e64 s1, s26, v6
	v_cndmask_b32_e64 v33, 0, 1, s0
	s_and_b32 s0, s5, s6
	v_cmp_ne_u16_e64 s4, v41, v19
	v_cndmask_b32_e64 v34, 0, 1, s0
	v_cmp_ne_u16_e64 s0, v19, v40
	v_cmp_gt_u32_e64 s5, s26, v12
	v_cmp_ne_u16_e64 s6, v18, v41
	v_or_b32_e32 v24, v29, v24
	v_lshlrev_b16 v33, 8, v33
	s_and_b32 s0, vcc_lo, s0
	v_or_b32_e32 v22, v23, v22
	v_cndmask_b32_e64 v35, 0, 1, s0
	s_and_b32 s0, s1, s4
	v_or_b32_e32 v23, v34, v33
	v_cndmask_b32_e64 v29, 0, 1, s0
	s_and_b32 s0, s5, s6
	v_lshlrev_b16 v35, 8, v35
	v_cndmask_b32_e64 v36, 0, 1, s0
	v_or_b32_e32 v30, v32, v30
	v_and_b32_e32 v24, 0xffff, v24
	v_lshlrev_b32_e32 v22, 16, v22
	v_or_b32_e32 v29, v29, v35
	v_lshlrev_b16 v36, 8, v36
	v_and_b32_e32 v23, 0xffff, v23
	v_lshlrev_b32_e32 v30, 16, v30
	buffer_gl0_inv
	v_lshlrev_b32_e32 v29, 16, v29
	v_or_b32_e32 v32, 1, v36
	v_or_b32_e32 v36, v24, v22
	;; [unrolled: 1-line block ×3, first 2 shown]
                                        ; implicit-def: $sgpr0
	s_delay_alu instid0(VALU_DEP_3) | instskip(NEXT) | instid1(VALU_DEP_1)
	v_and_b32_e32 v32, 0xffff, v32
	v_or_b32_e32 v22, v32, v29
	s_and_saveexec_b32 s1, s3
	s_cbranch_execz .LBB499_78
; %bb.77:
	v_add_nc_u32_e32 v13, -2, v13
	v_cmp_gt_u32_e32 vcc_lo, s26, v1
	s_or_b32 s29, s29, exec_lo
	ds_load_u16 v13, v13
	s_waitcnt lgkmcnt(0)
	v_cmp_ne_u16_e64 s0, v13, v18
	s_delay_alu instid0(VALU_DEP_1) | instskip(NEXT) | instid1(SALU_CYCLE_1)
	s_and_b32 s0, vcc_lo, s0
	s_and_b32 s0, s0, exec_lo
.LBB499_78:
	s_or_b32 exec_lo, exec_lo, s1
.LBB499_79:
	s_and_saveexec_b32 s1, s29
	s_cbranch_execz .LBB499_81
; %bb.80:
	s_waitcnt vmcnt(0) lgkmcnt(1)
	v_and_b32_e32 v13, 0xffffff00, v22
	v_cndmask_b32_e64 v24, 0, 1, s0
	s_delay_alu instid0(VALU_DEP_1) | instskip(NEXT) | instid1(VALU_DEP_1)
	v_or_b32_e32 v13, v24, v13
	v_and_b32_e32 v13, 0xffff, v13
	s_delay_alu instid0(VALU_DEP_1)
	v_and_or_b32 v22, 0xffff0000, v22, v13
.LBB499_81:
	s_or_b32 exec_lo, exec_lo, s1
	s_delay_alu instid0(SALU_CYCLE_1)
	s_and_not1_b32 vcc_lo, exec_lo, s27
	s_cbranch_vccnz .LBB499_83
; %bb.82:
	v_cmp_gt_u32_e32 vcc_lo, s26, v1
	v_cmp_gt_u32_e64 s1, s26, v6
	v_cmp_gt_u32_e64 s4, s26, v4
	;; [unrolled: 1-line block ×4, first 2 shown]
	v_cndmask_b32_e32 v1, 0, v22, vcc_lo
	v_cmp_gt_u32_e32 vcc_lo, s26, v12
	v_and_b32_e32 v12, 0xffffff00, v23
	v_cmp_gt_u32_e64 s5, s26, v3
	s_delay_alu instid0(VALU_DEP_4) | instskip(NEXT) | instid1(VALU_DEP_3)
	v_and_b32_e32 v1, 0xff, v1
	v_cndmask_b32_e64 v7, v12, v23, s0
	s_delay_alu instid0(VALU_DEP_2) | instskip(SKIP_1) | instid1(VALU_DEP_3)
	v_cndmask_b32_e32 v1, v1, v22, vcc_lo
	v_cmp_gt_u32_e32 vcc_lo, s26, v11
	v_and_b32_e32 v7, 0xffff00ff, v7
	s_delay_alu instid0(VALU_DEP_3) | instskip(SKIP_1) | instid1(VALU_DEP_3)
	v_and_b32_e32 v1, 0xffff, v1
	v_cndmask_b32_e32 v11, 0, v36, vcc_lo
	v_cndmask_b32_e64 v5, v7, v23, s3
	s_delay_alu instid0(VALU_DEP_3) | instskip(SKIP_1) | instid1(VALU_DEP_3)
	v_cndmask_b32_e64 v1, v1, v22, s1
	v_cmp_gt_u32_e64 s1, s26, v10
	v_and_b32_e32 v5, 0xff00ffff, v5
	s_delay_alu instid0(VALU_DEP_3) | instskip(NEXT) | instid1(VALU_DEP_2)
	v_and_b32_e32 v1, 0xffffff, v1
	v_cndmask_b32_e64 v3, v5, v23, s5
	s_delay_alu instid0(VALU_DEP_2) | instskip(SKIP_1) | instid1(VALU_DEP_2)
	v_cndmask_b32_e64 v1, v1, v22, s4
	v_cmp_gt_u32_e64 s4, s26, v8
	v_cndmask_b32_e64 v1, v1, v22, s0
	v_cmp_gt_u32_e64 s0, s26, v9
	s_delay_alu instid0(VALU_DEP_2) | instskip(SKIP_2) | instid1(VALU_DEP_3)
	v_cndmask_b32_e64 v1, v1, v22, s3
	v_cmp_gt_u32_e64 s3, s26, v2
	v_and_b32_e32 v2, 0xffffff, v3
	v_cndmask_b32_e64 v1, v1, v22, s5
	v_and_b32_e32 v11, 0xff, v11
	s_delay_alu instid0(VALU_DEP_1) | instskip(NEXT) | instid1(VALU_DEP_1)
	v_cndmask_b32_e64 v6, v11, v36, s1
	v_and_b32_e32 v6, 0xffff, v6
	s_delay_alu instid0(VALU_DEP_1) | instskip(NEXT) | instid1(VALU_DEP_1)
	v_cndmask_b32_e64 v4, v6, v36, s4
	v_and_b32_e32 v4, 0xffffff, v4
	s_delay_alu instid0(VALU_DEP_1) | instskip(SKIP_1) | instid1(SALU_CYCLE_1)
	v_cndmask_b32_e64 v36, v4, v36, s0
	s_or_b32 s0, s0, s4
	s_or_b32 s0, s0, s1
	s_delay_alu instid0(SALU_CYCLE_1) | instskip(NEXT) | instid1(SALU_CYCLE_1)
	s_or_b32 s0, s0, vcc_lo
	s_or_b32 vcc_lo, s0, s3
	v_dual_cndmask_b32 v22, v1, v22 :: v_dual_cndmask_b32 v23, v2, v23
.LBB499_83:
	s_delay_alu instid0(VALU_DEP_1) | instskip(NEXT) | instid1(VALU_DEP_2)
	v_and_b32_e32 v42, 0xff, v22
	v_alignbit_b32 v1, v23, v22, 24
	v_bfe_u32 v43, v22, 8, 8
	v_bfe_u32 v44, v22, 16, 8
	v_and_b32_e32 v46, 0xff, v23
	v_bfe_u32 v47, v23, 8, 8
	v_and_b32_e32 v45, 0xff, v1
	v_dual_mov_b32 v1, v36 :: v_dual_add_nc_u32 v2, v43, v42
	v_bfe_u32 v48, v23, 16, 8
	v_lshrrev_b32_e32 v24, 24, v23
	v_and_b32_e32 v49, 0xff, v36
	v_mbcnt_lo_u32_b32 v52, -1, 0
	v_add3_u32 v2, v2, v44, v45
	v_bfe_u32 v50, v36, 8, 8
	v_alignbit_b32 v3, s0, v36, 24
	v_bfe_u32 v51, v36, 16, 8
	v_and_b32_e32 v4, 15, v52
	v_add3_u32 v2, v2, v46, v47
	v_or_b32_e32 v5, 31, v0
	v_and_b32_e32 v3, 0xff, v3
	v_and_b32_e32 v6, 16, v52
	v_cmp_eq_u32_e64 s6, 0, v4
	v_add3_u32 v2, v2, v48, v24
	v_cmp_lt_u32_e64 s5, 1, v4
	v_cmp_lt_u32_e64 s4, 3, v4
	;; [unrolled: 1-line block ×3, first 2 shown]
	v_cmp_eq_u32_e64 s1, 0, v6
	v_add3_u32 v2, v2, v49, v50
	v_lshrrev_b32_e32 v53, 5, v0
	v_cmp_eq_u32_e64 s0, v5, v0
	s_and_b32 vcc_lo, exec_lo, s28
	s_mov_b32 s7, -1
	v_add3_u32 v54, v2, v51, v3
	s_waitcnt vmcnt(0) lgkmcnt(0)
	s_barrier
	buffer_gl0_inv
	s_cbranch_vccz .LBB499_109
; %bb.84:
	v_mov_b32_dpp v2, v54 row_shr:1 row_mask:0xf bank_mask:0xf
	s_delay_alu instid0(VALU_DEP_1) | instskip(NEXT) | instid1(VALU_DEP_1)
	v_cndmask_b32_e64 v2, v2, 0, s6
	v_add_nc_u32_e32 v2, v2, v54
	s_delay_alu instid0(VALU_DEP_1) | instskip(NEXT) | instid1(VALU_DEP_1)
	v_mov_b32_dpp v3, v2 row_shr:2 row_mask:0xf bank_mask:0xf
	v_cndmask_b32_e64 v3, 0, v3, s5
	s_delay_alu instid0(VALU_DEP_1) | instskip(NEXT) | instid1(VALU_DEP_1)
	v_add_nc_u32_e32 v2, v2, v3
	v_mov_b32_dpp v3, v2 row_shr:4 row_mask:0xf bank_mask:0xf
	s_delay_alu instid0(VALU_DEP_1) | instskip(NEXT) | instid1(VALU_DEP_1)
	v_cndmask_b32_e64 v3, 0, v3, s4
	v_add_nc_u32_e32 v2, v2, v3
	s_delay_alu instid0(VALU_DEP_1) | instskip(NEXT) | instid1(VALU_DEP_1)
	v_mov_b32_dpp v3, v2 row_shr:8 row_mask:0xf bank_mask:0xf
	v_cndmask_b32_e64 v3, 0, v3, s3
	s_delay_alu instid0(VALU_DEP_1) | instskip(SKIP_3) | instid1(VALU_DEP_1)
	v_add_nc_u32_e32 v2, v2, v3
	ds_swizzle_b32 v3, v2 offset:swizzle(BROADCAST,32,15)
	s_waitcnt lgkmcnt(0)
	v_cndmask_b32_e64 v3, v3, 0, s1
	v_add_nc_u32_e32 v2, v2, v3
	s_and_saveexec_b32 s7, s0
	s_cbranch_execz .LBB499_86
; %bb.85:
	v_lshlrev_b32_e32 v3, 2, v53
	ds_store_b32 v3, v2
.LBB499_86:
	s_or_b32 exec_lo, exec_lo, s7
	s_delay_alu instid0(SALU_CYCLE_1)
	s_mov_b32 s7, exec_lo
	s_waitcnt lgkmcnt(0)
	s_barrier
	buffer_gl0_inv
	v_cmpx_gt_u32_e32 4, v0
	s_cbranch_execz .LBB499_88
; %bb.87:
	v_and_b32_e32 v5, 3, v52
	s_delay_alu instid0(VALU_DEP_1) | instskip(SKIP_4) | instid1(VALU_DEP_1)
	v_cmp_ne_u32_e32 vcc_lo, 0, v5
	v_lshlrev_b32_e32 v3, 2, v0
	ds_load_b32 v4, v3
	s_waitcnt lgkmcnt(0)
	v_mov_b32_dpp v6, v4 row_shr:1 row_mask:0xf bank_mask:0xf
	v_cndmask_b32_e32 v6, 0, v6, vcc_lo
	v_cmp_lt_u32_e32 vcc_lo, 1, v5
	s_delay_alu instid0(VALU_DEP_2) | instskip(NEXT) | instid1(VALU_DEP_1)
	v_add_nc_u32_e32 v4, v6, v4
	v_mov_b32_dpp v6, v4 row_shr:2 row_mask:0xf bank_mask:0xf
	s_delay_alu instid0(VALU_DEP_1) | instskip(NEXT) | instid1(VALU_DEP_1)
	v_cndmask_b32_e32 v5, 0, v6, vcc_lo
	v_add_nc_u32_e32 v4, v4, v5
	ds_store_b32 v3, v4
.LBB499_88:
	s_or_b32 exec_lo, exec_lo, s7
	v_cmp_gt_u32_e32 vcc_lo, 32, v0
	s_mov_b32 s8, exec_lo
	s_waitcnt lgkmcnt(0)
	s_barrier
	buffer_gl0_inv
                                        ; implicit-def: $vgpr10
	v_cmpx_lt_u32_e32 31, v0
	s_cbranch_execz .LBB499_90
; %bb.89:
	v_lshl_add_u32 v3, v53, 2, -4
	ds_load_b32 v10, v3
	s_waitcnt lgkmcnt(0)
	v_add_nc_u32_e32 v2, v10, v2
.LBB499_90:
	s_or_b32 exec_lo, exec_lo, s8
	v_add_nc_u32_e32 v3, -1, v52
	s_delay_alu instid0(VALU_DEP_1) | instskip(NEXT) | instid1(VALU_DEP_1)
	v_cmp_gt_i32_e64 s7, 0, v3
	v_cndmask_b32_e64 v3, v3, v52, s7
	v_cmp_eq_u32_e64 s7, 0, v52
	s_delay_alu instid0(VALU_DEP_2)
	v_lshlrev_b32_e32 v3, 2, v3
	ds_bpermute_b32 v11, v3, v2
	s_and_saveexec_b32 s8, vcc_lo
	s_cbranch_execz .LBB499_108
; %bb.91:
	v_mov_b32_e32 v6, 0
	ds_load_b32 v2, v6 offset:12
	s_and_saveexec_b32 s9, s7
	s_cbranch_execz .LBB499_93
; %bb.92:
	s_add_i32 s10, s19, 32
	s_mov_b32 s11, 0
	v_mov_b32_e32 v3, 1
	s_lshl_b64 s[10:11], s[10:11], 3
	s_delay_alu instid0(SALU_CYCLE_1)
	s_add_u32 s10, s24, s10
	s_addc_u32 s11, s25, s11
	s_waitcnt lgkmcnt(0)
	global_store_b64 v6, v[2:3], s[10:11]
.LBB499_93:
	s_or_b32 exec_lo, exec_lo, s9
	v_xad_u32 v4, v52, -1, s19
	s_mov_b32 s10, 0
	s_mov_b32 s9, exec_lo
	s_delay_alu instid0(VALU_DEP_1) | instskip(NEXT) | instid1(VALU_DEP_1)
	v_add_nc_u32_e32 v5, 32, v4
	v_lshlrev_b64 v[5:6], 3, v[5:6]
	s_delay_alu instid0(VALU_DEP_1) | instskip(NEXT) | instid1(VALU_DEP_2)
	v_add_co_u32 v8, vcc_lo, s24, v5
	v_add_co_ci_u32_e32 v9, vcc_lo, s25, v6, vcc_lo
	global_load_b64 v[6:7], v[8:9], off glc
	s_waitcnt vmcnt(0)
	v_and_b32_e32 v3, 0xff, v7
	s_delay_alu instid0(VALU_DEP_1)
	v_cmpx_eq_u16_e32 0, v3
	s_cbranch_execz .LBB499_96
.LBB499_94:                             ; =>This Inner Loop Header: Depth=1
	global_load_b64 v[6:7], v[8:9], off glc
	s_waitcnt vmcnt(0)
	v_and_b32_e32 v3, 0xff, v7
	s_delay_alu instid0(VALU_DEP_1) | instskip(SKIP_1) | instid1(SALU_CYCLE_1)
	v_cmp_ne_u16_e32 vcc_lo, 0, v3
	s_or_b32 s10, vcc_lo, s10
	s_and_not1_b32 exec_lo, exec_lo, s10
	s_cbranch_execnz .LBB499_94
; %bb.95:
	s_or_b32 exec_lo, exec_lo, s10
.LBB499_96:
	s_delay_alu instid0(SALU_CYCLE_1)
	s_or_b32 exec_lo, exec_lo, s9
	v_cmp_ne_u32_e32 vcc_lo, 31, v52
	v_lshlrev_b32_e64 v13, v52, -1
	v_add_nc_u32_e32 v30, 2, v52
	v_add_nc_u32_e32 v56, 16, v52
	v_add_co_ci_u32_e32 v3, vcc_lo, 0, v52, vcc_lo
	s_delay_alu instid0(VALU_DEP_1)
	v_lshlrev_b32_e32 v12, 2, v3
	v_and_b32_e32 v3, 0xff, v7
	ds_bpermute_b32 v5, v12, v6
	v_cmp_eq_u16_e32 vcc_lo, 2, v3
	v_and_or_b32 v3, vcc_lo, v13, 0x80000000
	v_cmp_gt_u32_e32 vcc_lo, 30, v52
	s_delay_alu instid0(VALU_DEP_2) | instskip(SKIP_1) | instid1(VALU_DEP_2)
	v_ctz_i32_b32_e32 v3, v3
	v_cndmask_b32_e64 v8, 0, 1, vcc_lo
	v_cmp_lt_u32_e32 vcc_lo, v52, v3
	s_waitcnt lgkmcnt(0)
	s_delay_alu instid0(VALU_DEP_2) | instskip(NEXT) | instid1(VALU_DEP_1)
	v_dual_cndmask_b32 v5, 0, v5 :: v_dual_lshlrev_b32 v8, 1, v8
	v_add_lshl_u32 v29, v8, v52, 2
	v_cmp_gt_u32_e32 vcc_lo, 28, v52
	s_delay_alu instid0(VALU_DEP_3) | instskip(SKIP_4) | instid1(VALU_DEP_1)
	v_add_nc_u32_e32 v5, v5, v6
	v_cndmask_b32_e64 v8, 0, 1, vcc_lo
	v_cmp_le_u32_e32 vcc_lo, v30, v3
	ds_bpermute_b32 v6, v29, v5
	v_lshlrev_b32_e32 v8, 2, v8
	v_add_lshl_u32 v32, v8, v52, 2
	s_waitcnt lgkmcnt(0)
	v_cndmask_b32_e32 v6, 0, v6, vcc_lo
	v_cmp_gt_u32_e32 vcc_lo, 24, v52
	s_delay_alu instid0(VALU_DEP_2) | instskip(SKIP_4) | instid1(VALU_DEP_2)
	v_add_nc_u32_e32 v5, v5, v6
	v_cndmask_b32_e64 v8, 0, 1, vcc_lo
	ds_bpermute_b32 v6, v32, v5
	v_add_nc_u32_e32 v33, 4, v52
	v_lshlrev_b32_e32 v8, 3, v8
	v_cmp_le_u32_e32 vcc_lo, v33, v3
	s_delay_alu instid0(VALU_DEP_2) | instskip(SKIP_3) | instid1(VALU_DEP_2)
	v_add_lshl_u32 v34, v8, v52, 2
	s_waitcnt lgkmcnt(0)
	v_cndmask_b32_e32 v6, 0, v6, vcc_lo
	v_cmp_gt_u32_e32 vcc_lo, 16, v52
	v_add_nc_u32_e32 v5, v5, v6
	v_cndmask_b32_e64 v8, 0, 1, vcc_lo
	ds_bpermute_b32 v6, v34, v5
	v_add_nc_u32_e32 v35, 8, v52
	v_lshlrev_b32_e32 v8, 4, v8
	s_delay_alu instid0(VALU_DEP_2) | instskip(NEXT) | instid1(VALU_DEP_2)
	v_cmp_le_u32_e32 vcc_lo, v35, v3
	v_add_lshl_u32 v55, v8, v52, 2
	s_waitcnt lgkmcnt(0)
	v_cndmask_b32_e32 v6, 0, v6, vcc_lo
	v_cmp_le_u32_e32 vcc_lo, v56, v3
	s_delay_alu instid0(VALU_DEP_2) | instskip(SKIP_3) | instid1(VALU_DEP_1)
	v_add_nc_u32_e32 v5, v5, v6
	ds_bpermute_b32 v6, v55, v5
	s_waitcnt lgkmcnt(0)
	v_cndmask_b32_e32 v3, 0, v6, vcc_lo
	v_dual_mov_b32 v5, 0 :: v_dual_add_nc_u32 v6, v5, v3
	s_branch .LBB499_98
.LBB499_97:                             ;   in Loop: Header=BB499_98 Depth=1
	s_or_b32 exec_lo, exec_lo, s9
	ds_bpermute_b32 v9, v12, v6
	v_and_b32_e32 v8, 0xff, v7
	v_subrev_nc_u32_e32 v4, 32, v4
	s_delay_alu instid0(VALU_DEP_2) | instskip(SKIP_1) | instid1(VALU_DEP_1)
	v_cmp_eq_u16_e32 vcc_lo, 2, v8
	v_and_or_b32 v8, vcc_lo, v13, 0x80000000
	v_ctz_i32_b32_e32 v8, v8
	s_delay_alu instid0(VALU_DEP_1) | instskip(SKIP_3) | instid1(VALU_DEP_2)
	v_cmp_lt_u32_e32 vcc_lo, v52, v8
	s_waitcnt lgkmcnt(0)
	v_cndmask_b32_e32 v9, 0, v9, vcc_lo
	v_cmp_le_u32_e32 vcc_lo, v30, v8
	v_add_nc_u32_e32 v6, v9, v6
	ds_bpermute_b32 v9, v29, v6
	s_waitcnt lgkmcnt(0)
	v_cndmask_b32_e32 v9, 0, v9, vcc_lo
	v_cmp_le_u32_e32 vcc_lo, v33, v8
	s_delay_alu instid0(VALU_DEP_2) | instskip(SKIP_4) | instid1(VALU_DEP_2)
	v_add_nc_u32_e32 v6, v6, v9
	ds_bpermute_b32 v9, v32, v6
	s_waitcnt lgkmcnt(0)
	v_cndmask_b32_e32 v9, 0, v9, vcc_lo
	v_cmp_le_u32_e32 vcc_lo, v35, v8
	v_add_nc_u32_e32 v6, v6, v9
	ds_bpermute_b32 v9, v34, v6
	s_waitcnt lgkmcnt(0)
	v_cndmask_b32_e32 v9, 0, v9, vcc_lo
	v_cmp_le_u32_e32 vcc_lo, v56, v8
	s_delay_alu instid0(VALU_DEP_2) | instskip(SKIP_3) | instid1(VALU_DEP_1)
	v_add_nc_u32_e32 v6, v6, v9
	ds_bpermute_b32 v9, v55, v6
	s_waitcnt lgkmcnt(0)
	v_cndmask_b32_e32 v8, 0, v9, vcc_lo
	v_add3_u32 v6, v8, v3, v6
.LBB499_98:                             ; =>This Loop Header: Depth=1
                                        ;     Child Loop BB499_101 Depth 2
	v_and_b32_e32 v3, 0xff, v7
	s_delay_alu instid0(VALU_DEP_1) | instskip(SKIP_2) | instid1(VALU_DEP_1)
	v_cmp_ne_u16_e32 vcc_lo, 2, v3
	v_cndmask_b32_e64 v3, 0, 1, vcc_lo
	;;#ASMSTART
	;;#ASMEND
	v_cmp_ne_u32_e32 vcc_lo, 0, v3
	v_mov_b32_e32 v3, v6
	s_cmp_lg_u32 vcc_lo, exec_lo
	s_cbranch_scc1 .LBB499_103
; %bb.99:                               ;   in Loop: Header=BB499_98 Depth=1
	v_lshlrev_b64 v[6:7], 3, v[4:5]
	s_mov_b32 s9, exec_lo
	s_delay_alu instid0(VALU_DEP_1) | instskip(NEXT) | instid1(VALU_DEP_2)
	v_add_co_u32 v8, vcc_lo, s24, v6
	v_add_co_ci_u32_e32 v9, vcc_lo, s25, v7, vcc_lo
	global_load_b64 v[6:7], v[8:9], off glc
	s_waitcnt vmcnt(0)
	v_and_b32_e32 v57, 0xff, v7
	s_delay_alu instid0(VALU_DEP_1)
	v_cmpx_eq_u16_e32 0, v57
	s_cbranch_execz .LBB499_97
; %bb.100:                              ;   in Loop: Header=BB499_98 Depth=1
	s_mov_b32 s10, 0
.LBB499_101:                            ;   Parent Loop BB499_98 Depth=1
                                        ; =>  This Inner Loop Header: Depth=2
	global_load_b64 v[6:7], v[8:9], off glc
	s_waitcnt vmcnt(0)
	v_and_b32_e32 v57, 0xff, v7
	s_delay_alu instid0(VALU_DEP_1) | instskip(SKIP_1) | instid1(SALU_CYCLE_1)
	v_cmp_ne_u16_e32 vcc_lo, 0, v57
	s_or_b32 s10, vcc_lo, s10
	s_and_not1_b32 exec_lo, exec_lo, s10
	s_cbranch_execnz .LBB499_101
; %bb.102:                              ;   in Loop: Header=BB499_98 Depth=1
	s_or_b32 exec_lo, exec_lo, s10
	s_branch .LBB499_97
.LBB499_103:                            ;   in Loop: Header=BB499_98 Depth=1
                                        ; implicit-def: $vgpr6
                                        ; implicit-def: $vgpr7
	s_cbranch_execz .LBB499_98
; %bb.104:
	s_and_saveexec_b32 s9, s7
	s_cbranch_execz .LBB499_106
; %bb.105:
	s_add_i32 s10, s19, 32
	s_mov_b32 s11, 0
	v_dual_mov_b32 v5, 2 :: v_dual_add_nc_u32 v4, v3, v2
	s_lshl_b64 s[10:11], s[10:11], 3
	v_mov_b32_e32 v6, 0
	s_add_u32 s10, s24, s10
	s_addc_u32 s11, s25, s11
	global_store_b64 v6, v[4:5], s[10:11]
	ds_store_b64 v6, v[2:3] offset:3072
.LBB499_106:
	s_or_b32 exec_lo, exec_lo, s9
	s_delay_alu instid0(SALU_CYCLE_1)
	s_and_b32 exec_lo, exec_lo, s2
	s_cbranch_execz .LBB499_108
; %bb.107:
	v_mov_b32_e32 v2, 0
	ds_store_b32 v2, v3 offset:12
.LBB499_108:
	s_or_b32 exec_lo, exec_lo, s8
	v_mov_b32_e32 v12, 0
	s_waitcnt lgkmcnt(0)
	s_waitcnt_vscnt null, 0x0
	s_barrier
	buffer_gl0_inv
	v_cndmask_b32_e64 v3, v11, v10, s7
	ds_load_b32 v2, v12 offset:12
	s_waitcnt lgkmcnt(0)
	s_barrier
	buffer_gl0_inv
	v_cndmask_b32_e64 v3, v3, 0, s2
	s_delay_alu instid0(VALU_DEP_1) | instskip(NEXT) | instid1(VALU_DEP_1)
	v_add_nc_u32_e32 v2, v2, v3
	v_add_nc_u32_e32 v3, v2, v42
	ds_load_b64 v[29:30], v12 offset:3072
	v_add_nc_u32_e32 v4, v3, v43
	s_delay_alu instid0(VALU_DEP_1) | instskip(NEXT) | instid1(VALU_DEP_1)
	v_add_nc_u32_e32 v5, v4, v44
	v_add_nc_u32_e32 v6, v5, v45
	s_delay_alu instid0(VALU_DEP_1) | instskip(NEXT) | instid1(VALU_DEP_1)
	v_add_nc_u32_e32 v7, v6, v46
	v_add_nc_u32_e32 v8, v7, v47
	s_delay_alu instid0(VALU_DEP_1) | instskip(NEXT) | instid1(VALU_DEP_1)
	v_add_nc_u32_e32 v9, v8, v48
	v_add_nc_u32_e32 v10, v9, v24
	s_delay_alu instid0(VALU_DEP_1) | instskip(NEXT) | instid1(VALU_DEP_1)
	v_add_nc_u32_e32 v11, v10, v49
	v_add_nc_u32_e32 v12, v11, v50
	s_delay_alu instid0(VALU_DEP_1)
	v_add_nc_u32_e32 v13, v12, v51
	v_lshrrev_b64 v[34:35], 24, v[22:23]
	v_lshrrev_b64 v[32:33], 24, v[1:2]
	s_branch .LBB499_119
.LBB499_109:
                                        ; implicit-def: $vgpr30
                                        ; implicit-def: $vgpr2_vgpr3_vgpr4_vgpr5_vgpr6_vgpr7_vgpr8_vgpr9_vgpr10_vgpr11_vgpr12_vgpr13
                                        ; implicit-def: $vgpr29
	v_lshrrev_b64 v[34:35], 24, v[22:23]
	v_lshrrev_b64 v[32:33], 24, v[1:2]
	s_and_b32 vcc_lo, exec_lo, s7
	s_cbranch_vccz .LBB499_119
; %bb.110:
	v_mov_b32_dpp v1, v54 row_shr:1 row_mask:0xf bank_mask:0xf
	s_delay_alu instid0(VALU_DEP_1) | instskip(NEXT) | instid1(VALU_DEP_1)
	v_cndmask_b32_e64 v1, v1, 0, s6
	v_add_nc_u32_e32 v1, v1, v54
	s_delay_alu instid0(VALU_DEP_1) | instskip(NEXT) | instid1(VALU_DEP_1)
	v_mov_b32_dpp v2, v1 row_shr:2 row_mask:0xf bank_mask:0xf
	v_cndmask_b32_e64 v2, 0, v2, s5
	s_delay_alu instid0(VALU_DEP_1) | instskip(NEXT) | instid1(VALU_DEP_1)
	v_add_nc_u32_e32 v1, v1, v2
	v_mov_b32_dpp v2, v1 row_shr:4 row_mask:0xf bank_mask:0xf
	s_delay_alu instid0(VALU_DEP_1) | instskip(NEXT) | instid1(VALU_DEP_1)
	v_cndmask_b32_e64 v2, 0, v2, s4
	v_add_nc_u32_e32 v1, v1, v2
	s_delay_alu instid0(VALU_DEP_1) | instskip(NEXT) | instid1(VALU_DEP_1)
	v_mov_b32_dpp v2, v1 row_shr:8 row_mask:0xf bank_mask:0xf
	v_cndmask_b32_e64 v2, 0, v2, s3
	s_delay_alu instid0(VALU_DEP_1) | instskip(SKIP_3) | instid1(VALU_DEP_1)
	v_add_nc_u32_e32 v1, v1, v2
	ds_swizzle_b32 v2, v1 offset:swizzle(BROADCAST,32,15)
	s_waitcnt lgkmcnt(0)
	v_cndmask_b32_e64 v2, v2, 0, s1
	v_add_nc_u32_e32 v1, v1, v2
	s_and_saveexec_b32 s1, s0
	s_cbranch_execz .LBB499_112
; %bb.111:
	v_lshlrev_b32_e32 v2, 2, v53
	ds_store_b32 v2, v1
.LBB499_112:
	s_or_b32 exec_lo, exec_lo, s1
	s_delay_alu instid0(SALU_CYCLE_1)
	s_mov_b32 s0, exec_lo
	s_waitcnt lgkmcnt(0)
	s_barrier
	buffer_gl0_inv
	v_cmpx_gt_u32_e32 4, v0
	s_cbranch_execz .LBB499_114
; %bb.113:
	v_and_b32_e32 v4, 3, v52
	s_delay_alu instid0(VALU_DEP_1) | instskip(SKIP_4) | instid1(VALU_DEP_1)
	v_cmp_ne_u32_e32 vcc_lo, 0, v4
	v_lshlrev_b32_e32 v2, 2, v0
	ds_load_b32 v3, v2
	s_waitcnt lgkmcnt(0)
	v_mov_b32_dpp v5, v3 row_shr:1 row_mask:0xf bank_mask:0xf
	v_cndmask_b32_e32 v5, 0, v5, vcc_lo
	v_cmp_lt_u32_e32 vcc_lo, 1, v4
	s_delay_alu instid0(VALU_DEP_2) | instskip(NEXT) | instid1(VALU_DEP_1)
	v_add_nc_u32_e32 v3, v5, v3
	v_mov_b32_dpp v5, v3 row_shr:2 row_mask:0xf bank_mask:0xf
	s_delay_alu instid0(VALU_DEP_1) | instskip(NEXT) | instid1(VALU_DEP_1)
	v_cndmask_b32_e32 v4, 0, v5, vcc_lo
	v_add_nc_u32_e32 v3, v3, v4
	ds_store_b32 v2, v3
.LBB499_114:
	s_or_b32 exec_lo, exec_lo, s0
	v_dual_mov_b32 v3, 0 :: v_dual_mov_b32 v2, 0
	s_mov_b32 s0, exec_lo
	s_waitcnt lgkmcnt(0)
	s_barrier
	buffer_gl0_inv
	v_cmpx_lt_u32_e32 31, v0
	s_cbranch_execz .LBB499_116
; %bb.115:
	v_lshl_add_u32 v2, v53, 2, -4
	ds_load_b32 v2, v2
.LBB499_116:
	s_or_b32 exec_lo, exec_lo, s0
	v_add_nc_u32_e32 v4, -1, v52
	ds_load_b32 v29, v3 offset:12
	s_waitcnt lgkmcnt(1)
	v_add_nc_u32_e32 v1, v2, v1
	v_cmp_gt_i32_e32 vcc_lo, 0, v4
	v_cndmask_b32_e32 v4, v4, v52, vcc_lo
	s_delay_alu instid0(VALU_DEP_1)
	v_lshlrev_b32_e32 v4, 2, v4
	ds_bpermute_b32 v1, v4, v1
	s_and_saveexec_b32 s0, s2
	s_cbranch_execz .LBB499_118
; %bb.117:
	v_dual_mov_b32 v3, 0 :: v_dual_mov_b32 v30, 2
	s_waitcnt lgkmcnt(1)
	global_store_b64 v3, v[29:30], s[24:25] offset:256
.LBB499_118:
	s_or_b32 exec_lo, exec_lo, s0
	v_cmp_eq_u32_e32 vcc_lo, 0, v52
	s_waitcnt lgkmcnt(0)
	s_waitcnt_vscnt null, 0x0
	s_barrier
	buffer_gl0_inv
	v_dual_mov_b32 v30, 0 :: v_dual_cndmask_b32 v1, v1, v2
	s_delay_alu instid0(VALU_DEP_1) | instskip(NEXT) | instid1(VALU_DEP_1)
	v_cndmask_b32_e64 v2, v1, 0, s2
	v_add_nc_u32_e32 v3, v2, v42
	s_delay_alu instid0(VALU_DEP_1) | instskip(NEXT) | instid1(VALU_DEP_1)
	v_add_nc_u32_e32 v4, v3, v43
	v_add_nc_u32_e32 v5, v4, v44
	s_delay_alu instid0(VALU_DEP_1) | instskip(NEXT) | instid1(VALU_DEP_1)
	v_add_nc_u32_e32 v6, v5, v45
	v_add_nc_u32_e32 v7, v6, v46
	s_delay_alu instid0(VALU_DEP_1) | instskip(NEXT) | instid1(VALU_DEP_1)
	v_add_nc_u32_e32 v8, v7, v47
	v_add_nc_u32_e32 v9, v8, v48
	s_delay_alu instid0(VALU_DEP_1) | instskip(NEXT) | instid1(VALU_DEP_1)
	v_add_nc_u32_e32 v10, v9, v24
	v_add_nc_u32_e32 v11, v10, v49
	s_delay_alu instid0(VALU_DEP_1) | instskip(NEXT) | instid1(VALU_DEP_1)
	v_add_nc_u32_e32 v12, v11, v50
	v_add_nc_u32_e32 v13, v12, v51
.LBB499_119:
	s_waitcnt lgkmcnt(0)
	v_add_nc_u32_e32 v46, v30, v29
	v_cmp_gt_u32_e64 s0, 0x81, v29
	v_lshrrev_b32_e32 v33, 16, v36
	v_lshrrev_b32_e32 v44, 16, v22
	;; [unrolled: 1-line block ×6, first 2 shown]
	v_cmp_lt_u32_e64 s1, v2, v46
	s_and_b32 vcc_lo, exec_lo, s0
	s_mov_b32 s3, -1
	s_cbranch_vccz .LBB499_157
; %bb.120:
	s_lshl_b64 s[4:5], s[14:15], 1
	s_delay_alu instid0(SALU_CYCLE_1) | instskip(SKIP_2) | instid1(SALU_CYCLE_1)
	s_add_u32 s3, s20, s4
	s_addc_u32 s4, s21, s5
	s_or_b32 s5, s18, s1
	s_and_saveexec_b32 s1, s5
	s_cbranch_execz .LBB499_123
; %bb.121:
	v_and_b32_e32 v1, 1, v22
	s_delay_alu instid0(VALU_DEP_1)
	v_cmp_eq_u32_e32 vcc_lo, 1, v1
	s_and_b32 exec_lo, exec_lo, vcc_lo
	s_cbranch_execz .LBB499_123
; %bb.122:
	v_dual_mov_b32 v48, 0 :: v_dual_mov_b32 v47, v2
	s_delay_alu instid0(VALU_DEP_1) | instskip(NEXT) | instid1(VALU_DEP_1)
	v_lshlrev_b64 v[47:48], 1, v[47:48]
	v_add_co_u32 v47, vcc_lo, s3, v47
	s_delay_alu instid0(VALU_DEP_2)
	v_add_co_ci_u32_e32 v48, vcc_lo, s4, v48, vcc_lo
	global_store_b16 v[47:48], v18, off
.LBB499_123:
	s_or_b32 exec_lo, exec_lo, s1
	v_cmp_lt_u32_e32 vcc_lo, v3, v46
	s_or_b32 s5, s18, vcc_lo
	s_delay_alu instid0(SALU_CYCLE_1)
	s_and_saveexec_b32 s1, s5
	s_cbranch_execz .LBB499_126
; %bb.124:
	v_and_b32_e32 v1, 1, v45
	s_delay_alu instid0(VALU_DEP_1)
	v_cmp_eq_u32_e32 vcc_lo, 1, v1
	s_and_b32 exec_lo, exec_lo, vcc_lo
	s_cbranch_execz .LBB499_126
; %bb.125:
	v_dual_mov_b32 v48, 0 :: v_dual_mov_b32 v47, v3
	s_delay_alu instid0(VALU_DEP_1) | instskip(NEXT) | instid1(VALU_DEP_1)
	v_lshlrev_b64 v[47:48], 1, v[47:48]
	v_add_co_u32 v47, vcc_lo, s3, v47
	s_delay_alu instid0(VALU_DEP_2)
	v_add_co_ci_u32_e32 v48, vcc_lo, s4, v48, vcc_lo
	global_store_b16 v[47:48], v41, off
.LBB499_126:
	s_or_b32 exec_lo, exec_lo, s1
	v_cmp_lt_u32_e32 vcc_lo, v4, v46
	s_or_b32 s5, s18, vcc_lo
	s_delay_alu instid0(SALU_CYCLE_1)
	;; [unrolled: 21-line block ×11, first 2 shown]
	s_and_saveexec_b32 s1, s5
	s_cbranch_execz .LBB499_156
; %bb.154:
	v_and_b32_e32 v1, 1, v32
	s_delay_alu instid0(VALU_DEP_1)
	v_cmp_eq_u32_e32 vcc_lo, 1, v1
	s_and_b32 exec_lo, exec_lo, vcc_lo
	s_cbranch_execz .LBB499_156
; %bb.155:
	v_dual_mov_b32 v48, 0 :: v_dual_mov_b32 v47, v13
	s_delay_alu instid0(VALU_DEP_1) | instskip(NEXT) | instid1(VALU_DEP_1)
	v_lshlrev_b64 v[47:48], 1, v[47:48]
	v_add_co_u32 v47, vcc_lo, s3, v47
	s_delay_alu instid0(VALU_DEP_2)
	v_add_co_ci_u32_e32 v48, vcc_lo, s4, v48, vcc_lo
	global_store_b16 v[47:48], v31, off
.LBB499_156:
	s_or_b32 exec_lo, exec_lo, s1
	s_mov_b32 s3, 0
.LBB499_157:
	v_and_b32_e32 v22, 1, v22
	s_and_b32 vcc_lo, exec_lo, s3
	s_delay_alu instid0(VALU_DEP_1)
	v_cmp_eq_u32_e64 s1, 1, v22
	s_cbranch_vccz .LBB499_198
; %bb.158:
	s_delay_alu instid0(VALU_DEP_1)
	s_and_saveexec_b32 s3, s1
	s_cbranch_execz .LBB499_160
; %bb.159:
	v_sub_nc_u32_e32 v1, v2, v30
	s_delay_alu instid0(VALU_DEP_1)
	v_lshlrev_b32_e32 v1, 1, v1
	ds_store_b16 v1, v18
.LBB499_160:
	s_or_b32 exec_lo, exec_lo, s3
	v_and_b32_e32 v1, 1, v45
	s_mov_b32 s1, exec_lo
	s_delay_alu instid0(VALU_DEP_1)
	v_cmpx_eq_u32_e32 1, v1
	s_cbranch_execz .LBB499_162
; %bb.161:
	v_sub_nc_u32_e32 v1, v3, v30
	s_delay_alu instid0(VALU_DEP_1)
	v_lshlrev_b32_e32 v1, 1, v1
	ds_store_b16 v1, v41
.LBB499_162:
	s_or_b32 exec_lo, exec_lo, s1
	v_and_b32_e32 v1, 1, v44
	s_mov_b32 s1, exec_lo
	s_delay_alu instid0(VALU_DEP_1)
	v_cmpx_eq_u32_e32 1, v1
	;; [unrolled: 12-line block ×11, first 2 shown]
	s_cbranch_execz .LBB499_182
; %bb.181:
	v_sub_nc_u32_e32 v1, v13, v30
	s_delay_alu instid0(VALU_DEP_1)
	v_lshlrev_b32_e32 v1, 1, v1
	ds_store_b16 v1, v31
.LBB499_182:
	s_or_b32 exec_lo, exec_lo, s1
	s_delay_alu instid0(SALU_CYCLE_1)
	s_mov_b32 s4, exec_lo
	s_waitcnt lgkmcnt(0)
	s_waitcnt_vscnt null, 0x0
	s_barrier
	buffer_gl0_inv
	v_cmpx_lt_u32_e64 v0, v29
	s_cbranch_execz .LBB499_197
; %bb.183:
	v_mov_b32_e32 v31, 0
	s_lshl_b64 s[6:7], s[14:15], 1
	v_xad_u32 v1, v0, -1, v29
	s_add_u32 s3, s20, s6
	s_addc_u32 s5, s21, s7
	v_lshlrev_b64 v[18:19], 1, v[30:31]
	s_delay_alu instid0(VALU_DEP_2) | instskip(NEXT) | instid1(VALU_DEP_2)
	v_cmp_gt_u32_e32 vcc_lo, 0xc80, v1
	v_add_co_u32 v27, s3, s3, v18
	v_mov_b32_e32 v18, v0
	s_delay_alu instid0(VALU_DEP_4)
	v_add_co_ci_u32_e64 v28, s3, s5, v19, s3
	s_mov_b32 s3, -1
	s_mov_b32 s5, exec_lo
	v_cmpx_lt_u32_e32 0xc7f, v1
	s_cbranch_execz .LBB499_194
; %bb.184:
	v_sub_nc_u32_e32 v18, v0, v29
	s_delay_alu instid0(VALU_DEP_1) | instskip(NEXT) | instid1(VALU_DEP_1)
	v_or_b32_e32 v18, 0x7f, v18
	v_cmp_ge_u32_e64 s1, v18, v0
	v_mov_b32_e32 v18, v0
	s_delay_alu instid0(VALU_DEP_2)
	s_and_saveexec_b32 s6, s1
	s_cbranch_execz .LBB499_193
; %bb.185:
	v_lshrrev_b32_e32 v31, 7, v1
	v_or_b32_e32 v1, 0x80, v0
	s_delay_alu instid0(VALU_DEP_2) | instskip(NEXT) | instid1(VALU_DEP_1)
	v_add_nc_u32_e32 v18, -1, v31
	v_lshrrev_b32_e32 v19, 1, v18
	v_mov_b32_e32 v40, 0
	v_cmp_lt_u32_e64 s1, 13, v18
	s_delay_alu instid0(VALU_DEP_3) | instskip(SKIP_1) | instid1(VALU_DEP_3)
	v_add_nc_u32_e32 v37, 1, v19
	v_dual_mov_b32 v19, v1 :: v_dual_mov_b32 v18, v0
	s_and_saveexec_b32 s3, s1
	s_cbranch_execz .LBB499_189
; %bb.186:
	s_delay_alu instid0(VALU_DEP_2)
	v_dual_mov_b32 v19, v1 :: v_dual_and_b32 v38, -8, v37
	v_mov_b32_e32 v21, 0
	v_dual_mov_b32 v18, v0 :: v_dual_lshlrev_b32 v39, 1, v0
	s_mov_b32 s7, 0
	s_mov_b32 s8, 0
.LBB499_187:                            ; =>This Inner Loop Header: Depth=1
	s_delay_alu instid0(VALU_DEP_1) | instskip(SKIP_2) | instid1(VALU_DEP_3)
	v_dual_mov_b32 v20, v18 :: v_dual_add_nc_u32 v47, 0x100, v19
	v_add_nc_u32_e32 v38, -8, v38
	v_dual_mov_b32 v48, v21 :: v_dual_add_nc_u32 v49, 0x200, v19
	v_lshlrev_b64 v[61:62], 1, v[20:21]
	v_dual_mov_b32 v50, v21 :: v_dual_add_nc_u32 v51, 0x300, v19
	s_delay_alu instid0(VALU_DEP_4) | instskip(NEXT) | instid1(VALU_DEP_4)
	v_cmp_eq_u32_e64 s1, 0, v38
	v_lshlrev_b64 v[47:48], 1, v[47:48]
	v_dual_mov_b32 v52, v21 :: v_dual_add_nc_u32 v53, 0x400, v19
	s_add_i32 s8, s8, 16
	v_lshlrev_b64 v[49:50], 1, v[49:50]
	s_or_b32 s7, s1, s7
	v_add_co_u32 v61, s1, v27, v61
	v_dual_mov_b32 v54, v21 :: v_dual_add_nc_u32 v55, 0x500, v19
	v_add_co_ci_u32_e64 v62, s1, v28, v62, s1
	v_lshlrev_b64 v[51:52], 1, v[51:52]
	v_add_co_u32 v47, s1, v27, v47
	v_dual_mov_b32 v56, v21 :: v_dual_add_nc_u32 v57, 0x600, v19
	v_add_co_ci_u32_e64 v48, s1, v28, v48, s1
	v_lshlrev_b64 v[53:54], 1, v[53:54]
	;; [unrolled: 4-line block ×3, first 2 shown]
	v_add_co_u32 v51, s1, v27, v51
	v_mov_b32_e32 v60, v21
	v_mov_b32_e32 v20, v19
	v_add_co_ci_u32_e64 v52, s1, v28, v52, s1
	v_lshlrev_b64 v[57:58], 1, v[57:58]
	v_add_co_u32 v53, s1, v27, v53
	ds_load_u16 v1, v39
	ds_load_u16 v41, v39 offset:256
	ds_load_u16 v67, v39 offset:512
	;; [unrolled: 1-line block ×7, first 2 shown]
	v_add_co_ci_u32_e64 v54, s1, v28, v54, s1
	ds_load_u16 v73, v39 offset:2048
	ds_load_u16 v74, v39 offset:2304
	;; [unrolled: 1-line block ×8, first 2 shown]
	v_add_nc_u32_e32 v39, 0x1000, v39
	v_lshlrev_b64 v[59:60], 1, v[59:60]
	v_add_co_u32 v55, s1, v27, v55
	v_lshlrev_b64 v[63:64], 1, v[20:21]
	v_add_nc_u32_e32 v20, 0x100, v18
	v_add_co_ci_u32_e64 v56, s1, v28, v56, s1
	v_add_co_u32 v57, s1, v27, v57
	s_delay_alu instid0(VALU_DEP_1)
	v_add_co_ci_u32_e64 v58, s1, v28, v58, s1
	v_add_co_u32 v59, s1, v27, v59
	v_lshlrev_b64 v[65:66], 1, v[20:21]
	v_add_nc_u32_e32 v20, 0x200, v18
	v_add_co_ci_u32_e64 v60, s1, v28, v60, s1
	v_add_co_u32 v63, s1, v27, v63
	s_delay_alu instid0(VALU_DEP_1)
	v_add_co_ci_u32_e64 v64, s1, v28, v64, s1
	s_waitcnt lgkmcnt(15)
	global_store_b16 v[61:62], v1, off
	v_lshlrev_b64 v[61:62], 1, v[20:21]
	v_add_nc_u32_e32 v20, 0x300, v18
	v_add_co_u32 v65, s1, v27, v65
	s_delay_alu instid0(VALU_DEP_1)
	v_add_co_ci_u32_e64 v66, s1, v28, v66, s1
	s_waitcnt lgkmcnt(14)
	global_store_b16 v[63:64], v41, off
	v_lshlrev_b64 v[63:64], 1, v[20:21]
	v_add_nc_u32_e32 v20, 0x400, v18
	s_waitcnt lgkmcnt(13)
	global_store_b16 v[65:66], v67, off
	s_waitcnt lgkmcnt(12)
	global_store_b16 v[47:48], v68, off
	v_add_co_u32 v47, s1, v27, v61
	s_delay_alu instid0(VALU_DEP_1) | instskip(SKIP_3) | instid1(VALU_DEP_1)
	v_add_co_ci_u32_e64 v48, s1, v28, v62, s1
	v_lshlrev_b64 v[61:62], 1, v[20:21]
	v_add_nc_u32_e32 v20, 0x500, v18
	v_add_co_u32 v63, s1, v27, v63
	v_add_co_ci_u32_e64 v64, s1, v28, v64, s1
	s_waitcnt lgkmcnt(11)
	global_store_b16 v[47:48], v69, off
	s_waitcnt lgkmcnt(10)
	global_store_b16 v[49:50], v70, off
	v_lshlrev_b64 v[47:48], 1, v[20:21]
	v_add_nc_u32_e32 v20, 0x600, v18
	v_add_co_u32 v49, s1, v27, v61
	s_waitcnt lgkmcnt(9)
	global_store_b16 v[63:64], v71, off
	s_waitcnt lgkmcnt(8)
	global_store_b16 v[51:52], v72, off
	v_add_co_ci_u32_e64 v50, s1, v28, v62, s1
	v_lshlrev_b64 v[51:52], 1, v[20:21]
	v_add_nc_u32_e32 v20, 0x700, v18
	v_add_co_u32 v47, s1, v27, v47
	s_delay_alu instid0(VALU_DEP_1)
	v_add_co_ci_u32_e64 v48, s1, v28, v48, s1
	s_waitcnt lgkmcnt(7)
	global_store_b16 v[49:50], v73, off
	s_waitcnt lgkmcnt(6)
	global_store_b16 v[53:54], v74, off
	v_lshlrev_b64 v[49:50], 1, v[20:21]
	v_dual_mov_b32 v40, s8 :: v_dual_add_nc_u32 v19, 0x800, v19
	s_waitcnt lgkmcnt(5)
	global_store_b16 v[47:48], v75, off
	v_add_co_u32 v47, s1, v27, v51
	v_add_nc_u32_e32 v18, 0x800, v18
	v_add_co_ci_u32_e64 v48, s1, v28, v52, s1
	v_add_co_u32 v49, s1, v27, v49
	s_delay_alu instid0(VALU_DEP_1)
	v_add_co_ci_u32_e64 v50, s1, v28, v50, s1
	s_waitcnt lgkmcnt(4)
	global_store_b16 v[55:56], v76, off
	s_waitcnt lgkmcnt(3)
	global_store_b16 v[47:48], v77, off
	;; [unrolled: 2-line block ×5, first 2 shown]
	s_and_not1_b32 exec_lo, exec_lo, s7
	s_cbranch_execnz .LBB499_187
; %bb.188:
	s_or_b32 exec_lo, exec_lo, s7
.LBB499_189:
	s_delay_alu instid0(SALU_CYCLE_1) | instskip(SKIP_3) | instid1(VALU_DEP_1)
	s_or_b32 exec_lo, exec_lo, s3
	v_and_b32_e32 v1, 7, v37
	s_mov_b32 s8, 0
	s_mov_b32 s7, exec_lo
	v_cmpx_ne_u32_e32 0, v1
	s_cbranch_execz .LBB499_192
; %bb.190:
	v_dual_mov_b32 v21, 0 :: v_dual_lshlrev_b32 v20, 1, v0
	s_delay_alu instid0(VALU_DEP_1)
	v_lshl_or_b32 v37, v40, 8, v20
	s_set_inst_prefetch_distance 0x1
	.p2align	6
.LBB499_191:                            ; =>This Inner Loop Header: Depth=1
	v_dual_mov_b32 v20, v18 :: v_dual_add_nc_u32 v1, -1, v1
	ds_load_u16 v47, v37
	ds_load_u16 v48, v37 offset:256
	v_add_nc_u32_e32 v18, 0x100, v18
	v_add_nc_u32_e32 v37, 0x200, v37
	v_lshlrev_b64 v[38:39], 1, v[20:21]
	v_mov_b32_e32 v20, v19
	v_cmp_eq_u32_e64 s1, 0, v1
	v_add_nc_u32_e32 v19, 0x100, v19
	s_delay_alu instid0(VALU_DEP_3) | instskip(SKIP_1) | instid1(VALU_DEP_1)
	v_lshlrev_b64 v[40:41], 1, v[20:21]
	v_add_co_u32 v38, s3, v27, v38
	v_add_co_ci_u32_e64 v39, s3, v28, v39, s3
	s_or_b32 s8, s1, s8
	s_delay_alu instid0(VALU_DEP_3) | instskip(NEXT) | instid1(VALU_DEP_1)
	v_add_co_u32 v40, s3, v27, v40
	v_add_co_ci_u32_e64 v41, s3, v28, v41, s3
	s_waitcnt lgkmcnt(1)
	global_store_b16 v[38:39], v47, off
	s_waitcnt lgkmcnt(0)
	global_store_b16 v[40:41], v48, off
	s_and_not1_b32 exec_lo, exec_lo, s8
	s_cbranch_execnz .LBB499_191
.LBB499_192:
	s_set_inst_prefetch_distance 0x2
	s_or_b32 exec_lo, exec_lo, s7
	v_add_nc_u32_e32 v1, 1, v31
	s_delay_alu instid0(VALU_DEP_1) | instskip(NEXT) | instid1(VALU_DEP_1)
	v_and_b32_e32 v18, 0x3fffffe, v1
	v_cmp_ne_u32_e64 s1, v1, v18
	v_lshl_or_b32 v18, v18, 7, v0
	s_delay_alu instid0(VALU_DEP_2)
	s_or_not1_b32 s3, s1, exec_lo
.LBB499_193:
	s_or_b32 exec_lo, exec_lo, s6
	s_delay_alu instid0(SALU_CYCLE_1) | instskip(SKIP_1) | instid1(SALU_CYCLE_1)
	s_and_not1_b32 s1, vcc_lo, exec_lo
	s_and_b32 s3, s3, exec_lo
	s_or_b32 vcc_lo, s1, s3
.LBB499_194:
	s_or_b32 exec_lo, exec_lo, s5
	s_delay_alu instid0(SALU_CYCLE_1)
	s_and_b32 exec_lo, exec_lo, vcc_lo
	s_cbranch_execz .LBB499_197
; %bb.195:
	v_lshlrev_b32_e32 v1, 1, v18
	v_mov_b32_e32 v19, 0
	s_mov_b32 s3, 0
	.p2align	6
.LBB499_196:                            ; =>This Inner Loop Header: Depth=1
	ds_load_u16 v31, v1
	v_lshlrev_b64 v[20:21], 1, v[18:19]
	v_add_nc_u32_e32 v18, 0x80, v18
	v_add_nc_u32_e32 v1, 0x100, v1
	s_delay_alu instid0(VALU_DEP_2) | instskip(NEXT) | instid1(VALU_DEP_4)
	v_cmp_ge_u32_e32 vcc_lo, v18, v29
	v_add_co_u32 v20, s1, v27, v20
	s_delay_alu instid0(VALU_DEP_1)
	v_add_co_ci_u32_e64 v21, s1, v28, v21, s1
	s_or_b32 s3, vcc_lo, s3
	s_waitcnt lgkmcnt(0)
	global_store_b16 v[20:21], v31, off
	s_and_not1_b32 exec_lo, exec_lo, s3
	s_cbranch_execnz .LBB499_196
.LBB499_197:
	s_or_b32 exec_lo, exec_lo, s4
.LBB499_198:
	v_lshrrev_b32_e32 v27, 16, v14
	v_lshrrev_b32_e32 v21, 16, v15
	;; [unrolled: 1-line block ×6, first 2 shown]
	s_and_b32 vcc_lo, exec_lo, s0
	s_mov_b32 s0, -1
	s_waitcnt_vscnt null, 0x0
	s_barrier
	buffer_gl0_inv
	s_cbranch_vccnz .LBB499_202
; %bb.199:
	s_and_b32 vcc_lo, exec_lo, s0
	s_cbranch_vccnz .LBB499_239
.LBB499_200:
	s_and_b32 s0, s2, s13
	s_delay_alu instid0(SALU_CYCLE_1)
	s_and_saveexec_b32 s1, s0
	s_cbranch_execnz .LBB499_279
.LBB499_201:
	s_nop 0
	s_sendmsg sendmsg(MSG_DEALLOC_VGPRS)
	s_endpgm
.LBB499_202:
	v_cmp_lt_u32_e32 vcc_lo, v2, v46
	s_lshl_b64 s[0:1], s[14:15], 1
	s_delay_alu instid0(SALU_CYCLE_1) | instskip(SKIP_2) | instid1(SALU_CYCLE_1)
	s_add_u32 s0, s22, s0
	s_addc_u32 s1, s23, s1
	s_or_b32 s4, s18, vcc_lo
	s_and_saveexec_b32 s3, s4
	s_cbranch_execz .LBB499_205
; %bb.203:
	v_cmp_eq_u32_e32 vcc_lo, 1, v22
	s_and_b32 exec_lo, exec_lo, vcc_lo
	s_cbranch_execz .LBB499_205
; %bb.204:
	v_dual_mov_b32 v38, 0 :: v_dual_mov_b32 v37, v2
	s_delay_alu instid0(VALU_DEP_1) | instskip(NEXT) | instid1(VALU_DEP_1)
	v_lshlrev_b64 v[37:38], 1, v[37:38]
	v_add_co_u32 v37, vcc_lo, s0, v37
	s_delay_alu instid0(VALU_DEP_2)
	v_add_co_ci_u32_e32 v38, vcc_lo, s1, v38, vcc_lo
	global_store_b16 v[37:38], v14, off
.LBB499_205:
	s_or_b32 exec_lo, exec_lo, s3
	v_cmp_lt_u32_e32 vcc_lo, v3, v46
	s_or_b32 s4, s18, vcc_lo
	s_delay_alu instid0(SALU_CYCLE_1)
	s_and_saveexec_b32 s3, s4
	s_cbranch_execz .LBB499_208
; %bb.206:
	v_and_b32_e32 v28, 1, v45
	s_delay_alu instid0(VALU_DEP_1)
	v_cmp_eq_u32_e32 vcc_lo, 1, v28
	s_and_b32 exec_lo, exec_lo, vcc_lo
	s_cbranch_execz .LBB499_208
; %bb.207:
	v_dual_mov_b32 v38, 0 :: v_dual_mov_b32 v37, v3
	s_delay_alu instid0(VALU_DEP_1) | instskip(NEXT) | instid1(VALU_DEP_1)
	v_lshlrev_b64 v[37:38], 1, v[37:38]
	v_add_co_u32 v37, vcc_lo, s0, v37
	s_delay_alu instid0(VALU_DEP_2)
	v_add_co_ci_u32_e32 v38, vcc_lo, s1, v38, vcc_lo
	global_store_b16 v[37:38], v27, off
.LBB499_208:
	s_or_b32 exec_lo, exec_lo, s3
	v_cmp_lt_u32_e32 vcc_lo, v4, v46
	s_or_b32 s4, s18, vcc_lo
	s_delay_alu instid0(SALU_CYCLE_1)
	s_and_saveexec_b32 s3, s4
	s_cbranch_execz .LBB499_211
; %bb.209:
	v_and_b32_e32 v28, 1, v44
	s_delay_alu instid0(VALU_DEP_1)
	v_cmp_eq_u32_e32 vcc_lo, 1, v28
	s_and_b32 exec_lo, exec_lo, vcc_lo
	s_cbranch_execz .LBB499_211
; %bb.210:
	v_dual_mov_b32 v38, 0 :: v_dual_mov_b32 v37, v4
	s_delay_alu instid0(VALU_DEP_1) | instskip(NEXT) | instid1(VALU_DEP_1)
	v_lshlrev_b64 v[37:38], 1, v[37:38]
	v_add_co_u32 v37, vcc_lo, s0, v37
	s_delay_alu instid0(VALU_DEP_2)
	v_add_co_ci_u32_e32 v38, vcc_lo, s1, v38, vcc_lo
	global_store_b16 v[37:38], v15, off
.LBB499_211:
	;; [unrolled: 21-line block ×11, first 2 shown]
	s_or_b32 exec_lo, exec_lo, s3
	s_branch .LBB499_200
.LBB499_239:
	s_mov_b32 s0, exec_lo
	v_cmpx_eq_u32_e32 1, v22
	s_cbranch_execz .LBB499_241
; %bb.240:
	v_sub_nc_u32_e32 v2, v2, v30
	s_delay_alu instid0(VALU_DEP_1)
	v_lshlrev_b32_e32 v2, 1, v2
	ds_store_b16 v2, v14
.LBB499_241:
	s_or_b32 exec_lo, exec_lo, s0
	v_and_b32_e32 v2, 1, v45
	s_mov_b32 s0, exec_lo
	s_delay_alu instid0(VALU_DEP_1)
	v_cmpx_eq_u32_e32 1, v2
	s_cbranch_execz .LBB499_243
; %bb.242:
	v_sub_nc_u32_e32 v2, v3, v30
	s_delay_alu instid0(VALU_DEP_1)
	v_lshlrev_b32_e32 v2, 1, v2
	ds_store_b16 v2, v27
.LBB499_243:
	s_or_b32 exec_lo, exec_lo, s0
	v_and_b32_e32 v2, 1, v44
	s_mov_b32 s0, exec_lo
	s_delay_alu instid0(VALU_DEP_1)
	;; [unrolled: 12-line block ×11, first 2 shown]
	v_cmpx_eq_u32_e32 1, v2
	s_cbranch_execz .LBB499_263
; %bb.262:
	v_sub_nc_u32_e32 v2, v13, v30
	s_delay_alu instid0(VALU_DEP_1)
	v_lshlrev_b32_e32 v2, 1, v2
	ds_store_b16 v2, v1
.LBB499_263:
	s_or_b32 exec_lo, exec_lo, s0
	s_delay_alu instid0(SALU_CYCLE_1)
	s_mov_b32 s3, exec_lo
	s_waitcnt lgkmcnt(0)
	s_waitcnt_vscnt null, 0x0
	s_barrier
	buffer_gl0_inv
	v_cmpx_lt_u32_e64 v0, v29
	s_cbranch_execz .LBB499_278
; %bb.264:
	v_mov_b32_e32 v31, 0
	s_lshl_b64 s[0:1], s[14:15], 1
	v_xad_u32 v1, v0, -1, v29
	s_add_u32 s0, s22, s0
	s_addc_u32 s1, s23, s1
	v_lshlrev_b64 v[2:3], 1, v[30:31]
	s_mov_b32 s4, exec_lo
	v_cmp_gt_u32_e32 vcc_lo, 0xc80, v1
	s_delay_alu instid0(VALU_DEP_2) | instskip(NEXT) | instid1(VALU_DEP_1)
	v_add_co_u32 v6, s0, s0, v2
	v_add_co_ci_u32_e64 v7, s0, s1, v3, s0
	s_mov_b32 s1, -1
	v_cmpx_lt_u32_e32 0xc7f, v1
	s_cbranch_execz .LBB499_275
; %bb.265:
	v_sub_nc_u32_e32 v2, v0, v29
	s_mov_b32 s5, exec_lo
	s_delay_alu instid0(VALU_DEP_1) | instskip(NEXT) | instid1(VALU_DEP_1)
	v_or_b32_e32 v2, 0x7f, v2
	v_cmpx_ge_u32_e64 v2, v0
	s_cbranch_execz .LBB499_274
; %bb.266:
	v_lshrrev_b32_e32 v8, 7, v1
	v_or_b32_e32 v1, 0x80, v0
	v_lshlrev_b32_e32 v9, 1, v0
	s_delay_alu instid0(VALU_DEP_3) | instskip(NEXT) | instid1(VALU_DEP_1)
	v_dual_mov_b32 v13, 0 :: v_dual_add_nc_u32 v2, -1, v8
	v_lshrrev_b32_e32 v3, 1, v2
	v_cmp_lt_u32_e64 s0, 13, v2
	s_delay_alu instid0(VALU_DEP_2) | instskip(SKIP_1) | instid1(VALU_DEP_3)
	v_dual_mov_b32 v3, v1 :: v_dual_add_nc_u32 v10, 1, v3
	v_mov_b32_e32 v2, v0
	s_and_saveexec_b32 s1, s0
	s_cbranch_execz .LBB499_270
; %bb.267:
	v_mov_b32_e32 v3, v1
	v_dual_mov_b32 v12, v9 :: v_dual_and_b32 v11, -8, v10
	v_dual_mov_b32 v5, 0 :: v_dual_mov_b32 v2, v0
	s_mov_b32 s6, 0
	s_mov_b32 s7, 0
.LBB499_268:                            ; =>This Inner Loop Header: Depth=1
	s_delay_alu instid0(VALU_DEP_1) | instskip(SKIP_2) | instid1(VALU_DEP_3)
	v_dual_mov_b32 v4, v2 :: v_dual_mov_b32 v15, v5
	v_add_nc_u32_e32 v11, -8, v11
	v_dual_mov_b32 v17, v5 :: v_dual_add_nc_u32 v14, 0x100, v3
	v_lshlrev_b64 v[31:32], 1, v[4:5]
	v_dual_mov_b32 v19, v5 :: v_dual_add_nc_u32 v16, 0x200, v3
	v_mov_b32_e32 v4, v3
	v_cmp_eq_u32_e64 s0, 0, v11
	v_lshlrev_b64 v[14:15], 1, v[14:15]
	v_dual_mov_b32 v21, v5 :: v_dual_add_nc_u32 v18, 0x300, v3
	s_add_i32 s7, s7, 16
	v_lshlrev_b64 v[16:17], 1, v[16:17]
	s_or_b32 s6, s0, s6
	v_add_co_u32 v31, s0, v6, v31
	v_dual_mov_b32 v23, v5 :: v_dual_add_nc_u32 v20, 0x400, v3
	v_add_co_ci_u32_e64 v32, s0, v7, v32, s0
	v_lshlrev_b64 v[18:19], 1, v[18:19]
	v_add_co_u32 v14, s0, v6, v14
	v_dual_mov_b32 v25, v5 :: v_dual_add_nc_u32 v22, 0x500, v3
	v_add_co_ci_u32_e64 v15, s0, v7, v15, s0
	v_lshlrev_b64 v[20:21], 1, v[20:21]
	;; [unrolled: 4-line block ×4, first 2 shown]
	v_add_co_u32 v20, s0, v6, v20
	ds_load_u16 v1, v12
	ds_load_u16 v28, v12 offset:256
	ds_load_u16 v37, v12 offset:512
	;; [unrolled: 1-line block ×7, first 2 shown]
	v_add_co_ci_u32_e64 v21, s0, v7, v21, s0
	v_lshlrev_b64 v[26:27], 1, v[26:27]
	v_add_co_u32 v22, s0, v6, v22
	v_lshlrev_b64 v[33:34], 1, v[4:5]
	v_add_nc_u32_e32 v4, 0x100, v2
	v_add_co_ci_u32_e64 v23, s0, v7, v23, s0
	v_add_co_u32 v24, s0, v6, v24
	s_delay_alu instid0(VALU_DEP_1)
	v_add_co_ci_u32_e64 v25, s0, v7, v25, s0
	v_add_co_u32 v26, s0, v6, v26
	v_lshlrev_b64 v[35:36], 1, v[4:5]
	v_add_nc_u32_e32 v4, 0x200, v2
	v_add_co_ci_u32_e64 v27, s0, v7, v27, s0
	v_add_co_u32 v33, s0, v6, v33
	ds_load_u16 v43, v12 offset:2048
	ds_load_u16 v44, v12 offset:2304
	ds_load_u16 v45, v12 offset:2560
	ds_load_u16 v46, v12 offset:2816
	ds_load_u16 v47, v12 offset:3072
	ds_load_u16 v48, v12 offset:3328
	ds_load_u16 v49, v12 offset:3584
	ds_load_u16 v50, v12 offset:3840
	v_add_co_ci_u32_e64 v34, s0, v7, v34, s0
	s_waitcnt lgkmcnt(15)
	global_store_b16 v[31:32], v1, off
	v_lshlrev_b64 v[31:32], 1, v[4:5]
	v_add_nc_u32_e32 v4, 0x300, v2
	v_add_co_u32 v35, s0, v6, v35
	s_delay_alu instid0(VALU_DEP_1)
	v_add_co_ci_u32_e64 v36, s0, v7, v36, s0
	s_waitcnt lgkmcnt(14)
	global_store_b16 v[33:34], v28, off
	v_lshlrev_b64 v[33:34], 1, v[4:5]
	v_add_nc_u32_e32 v4, 0x400, v2
	s_waitcnt lgkmcnt(13)
	global_store_b16 v[35:36], v37, off
	s_waitcnt lgkmcnt(12)
	global_store_b16 v[14:15], v38, off
	v_add_co_u32 v14, s0, v6, v31
	s_delay_alu instid0(VALU_DEP_1) | instskip(SKIP_3) | instid1(VALU_DEP_1)
	v_add_co_ci_u32_e64 v15, s0, v7, v32, s0
	v_lshlrev_b64 v[31:32], 1, v[4:5]
	v_add_nc_u32_e32 v4, 0x500, v2
	v_add_co_u32 v33, s0, v6, v33
	v_add_co_ci_u32_e64 v34, s0, v7, v34, s0
	s_waitcnt lgkmcnt(11)
	global_store_b16 v[14:15], v39, off
	s_waitcnt lgkmcnt(10)
	global_store_b16 v[16:17], v40, off
	v_lshlrev_b64 v[14:15], 1, v[4:5]
	v_add_nc_u32_e32 v4, 0x600, v2
	v_add_co_u32 v16, s0, v6, v31
	s_waitcnt lgkmcnt(9)
	global_store_b16 v[33:34], v41, off
	s_waitcnt lgkmcnt(8)
	global_store_b16 v[18:19], v42, off
	v_add_co_ci_u32_e64 v17, s0, v7, v32, s0
	v_lshlrev_b64 v[18:19], 1, v[4:5]
	v_add_nc_u32_e32 v4, 0x700, v2
	v_add_co_u32 v14, s0, v6, v14
	s_delay_alu instid0(VALU_DEP_1)
	v_add_co_ci_u32_e64 v15, s0, v7, v15, s0
	s_waitcnt lgkmcnt(7)
	global_store_b16 v[16:17], v43, off
	s_waitcnt lgkmcnt(6)
	global_store_b16 v[20:21], v44, off
	v_lshlrev_b64 v[16:17], 1, v[4:5]
	v_add_nc_u32_e32 v12, 0x1000, v12
	s_waitcnt lgkmcnt(5)
	global_store_b16 v[14:15], v45, off
	v_add_co_u32 v14, s0, v6, v18
	v_add_nc_u32_e32 v3, 0x800, v3
	v_add_nc_u32_e32 v2, 0x800, v2
	v_add_co_ci_u32_e64 v15, s0, v7, v19, s0
	v_add_co_u32 v16, s0, v6, v16
	s_delay_alu instid0(VALU_DEP_1)
	v_add_co_ci_u32_e64 v17, s0, v7, v17, s0
	s_waitcnt lgkmcnt(4)
	global_store_b16 v[22:23], v46, off
	s_waitcnt lgkmcnt(3)
	global_store_b16 v[14:15], v47, off
	;; [unrolled: 2-line block ×5, first 2 shown]
	s_and_not1_b32 exec_lo, exec_lo, s6
	s_cbranch_execnz .LBB499_268
; %bb.269:
	s_or_b32 exec_lo, exec_lo, s6
.LBB499_270:
	s_delay_alu instid0(SALU_CYCLE_1) | instskip(SKIP_3) | instid1(VALU_DEP_1)
	s_or_b32 exec_lo, exec_lo, s1
	v_and_b32_e32 v1, 7, v10
	s_mov_b32 s7, 0
	s_mov_b32 s6, exec_lo
	v_cmpx_ne_u32_e32 0, v1
	s_cbranch_execz .LBB499_273
; %bb.271:
	v_lshl_or_b32 v9, v13, 8, v9
	v_mov_b32_e32 v5, 0
	s_set_inst_prefetch_distance 0x1
	.p2align	6
.LBB499_272:                            ; =>This Inner Loop Header: Depth=1
	v_dual_mov_b32 v4, v2 :: v_dual_add_nc_u32 v1, -1, v1
	ds_load_u16 v14, v9
	ds_load_u16 v15, v9 offset:256
	v_add_nc_u32_e32 v2, 0x100, v2
	v_add_nc_u32_e32 v9, 0x200, v9
	v_lshlrev_b64 v[10:11], 1, v[4:5]
	v_mov_b32_e32 v4, v3
	v_cmp_eq_u32_e64 s0, 0, v1
	v_add_nc_u32_e32 v3, 0x100, v3
	s_delay_alu instid0(VALU_DEP_3) | instskip(SKIP_1) | instid1(VALU_DEP_1)
	v_lshlrev_b64 v[12:13], 1, v[4:5]
	v_add_co_u32 v10, s1, v6, v10
	v_add_co_ci_u32_e64 v11, s1, v7, v11, s1
	s_or_b32 s7, s0, s7
	s_delay_alu instid0(VALU_DEP_3) | instskip(NEXT) | instid1(VALU_DEP_1)
	v_add_co_u32 v12, s1, v6, v12
	v_add_co_ci_u32_e64 v13, s1, v7, v13, s1
	s_waitcnt lgkmcnt(1)
	global_store_b16 v[10:11], v14, off
	s_waitcnt lgkmcnt(0)
	global_store_b16 v[12:13], v15, off
	s_and_not1_b32 exec_lo, exec_lo, s7
	s_cbranch_execnz .LBB499_272
.LBB499_273:
	s_set_inst_prefetch_distance 0x2
	s_or_b32 exec_lo, exec_lo, s6
	v_add_nc_u32_e32 v1, 1, v8
	s_delay_alu instid0(VALU_DEP_1) | instskip(NEXT) | instid1(VALU_DEP_1)
	v_and_b32_e32 v2, 0x3fffffe, v1
	v_cmp_ne_u32_e64 s0, v1, v2
	v_lshl_or_b32 v0, v2, 7, v0
	s_delay_alu instid0(VALU_DEP_2)
	s_or_not1_b32 s1, s0, exec_lo
.LBB499_274:
	s_or_b32 exec_lo, exec_lo, s5
	s_delay_alu instid0(SALU_CYCLE_1) | instskip(SKIP_1) | instid1(SALU_CYCLE_1)
	s_and_not1_b32 s0, vcc_lo, exec_lo
	s_and_b32 s1, s1, exec_lo
	s_or_b32 vcc_lo, s0, s1
.LBB499_275:
	s_or_b32 exec_lo, exec_lo, s4
	s_delay_alu instid0(SALU_CYCLE_1)
	s_and_b32 exec_lo, exec_lo, vcc_lo
	s_cbranch_execz .LBB499_278
; %bb.276:
	v_dual_mov_b32 v1, 0 :: v_dual_lshlrev_b32 v2, 1, v0
	s_mov_b32 s1, 0
	.p2align	6
.LBB499_277:                            ; =>This Inner Loop Header: Depth=1
	ds_load_u16 v5, v2
	v_lshlrev_b64 v[3:4], 1, v[0:1]
	v_add_nc_u32_e32 v0, 0x80, v0
	v_add_nc_u32_e32 v2, 0x100, v2
	s_delay_alu instid0(VALU_DEP_2) | instskip(NEXT) | instid1(VALU_DEP_4)
	v_cmp_ge_u32_e32 vcc_lo, v0, v29
	v_add_co_u32 v3, s0, v6, v3
	s_delay_alu instid0(VALU_DEP_1)
	v_add_co_ci_u32_e64 v4, s0, v7, v4, s0
	s_or_b32 s1, vcc_lo, s1
	s_waitcnt lgkmcnt(0)
	global_store_b16 v[3:4], v5, off
	s_and_not1_b32 exec_lo, exec_lo, s1
	s_cbranch_execnz .LBB499_277
.LBB499_278:
	s_or_b32 exec_lo, exec_lo, s3
	s_and_b32 s0, s2, s13
	s_delay_alu instid0(SALU_CYCLE_1)
	s_and_saveexec_b32 s1, s0
	s_cbranch_execz .LBB499_201
.LBB499_279:
	v_add_co_u32 v0, s0, s14, v29
	s_delay_alu instid0(VALU_DEP_1) | instskip(SKIP_1) | instid1(VALU_DEP_3)
	v_add_co_ci_u32_e64 v1, null, s15, 0, s0
	v_mov_b32_e32 v2, 0
	v_add_co_u32 v0, vcc_lo, v0, v30
	s_delay_alu instid0(VALU_DEP_3)
	v_add_co_ci_u32_e32 v1, vcc_lo, 0, v1, vcc_lo
	global_store_b64 v2, v[0:1], s[16:17]
	s_nop 0
	s_sendmsg sendmsg(MSG_DEALLOC_VGPRS)
	s_endpgm
	.section	.rodata,"a",@progbits
	.p2align	6, 0x0
	.amdhsa_kernel _ZN7rocprim17ROCPRIM_400000_NS6detail17trampoline_kernelINS0_14default_configENS1_25partition_config_selectorILNS1_17partition_subalgoE9EssbEEZZNS1_14partition_implILS5_9ELb0ES3_jN6thrust23THRUST_200600_302600_NS6detail15normal_iteratorINS9_10device_ptrIsEEEESE_PNS0_10empty_typeENS0_5tupleIJSE_SF_EEENSH_IJSE_SG_EEENS0_18inequality_wrapperINS9_8equal_toIsEEEEPmJSF_EEE10hipError_tPvRmT3_T4_T5_T6_T7_T9_mT8_P12ihipStream_tbDpT10_ENKUlT_T0_E_clISt17integral_constantIbLb0EES17_IbLb1EEEEDaS13_S14_EUlS13_E_NS1_11comp_targetILNS1_3genE9ELNS1_11target_archE1100ELNS1_3gpuE3ELNS1_3repE0EEENS1_30default_config_static_selectorELNS0_4arch9wavefront6targetE0EEEvT1_
		.amdhsa_group_segment_fixed_size 3080
		.amdhsa_private_segment_fixed_size 0
		.amdhsa_kernarg_size 128
		.amdhsa_user_sgpr_count 15
		.amdhsa_user_sgpr_dispatch_ptr 0
		.amdhsa_user_sgpr_queue_ptr 0
		.amdhsa_user_sgpr_kernarg_segment_ptr 1
		.amdhsa_user_sgpr_dispatch_id 0
		.amdhsa_user_sgpr_private_segment_size 0
		.amdhsa_wavefront_size32 1
		.amdhsa_uses_dynamic_stack 0
		.amdhsa_enable_private_segment 0
		.amdhsa_system_sgpr_workgroup_id_x 1
		.amdhsa_system_sgpr_workgroup_id_y 0
		.amdhsa_system_sgpr_workgroup_id_z 0
		.amdhsa_system_sgpr_workgroup_info 0
		.amdhsa_system_vgpr_workitem_id 0
		.amdhsa_next_free_vgpr 81
		.amdhsa_next_free_sgpr 30
		.amdhsa_reserve_vcc 1
		.amdhsa_float_round_mode_32 0
		.amdhsa_float_round_mode_16_64 0
		.amdhsa_float_denorm_mode_32 3
		.amdhsa_float_denorm_mode_16_64 3
		.amdhsa_dx10_clamp 1
		.amdhsa_ieee_mode 1
		.amdhsa_fp16_overflow 0
		.amdhsa_workgroup_processor_mode 1
		.amdhsa_memory_ordered 1
		.amdhsa_forward_progress 0
		.amdhsa_shared_vgpr_count 0
		.amdhsa_exception_fp_ieee_invalid_op 0
		.amdhsa_exception_fp_denorm_src 0
		.amdhsa_exception_fp_ieee_div_zero 0
		.amdhsa_exception_fp_ieee_overflow 0
		.amdhsa_exception_fp_ieee_underflow 0
		.amdhsa_exception_fp_ieee_inexact 0
		.amdhsa_exception_int_div_zero 0
	.end_amdhsa_kernel
	.section	.text._ZN7rocprim17ROCPRIM_400000_NS6detail17trampoline_kernelINS0_14default_configENS1_25partition_config_selectorILNS1_17partition_subalgoE9EssbEEZZNS1_14partition_implILS5_9ELb0ES3_jN6thrust23THRUST_200600_302600_NS6detail15normal_iteratorINS9_10device_ptrIsEEEESE_PNS0_10empty_typeENS0_5tupleIJSE_SF_EEENSH_IJSE_SG_EEENS0_18inequality_wrapperINS9_8equal_toIsEEEEPmJSF_EEE10hipError_tPvRmT3_T4_T5_T6_T7_T9_mT8_P12ihipStream_tbDpT10_ENKUlT_T0_E_clISt17integral_constantIbLb0EES17_IbLb1EEEEDaS13_S14_EUlS13_E_NS1_11comp_targetILNS1_3genE9ELNS1_11target_archE1100ELNS1_3gpuE3ELNS1_3repE0EEENS1_30default_config_static_selectorELNS0_4arch9wavefront6targetE0EEEvT1_,"axG",@progbits,_ZN7rocprim17ROCPRIM_400000_NS6detail17trampoline_kernelINS0_14default_configENS1_25partition_config_selectorILNS1_17partition_subalgoE9EssbEEZZNS1_14partition_implILS5_9ELb0ES3_jN6thrust23THRUST_200600_302600_NS6detail15normal_iteratorINS9_10device_ptrIsEEEESE_PNS0_10empty_typeENS0_5tupleIJSE_SF_EEENSH_IJSE_SG_EEENS0_18inequality_wrapperINS9_8equal_toIsEEEEPmJSF_EEE10hipError_tPvRmT3_T4_T5_T6_T7_T9_mT8_P12ihipStream_tbDpT10_ENKUlT_T0_E_clISt17integral_constantIbLb0EES17_IbLb1EEEEDaS13_S14_EUlS13_E_NS1_11comp_targetILNS1_3genE9ELNS1_11target_archE1100ELNS1_3gpuE3ELNS1_3repE0EEENS1_30default_config_static_selectorELNS0_4arch9wavefront6targetE0EEEvT1_,comdat
.Lfunc_end499:
	.size	_ZN7rocprim17ROCPRIM_400000_NS6detail17trampoline_kernelINS0_14default_configENS1_25partition_config_selectorILNS1_17partition_subalgoE9EssbEEZZNS1_14partition_implILS5_9ELb0ES3_jN6thrust23THRUST_200600_302600_NS6detail15normal_iteratorINS9_10device_ptrIsEEEESE_PNS0_10empty_typeENS0_5tupleIJSE_SF_EEENSH_IJSE_SG_EEENS0_18inequality_wrapperINS9_8equal_toIsEEEEPmJSF_EEE10hipError_tPvRmT3_T4_T5_T6_T7_T9_mT8_P12ihipStream_tbDpT10_ENKUlT_T0_E_clISt17integral_constantIbLb0EES17_IbLb1EEEEDaS13_S14_EUlS13_E_NS1_11comp_targetILNS1_3genE9ELNS1_11target_archE1100ELNS1_3gpuE3ELNS1_3repE0EEENS1_30default_config_static_selectorELNS0_4arch9wavefront6targetE0EEEvT1_, .Lfunc_end499-_ZN7rocprim17ROCPRIM_400000_NS6detail17trampoline_kernelINS0_14default_configENS1_25partition_config_selectorILNS1_17partition_subalgoE9EssbEEZZNS1_14partition_implILS5_9ELb0ES3_jN6thrust23THRUST_200600_302600_NS6detail15normal_iteratorINS9_10device_ptrIsEEEESE_PNS0_10empty_typeENS0_5tupleIJSE_SF_EEENSH_IJSE_SG_EEENS0_18inequality_wrapperINS9_8equal_toIsEEEEPmJSF_EEE10hipError_tPvRmT3_T4_T5_T6_T7_T9_mT8_P12ihipStream_tbDpT10_ENKUlT_T0_E_clISt17integral_constantIbLb0EES17_IbLb1EEEEDaS13_S14_EUlS13_E_NS1_11comp_targetILNS1_3genE9ELNS1_11target_archE1100ELNS1_3gpuE3ELNS1_3repE0EEENS1_30default_config_static_selectorELNS0_4arch9wavefront6targetE0EEEvT1_
                                        ; -- End function
	.section	.AMDGPU.csdata,"",@progbits
; Kernel info:
; codeLenInByte = 13932
; NumSgprs: 32
; NumVgprs: 81
; ScratchSize: 0
; MemoryBound: 0
; FloatMode: 240
; IeeeMode: 1
; LDSByteSize: 3080 bytes/workgroup (compile time only)
; SGPRBlocks: 3
; VGPRBlocks: 10
; NumSGPRsForWavesPerEU: 32
; NumVGPRsForWavesPerEU: 81
; Occupancy: 16
; WaveLimiterHint : 1
; COMPUTE_PGM_RSRC2:SCRATCH_EN: 0
; COMPUTE_PGM_RSRC2:USER_SGPR: 15
; COMPUTE_PGM_RSRC2:TRAP_HANDLER: 0
; COMPUTE_PGM_RSRC2:TGID_X_EN: 1
; COMPUTE_PGM_RSRC2:TGID_Y_EN: 0
; COMPUTE_PGM_RSRC2:TGID_Z_EN: 0
; COMPUTE_PGM_RSRC2:TIDIG_COMP_CNT: 0
	.section	.text._ZN7rocprim17ROCPRIM_400000_NS6detail17trampoline_kernelINS0_14default_configENS1_25partition_config_selectorILNS1_17partition_subalgoE9EssbEEZZNS1_14partition_implILS5_9ELb0ES3_jN6thrust23THRUST_200600_302600_NS6detail15normal_iteratorINS9_10device_ptrIsEEEESE_PNS0_10empty_typeENS0_5tupleIJSE_SF_EEENSH_IJSE_SG_EEENS0_18inequality_wrapperINS9_8equal_toIsEEEEPmJSF_EEE10hipError_tPvRmT3_T4_T5_T6_T7_T9_mT8_P12ihipStream_tbDpT10_ENKUlT_T0_E_clISt17integral_constantIbLb0EES17_IbLb1EEEEDaS13_S14_EUlS13_E_NS1_11comp_targetILNS1_3genE8ELNS1_11target_archE1030ELNS1_3gpuE2ELNS1_3repE0EEENS1_30default_config_static_selectorELNS0_4arch9wavefront6targetE0EEEvT1_,"axG",@progbits,_ZN7rocprim17ROCPRIM_400000_NS6detail17trampoline_kernelINS0_14default_configENS1_25partition_config_selectorILNS1_17partition_subalgoE9EssbEEZZNS1_14partition_implILS5_9ELb0ES3_jN6thrust23THRUST_200600_302600_NS6detail15normal_iteratorINS9_10device_ptrIsEEEESE_PNS0_10empty_typeENS0_5tupleIJSE_SF_EEENSH_IJSE_SG_EEENS0_18inequality_wrapperINS9_8equal_toIsEEEEPmJSF_EEE10hipError_tPvRmT3_T4_T5_T6_T7_T9_mT8_P12ihipStream_tbDpT10_ENKUlT_T0_E_clISt17integral_constantIbLb0EES17_IbLb1EEEEDaS13_S14_EUlS13_E_NS1_11comp_targetILNS1_3genE8ELNS1_11target_archE1030ELNS1_3gpuE2ELNS1_3repE0EEENS1_30default_config_static_selectorELNS0_4arch9wavefront6targetE0EEEvT1_,comdat
	.protected	_ZN7rocprim17ROCPRIM_400000_NS6detail17trampoline_kernelINS0_14default_configENS1_25partition_config_selectorILNS1_17partition_subalgoE9EssbEEZZNS1_14partition_implILS5_9ELb0ES3_jN6thrust23THRUST_200600_302600_NS6detail15normal_iteratorINS9_10device_ptrIsEEEESE_PNS0_10empty_typeENS0_5tupleIJSE_SF_EEENSH_IJSE_SG_EEENS0_18inequality_wrapperINS9_8equal_toIsEEEEPmJSF_EEE10hipError_tPvRmT3_T4_T5_T6_T7_T9_mT8_P12ihipStream_tbDpT10_ENKUlT_T0_E_clISt17integral_constantIbLb0EES17_IbLb1EEEEDaS13_S14_EUlS13_E_NS1_11comp_targetILNS1_3genE8ELNS1_11target_archE1030ELNS1_3gpuE2ELNS1_3repE0EEENS1_30default_config_static_selectorELNS0_4arch9wavefront6targetE0EEEvT1_ ; -- Begin function _ZN7rocprim17ROCPRIM_400000_NS6detail17trampoline_kernelINS0_14default_configENS1_25partition_config_selectorILNS1_17partition_subalgoE9EssbEEZZNS1_14partition_implILS5_9ELb0ES3_jN6thrust23THRUST_200600_302600_NS6detail15normal_iteratorINS9_10device_ptrIsEEEESE_PNS0_10empty_typeENS0_5tupleIJSE_SF_EEENSH_IJSE_SG_EEENS0_18inequality_wrapperINS9_8equal_toIsEEEEPmJSF_EEE10hipError_tPvRmT3_T4_T5_T6_T7_T9_mT8_P12ihipStream_tbDpT10_ENKUlT_T0_E_clISt17integral_constantIbLb0EES17_IbLb1EEEEDaS13_S14_EUlS13_E_NS1_11comp_targetILNS1_3genE8ELNS1_11target_archE1030ELNS1_3gpuE2ELNS1_3repE0EEENS1_30default_config_static_selectorELNS0_4arch9wavefront6targetE0EEEvT1_
	.globl	_ZN7rocprim17ROCPRIM_400000_NS6detail17trampoline_kernelINS0_14default_configENS1_25partition_config_selectorILNS1_17partition_subalgoE9EssbEEZZNS1_14partition_implILS5_9ELb0ES3_jN6thrust23THRUST_200600_302600_NS6detail15normal_iteratorINS9_10device_ptrIsEEEESE_PNS0_10empty_typeENS0_5tupleIJSE_SF_EEENSH_IJSE_SG_EEENS0_18inequality_wrapperINS9_8equal_toIsEEEEPmJSF_EEE10hipError_tPvRmT3_T4_T5_T6_T7_T9_mT8_P12ihipStream_tbDpT10_ENKUlT_T0_E_clISt17integral_constantIbLb0EES17_IbLb1EEEEDaS13_S14_EUlS13_E_NS1_11comp_targetILNS1_3genE8ELNS1_11target_archE1030ELNS1_3gpuE2ELNS1_3repE0EEENS1_30default_config_static_selectorELNS0_4arch9wavefront6targetE0EEEvT1_
	.p2align	8
	.type	_ZN7rocprim17ROCPRIM_400000_NS6detail17trampoline_kernelINS0_14default_configENS1_25partition_config_selectorILNS1_17partition_subalgoE9EssbEEZZNS1_14partition_implILS5_9ELb0ES3_jN6thrust23THRUST_200600_302600_NS6detail15normal_iteratorINS9_10device_ptrIsEEEESE_PNS0_10empty_typeENS0_5tupleIJSE_SF_EEENSH_IJSE_SG_EEENS0_18inequality_wrapperINS9_8equal_toIsEEEEPmJSF_EEE10hipError_tPvRmT3_T4_T5_T6_T7_T9_mT8_P12ihipStream_tbDpT10_ENKUlT_T0_E_clISt17integral_constantIbLb0EES17_IbLb1EEEEDaS13_S14_EUlS13_E_NS1_11comp_targetILNS1_3genE8ELNS1_11target_archE1030ELNS1_3gpuE2ELNS1_3repE0EEENS1_30default_config_static_selectorELNS0_4arch9wavefront6targetE0EEEvT1_,@function
_ZN7rocprim17ROCPRIM_400000_NS6detail17trampoline_kernelINS0_14default_configENS1_25partition_config_selectorILNS1_17partition_subalgoE9EssbEEZZNS1_14partition_implILS5_9ELb0ES3_jN6thrust23THRUST_200600_302600_NS6detail15normal_iteratorINS9_10device_ptrIsEEEESE_PNS0_10empty_typeENS0_5tupleIJSE_SF_EEENSH_IJSE_SG_EEENS0_18inequality_wrapperINS9_8equal_toIsEEEEPmJSF_EEE10hipError_tPvRmT3_T4_T5_T6_T7_T9_mT8_P12ihipStream_tbDpT10_ENKUlT_T0_E_clISt17integral_constantIbLb0EES17_IbLb1EEEEDaS13_S14_EUlS13_E_NS1_11comp_targetILNS1_3genE8ELNS1_11target_archE1030ELNS1_3gpuE2ELNS1_3repE0EEENS1_30default_config_static_selectorELNS0_4arch9wavefront6targetE0EEEvT1_: ; @_ZN7rocprim17ROCPRIM_400000_NS6detail17trampoline_kernelINS0_14default_configENS1_25partition_config_selectorILNS1_17partition_subalgoE9EssbEEZZNS1_14partition_implILS5_9ELb0ES3_jN6thrust23THRUST_200600_302600_NS6detail15normal_iteratorINS9_10device_ptrIsEEEESE_PNS0_10empty_typeENS0_5tupleIJSE_SF_EEENSH_IJSE_SG_EEENS0_18inequality_wrapperINS9_8equal_toIsEEEEPmJSF_EEE10hipError_tPvRmT3_T4_T5_T6_T7_T9_mT8_P12ihipStream_tbDpT10_ENKUlT_T0_E_clISt17integral_constantIbLb0EES17_IbLb1EEEEDaS13_S14_EUlS13_E_NS1_11comp_targetILNS1_3genE8ELNS1_11target_archE1030ELNS1_3gpuE2ELNS1_3repE0EEENS1_30default_config_static_selectorELNS0_4arch9wavefront6targetE0EEEvT1_
; %bb.0:
	.section	.rodata,"a",@progbits
	.p2align	6, 0x0
	.amdhsa_kernel _ZN7rocprim17ROCPRIM_400000_NS6detail17trampoline_kernelINS0_14default_configENS1_25partition_config_selectorILNS1_17partition_subalgoE9EssbEEZZNS1_14partition_implILS5_9ELb0ES3_jN6thrust23THRUST_200600_302600_NS6detail15normal_iteratorINS9_10device_ptrIsEEEESE_PNS0_10empty_typeENS0_5tupleIJSE_SF_EEENSH_IJSE_SG_EEENS0_18inequality_wrapperINS9_8equal_toIsEEEEPmJSF_EEE10hipError_tPvRmT3_T4_T5_T6_T7_T9_mT8_P12ihipStream_tbDpT10_ENKUlT_T0_E_clISt17integral_constantIbLb0EES17_IbLb1EEEEDaS13_S14_EUlS13_E_NS1_11comp_targetILNS1_3genE8ELNS1_11target_archE1030ELNS1_3gpuE2ELNS1_3repE0EEENS1_30default_config_static_selectorELNS0_4arch9wavefront6targetE0EEEvT1_
		.amdhsa_group_segment_fixed_size 0
		.amdhsa_private_segment_fixed_size 0
		.amdhsa_kernarg_size 128
		.amdhsa_user_sgpr_count 15
		.amdhsa_user_sgpr_dispatch_ptr 0
		.amdhsa_user_sgpr_queue_ptr 0
		.amdhsa_user_sgpr_kernarg_segment_ptr 1
		.amdhsa_user_sgpr_dispatch_id 0
		.amdhsa_user_sgpr_private_segment_size 0
		.amdhsa_wavefront_size32 1
		.amdhsa_uses_dynamic_stack 0
		.amdhsa_enable_private_segment 0
		.amdhsa_system_sgpr_workgroup_id_x 1
		.amdhsa_system_sgpr_workgroup_id_y 0
		.amdhsa_system_sgpr_workgroup_id_z 0
		.amdhsa_system_sgpr_workgroup_info 0
		.amdhsa_system_vgpr_workitem_id 0
		.amdhsa_next_free_vgpr 1
		.amdhsa_next_free_sgpr 1
		.amdhsa_reserve_vcc 0
		.amdhsa_float_round_mode_32 0
		.amdhsa_float_round_mode_16_64 0
		.amdhsa_float_denorm_mode_32 3
		.amdhsa_float_denorm_mode_16_64 3
		.amdhsa_dx10_clamp 1
		.amdhsa_ieee_mode 1
		.amdhsa_fp16_overflow 0
		.amdhsa_workgroup_processor_mode 1
		.amdhsa_memory_ordered 1
		.amdhsa_forward_progress 0
		.amdhsa_shared_vgpr_count 0
		.amdhsa_exception_fp_ieee_invalid_op 0
		.amdhsa_exception_fp_denorm_src 0
		.amdhsa_exception_fp_ieee_div_zero 0
		.amdhsa_exception_fp_ieee_overflow 0
		.amdhsa_exception_fp_ieee_underflow 0
		.amdhsa_exception_fp_ieee_inexact 0
		.amdhsa_exception_int_div_zero 0
	.end_amdhsa_kernel
	.section	.text._ZN7rocprim17ROCPRIM_400000_NS6detail17trampoline_kernelINS0_14default_configENS1_25partition_config_selectorILNS1_17partition_subalgoE9EssbEEZZNS1_14partition_implILS5_9ELb0ES3_jN6thrust23THRUST_200600_302600_NS6detail15normal_iteratorINS9_10device_ptrIsEEEESE_PNS0_10empty_typeENS0_5tupleIJSE_SF_EEENSH_IJSE_SG_EEENS0_18inequality_wrapperINS9_8equal_toIsEEEEPmJSF_EEE10hipError_tPvRmT3_T4_T5_T6_T7_T9_mT8_P12ihipStream_tbDpT10_ENKUlT_T0_E_clISt17integral_constantIbLb0EES17_IbLb1EEEEDaS13_S14_EUlS13_E_NS1_11comp_targetILNS1_3genE8ELNS1_11target_archE1030ELNS1_3gpuE2ELNS1_3repE0EEENS1_30default_config_static_selectorELNS0_4arch9wavefront6targetE0EEEvT1_,"axG",@progbits,_ZN7rocprim17ROCPRIM_400000_NS6detail17trampoline_kernelINS0_14default_configENS1_25partition_config_selectorILNS1_17partition_subalgoE9EssbEEZZNS1_14partition_implILS5_9ELb0ES3_jN6thrust23THRUST_200600_302600_NS6detail15normal_iteratorINS9_10device_ptrIsEEEESE_PNS0_10empty_typeENS0_5tupleIJSE_SF_EEENSH_IJSE_SG_EEENS0_18inequality_wrapperINS9_8equal_toIsEEEEPmJSF_EEE10hipError_tPvRmT3_T4_T5_T6_T7_T9_mT8_P12ihipStream_tbDpT10_ENKUlT_T0_E_clISt17integral_constantIbLb0EES17_IbLb1EEEEDaS13_S14_EUlS13_E_NS1_11comp_targetILNS1_3genE8ELNS1_11target_archE1030ELNS1_3gpuE2ELNS1_3repE0EEENS1_30default_config_static_selectorELNS0_4arch9wavefront6targetE0EEEvT1_,comdat
.Lfunc_end500:
	.size	_ZN7rocprim17ROCPRIM_400000_NS6detail17trampoline_kernelINS0_14default_configENS1_25partition_config_selectorILNS1_17partition_subalgoE9EssbEEZZNS1_14partition_implILS5_9ELb0ES3_jN6thrust23THRUST_200600_302600_NS6detail15normal_iteratorINS9_10device_ptrIsEEEESE_PNS0_10empty_typeENS0_5tupleIJSE_SF_EEENSH_IJSE_SG_EEENS0_18inequality_wrapperINS9_8equal_toIsEEEEPmJSF_EEE10hipError_tPvRmT3_T4_T5_T6_T7_T9_mT8_P12ihipStream_tbDpT10_ENKUlT_T0_E_clISt17integral_constantIbLb0EES17_IbLb1EEEEDaS13_S14_EUlS13_E_NS1_11comp_targetILNS1_3genE8ELNS1_11target_archE1030ELNS1_3gpuE2ELNS1_3repE0EEENS1_30default_config_static_selectorELNS0_4arch9wavefront6targetE0EEEvT1_, .Lfunc_end500-_ZN7rocprim17ROCPRIM_400000_NS6detail17trampoline_kernelINS0_14default_configENS1_25partition_config_selectorILNS1_17partition_subalgoE9EssbEEZZNS1_14partition_implILS5_9ELb0ES3_jN6thrust23THRUST_200600_302600_NS6detail15normal_iteratorINS9_10device_ptrIsEEEESE_PNS0_10empty_typeENS0_5tupleIJSE_SF_EEENSH_IJSE_SG_EEENS0_18inequality_wrapperINS9_8equal_toIsEEEEPmJSF_EEE10hipError_tPvRmT3_T4_T5_T6_T7_T9_mT8_P12ihipStream_tbDpT10_ENKUlT_T0_E_clISt17integral_constantIbLb0EES17_IbLb1EEEEDaS13_S14_EUlS13_E_NS1_11comp_targetILNS1_3genE8ELNS1_11target_archE1030ELNS1_3gpuE2ELNS1_3repE0EEENS1_30default_config_static_selectorELNS0_4arch9wavefront6targetE0EEEvT1_
                                        ; -- End function
	.section	.AMDGPU.csdata,"",@progbits
; Kernel info:
; codeLenInByte = 0
; NumSgprs: 0
; NumVgprs: 0
; ScratchSize: 0
; MemoryBound: 0
; FloatMode: 240
; IeeeMode: 1
; LDSByteSize: 0 bytes/workgroup (compile time only)
; SGPRBlocks: 0
; VGPRBlocks: 0
; NumSGPRsForWavesPerEU: 1
; NumVGPRsForWavesPerEU: 1
; Occupancy: 15
; WaveLimiterHint : 0
; COMPUTE_PGM_RSRC2:SCRATCH_EN: 0
; COMPUTE_PGM_RSRC2:USER_SGPR: 15
; COMPUTE_PGM_RSRC2:TRAP_HANDLER: 0
; COMPUTE_PGM_RSRC2:TGID_X_EN: 1
; COMPUTE_PGM_RSRC2:TGID_Y_EN: 0
; COMPUTE_PGM_RSRC2:TGID_Z_EN: 0
; COMPUTE_PGM_RSRC2:TIDIG_COMP_CNT: 0
	.section	.text._ZN7rocprim17ROCPRIM_400000_NS6detail17trampoline_kernelINS0_14default_configENS1_25partition_config_selectorILNS1_17partition_subalgoE9EssbEEZZNS1_14partition_implILS5_9ELb0ES3_jN6thrust23THRUST_200600_302600_NS6detail15normal_iteratorINS9_10device_ptrIsEEEESE_PNS0_10empty_typeENS0_5tupleIJSE_SF_EEENSH_IJSE_SG_EEENS0_18inequality_wrapperI22is_equal_div_10_uniqueIsEEEPmJSF_EEE10hipError_tPvRmT3_T4_T5_T6_T7_T9_mT8_P12ihipStream_tbDpT10_ENKUlT_T0_E_clISt17integral_constantIbLb0EES18_EEDaS13_S14_EUlS13_E_NS1_11comp_targetILNS1_3genE0ELNS1_11target_archE4294967295ELNS1_3gpuE0ELNS1_3repE0EEENS1_30default_config_static_selectorELNS0_4arch9wavefront6targetE0EEEvT1_,"axG",@progbits,_ZN7rocprim17ROCPRIM_400000_NS6detail17trampoline_kernelINS0_14default_configENS1_25partition_config_selectorILNS1_17partition_subalgoE9EssbEEZZNS1_14partition_implILS5_9ELb0ES3_jN6thrust23THRUST_200600_302600_NS6detail15normal_iteratorINS9_10device_ptrIsEEEESE_PNS0_10empty_typeENS0_5tupleIJSE_SF_EEENSH_IJSE_SG_EEENS0_18inequality_wrapperI22is_equal_div_10_uniqueIsEEEPmJSF_EEE10hipError_tPvRmT3_T4_T5_T6_T7_T9_mT8_P12ihipStream_tbDpT10_ENKUlT_T0_E_clISt17integral_constantIbLb0EES18_EEDaS13_S14_EUlS13_E_NS1_11comp_targetILNS1_3genE0ELNS1_11target_archE4294967295ELNS1_3gpuE0ELNS1_3repE0EEENS1_30default_config_static_selectorELNS0_4arch9wavefront6targetE0EEEvT1_,comdat
	.protected	_ZN7rocprim17ROCPRIM_400000_NS6detail17trampoline_kernelINS0_14default_configENS1_25partition_config_selectorILNS1_17partition_subalgoE9EssbEEZZNS1_14partition_implILS5_9ELb0ES3_jN6thrust23THRUST_200600_302600_NS6detail15normal_iteratorINS9_10device_ptrIsEEEESE_PNS0_10empty_typeENS0_5tupleIJSE_SF_EEENSH_IJSE_SG_EEENS0_18inequality_wrapperI22is_equal_div_10_uniqueIsEEEPmJSF_EEE10hipError_tPvRmT3_T4_T5_T6_T7_T9_mT8_P12ihipStream_tbDpT10_ENKUlT_T0_E_clISt17integral_constantIbLb0EES18_EEDaS13_S14_EUlS13_E_NS1_11comp_targetILNS1_3genE0ELNS1_11target_archE4294967295ELNS1_3gpuE0ELNS1_3repE0EEENS1_30default_config_static_selectorELNS0_4arch9wavefront6targetE0EEEvT1_ ; -- Begin function _ZN7rocprim17ROCPRIM_400000_NS6detail17trampoline_kernelINS0_14default_configENS1_25partition_config_selectorILNS1_17partition_subalgoE9EssbEEZZNS1_14partition_implILS5_9ELb0ES3_jN6thrust23THRUST_200600_302600_NS6detail15normal_iteratorINS9_10device_ptrIsEEEESE_PNS0_10empty_typeENS0_5tupleIJSE_SF_EEENSH_IJSE_SG_EEENS0_18inequality_wrapperI22is_equal_div_10_uniqueIsEEEPmJSF_EEE10hipError_tPvRmT3_T4_T5_T6_T7_T9_mT8_P12ihipStream_tbDpT10_ENKUlT_T0_E_clISt17integral_constantIbLb0EES18_EEDaS13_S14_EUlS13_E_NS1_11comp_targetILNS1_3genE0ELNS1_11target_archE4294967295ELNS1_3gpuE0ELNS1_3repE0EEENS1_30default_config_static_selectorELNS0_4arch9wavefront6targetE0EEEvT1_
	.globl	_ZN7rocprim17ROCPRIM_400000_NS6detail17trampoline_kernelINS0_14default_configENS1_25partition_config_selectorILNS1_17partition_subalgoE9EssbEEZZNS1_14partition_implILS5_9ELb0ES3_jN6thrust23THRUST_200600_302600_NS6detail15normal_iteratorINS9_10device_ptrIsEEEESE_PNS0_10empty_typeENS0_5tupleIJSE_SF_EEENSH_IJSE_SG_EEENS0_18inequality_wrapperI22is_equal_div_10_uniqueIsEEEPmJSF_EEE10hipError_tPvRmT3_T4_T5_T6_T7_T9_mT8_P12ihipStream_tbDpT10_ENKUlT_T0_E_clISt17integral_constantIbLb0EES18_EEDaS13_S14_EUlS13_E_NS1_11comp_targetILNS1_3genE0ELNS1_11target_archE4294967295ELNS1_3gpuE0ELNS1_3repE0EEENS1_30default_config_static_selectorELNS0_4arch9wavefront6targetE0EEEvT1_
	.p2align	8
	.type	_ZN7rocprim17ROCPRIM_400000_NS6detail17trampoline_kernelINS0_14default_configENS1_25partition_config_selectorILNS1_17partition_subalgoE9EssbEEZZNS1_14partition_implILS5_9ELb0ES3_jN6thrust23THRUST_200600_302600_NS6detail15normal_iteratorINS9_10device_ptrIsEEEESE_PNS0_10empty_typeENS0_5tupleIJSE_SF_EEENSH_IJSE_SG_EEENS0_18inequality_wrapperI22is_equal_div_10_uniqueIsEEEPmJSF_EEE10hipError_tPvRmT3_T4_T5_T6_T7_T9_mT8_P12ihipStream_tbDpT10_ENKUlT_T0_E_clISt17integral_constantIbLb0EES18_EEDaS13_S14_EUlS13_E_NS1_11comp_targetILNS1_3genE0ELNS1_11target_archE4294967295ELNS1_3gpuE0ELNS1_3repE0EEENS1_30default_config_static_selectorELNS0_4arch9wavefront6targetE0EEEvT1_,@function
_ZN7rocprim17ROCPRIM_400000_NS6detail17trampoline_kernelINS0_14default_configENS1_25partition_config_selectorILNS1_17partition_subalgoE9EssbEEZZNS1_14partition_implILS5_9ELb0ES3_jN6thrust23THRUST_200600_302600_NS6detail15normal_iteratorINS9_10device_ptrIsEEEESE_PNS0_10empty_typeENS0_5tupleIJSE_SF_EEENSH_IJSE_SG_EEENS0_18inequality_wrapperI22is_equal_div_10_uniqueIsEEEPmJSF_EEE10hipError_tPvRmT3_T4_T5_T6_T7_T9_mT8_P12ihipStream_tbDpT10_ENKUlT_T0_E_clISt17integral_constantIbLb0EES18_EEDaS13_S14_EUlS13_E_NS1_11comp_targetILNS1_3genE0ELNS1_11target_archE4294967295ELNS1_3gpuE0ELNS1_3repE0EEENS1_30default_config_static_selectorELNS0_4arch9wavefront6targetE0EEEvT1_: ; @_ZN7rocprim17ROCPRIM_400000_NS6detail17trampoline_kernelINS0_14default_configENS1_25partition_config_selectorILNS1_17partition_subalgoE9EssbEEZZNS1_14partition_implILS5_9ELb0ES3_jN6thrust23THRUST_200600_302600_NS6detail15normal_iteratorINS9_10device_ptrIsEEEESE_PNS0_10empty_typeENS0_5tupleIJSE_SF_EEENSH_IJSE_SG_EEENS0_18inequality_wrapperI22is_equal_div_10_uniqueIsEEEPmJSF_EEE10hipError_tPvRmT3_T4_T5_T6_T7_T9_mT8_P12ihipStream_tbDpT10_ENKUlT_T0_E_clISt17integral_constantIbLb0EES18_EEDaS13_S14_EUlS13_E_NS1_11comp_targetILNS1_3genE0ELNS1_11target_archE4294967295ELNS1_3gpuE0ELNS1_3repE0EEENS1_30default_config_static_selectorELNS0_4arch9wavefront6targetE0EEEvT1_
; %bb.0:
	.section	.rodata,"a",@progbits
	.p2align	6, 0x0
	.amdhsa_kernel _ZN7rocprim17ROCPRIM_400000_NS6detail17trampoline_kernelINS0_14default_configENS1_25partition_config_selectorILNS1_17partition_subalgoE9EssbEEZZNS1_14partition_implILS5_9ELb0ES3_jN6thrust23THRUST_200600_302600_NS6detail15normal_iteratorINS9_10device_ptrIsEEEESE_PNS0_10empty_typeENS0_5tupleIJSE_SF_EEENSH_IJSE_SG_EEENS0_18inequality_wrapperI22is_equal_div_10_uniqueIsEEEPmJSF_EEE10hipError_tPvRmT3_T4_T5_T6_T7_T9_mT8_P12ihipStream_tbDpT10_ENKUlT_T0_E_clISt17integral_constantIbLb0EES18_EEDaS13_S14_EUlS13_E_NS1_11comp_targetILNS1_3genE0ELNS1_11target_archE4294967295ELNS1_3gpuE0ELNS1_3repE0EEENS1_30default_config_static_selectorELNS0_4arch9wavefront6targetE0EEEvT1_
		.amdhsa_group_segment_fixed_size 0
		.amdhsa_private_segment_fixed_size 0
		.amdhsa_kernarg_size 112
		.amdhsa_user_sgpr_count 15
		.amdhsa_user_sgpr_dispatch_ptr 0
		.amdhsa_user_sgpr_queue_ptr 0
		.amdhsa_user_sgpr_kernarg_segment_ptr 1
		.amdhsa_user_sgpr_dispatch_id 0
		.amdhsa_user_sgpr_private_segment_size 0
		.amdhsa_wavefront_size32 1
		.amdhsa_uses_dynamic_stack 0
		.amdhsa_enable_private_segment 0
		.amdhsa_system_sgpr_workgroup_id_x 1
		.amdhsa_system_sgpr_workgroup_id_y 0
		.amdhsa_system_sgpr_workgroup_id_z 0
		.amdhsa_system_sgpr_workgroup_info 0
		.amdhsa_system_vgpr_workitem_id 0
		.amdhsa_next_free_vgpr 1
		.amdhsa_next_free_sgpr 1
		.amdhsa_reserve_vcc 0
		.amdhsa_float_round_mode_32 0
		.amdhsa_float_round_mode_16_64 0
		.amdhsa_float_denorm_mode_32 3
		.amdhsa_float_denorm_mode_16_64 3
		.amdhsa_dx10_clamp 1
		.amdhsa_ieee_mode 1
		.amdhsa_fp16_overflow 0
		.amdhsa_workgroup_processor_mode 1
		.amdhsa_memory_ordered 1
		.amdhsa_forward_progress 0
		.amdhsa_shared_vgpr_count 0
		.amdhsa_exception_fp_ieee_invalid_op 0
		.amdhsa_exception_fp_denorm_src 0
		.amdhsa_exception_fp_ieee_div_zero 0
		.amdhsa_exception_fp_ieee_overflow 0
		.amdhsa_exception_fp_ieee_underflow 0
		.amdhsa_exception_fp_ieee_inexact 0
		.amdhsa_exception_int_div_zero 0
	.end_amdhsa_kernel
	.section	.text._ZN7rocprim17ROCPRIM_400000_NS6detail17trampoline_kernelINS0_14default_configENS1_25partition_config_selectorILNS1_17partition_subalgoE9EssbEEZZNS1_14partition_implILS5_9ELb0ES3_jN6thrust23THRUST_200600_302600_NS6detail15normal_iteratorINS9_10device_ptrIsEEEESE_PNS0_10empty_typeENS0_5tupleIJSE_SF_EEENSH_IJSE_SG_EEENS0_18inequality_wrapperI22is_equal_div_10_uniqueIsEEEPmJSF_EEE10hipError_tPvRmT3_T4_T5_T6_T7_T9_mT8_P12ihipStream_tbDpT10_ENKUlT_T0_E_clISt17integral_constantIbLb0EES18_EEDaS13_S14_EUlS13_E_NS1_11comp_targetILNS1_3genE0ELNS1_11target_archE4294967295ELNS1_3gpuE0ELNS1_3repE0EEENS1_30default_config_static_selectorELNS0_4arch9wavefront6targetE0EEEvT1_,"axG",@progbits,_ZN7rocprim17ROCPRIM_400000_NS6detail17trampoline_kernelINS0_14default_configENS1_25partition_config_selectorILNS1_17partition_subalgoE9EssbEEZZNS1_14partition_implILS5_9ELb0ES3_jN6thrust23THRUST_200600_302600_NS6detail15normal_iteratorINS9_10device_ptrIsEEEESE_PNS0_10empty_typeENS0_5tupleIJSE_SF_EEENSH_IJSE_SG_EEENS0_18inequality_wrapperI22is_equal_div_10_uniqueIsEEEPmJSF_EEE10hipError_tPvRmT3_T4_T5_T6_T7_T9_mT8_P12ihipStream_tbDpT10_ENKUlT_T0_E_clISt17integral_constantIbLb0EES18_EEDaS13_S14_EUlS13_E_NS1_11comp_targetILNS1_3genE0ELNS1_11target_archE4294967295ELNS1_3gpuE0ELNS1_3repE0EEENS1_30default_config_static_selectorELNS0_4arch9wavefront6targetE0EEEvT1_,comdat
.Lfunc_end501:
	.size	_ZN7rocprim17ROCPRIM_400000_NS6detail17trampoline_kernelINS0_14default_configENS1_25partition_config_selectorILNS1_17partition_subalgoE9EssbEEZZNS1_14partition_implILS5_9ELb0ES3_jN6thrust23THRUST_200600_302600_NS6detail15normal_iteratorINS9_10device_ptrIsEEEESE_PNS0_10empty_typeENS0_5tupleIJSE_SF_EEENSH_IJSE_SG_EEENS0_18inequality_wrapperI22is_equal_div_10_uniqueIsEEEPmJSF_EEE10hipError_tPvRmT3_T4_T5_T6_T7_T9_mT8_P12ihipStream_tbDpT10_ENKUlT_T0_E_clISt17integral_constantIbLb0EES18_EEDaS13_S14_EUlS13_E_NS1_11comp_targetILNS1_3genE0ELNS1_11target_archE4294967295ELNS1_3gpuE0ELNS1_3repE0EEENS1_30default_config_static_selectorELNS0_4arch9wavefront6targetE0EEEvT1_, .Lfunc_end501-_ZN7rocprim17ROCPRIM_400000_NS6detail17trampoline_kernelINS0_14default_configENS1_25partition_config_selectorILNS1_17partition_subalgoE9EssbEEZZNS1_14partition_implILS5_9ELb0ES3_jN6thrust23THRUST_200600_302600_NS6detail15normal_iteratorINS9_10device_ptrIsEEEESE_PNS0_10empty_typeENS0_5tupleIJSE_SF_EEENSH_IJSE_SG_EEENS0_18inequality_wrapperI22is_equal_div_10_uniqueIsEEEPmJSF_EEE10hipError_tPvRmT3_T4_T5_T6_T7_T9_mT8_P12ihipStream_tbDpT10_ENKUlT_T0_E_clISt17integral_constantIbLb0EES18_EEDaS13_S14_EUlS13_E_NS1_11comp_targetILNS1_3genE0ELNS1_11target_archE4294967295ELNS1_3gpuE0ELNS1_3repE0EEENS1_30default_config_static_selectorELNS0_4arch9wavefront6targetE0EEEvT1_
                                        ; -- End function
	.section	.AMDGPU.csdata,"",@progbits
; Kernel info:
; codeLenInByte = 0
; NumSgprs: 0
; NumVgprs: 0
; ScratchSize: 0
; MemoryBound: 0
; FloatMode: 240
; IeeeMode: 1
; LDSByteSize: 0 bytes/workgroup (compile time only)
; SGPRBlocks: 0
; VGPRBlocks: 0
; NumSGPRsForWavesPerEU: 1
; NumVGPRsForWavesPerEU: 1
; Occupancy: 16
; WaveLimiterHint : 0
; COMPUTE_PGM_RSRC2:SCRATCH_EN: 0
; COMPUTE_PGM_RSRC2:USER_SGPR: 15
; COMPUTE_PGM_RSRC2:TRAP_HANDLER: 0
; COMPUTE_PGM_RSRC2:TGID_X_EN: 1
; COMPUTE_PGM_RSRC2:TGID_Y_EN: 0
; COMPUTE_PGM_RSRC2:TGID_Z_EN: 0
; COMPUTE_PGM_RSRC2:TIDIG_COMP_CNT: 0
	.section	.text._ZN7rocprim17ROCPRIM_400000_NS6detail17trampoline_kernelINS0_14default_configENS1_25partition_config_selectorILNS1_17partition_subalgoE9EssbEEZZNS1_14partition_implILS5_9ELb0ES3_jN6thrust23THRUST_200600_302600_NS6detail15normal_iteratorINS9_10device_ptrIsEEEESE_PNS0_10empty_typeENS0_5tupleIJSE_SF_EEENSH_IJSE_SG_EEENS0_18inequality_wrapperI22is_equal_div_10_uniqueIsEEEPmJSF_EEE10hipError_tPvRmT3_T4_T5_T6_T7_T9_mT8_P12ihipStream_tbDpT10_ENKUlT_T0_E_clISt17integral_constantIbLb0EES18_EEDaS13_S14_EUlS13_E_NS1_11comp_targetILNS1_3genE5ELNS1_11target_archE942ELNS1_3gpuE9ELNS1_3repE0EEENS1_30default_config_static_selectorELNS0_4arch9wavefront6targetE0EEEvT1_,"axG",@progbits,_ZN7rocprim17ROCPRIM_400000_NS6detail17trampoline_kernelINS0_14default_configENS1_25partition_config_selectorILNS1_17partition_subalgoE9EssbEEZZNS1_14partition_implILS5_9ELb0ES3_jN6thrust23THRUST_200600_302600_NS6detail15normal_iteratorINS9_10device_ptrIsEEEESE_PNS0_10empty_typeENS0_5tupleIJSE_SF_EEENSH_IJSE_SG_EEENS0_18inequality_wrapperI22is_equal_div_10_uniqueIsEEEPmJSF_EEE10hipError_tPvRmT3_T4_T5_T6_T7_T9_mT8_P12ihipStream_tbDpT10_ENKUlT_T0_E_clISt17integral_constantIbLb0EES18_EEDaS13_S14_EUlS13_E_NS1_11comp_targetILNS1_3genE5ELNS1_11target_archE942ELNS1_3gpuE9ELNS1_3repE0EEENS1_30default_config_static_selectorELNS0_4arch9wavefront6targetE0EEEvT1_,comdat
	.protected	_ZN7rocprim17ROCPRIM_400000_NS6detail17trampoline_kernelINS0_14default_configENS1_25partition_config_selectorILNS1_17partition_subalgoE9EssbEEZZNS1_14partition_implILS5_9ELb0ES3_jN6thrust23THRUST_200600_302600_NS6detail15normal_iteratorINS9_10device_ptrIsEEEESE_PNS0_10empty_typeENS0_5tupleIJSE_SF_EEENSH_IJSE_SG_EEENS0_18inequality_wrapperI22is_equal_div_10_uniqueIsEEEPmJSF_EEE10hipError_tPvRmT3_T4_T5_T6_T7_T9_mT8_P12ihipStream_tbDpT10_ENKUlT_T0_E_clISt17integral_constantIbLb0EES18_EEDaS13_S14_EUlS13_E_NS1_11comp_targetILNS1_3genE5ELNS1_11target_archE942ELNS1_3gpuE9ELNS1_3repE0EEENS1_30default_config_static_selectorELNS0_4arch9wavefront6targetE0EEEvT1_ ; -- Begin function _ZN7rocprim17ROCPRIM_400000_NS6detail17trampoline_kernelINS0_14default_configENS1_25partition_config_selectorILNS1_17partition_subalgoE9EssbEEZZNS1_14partition_implILS5_9ELb0ES3_jN6thrust23THRUST_200600_302600_NS6detail15normal_iteratorINS9_10device_ptrIsEEEESE_PNS0_10empty_typeENS0_5tupleIJSE_SF_EEENSH_IJSE_SG_EEENS0_18inequality_wrapperI22is_equal_div_10_uniqueIsEEEPmJSF_EEE10hipError_tPvRmT3_T4_T5_T6_T7_T9_mT8_P12ihipStream_tbDpT10_ENKUlT_T0_E_clISt17integral_constantIbLb0EES18_EEDaS13_S14_EUlS13_E_NS1_11comp_targetILNS1_3genE5ELNS1_11target_archE942ELNS1_3gpuE9ELNS1_3repE0EEENS1_30default_config_static_selectorELNS0_4arch9wavefront6targetE0EEEvT1_
	.globl	_ZN7rocprim17ROCPRIM_400000_NS6detail17trampoline_kernelINS0_14default_configENS1_25partition_config_selectorILNS1_17partition_subalgoE9EssbEEZZNS1_14partition_implILS5_9ELb0ES3_jN6thrust23THRUST_200600_302600_NS6detail15normal_iteratorINS9_10device_ptrIsEEEESE_PNS0_10empty_typeENS0_5tupleIJSE_SF_EEENSH_IJSE_SG_EEENS0_18inequality_wrapperI22is_equal_div_10_uniqueIsEEEPmJSF_EEE10hipError_tPvRmT3_T4_T5_T6_T7_T9_mT8_P12ihipStream_tbDpT10_ENKUlT_T0_E_clISt17integral_constantIbLb0EES18_EEDaS13_S14_EUlS13_E_NS1_11comp_targetILNS1_3genE5ELNS1_11target_archE942ELNS1_3gpuE9ELNS1_3repE0EEENS1_30default_config_static_selectorELNS0_4arch9wavefront6targetE0EEEvT1_
	.p2align	8
	.type	_ZN7rocprim17ROCPRIM_400000_NS6detail17trampoline_kernelINS0_14default_configENS1_25partition_config_selectorILNS1_17partition_subalgoE9EssbEEZZNS1_14partition_implILS5_9ELb0ES3_jN6thrust23THRUST_200600_302600_NS6detail15normal_iteratorINS9_10device_ptrIsEEEESE_PNS0_10empty_typeENS0_5tupleIJSE_SF_EEENSH_IJSE_SG_EEENS0_18inequality_wrapperI22is_equal_div_10_uniqueIsEEEPmJSF_EEE10hipError_tPvRmT3_T4_T5_T6_T7_T9_mT8_P12ihipStream_tbDpT10_ENKUlT_T0_E_clISt17integral_constantIbLb0EES18_EEDaS13_S14_EUlS13_E_NS1_11comp_targetILNS1_3genE5ELNS1_11target_archE942ELNS1_3gpuE9ELNS1_3repE0EEENS1_30default_config_static_selectorELNS0_4arch9wavefront6targetE0EEEvT1_,@function
_ZN7rocprim17ROCPRIM_400000_NS6detail17trampoline_kernelINS0_14default_configENS1_25partition_config_selectorILNS1_17partition_subalgoE9EssbEEZZNS1_14partition_implILS5_9ELb0ES3_jN6thrust23THRUST_200600_302600_NS6detail15normal_iteratorINS9_10device_ptrIsEEEESE_PNS0_10empty_typeENS0_5tupleIJSE_SF_EEENSH_IJSE_SG_EEENS0_18inequality_wrapperI22is_equal_div_10_uniqueIsEEEPmJSF_EEE10hipError_tPvRmT3_T4_T5_T6_T7_T9_mT8_P12ihipStream_tbDpT10_ENKUlT_T0_E_clISt17integral_constantIbLb0EES18_EEDaS13_S14_EUlS13_E_NS1_11comp_targetILNS1_3genE5ELNS1_11target_archE942ELNS1_3gpuE9ELNS1_3repE0EEENS1_30default_config_static_selectorELNS0_4arch9wavefront6targetE0EEEvT1_: ; @_ZN7rocprim17ROCPRIM_400000_NS6detail17trampoline_kernelINS0_14default_configENS1_25partition_config_selectorILNS1_17partition_subalgoE9EssbEEZZNS1_14partition_implILS5_9ELb0ES3_jN6thrust23THRUST_200600_302600_NS6detail15normal_iteratorINS9_10device_ptrIsEEEESE_PNS0_10empty_typeENS0_5tupleIJSE_SF_EEENSH_IJSE_SG_EEENS0_18inequality_wrapperI22is_equal_div_10_uniqueIsEEEPmJSF_EEE10hipError_tPvRmT3_T4_T5_T6_T7_T9_mT8_P12ihipStream_tbDpT10_ENKUlT_T0_E_clISt17integral_constantIbLb0EES18_EEDaS13_S14_EUlS13_E_NS1_11comp_targetILNS1_3genE5ELNS1_11target_archE942ELNS1_3gpuE9ELNS1_3repE0EEENS1_30default_config_static_selectorELNS0_4arch9wavefront6targetE0EEEvT1_
; %bb.0:
	.section	.rodata,"a",@progbits
	.p2align	6, 0x0
	.amdhsa_kernel _ZN7rocprim17ROCPRIM_400000_NS6detail17trampoline_kernelINS0_14default_configENS1_25partition_config_selectorILNS1_17partition_subalgoE9EssbEEZZNS1_14partition_implILS5_9ELb0ES3_jN6thrust23THRUST_200600_302600_NS6detail15normal_iteratorINS9_10device_ptrIsEEEESE_PNS0_10empty_typeENS0_5tupleIJSE_SF_EEENSH_IJSE_SG_EEENS0_18inequality_wrapperI22is_equal_div_10_uniqueIsEEEPmJSF_EEE10hipError_tPvRmT3_T4_T5_T6_T7_T9_mT8_P12ihipStream_tbDpT10_ENKUlT_T0_E_clISt17integral_constantIbLb0EES18_EEDaS13_S14_EUlS13_E_NS1_11comp_targetILNS1_3genE5ELNS1_11target_archE942ELNS1_3gpuE9ELNS1_3repE0EEENS1_30default_config_static_selectorELNS0_4arch9wavefront6targetE0EEEvT1_
		.amdhsa_group_segment_fixed_size 0
		.amdhsa_private_segment_fixed_size 0
		.amdhsa_kernarg_size 112
		.amdhsa_user_sgpr_count 15
		.amdhsa_user_sgpr_dispatch_ptr 0
		.amdhsa_user_sgpr_queue_ptr 0
		.amdhsa_user_sgpr_kernarg_segment_ptr 1
		.amdhsa_user_sgpr_dispatch_id 0
		.amdhsa_user_sgpr_private_segment_size 0
		.amdhsa_wavefront_size32 1
		.amdhsa_uses_dynamic_stack 0
		.amdhsa_enable_private_segment 0
		.amdhsa_system_sgpr_workgroup_id_x 1
		.amdhsa_system_sgpr_workgroup_id_y 0
		.amdhsa_system_sgpr_workgroup_id_z 0
		.amdhsa_system_sgpr_workgroup_info 0
		.amdhsa_system_vgpr_workitem_id 0
		.amdhsa_next_free_vgpr 1
		.amdhsa_next_free_sgpr 1
		.amdhsa_reserve_vcc 0
		.amdhsa_float_round_mode_32 0
		.amdhsa_float_round_mode_16_64 0
		.amdhsa_float_denorm_mode_32 3
		.amdhsa_float_denorm_mode_16_64 3
		.amdhsa_dx10_clamp 1
		.amdhsa_ieee_mode 1
		.amdhsa_fp16_overflow 0
		.amdhsa_workgroup_processor_mode 1
		.amdhsa_memory_ordered 1
		.amdhsa_forward_progress 0
		.amdhsa_shared_vgpr_count 0
		.amdhsa_exception_fp_ieee_invalid_op 0
		.amdhsa_exception_fp_denorm_src 0
		.amdhsa_exception_fp_ieee_div_zero 0
		.amdhsa_exception_fp_ieee_overflow 0
		.amdhsa_exception_fp_ieee_underflow 0
		.amdhsa_exception_fp_ieee_inexact 0
		.amdhsa_exception_int_div_zero 0
	.end_amdhsa_kernel
	.section	.text._ZN7rocprim17ROCPRIM_400000_NS6detail17trampoline_kernelINS0_14default_configENS1_25partition_config_selectorILNS1_17partition_subalgoE9EssbEEZZNS1_14partition_implILS5_9ELb0ES3_jN6thrust23THRUST_200600_302600_NS6detail15normal_iteratorINS9_10device_ptrIsEEEESE_PNS0_10empty_typeENS0_5tupleIJSE_SF_EEENSH_IJSE_SG_EEENS0_18inequality_wrapperI22is_equal_div_10_uniqueIsEEEPmJSF_EEE10hipError_tPvRmT3_T4_T5_T6_T7_T9_mT8_P12ihipStream_tbDpT10_ENKUlT_T0_E_clISt17integral_constantIbLb0EES18_EEDaS13_S14_EUlS13_E_NS1_11comp_targetILNS1_3genE5ELNS1_11target_archE942ELNS1_3gpuE9ELNS1_3repE0EEENS1_30default_config_static_selectorELNS0_4arch9wavefront6targetE0EEEvT1_,"axG",@progbits,_ZN7rocprim17ROCPRIM_400000_NS6detail17trampoline_kernelINS0_14default_configENS1_25partition_config_selectorILNS1_17partition_subalgoE9EssbEEZZNS1_14partition_implILS5_9ELb0ES3_jN6thrust23THRUST_200600_302600_NS6detail15normal_iteratorINS9_10device_ptrIsEEEESE_PNS0_10empty_typeENS0_5tupleIJSE_SF_EEENSH_IJSE_SG_EEENS0_18inequality_wrapperI22is_equal_div_10_uniqueIsEEEPmJSF_EEE10hipError_tPvRmT3_T4_T5_T6_T7_T9_mT8_P12ihipStream_tbDpT10_ENKUlT_T0_E_clISt17integral_constantIbLb0EES18_EEDaS13_S14_EUlS13_E_NS1_11comp_targetILNS1_3genE5ELNS1_11target_archE942ELNS1_3gpuE9ELNS1_3repE0EEENS1_30default_config_static_selectorELNS0_4arch9wavefront6targetE0EEEvT1_,comdat
.Lfunc_end502:
	.size	_ZN7rocprim17ROCPRIM_400000_NS6detail17trampoline_kernelINS0_14default_configENS1_25partition_config_selectorILNS1_17partition_subalgoE9EssbEEZZNS1_14partition_implILS5_9ELb0ES3_jN6thrust23THRUST_200600_302600_NS6detail15normal_iteratorINS9_10device_ptrIsEEEESE_PNS0_10empty_typeENS0_5tupleIJSE_SF_EEENSH_IJSE_SG_EEENS0_18inequality_wrapperI22is_equal_div_10_uniqueIsEEEPmJSF_EEE10hipError_tPvRmT3_T4_T5_T6_T7_T9_mT8_P12ihipStream_tbDpT10_ENKUlT_T0_E_clISt17integral_constantIbLb0EES18_EEDaS13_S14_EUlS13_E_NS1_11comp_targetILNS1_3genE5ELNS1_11target_archE942ELNS1_3gpuE9ELNS1_3repE0EEENS1_30default_config_static_selectorELNS0_4arch9wavefront6targetE0EEEvT1_, .Lfunc_end502-_ZN7rocprim17ROCPRIM_400000_NS6detail17trampoline_kernelINS0_14default_configENS1_25partition_config_selectorILNS1_17partition_subalgoE9EssbEEZZNS1_14partition_implILS5_9ELb0ES3_jN6thrust23THRUST_200600_302600_NS6detail15normal_iteratorINS9_10device_ptrIsEEEESE_PNS0_10empty_typeENS0_5tupleIJSE_SF_EEENSH_IJSE_SG_EEENS0_18inequality_wrapperI22is_equal_div_10_uniqueIsEEEPmJSF_EEE10hipError_tPvRmT3_T4_T5_T6_T7_T9_mT8_P12ihipStream_tbDpT10_ENKUlT_T0_E_clISt17integral_constantIbLb0EES18_EEDaS13_S14_EUlS13_E_NS1_11comp_targetILNS1_3genE5ELNS1_11target_archE942ELNS1_3gpuE9ELNS1_3repE0EEENS1_30default_config_static_selectorELNS0_4arch9wavefront6targetE0EEEvT1_
                                        ; -- End function
	.section	.AMDGPU.csdata,"",@progbits
; Kernel info:
; codeLenInByte = 0
; NumSgprs: 0
; NumVgprs: 0
; ScratchSize: 0
; MemoryBound: 0
; FloatMode: 240
; IeeeMode: 1
; LDSByteSize: 0 bytes/workgroup (compile time only)
; SGPRBlocks: 0
; VGPRBlocks: 0
; NumSGPRsForWavesPerEU: 1
; NumVGPRsForWavesPerEU: 1
; Occupancy: 16
; WaveLimiterHint : 0
; COMPUTE_PGM_RSRC2:SCRATCH_EN: 0
; COMPUTE_PGM_RSRC2:USER_SGPR: 15
; COMPUTE_PGM_RSRC2:TRAP_HANDLER: 0
; COMPUTE_PGM_RSRC2:TGID_X_EN: 1
; COMPUTE_PGM_RSRC2:TGID_Y_EN: 0
; COMPUTE_PGM_RSRC2:TGID_Z_EN: 0
; COMPUTE_PGM_RSRC2:TIDIG_COMP_CNT: 0
	.section	.text._ZN7rocprim17ROCPRIM_400000_NS6detail17trampoline_kernelINS0_14default_configENS1_25partition_config_selectorILNS1_17partition_subalgoE9EssbEEZZNS1_14partition_implILS5_9ELb0ES3_jN6thrust23THRUST_200600_302600_NS6detail15normal_iteratorINS9_10device_ptrIsEEEESE_PNS0_10empty_typeENS0_5tupleIJSE_SF_EEENSH_IJSE_SG_EEENS0_18inequality_wrapperI22is_equal_div_10_uniqueIsEEEPmJSF_EEE10hipError_tPvRmT3_T4_T5_T6_T7_T9_mT8_P12ihipStream_tbDpT10_ENKUlT_T0_E_clISt17integral_constantIbLb0EES18_EEDaS13_S14_EUlS13_E_NS1_11comp_targetILNS1_3genE4ELNS1_11target_archE910ELNS1_3gpuE8ELNS1_3repE0EEENS1_30default_config_static_selectorELNS0_4arch9wavefront6targetE0EEEvT1_,"axG",@progbits,_ZN7rocprim17ROCPRIM_400000_NS6detail17trampoline_kernelINS0_14default_configENS1_25partition_config_selectorILNS1_17partition_subalgoE9EssbEEZZNS1_14partition_implILS5_9ELb0ES3_jN6thrust23THRUST_200600_302600_NS6detail15normal_iteratorINS9_10device_ptrIsEEEESE_PNS0_10empty_typeENS0_5tupleIJSE_SF_EEENSH_IJSE_SG_EEENS0_18inequality_wrapperI22is_equal_div_10_uniqueIsEEEPmJSF_EEE10hipError_tPvRmT3_T4_T5_T6_T7_T9_mT8_P12ihipStream_tbDpT10_ENKUlT_T0_E_clISt17integral_constantIbLb0EES18_EEDaS13_S14_EUlS13_E_NS1_11comp_targetILNS1_3genE4ELNS1_11target_archE910ELNS1_3gpuE8ELNS1_3repE0EEENS1_30default_config_static_selectorELNS0_4arch9wavefront6targetE0EEEvT1_,comdat
	.protected	_ZN7rocprim17ROCPRIM_400000_NS6detail17trampoline_kernelINS0_14default_configENS1_25partition_config_selectorILNS1_17partition_subalgoE9EssbEEZZNS1_14partition_implILS5_9ELb0ES3_jN6thrust23THRUST_200600_302600_NS6detail15normal_iteratorINS9_10device_ptrIsEEEESE_PNS0_10empty_typeENS0_5tupleIJSE_SF_EEENSH_IJSE_SG_EEENS0_18inequality_wrapperI22is_equal_div_10_uniqueIsEEEPmJSF_EEE10hipError_tPvRmT3_T4_T5_T6_T7_T9_mT8_P12ihipStream_tbDpT10_ENKUlT_T0_E_clISt17integral_constantIbLb0EES18_EEDaS13_S14_EUlS13_E_NS1_11comp_targetILNS1_3genE4ELNS1_11target_archE910ELNS1_3gpuE8ELNS1_3repE0EEENS1_30default_config_static_selectorELNS0_4arch9wavefront6targetE0EEEvT1_ ; -- Begin function _ZN7rocprim17ROCPRIM_400000_NS6detail17trampoline_kernelINS0_14default_configENS1_25partition_config_selectorILNS1_17partition_subalgoE9EssbEEZZNS1_14partition_implILS5_9ELb0ES3_jN6thrust23THRUST_200600_302600_NS6detail15normal_iteratorINS9_10device_ptrIsEEEESE_PNS0_10empty_typeENS0_5tupleIJSE_SF_EEENSH_IJSE_SG_EEENS0_18inequality_wrapperI22is_equal_div_10_uniqueIsEEEPmJSF_EEE10hipError_tPvRmT3_T4_T5_T6_T7_T9_mT8_P12ihipStream_tbDpT10_ENKUlT_T0_E_clISt17integral_constantIbLb0EES18_EEDaS13_S14_EUlS13_E_NS1_11comp_targetILNS1_3genE4ELNS1_11target_archE910ELNS1_3gpuE8ELNS1_3repE0EEENS1_30default_config_static_selectorELNS0_4arch9wavefront6targetE0EEEvT1_
	.globl	_ZN7rocprim17ROCPRIM_400000_NS6detail17trampoline_kernelINS0_14default_configENS1_25partition_config_selectorILNS1_17partition_subalgoE9EssbEEZZNS1_14partition_implILS5_9ELb0ES3_jN6thrust23THRUST_200600_302600_NS6detail15normal_iteratorINS9_10device_ptrIsEEEESE_PNS0_10empty_typeENS0_5tupleIJSE_SF_EEENSH_IJSE_SG_EEENS0_18inequality_wrapperI22is_equal_div_10_uniqueIsEEEPmJSF_EEE10hipError_tPvRmT3_T4_T5_T6_T7_T9_mT8_P12ihipStream_tbDpT10_ENKUlT_T0_E_clISt17integral_constantIbLb0EES18_EEDaS13_S14_EUlS13_E_NS1_11comp_targetILNS1_3genE4ELNS1_11target_archE910ELNS1_3gpuE8ELNS1_3repE0EEENS1_30default_config_static_selectorELNS0_4arch9wavefront6targetE0EEEvT1_
	.p2align	8
	.type	_ZN7rocprim17ROCPRIM_400000_NS6detail17trampoline_kernelINS0_14default_configENS1_25partition_config_selectorILNS1_17partition_subalgoE9EssbEEZZNS1_14partition_implILS5_9ELb0ES3_jN6thrust23THRUST_200600_302600_NS6detail15normal_iteratorINS9_10device_ptrIsEEEESE_PNS0_10empty_typeENS0_5tupleIJSE_SF_EEENSH_IJSE_SG_EEENS0_18inequality_wrapperI22is_equal_div_10_uniqueIsEEEPmJSF_EEE10hipError_tPvRmT3_T4_T5_T6_T7_T9_mT8_P12ihipStream_tbDpT10_ENKUlT_T0_E_clISt17integral_constantIbLb0EES18_EEDaS13_S14_EUlS13_E_NS1_11comp_targetILNS1_3genE4ELNS1_11target_archE910ELNS1_3gpuE8ELNS1_3repE0EEENS1_30default_config_static_selectorELNS0_4arch9wavefront6targetE0EEEvT1_,@function
_ZN7rocprim17ROCPRIM_400000_NS6detail17trampoline_kernelINS0_14default_configENS1_25partition_config_selectorILNS1_17partition_subalgoE9EssbEEZZNS1_14partition_implILS5_9ELb0ES3_jN6thrust23THRUST_200600_302600_NS6detail15normal_iteratorINS9_10device_ptrIsEEEESE_PNS0_10empty_typeENS0_5tupleIJSE_SF_EEENSH_IJSE_SG_EEENS0_18inequality_wrapperI22is_equal_div_10_uniqueIsEEEPmJSF_EEE10hipError_tPvRmT3_T4_T5_T6_T7_T9_mT8_P12ihipStream_tbDpT10_ENKUlT_T0_E_clISt17integral_constantIbLb0EES18_EEDaS13_S14_EUlS13_E_NS1_11comp_targetILNS1_3genE4ELNS1_11target_archE910ELNS1_3gpuE8ELNS1_3repE0EEENS1_30default_config_static_selectorELNS0_4arch9wavefront6targetE0EEEvT1_: ; @_ZN7rocprim17ROCPRIM_400000_NS6detail17trampoline_kernelINS0_14default_configENS1_25partition_config_selectorILNS1_17partition_subalgoE9EssbEEZZNS1_14partition_implILS5_9ELb0ES3_jN6thrust23THRUST_200600_302600_NS6detail15normal_iteratorINS9_10device_ptrIsEEEESE_PNS0_10empty_typeENS0_5tupleIJSE_SF_EEENSH_IJSE_SG_EEENS0_18inequality_wrapperI22is_equal_div_10_uniqueIsEEEPmJSF_EEE10hipError_tPvRmT3_T4_T5_T6_T7_T9_mT8_P12ihipStream_tbDpT10_ENKUlT_T0_E_clISt17integral_constantIbLb0EES18_EEDaS13_S14_EUlS13_E_NS1_11comp_targetILNS1_3genE4ELNS1_11target_archE910ELNS1_3gpuE8ELNS1_3repE0EEENS1_30default_config_static_selectorELNS0_4arch9wavefront6targetE0EEEvT1_
; %bb.0:
	.section	.rodata,"a",@progbits
	.p2align	6, 0x0
	.amdhsa_kernel _ZN7rocprim17ROCPRIM_400000_NS6detail17trampoline_kernelINS0_14default_configENS1_25partition_config_selectorILNS1_17partition_subalgoE9EssbEEZZNS1_14partition_implILS5_9ELb0ES3_jN6thrust23THRUST_200600_302600_NS6detail15normal_iteratorINS9_10device_ptrIsEEEESE_PNS0_10empty_typeENS0_5tupleIJSE_SF_EEENSH_IJSE_SG_EEENS0_18inequality_wrapperI22is_equal_div_10_uniqueIsEEEPmJSF_EEE10hipError_tPvRmT3_T4_T5_T6_T7_T9_mT8_P12ihipStream_tbDpT10_ENKUlT_T0_E_clISt17integral_constantIbLb0EES18_EEDaS13_S14_EUlS13_E_NS1_11comp_targetILNS1_3genE4ELNS1_11target_archE910ELNS1_3gpuE8ELNS1_3repE0EEENS1_30default_config_static_selectorELNS0_4arch9wavefront6targetE0EEEvT1_
		.amdhsa_group_segment_fixed_size 0
		.amdhsa_private_segment_fixed_size 0
		.amdhsa_kernarg_size 112
		.amdhsa_user_sgpr_count 15
		.amdhsa_user_sgpr_dispatch_ptr 0
		.amdhsa_user_sgpr_queue_ptr 0
		.amdhsa_user_sgpr_kernarg_segment_ptr 1
		.amdhsa_user_sgpr_dispatch_id 0
		.amdhsa_user_sgpr_private_segment_size 0
		.amdhsa_wavefront_size32 1
		.amdhsa_uses_dynamic_stack 0
		.amdhsa_enable_private_segment 0
		.amdhsa_system_sgpr_workgroup_id_x 1
		.amdhsa_system_sgpr_workgroup_id_y 0
		.amdhsa_system_sgpr_workgroup_id_z 0
		.amdhsa_system_sgpr_workgroup_info 0
		.amdhsa_system_vgpr_workitem_id 0
		.amdhsa_next_free_vgpr 1
		.amdhsa_next_free_sgpr 1
		.amdhsa_reserve_vcc 0
		.amdhsa_float_round_mode_32 0
		.amdhsa_float_round_mode_16_64 0
		.amdhsa_float_denorm_mode_32 3
		.amdhsa_float_denorm_mode_16_64 3
		.amdhsa_dx10_clamp 1
		.amdhsa_ieee_mode 1
		.amdhsa_fp16_overflow 0
		.amdhsa_workgroup_processor_mode 1
		.amdhsa_memory_ordered 1
		.amdhsa_forward_progress 0
		.amdhsa_shared_vgpr_count 0
		.amdhsa_exception_fp_ieee_invalid_op 0
		.amdhsa_exception_fp_denorm_src 0
		.amdhsa_exception_fp_ieee_div_zero 0
		.amdhsa_exception_fp_ieee_overflow 0
		.amdhsa_exception_fp_ieee_underflow 0
		.amdhsa_exception_fp_ieee_inexact 0
		.amdhsa_exception_int_div_zero 0
	.end_amdhsa_kernel
	.section	.text._ZN7rocprim17ROCPRIM_400000_NS6detail17trampoline_kernelINS0_14default_configENS1_25partition_config_selectorILNS1_17partition_subalgoE9EssbEEZZNS1_14partition_implILS5_9ELb0ES3_jN6thrust23THRUST_200600_302600_NS6detail15normal_iteratorINS9_10device_ptrIsEEEESE_PNS0_10empty_typeENS0_5tupleIJSE_SF_EEENSH_IJSE_SG_EEENS0_18inequality_wrapperI22is_equal_div_10_uniqueIsEEEPmJSF_EEE10hipError_tPvRmT3_T4_T5_T6_T7_T9_mT8_P12ihipStream_tbDpT10_ENKUlT_T0_E_clISt17integral_constantIbLb0EES18_EEDaS13_S14_EUlS13_E_NS1_11comp_targetILNS1_3genE4ELNS1_11target_archE910ELNS1_3gpuE8ELNS1_3repE0EEENS1_30default_config_static_selectorELNS0_4arch9wavefront6targetE0EEEvT1_,"axG",@progbits,_ZN7rocprim17ROCPRIM_400000_NS6detail17trampoline_kernelINS0_14default_configENS1_25partition_config_selectorILNS1_17partition_subalgoE9EssbEEZZNS1_14partition_implILS5_9ELb0ES3_jN6thrust23THRUST_200600_302600_NS6detail15normal_iteratorINS9_10device_ptrIsEEEESE_PNS0_10empty_typeENS0_5tupleIJSE_SF_EEENSH_IJSE_SG_EEENS0_18inequality_wrapperI22is_equal_div_10_uniqueIsEEEPmJSF_EEE10hipError_tPvRmT3_T4_T5_T6_T7_T9_mT8_P12ihipStream_tbDpT10_ENKUlT_T0_E_clISt17integral_constantIbLb0EES18_EEDaS13_S14_EUlS13_E_NS1_11comp_targetILNS1_3genE4ELNS1_11target_archE910ELNS1_3gpuE8ELNS1_3repE0EEENS1_30default_config_static_selectorELNS0_4arch9wavefront6targetE0EEEvT1_,comdat
.Lfunc_end503:
	.size	_ZN7rocprim17ROCPRIM_400000_NS6detail17trampoline_kernelINS0_14default_configENS1_25partition_config_selectorILNS1_17partition_subalgoE9EssbEEZZNS1_14partition_implILS5_9ELb0ES3_jN6thrust23THRUST_200600_302600_NS6detail15normal_iteratorINS9_10device_ptrIsEEEESE_PNS0_10empty_typeENS0_5tupleIJSE_SF_EEENSH_IJSE_SG_EEENS0_18inequality_wrapperI22is_equal_div_10_uniqueIsEEEPmJSF_EEE10hipError_tPvRmT3_T4_T5_T6_T7_T9_mT8_P12ihipStream_tbDpT10_ENKUlT_T0_E_clISt17integral_constantIbLb0EES18_EEDaS13_S14_EUlS13_E_NS1_11comp_targetILNS1_3genE4ELNS1_11target_archE910ELNS1_3gpuE8ELNS1_3repE0EEENS1_30default_config_static_selectorELNS0_4arch9wavefront6targetE0EEEvT1_, .Lfunc_end503-_ZN7rocprim17ROCPRIM_400000_NS6detail17trampoline_kernelINS0_14default_configENS1_25partition_config_selectorILNS1_17partition_subalgoE9EssbEEZZNS1_14partition_implILS5_9ELb0ES3_jN6thrust23THRUST_200600_302600_NS6detail15normal_iteratorINS9_10device_ptrIsEEEESE_PNS0_10empty_typeENS0_5tupleIJSE_SF_EEENSH_IJSE_SG_EEENS0_18inequality_wrapperI22is_equal_div_10_uniqueIsEEEPmJSF_EEE10hipError_tPvRmT3_T4_T5_T6_T7_T9_mT8_P12ihipStream_tbDpT10_ENKUlT_T0_E_clISt17integral_constantIbLb0EES18_EEDaS13_S14_EUlS13_E_NS1_11comp_targetILNS1_3genE4ELNS1_11target_archE910ELNS1_3gpuE8ELNS1_3repE0EEENS1_30default_config_static_selectorELNS0_4arch9wavefront6targetE0EEEvT1_
                                        ; -- End function
	.section	.AMDGPU.csdata,"",@progbits
; Kernel info:
; codeLenInByte = 0
; NumSgprs: 0
; NumVgprs: 0
; ScratchSize: 0
; MemoryBound: 0
; FloatMode: 240
; IeeeMode: 1
; LDSByteSize: 0 bytes/workgroup (compile time only)
; SGPRBlocks: 0
; VGPRBlocks: 0
; NumSGPRsForWavesPerEU: 1
; NumVGPRsForWavesPerEU: 1
; Occupancy: 16
; WaveLimiterHint : 0
; COMPUTE_PGM_RSRC2:SCRATCH_EN: 0
; COMPUTE_PGM_RSRC2:USER_SGPR: 15
; COMPUTE_PGM_RSRC2:TRAP_HANDLER: 0
; COMPUTE_PGM_RSRC2:TGID_X_EN: 1
; COMPUTE_PGM_RSRC2:TGID_Y_EN: 0
; COMPUTE_PGM_RSRC2:TGID_Z_EN: 0
; COMPUTE_PGM_RSRC2:TIDIG_COMP_CNT: 0
	.section	.text._ZN7rocprim17ROCPRIM_400000_NS6detail17trampoline_kernelINS0_14default_configENS1_25partition_config_selectorILNS1_17partition_subalgoE9EssbEEZZNS1_14partition_implILS5_9ELb0ES3_jN6thrust23THRUST_200600_302600_NS6detail15normal_iteratorINS9_10device_ptrIsEEEESE_PNS0_10empty_typeENS0_5tupleIJSE_SF_EEENSH_IJSE_SG_EEENS0_18inequality_wrapperI22is_equal_div_10_uniqueIsEEEPmJSF_EEE10hipError_tPvRmT3_T4_T5_T6_T7_T9_mT8_P12ihipStream_tbDpT10_ENKUlT_T0_E_clISt17integral_constantIbLb0EES18_EEDaS13_S14_EUlS13_E_NS1_11comp_targetILNS1_3genE3ELNS1_11target_archE908ELNS1_3gpuE7ELNS1_3repE0EEENS1_30default_config_static_selectorELNS0_4arch9wavefront6targetE0EEEvT1_,"axG",@progbits,_ZN7rocprim17ROCPRIM_400000_NS6detail17trampoline_kernelINS0_14default_configENS1_25partition_config_selectorILNS1_17partition_subalgoE9EssbEEZZNS1_14partition_implILS5_9ELb0ES3_jN6thrust23THRUST_200600_302600_NS6detail15normal_iteratorINS9_10device_ptrIsEEEESE_PNS0_10empty_typeENS0_5tupleIJSE_SF_EEENSH_IJSE_SG_EEENS0_18inequality_wrapperI22is_equal_div_10_uniqueIsEEEPmJSF_EEE10hipError_tPvRmT3_T4_T5_T6_T7_T9_mT8_P12ihipStream_tbDpT10_ENKUlT_T0_E_clISt17integral_constantIbLb0EES18_EEDaS13_S14_EUlS13_E_NS1_11comp_targetILNS1_3genE3ELNS1_11target_archE908ELNS1_3gpuE7ELNS1_3repE0EEENS1_30default_config_static_selectorELNS0_4arch9wavefront6targetE0EEEvT1_,comdat
	.protected	_ZN7rocprim17ROCPRIM_400000_NS6detail17trampoline_kernelINS0_14default_configENS1_25partition_config_selectorILNS1_17partition_subalgoE9EssbEEZZNS1_14partition_implILS5_9ELb0ES3_jN6thrust23THRUST_200600_302600_NS6detail15normal_iteratorINS9_10device_ptrIsEEEESE_PNS0_10empty_typeENS0_5tupleIJSE_SF_EEENSH_IJSE_SG_EEENS0_18inequality_wrapperI22is_equal_div_10_uniqueIsEEEPmJSF_EEE10hipError_tPvRmT3_T4_T5_T6_T7_T9_mT8_P12ihipStream_tbDpT10_ENKUlT_T0_E_clISt17integral_constantIbLb0EES18_EEDaS13_S14_EUlS13_E_NS1_11comp_targetILNS1_3genE3ELNS1_11target_archE908ELNS1_3gpuE7ELNS1_3repE0EEENS1_30default_config_static_selectorELNS0_4arch9wavefront6targetE0EEEvT1_ ; -- Begin function _ZN7rocprim17ROCPRIM_400000_NS6detail17trampoline_kernelINS0_14default_configENS1_25partition_config_selectorILNS1_17partition_subalgoE9EssbEEZZNS1_14partition_implILS5_9ELb0ES3_jN6thrust23THRUST_200600_302600_NS6detail15normal_iteratorINS9_10device_ptrIsEEEESE_PNS0_10empty_typeENS0_5tupleIJSE_SF_EEENSH_IJSE_SG_EEENS0_18inequality_wrapperI22is_equal_div_10_uniqueIsEEEPmJSF_EEE10hipError_tPvRmT3_T4_T5_T6_T7_T9_mT8_P12ihipStream_tbDpT10_ENKUlT_T0_E_clISt17integral_constantIbLb0EES18_EEDaS13_S14_EUlS13_E_NS1_11comp_targetILNS1_3genE3ELNS1_11target_archE908ELNS1_3gpuE7ELNS1_3repE0EEENS1_30default_config_static_selectorELNS0_4arch9wavefront6targetE0EEEvT1_
	.globl	_ZN7rocprim17ROCPRIM_400000_NS6detail17trampoline_kernelINS0_14default_configENS1_25partition_config_selectorILNS1_17partition_subalgoE9EssbEEZZNS1_14partition_implILS5_9ELb0ES3_jN6thrust23THRUST_200600_302600_NS6detail15normal_iteratorINS9_10device_ptrIsEEEESE_PNS0_10empty_typeENS0_5tupleIJSE_SF_EEENSH_IJSE_SG_EEENS0_18inequality_wrapperI22is_equal_div_10_uniqueIsEEEPmJSF_EEE10hipError_tPvRmT3_T4_T5_T6_T7_T9_mT8_P12ihipStream_tbDpT10_ENKUlT_T0_E_clISt17integral_constantIbLb0EES18_EEDaS13_S14_EUlS13_E_NS1_11comp_targetILNS1_3genE3ELNS1_11target_archE908ELNS1_3gpuE7ELNS1_3repE0EEENS1_30default_config_static_selectorELNS0_4arch9wavefront6targetE0EEEvT1_
	.p2align	8
	.type	_ZN7rocprim17ROCPRIM_400000_NS6detail17trampoline_kernelINS0_14default_configENS1_25partition_config_selectorILNS1_17partition_subalgoE9EssbEEZZNS1_14partition_implILS5_9ELb0ES3_jN6thrust23THRUST_200600_302600_NS6detail15normal_iteratorINS9_10device_ptrIsEEEESE_PNS0_10empty_typeENS0_5tupleIJSE_SF_EEENSH_IJSE_SG_EEENS0_18inequality_wrapperI22is_equal_div_10_uniqueIsEEEPmJSF_EEE10hipError_tPvRmT3_T4_T5_T6_T7_T9_mT8_P12ihipStream_tbDpT10_ENKUlT_T0_E_clISt17integral_constantIbLb0EES18_EEDaS13_S14_EUlS13_E_NS1_11comp_targetILNS1_3genE3ELNS1_11target_archE908ELNS1_3gpuE7ELNS1_3repE0EEENS1_30default_config_static_selectorELNS0_4arch9wavefront6targetE0EEEvT1_,@function
_ZN7rocprim17ROCPRIM_400000_NS6detail17trampoline_kernelINS0_14default_configENS1_25partition_config_selectorILNS1_17partition_subalgoE9EssbEEZZNS1_14partition_implILS5_9ELb0ES3_jN6thrust23THRUST_200600_302600_NS6detail15normal_iteratorINS9_10device_ptrIsEEEESE_PNS0_10empty_typeENS0_5tupleIJSE_SF_EEENSH_IJSE_SG_EEENS0_18inequality_wrapperI22is_equal_div_10_uniqueIsEEEPmJSF_EEE10hipError_tPvRmT3_T4_T5_T6_T7_T9_mT8_P12ihipStream_tbDpT10_ENKUlT_T0_E_clISt17integral_constantIbLb0EES18_EEDaS13_S14_EUlS13_E_NS1_11comp_targetILNS1_3genE3ELNS1_11target_archE908ELNS1_3gpuE7ELNS1_3repE0EEENS1_30default_config_static_selectorELNS0_4arch9wavefront6targetE0EEEvT1_: ; @_ZN7rocprim17ROCPRIM_400000_NS6detail17trampoline_kernelINS0_14default_configENS1_25partition_config_selectorILNS1_17partition_subalgoE9EssbEEZZNS1_14partition_implILS5_9ELb0ES3_jN6thrust23THRUST_200600_302600_NS6detail15normal_iteratorINS9_10device_ptrIsEEEESE_PNS0_10empty_typeENS0_5tupleIJSE_SF_EEENSH_IJSE_SG_EEENS0_18inequality_wrapperI22is_equal_div_10_uniqueIsEEEPmJSF_EEE10hipError_tPvRmT3_T4_T5_T6_T7_T9_mT8_P12ihipStream_tbDpT10_ENKUlT_T0_E_clISt17integral_constantIbLb0EES18_EEDaS13_S14_EUlS13_E_NS1_11comp_targetILNS1_3genE3ELNS1_11target_archE908ELNS1_3gpuE7ELNS1_3repE0EEENS1_30default_config_static_selectorELNS0_4arch9wavefront6targetE0EEEvT1_
; %bb.0:
	.section	.rodata,"a",@progbits
	.p2align	6, 0x0
	.amdhsa_kernel _ZN7rocprim17ROCPRIM_400000_NS6detail17trampoline_kernelINS0_14default_configENS1_25partition_config_selectorILNS1_17partition_subalgoE9EssbEEZZNS1_14partition_implILS5_9ELb0ES3_jN6thrust23THRUST_200600_302600_NS6detail15normal_iteratorINS9_10device_ptrIsEEEESE_PNS0_10empty_typeENS0_5tupleIJSE_SF_EEENSH_IJSE_SG_EEENS0_18inequality_wrapperI22is_equal_div_10_uniqueIsEEEPmJSF_EEE10hipError_tPvRmT3_T4_T5_T6_T7_T9_mT8_P12ihipStream_tbDpT10_ENKUlT_T0_E_clISt17integral_constantIbLb0EES18_EEDaS13_S14_EUlS13_E_NS1_11comp_targetILNS1_3genE3ELNS1_11target_archE908ELNS1_3gpuE7ELNS1_3repE0EEENS1_30default_config_static_selectorELNS0_4arch9wavefront6targetE0EEEvT1_
		.amdhsa_group_segment_fixed_size 0
		.amdhsa_private_segment_fixed_size 0
		.amdhsa_kernarg_size 112
		.amdhsa_user_sgpr_count 15
		.amdhsa_user_sgpr_dispatch_ptr 0
		.amdhsa_user_sgpr_queue_ptr 0
		.amdhsa_user_sgpr_kernarg_segment_ptr 1
		.amdhsa_user_sgpr_dispatch_id 0
		.amdhsa_user_sgpr_private_segment_size 0
		.amdhsa_wavefront_size32 1
		.amdhsa_uses_dynamic_stack 0
		.amdhsa_enable_private_segment 0
		.amdhsa_system_sgpr_workgroup_id_x 1
		.amdhsa_system_sgpr_workgroup_id_y 0
		.amdhsa_system_sgpr_workgroup_id_z 0
		.amdhsa_system_sgpr_workgroup_info 0
		.amdhsa_system_vgpr_workitem_id 0
		.amdhsa_next_free_vgpr 1
		.amdhsa_next_free_sgpr 1
		.amdhsa_reserve_vcc 0
		.amdhsa_float_round_mode_32 0
		.amdhsa_float_round_mode_16_64 0
		.amdhsa_float_denorm_mode_32 3
		.amdhsa_float_denorm_mode_16_64 3
		.amdhsa_dx10_clamp 1
		.amdhsa_ieee_mode 1
		.amdhsa_fp16_overflow 0
		.amdhsa_workgroup_processor_mode 1
		.amdhsa_memory_ordered 1
		.amdhsa_forward_progress 0
		.amdhsa_shared_vgpr_count 0
		.amdhsa_exception_fp_ieee_invalid_op 0
		.amdhsa_exception_fp_denorm_src 0
		.amdhsa_exception_fp_ieee_div_zero 0
		.amdhsa_exception_fp_ieee_overflow 0
		.amdhsa_exception_fp_ieee_underflow 0
		.amdhsa_exception_fp_ieee_inexact 0
		.amdhsa_exception_int_div_zero 0
	.end_amdhsa_kernel
	.section	.text._ZN7rocprim17ROCPRIM_400000_NS6detail17trampoline_kernelINS0_14default_configENS1_25partition_config_selectorILNS1_17partition_subalgoE9EssbEEZZNS1_14partition_implILS5_9ELb0ES3_jN6thrust23THRUST_200600_302600_NS6detail15normal_iteratorINS9_10device_ptrIsEEEESE_PNS0_10empty_typeENS0_5tupleIJSE_SF_EEENSH_IJSE_SG_EEENS0_18inequality_wrapperI22is_equal_div_10_uniqueIsEEEPmJSF_EEE10hipError_tPvRmT3_T4_T5_T6_T7_T9_mT8_P12ihipStream_tbDpT10_ENKUlT_T0_E_clISt17integral_constantIbLb0EES18_EEDaS13_S14_EUlS13_E_NS1_11comp_targetILNS1_3genE3ELNS1_11target_archE908ELNS1_3gpuE7ELNS1_3repE0EEENS1_30default_config_static_selectorELNS0_4arch9wavefront6targetE0EEEvT1_,"axG",@progbits,_ZN7rocprim17ROCPRIM_400000_NS6detail17trampoline_kernelINS0_14default_configENS1_25partition_config_selectorILNS1_17partition_subalgoE9EssbEEZZNS1_14partition_implILS5_9ELb0ES3_jN6thrust23THRUST_200600_302600_NS6detail15normal_iteratorINS9_10device_ptrIsEEEESE_PNS0_10empty_typeENS0_5tupleIJSE_SF_EEENSH_IJSE_SG_EEENS0_18inequality_wrapperI22is_equal_div_10_uniqueIsEEEPmJSF_EEE10hipError_tPvRmT3_T4_T5_T6_T7_T9_mT8_P12ihipStream_tbDpT10_ENKUlT_T0_E_clISt17integral_constantIbLb0EES18_EEDaS13_S14_EUlS13_E_NS1_11comp_targetILNS1_3genE3ELNS1_11target_archE908ELNS1_3gpuE7ELNS1_3repE0EEENS1_30default_config_static_selectorELNS0_4arch9wavefront6targetE0EEEvT1_,comdat
.Lfunc_end504:
	.size	_ZN7rocprim17ROCPRIM_400000_NS6detail17trampoline_kernelINS0_14default_configENS1_25partition_config_selectorILNS1_17partition_subalgoE9EssbEEZZNS1_14partition_implILS5_9ELb0ES3_jN6thrust23THRUST_200600_302600_NS6detail15normal_iteratorINS9_10device_ptrIsEEEESE_PNS0_10empty_typeENS0_5tupleIJSE_SF_EEENSH_IJSE_SG_EEENS0_18inequality_wrapperI22is_equal_div_10_uniqueIsEEEPmJSF_EEE10hipError_tPvRmT3_T4_T5_T6_T7_T9_mT8_P12ihipStream_tbDpT10_ENKUlT_T0_E_clISt17integral_constantIbLb0EES18_EEDaS13_S14_EUlS13_E_NS1_11comp_targetILNS1_3genE3ELNS1_11target_archE908ELNS1_3gpuE7ELNS1_3repE0EEENS1_30default_config_static_selectorELNS0_4arch9wavefront6targetE0EEEvT1_, .Lfunc_end504-_ZN7rocprim17ROCPRIM_400000_NS6detail17trampoline_kernelINS0_14default_configENS1_25partition_config_selectorILNS1_17partition_subalgoE9EssbEEZZNS1_14partition_implILS5_9ELb0ES3_jN6thrust23THRUST_200600_302600_NS6detail15normal_iteratorINS9_10device_ptrIsEEEESE_PNS0_10empty_typeENS0_5tupleIJSE_SF_EEENSH_IJSE_SG_EEENS0_18inequality_wrapperI22is_equal_div_10_uniqueIsEEEPmJSF_EEE10hipError_tPvRmT3_T4_T5_T6_T7_T9_mT8_P12ihipStream_tbDpT10_ENKUlT_T0_E_clISt17integral_constantIbLb0EES18_EEDaS13_S14_EUlS13_E_NS1_11comp_targetILNS1_3genE3ELNS1_11target_archE908ELNS1_3gpuE7ELNS1_3repE0EEENS1_30default_config_static_selectorELNS0_4arch9wavefront6targetE0EEEvT1_
                                        ; -- End function
	.section	.AMDGPU.csdata,"",@progbits
; Kernel info:
; codeLenInByte = 0
; NumSgprs: 0
; NumVgprs: 0
; ScratchSize: 0
; MemoryBound: 0
; FloatMode: 240
; IeeeMode: 1
; LDSByteSize: 0 bytes/workgroup (compile time only)
; SGPRBlocks: 0
; VGPRBlocks: 0
; NumSGPRsForWavesPerEU: 1
; NumVGPRsForWavesPerEU: 1
; Occupancy: 16
; WaveLimiterHint : 0
; COMPUTE_PGM_RSRC2:SCRATCH_EN: 0
; COMPUTE_PGM_RSRC2:USER_SGPR: 15
; COMPUTE_PGM_RSRC2:TRAP_HANDLER: 0
; COMPUTE_PGM_RSRC2:TGID_X_EN: 1
; COMPUTE_PGM_RSRC2:TGID_Y_EN: 0
; COMPUTE_PGM_RSRC2:TGID_Z_EN: 0
; COMPUTE_PGM_RSRC2:TIDIG_COMP_CNT: 0
	.section	.text._ZN7rocprim17ROCPRIM_400000_NS6detail17trampoline_kernelINS0_14default_configENS1_25partition_config_selectorILNS1_17partition_subalgoE9EssbEEZZNS1_14partition_implILS5_9ELb0ES3_jN6thrust23THRUST_200600_302600_NS6detail15normal_iteratorINS9_10device_ptrIsEEEESE_PNS0_10empty_typeENS0_5tupleIJSE_SF_EEENSH_IJSE_SG_EEENS0_18inequality_wrapperI22is_equal_div_10_uniqueIsEEEPmJSF_EEE10hipError_tPvRmT3_T4_T5_T6_T7_T9_mT8_P12ihipStream_tbDpT10_ENKUlT_T0_E_clISt17integral_constantIbLb0EES18_EEDaS13_S14_EUlS13_E_NS1_11comp_targetILNS1_3genE2ELNS1_11target_archE906ELNS1_3gpuE6ELNS1_3repE0EEENS1_30default_config_static_selectorELNS0_4arch9wavefront6targetE0EEEvT1_,"axG",@progbits,_ZN7rocprim17ROCPRIM_400000_NS6detail17trampoline_kernelINS0_14default_configENS1_25partition_config_selectorILNS1_17partition_subalgoE9EssbEEZZNS1_14partition_implILS5_9ELb0ES3_jN6thrust23THRUST_200600_302600_NS6detail15normal_iteratorINS9_10device_ptrIsEEEESE_PNS0_10empty_typeENS0_5tupleIJSE_SF_EEENSH_IJSE_SG_EEENS0_18inequality_wrapperI22is_equal_div_10_uniqueIsEEEPmJSF_EEE10hipError_tPvRmT3_T4_T5_T6_T7_T9_mT8_P12ihipStream_tbDpT10_ENKUlT_T0_E_clISt17integral_constantIbLb0EES18_EEDaS13_S14_EUlS13_E_NS1_11comp_targetILNS1_3genE2ELNS1_11target_archE906ELNS1_3gpuE6ELNS1_3repE0EEENS1_30default_config_static_selectorELNS0_4arch9wavefront6targetE0EEEvT1_,comdat
	.protected	_ZN7rocprim17ROCPRIM_400000_NS6detail17trampoline_kernelINS0_14default_configENS1_25partition_config_selectorILNS1_17partition_subalgoE9EssbEEZZNS1_14partition_implILS5_9ELb0ES3_jN6thrust23THRUST_200600_302600_NS6detail15normal_iteratorINS9_10device_ptrIsEEEESE_PNS0_10empty_typeENS0_5tupleIJSE_SF_EEENSH_IJSE_SG_EEENS0_18inequality_wrapperI22is_equal_div_10_uniqueIsEEEPmJSF_EEE10hipError_tPvRmT3_T4_T5_T6_T7_T9_mT8_P12ihipStream_tbDpT10_ENKUlT_T0_E_clISt17integral_constantIbLb0EES18_EEDaS13_S14_EUlS13_E_NS1_11comp_targetILNS1_3genE2ELNS1_11target_archE906ELNS1_3gpuE6ELNS1_3repE0EEENS1_30default_config_static_selectorELNS0_4arch9wavefront6targetE0EEEvT1_ ; -- Begin function _ZN7rocprim17ROCPRIM_400000_NS6detail17trampoline_kernelINS0_14default_configENS1_25partition_config_selectorILNS1_17partition_subalgoE9EssbEEZZNS1_14partition_implILS5_9ELb0ES3_jN6thrust23THRUST_200600_302600_NS6detail15normal_iteratorINS9_10device_ptrIsEEEESE_PNS0_10empty_typeENS0_5tupleIJSE_SF_EEENSH_IJSE_SG_EEENS0_18inequality_wrapperI22is_equal_div_10_uniqueIsEEEPmJSF_EEE10hipError_tPvRmT3_T4_T5_T6_T7_T9_mT8_P12ihipStream_tbDpT10_ENKUlT_T0_E_clISt17integral_constantIbLb0EES18_EEDaS13_S14_EUlS13_E_NS1_11comp_targetILNS1_3genE2ELNS1_11target_archE906ELNS1_3gpuE6ELNS1_3repE0EEENS1_30default_config_static_selectorELNS0_4arch9wavefront6targetE0EEEvT1_
	.globl	_ZN7rocprim17ROCPRIM_400000_NS6detail17trampoline_kernelINS0_14default_configENS1_25partition_config_selectorILNS1_17partition_subalgoE9EssbEEZZNS1_14partition_implILS5_9ELb0ES3_jN6thrust23THRUST_200600_302600_NS6detail15normal_iteratorINS9_10device_ptrIsEEEESE_PNS0_10empty_typeENS0_5tupleIJSE_SF_EEENSH_IJSE_SG_EEENS0_18inequality_wrapperI22is_equal_div_10_uniqueIsEEEPmJSF_EEE10hipError_tPvRmT3_T4_T5_T6_T7_T9_mT8_P12ihipStream_tbDpT10_ENKUlT_T0_E_clISt17integral_constantIbLb0EES18_EEDaS13_S14_EUlS13_E_NS1_11comp_targetILNS1_3genE2ELNS1_11target_archE906ELNS1_3gpuE6ELNS1_3repE0EEENS1_30default_config_static_selectorELNS0_4arch9wavefront6targetE0EEEvT1_
	.p2align	8
	.type	_ZN7rocprim17ROCPRIM_400000_NS6detail17trampoline_kernelINS0_14default_configENS1_25partition_config_selectorILNS1_17partition_subalgoE9EssbEEZZNS1_14partition_implILS5_9ELb0ES3_jN6thrust23THRUST_200600_302600_NS6detail15normal_iteratorINS9_10device_ptrIsEEEESE_PNS0_10empty_typeENS0_5tupleIJSE_SF_EEENSH_IJSE_SG_EEENS0_18inequality_wrapperI22is_equal_div_10_uniqueIsEEEPmJSF_EEE10hipError_tPvRmT3_T4_T5_T6_T7_T9_mT8_P12ihipStream_tbDpT10_ENKUlT_T0_E_clISt17integral_constantIbLb0EES18_EEDaS13_S14_EUlS13_E_NS1_11comp_targetILNS1_3genE2ELNS1_11target_archE906ELNS1_3gpuE6ELNS1_3repE0EEENS1_30default_config_static_selectorELNS0_4arch9wavefront6targetE0EEEvT1_,@function
_ZN7rocprim17ROCPRIM_400000_NS6detail17trampoline_kernelINS0_14default_configENS1_25partition_config_selectorILNS1_17partition_subalgoE9EssbEEZZNS1_14partition_implILS5_9ELb0ES3_jN6thrust23THRUST_200600_302600_NS6detail15normal_iteratorINS9_10device_ptrIsEEEESE_PNS0_10empty_typeENS0_5tupleIJSE_SF_EEENSH_IJSE_SG_EEENS0_18inequality_wrapperI22is_equal_div_10_uniqueIsEEEPmJSF_EEE10hipError_tPvRmT3_T4_T5_T6_T7_T9_mT8_P12ihipStream_tbDpT10_ENKUlT_T0_E_clISt17integral_constantIbLb0EES18_EEDaS13_S14_EUlS13_E_NS1_11comp_targetILNS1_3genE2ELNS1_11target_archE906ELNS1_3gpuE6ELNS1_3repE0EEENS1_30default_config_static_selectorELNS0_4arch9wavefront6targetE0EEEvT1_: ; @_ZN7rocprim17ROCPRIM_400000_NS6detail17trampoline_kernelINS0_14default_configENS1_25partition_config_selectorILNS1_17partition_subalgoE9EssbEEZZNS1_14partition_implILS5_9ELb0ES3_jN6thrust23THRUST_200600_302600_NS6detail15normal_iteratorINS9_10device_ptrIsEEEESE_PNS0_10empty_typeENS0_5tupleIJSE_SF_EEENSH_IJSE_SG_EEENS0_18inequality_wrapperI22is_equal_div_10_uniqueIsEEEPmJSF_EEE10hipError_tPvRmT3_T4_T5_T6_T7_T9_mT8_P12ihipStream_tbDpT10_ENKUlT_T0_E_clISt17integral_constantIbLb0EES18_EEDaS13_S14_EUlS13_E_NS1_11comp_targetILNS1_3genE2ELNS1_11target_archE906ELNS1_3gpuE6ELNS1_3repE0EEENS1_30default_config_static_selectorELNS0_4arch9wavefront6targetE0EEEvT1_
; %bb.0:
	.section	.rodata,"a",@progbits
	.p2align	6, 0x0
	.amdhsa_kernel _ZN7rocprim17ROCPRIM_400000_NS6detail17trampoline_kernelINS0_14default_configENS1_25partition_config_selectorILNS1_17partition_subalgoE9EssbEEZZNS1_14partition_implILS5_9ELb0ES3_jN6thrust23THRUST_200600_302600_NS6detail15normal_iteratorINS9_10device_ptrIsEEEESE_PNS0_10empty_typeENS0_5tupleIJSE_SF_EEENSH_IJSE_SG_EEENS0_18inequality_wrapperI22is_equal_div_10_uniqueIsEEEPmJSF_EEE10hipError_tPvRmT3_T4_T5_T6_T7_T9_mT8_P12ihipStream_tbDpT10_ENKUlT_T0_E_clISt17integral_constantIbLb0EES18_EEDaS13_S14_EUlS13_E_NS1_11comp_targetILNS1_3genE2ELNS1_11target_archE906ELNS1_3gpuE6ELNS1_3repE0EEENS1_30default_config_static_selectorELNS0_4arch9wavefront6targetE0EEEvT1_
		.amdhsa_group_segment_fixed_size 0
		.amdhsa_private_segment_fixed_size 0
		.amdhsa_kernarg_size 112
		.amdhsa_user_sgpr_count 15
		.amdhsa_user_sgpr_dispatch_ptr 0
		.amdhsa_user_sgpr_queue_ptr 0
		.amdhsa_user_sgpr_kernarg_segment_ptr 1
		.amdhsa_user_sgpr_dispatch_id 0
		.amdhsa_user_sgpr_private_segment_size 0
		.amdhsa_wavefront_size32 1
		.amdhsa_uses_dynamic_stack 0
		.amdhsa_enable_private_segment 0
		.amdhsa_system_sgpr_workgroup_id_x 1
		.amdhsa_system_sgpr_workgroup_id_y 0
		.amdhsa_system_sgpr_workgroup_id_z 0
		.amdhsa_system_sgpr_workgroup_info 0
		.amdhsa_system_vgpr_workitem_id 0
		.amdhsa_next_free_vgpr 1
		.amdhsa_next_free_sgpr 1
		.amdhsa_reserve_vcc 0
		.amdhsa_float_round_mode_32 0
		.amdhsa_float_round_mode_16_64 0
		.amdhsa_float_denorm_mode_32 3
		.amdhsa_float_denorm_mode_16_64 3
		.amdhsa_dx10_clamp 1
		.amdhsa_ieee_mode 1
		.amdhsa_fp16_overflow 0
		.amdhsa_workgroup_processor_mode 1
		.amdhsa_memory_ordered 1
		.amdhsa_forward_progress 0
		.amdhsa_shared_vgpr_count 0
		.amdhsa_exception_fp_ieee_invalid_op 0
		.amdhsa_exception_fp_denorm_src 0
		.amdhsa_exception_fp_ieee_div_zero 0
		.amdhsa_exception_fp_ieee_overflow 0
		.amdhsa_exception_fp_ieee_underflow 0
		.amdhsa_exception_fp_ieee_inexact 0
		.amdhsa_exception_int_div_zero 0
	.end_amdhsa_kernel
	.section	.text._ZN7rocprim17ROCPRIM_400000_NS6detail17trampoline_kernelINS0_14default_configENS1_25partition_config_selectorILNS1_17partition_subalgoE9EssbEEZZNS1_14partition_implILS5_9ELb0ES3_jN6thrust23THRUST_200600_302600_NS6detail15normal_iteratorINS9_10device_ptrIsEEEESE_PNS0_10empty_typeENS0_5tupleIJSE_SF_EEENSH_IJSE_SG_EEENS0_18inequality_wrapperI22is_equal_div_10_uniqueIsEEEPmJSF_EEE10hipError_tPvRmT3_T4_T5_T6_T7_T9_mT8_P12ihipStream_tbDpT10_ENKUlT_T0_E_clISt17integral_constantIbLb0EES18_EEDaS13_S14_EUlS13_E_NS1_11comp_targetILNS1_3genE2ELNS1_11target_archE906ELNS1_3gpuE6ELNS1_3repE0EEENS1_30default_config_static_selectorELNS0_4arch9wavefront6targetE0EEEvT1_,"axG",@progbits,_ZN7rocprim17ROCPRIM_400000_NS6detail17trampoline_kernelINS0_14default_configENS1_25partition_config_selectorILNS1_17partition_subalgoE9EssbEEZZNS1_14partition_implILS5_9ELb0ES3_jN6thrust23THRUST_200600_302600_NS6detail15normal_iteratorINS9_10device_ptrIsEEEESE_PNS0_10empty_typeENS0_5tupleIJSE_SF_EEENSH_IJSE_SG_EEENS0_18inequality_wrapperI22is_equal_div_10_uniqueIsEEEPmJSF_EEE10hipError_tPvRmT3_T4_T5_T6_T7_T9_mT8_P12ihipStream_tbDpT10_ENKUlT_T0_E_clISt17integral_constantIbLb0EES18_EEDaS13_S14_EUlS13_E_NS1_11comp_targetILNS1_3genE2ELNS1_11target_archE906ELNS1_3gpuE6ELNS1_3repE0EEENS1_30default_config_static_selectorELNS0_4arch9wavefront6targetE0EEEvT1_,comdat
.Lfunc_end505:
	.size	_ZN7rocprim17ROCPRIM_400000_NS6detail17trampoline_kernelINS0_14default_configENS1_25partition_config_selectorILNS1_17partition_subalgoE9EssbEEZZNS1_14partition_implILS5_9ELb0ES3_jN6thrust23THRUST_200600_302600_NS6detail15normal_iteratorINS9_10device_ptrIsEEEESE_PNS0_10empty_typeENS0_5tupleIJSE_SF_EEENSH_IJSE_SG_EEENS0_18inequality_wrapperI22is_equal_div_10_uniqueIsEEEPmJSF_EEE10hipError_tPvRmT3_T4_T5_T6_T7_T9_mT8_P12ihipStream_tbDpT10_ENKUlT_T0_E_clISt17integral_constantIbLb0EES18_EEDaS13_S14_EUlS13_E_NS1_11comp_targetILNS1_3genE2ELNS1_11target_archE906ELNS1_3gpuE6ELNS1_3repE0EEENS1_30default_config_static_selectorELNS0_4arch9wavefront6targetE0EEEvT1_, .Lfunc_end505-_ZN7rocprim17ROCPRIM_400000_NS6detail17trampoline_kernelINS0_14default_configENS1_25partition_config_selectorILNS1_17partition_subalgoE9EssbEEZZNS1_14partition_implILS5_9ELb0ES3_jN6thrust23THRUST_200600_302600_NS6detail15normal_iteratorINS9_10device_ptrIsEEEESE_PNS0_10empty_typeENS0_5tupleIJSE_SF_EEENSH_IJSE_SG_EEENS0_18inequality_wrapperI22is_equal_div_10_uniqueIsEEEPmJSF_EEE10hipError_tPvRmT3_T4_T5_T6_T7_T9_mT8_P12ihipStream_tbDpT10_ENKUlT_T0_E_clISt17integral_constantIbLb0EES18_EEDaS13_S14_EUlS13_E_NS1_11comp_targetILNS1_3genE2ELNS1_11target_archE906ELNS1_3gpuE6ELNS1_3repE0EEENS1_30default_config_static_selectorELNS0_4arch9wavefront6targetE0EEEvT1_
                                        ; -- End function
	.section	.AMDGPU.csdata,"",@progbits
; Kernel info:
; codeLenInByte = 0
; NumSgprs: 0
; NumVgprs: 0
; ScratchSize: 0
; MemoryBound: 0
; FloatMode: 240
; IeeeMode: 1
; LDSByteSize: 0 bytes/workgroup (compile time only)
; SGPRBlocks: 0
; VGPRBlocks: 0
; NumSGPRsForWavesPerEU: 1
; NumVGPRsForWavesPerEU: 1
; Occupancy: 16
; WaveLimiterHint : 0
; COMPUTE_PGM_RSRC2:SCRATCH_EN: 0
; COMPUTE_PGM_RSRC2:USER_SGPR: 15
; COMPUTE_PGM_RSRC2:TRAP_HANDLER: 0
; COMPUTE_PGM_RSRC2:TGID_X_EN: 1
; COMPUTE_PGM_RSRC2:TGID_Y_EN: 0
; COMPUTE_PGM_RSRC2:TGID_Z_EN: 0
; COMPUTE_PGM_RSRC2:TIDIG_COMP_CNT: 0
	.section	.text._ZN7rocprim17ROCPRIM_400000_NS6detail17trampoline_kernelINS0_14default_configENS1_25partition_config_selectorILNS1_17partition_subalgoE9EssbEEZZNS1_14partition_implILS5_9ELb0ES3_jN6thrust23THRUST_200600_302600_NS6detail15normal_iteratorINS9_10device_ptrIsEEEESE_PNS0_10empty_typeENS0_5tupleIJSE_SF_EEENSH_IJSE_SG_EEENS0_18inequality_wrapperI22is_equal_div_10_uniqueIsEEEPmJSF_EEE10hipError_tPvRmT3_T4_T5_T6_T7_T9_mT8_P12ihipStream_tbDpT10_ENKUlT_T0_E_clISt17integral_constantIbLb0EES18_EEDaS13_S14_EUlS13_E_NS1_11comp_targetILNS1_3genE10ELNS1_11target_archE1200ELNS1_3gpuE4ELNS1_3repE0EEENS1_30default_config_static_selectorELNS0_4arch9wavefront6targetE0EEEvT1_,"axG",@progbits,_ZN7rocprim17ROCPRIM_400000_NS6detail17trampoline_kernelINS0_14default_configENS1_25partition_config_selectorILNS1_17partition_subalgoE9EssbEEZZNS1_14partition_implILS5_9ELb0ES3_jN6thrust23THRUST_200600_302600_NS6detail15normal_iteratorINS9_10device_ptrIsEEEESE_PNS0_10empty_typeENS0_5tupleIJSE_SF_EEENSH_IJSE_SG_EEENS0_18inequality_wrapperI22is_equal_div_10_uniqueIsEEEPmJSF_EEE10hipError_tPvRmT3_T4_T5_T6_T7_T9_mT8_P12ihipStream_tbDpT10_ENKUlT_T0_E_clISt17integral_constantIbLb0EES18_EEDaS13_S14_EUlS13_E_NS1_11comp_targetILNS1_3genE10ELNS1_11target_archE1200ELNS1_3gpuE4ELNS1_3repE0EEENS1_30default_config_static_selectorELNS0_4arch9wavefront6targetE0EEEvT1_,comdat
	.protected	_ZN7rocprim17ROCPRIM_400000_NS6detail17trampoline_kernelINS0_14default_configENS1_25partition_config_selectorILNS1_17partition_subalgoE9EssbEEZZNS1_14partition_implILS5_9ELb0ES3_jN6thrust23THRUST_200600_302600_NS6detail15normal_iteratorINS9_10device_ptrIsEEEESE_PNS0_10empty_typeENS0_5tupleIJSE_SF_EEENSH_IJSE_SG_EEENS0_18inequality_wrapperI22is_equal_div_10_uniqueIsEEEPmJSF_EEE10hipError_tPvRmT3_T4_T5_T6_T7_T9_mT8_P12ihipStream_tbDpT10_ENKUlT_T0_E_clISt17integral_constantIbLb0EES18_EEDaS13_S14_EUlS13_E_NS1_11comp_targetILNS1_3genE10ELNS1_11target_archE1200ELNS1_3gpuE4ELNS1_3repE0EEENS1_30default_config_static_selectorELNS0_4arch9wavefront6targetE0EEEvT1_ ; -- Begin function _ZN7rocprim17ROCPRIM_400000_NS6detail17trampoline_kernelINS0_14default_configENS1_25partition_config_selectorILNS1_17partition_subalgoE9EssbEEZZNS1_14partition_implILS5_9ELb0ES3_jN6thrust23THRUST_200600_302600_NS6detail15normal_iteratorINS9_10device_ptrIsEEEESE_PNS0_10empty_typeENS0_5tupleIJSE_SF_EEENSH_IJSE_SG_EEENS0_18inequality_wrapperI22is_equal_div_10_uniqueIsEEEPmJSF_EEE10hipError_tPvRmT3_T4_T5_T6_T7_T9_mT8_P12ihipStream_tbDpT10_ENKUlT_T0_E_clISt17integral_constantIbLb0EES18_EEDaS13_S14_EUlS13_E_NS1_11comp_targetILNS1_3genE10ELNS1_11target_archE1200ELNS1_3gpuE4ELNS1_3repE0EEENS1_30default_config_static_selectorELNS0_4arch9wavefront6targetE0EEEvT1_
	.globl	_ZN7rocprim17ROCPRIM_400000_NS6detail17trampoline_kernelINS0_14default_configENS1_25partition_config_selectorILNS1_17partition_subalgoE9EssbEEZZNS1_14partition_implILS5_9ELb0ES3_jN6thrust23THRUST_200600_302600_NS6detail15normal_iteratorINS9_10device_ptrIsEEEESE_PNS0_10empty_typeENS0_5tupleIJSE_SF_EEENSH_IJSE_SG_EEENS0_18inequality_wrapperI22is_equal_div_10_uniqueIsEEEPmJSF_EEE10hipError_tPvRmT3_T4_T5_T6_T7_T9_mT8_P12ihipStream_tbDpT10_ENKUlT_T0_E_clISt17integral_constantIbLb0EES18_EEDaS13_S14_EUlS13_E_NS1_11comp_targetILNS1_3genE10ELNS1_11target_archE1200ELNS1_3gpuE4ELNS1_3repE0EEENS1_30default_config_static_selectorELNS0_4arch9wavefront6targetE0EEEvT1_
	.p2align	8
	.type	_ZN7rocprim17ROCPRIM_400000_NS6detail17trampoline_kernelINS0_14default_configENS1_25partition_config_selectorILNS1_17partition_subalgoE9EssbEEZZNS1_14partition_implILS5_9ELb0ES3_jN6thrust23THRUST_200600_302600_NS6detail15normal_iteratorINS9_10device_ptrIsEEEESE_PNS0_10empty_typeENS0_5tupleIJSE_SF_EEENSH_IJSE_SG_EEENS0_18inequality_wrapperI22is_equal_div_10_uniqueIsEEEPmJSF_EEE10hipError_tPvRmT3_T4_T5_T6_T7_T9_mT8_P12ihipStream_tbDpT10_ENKUlT_T0_E_clISt17integral_constantIbLb0EES18_EEDaS13_S14_EUlS13_E_NS1_11comp_targetILNS1_3genE10ELNS1_11target_archE1200ELNS1_3gpuE4ELNS1_3repE0EEENS1_30default_config_static_selectorELNS0_4arch9wavefront6targetE0EEEvT1_,@function
_ZN7rocprim17ROCPRIM_400000_NS6detail17trampoline_kernelINS0_14default_configENS1_25partition_config_selectorILNS1_17partition_subalgoE9EssbEEZZNS1_14partition_implILS5_9ELb0ES3_jN6thrust23THRUST_200600_302600_NS6detail15normal_iteratorINS9_10device_ptrIsEEEESE_PNS0_10empty_typeENS0_5tupleIJSE_SF_EEENSH_IJSE_SG_EEENS0_18inequality_wrapperI22is_equal_div_10_uniqueIsEEEPmJSF_EEE10hipError_tPvRmT3_T4_T5_T6_T7_T9_mT8_P12ihipStream_tbDpT10_ENKUlT_T0_E_clISt17integral_constantIbLb0EES18_EEDaS13_S14_EUlS13_E_NS1_11comp_targetILNS1_3genE10ELNS1_11target_archE1200ELNS1_3gpuE4ELNS1_3repE0EEENS1_30default_config_static_selectorELNS0_4arch9wavefront6targetE0EEEvT1_: ; @_ZN7rocprim17ROCPRIM_400000_NS6detail17trampoline_kernelINS0_14default_configENS1_25partition_config_selectorILNS1_17partition_subalgoE9EssbEEZZNS1_14partition_implILS5_9ELb0ES3_jN6thrust23THRUST_200600_302600_NS6detail15normal_iteratorINS9_10device_ptrIsEEEESE_PNS0_10empty_typeENS0_5tupleIJSE_SF_EEENSH_IJSE_SG_EEENS0_18inequality_wrapperI22is_equal_div_10_uniqueIsEEEPmJSF_EEE10hipError_tPvRmT3_T4_T5_T6_T7_T9_mT8_P12ihipStream_tbDpT10_ENKUlT_T0_E_clISt17integral_constantIbLb0EES18_EEDaS13_S14_EUlS13_E_NS1_11comp_targetILNS1_3genE10ELNS1_11target_archE1200ELNS1_3gpuE4ELNS1_3repE0EEENS1_30default_config_static_selectorELNS0_4arch9wavefront6targetE0EEEvT1_
; %bb.0:
	.section	.rodata,"a",@progbits
	.p2align	6, 0x0
	.amdhsa_kernel _ZN7rocprim17ROCPRIM_400000_NS6detail17trampoline_kernelINS0_14default_configENS1_25partition_config_selectorILNS1_17partition_subalgoE9EssbEEZZNS1_14partition_implILS5_9ELb0ES3_jN6thrust23THRUST_200600_302600_NS6detail15normal_iteratorINS9_10device_ptrIsEEEESE_PNS0_10empty_typeENS0_5tupleIJSE_SF_EEENSH_IJSE_SG_EEENS0_18inequality_wrapperI22is_equal_div_10_uniqueIsEEEPmJSF_EEE10hipError_tPvRmT3_T4_T5_T6_T7_T9_mT8_P12ihipStream_tbDpT10_ENKUlT_T0_E_clISt17integral_constantIbLb0EES18_EEDaS13_S14_EUlS13_E_NS1_11comp_targetILNS1_3genE10ELNS1_11target_archE1200ELNS1_3gpuE4ELNS1_3repE0EEENS1_30default_config_static_selectorELNS0_4arch9wavefront6targetE0EEEvT1_
		.amdhsa_group_segment_fixed_size 0
		.amdhsa_private_segment_fixed_size 0
		.amdhsa_kernarg_size 112
		.amdhsa_user_sgpr_count 15
		.amdhsa_user_sgpr_dispatch_ptr 0
		.amdhsa_user_sgpr_queue_ptr 0
		.amdhsa_user_sgpr_kernarg_segment_ptr 1
		.amdhsa_user_sgpr_dispatch_id 0
		.amdhsa_user_sgpr_private_segment_size 0
		.amdhsa_wavefront_size32 1
		.amdhsa_uses_dynamic_stack 0
		.amdhsa_enable_private_segment 0
		.amdhsa_system_sgpr_workgroup_id_x 1
		.amdhsa_system_sgpr_workgroup_id_y 0
		.amdhsa_system_sgpr_workgroup_id_z 0
		.amdhsa_system_sgpr_workgroup_info 0
		.amdhsa_system_vgpr_workitem_id 0
		.amdhsa_next_free_vgpr 1
		.amdhsa_next_free_sgpr 1
		.amdhsa_reserve_vcc 0
		.amdhsa_float_round_mode_32 0
		.amdhsa_float_round_mode_16_64 0
		.amdhsa_float_denorm_mode_32 3
		.amdhsa_float_denorm_mode_16_64 3
		.amdhsa_dx10_clamp 1
		.amdhsa_ieee_mode 1
		.amdhsa_fp16_overflow 0
		.amdhsa_workgroup_processor_mode 1
		.amdhsa_memory_ordered 1
		.amdhsa_forward_progress 0
		.amdhsa_shared_vgpr_count 0
		.amdhsa_exception_fp_ieee_invalid_op 0
		.amdhsa_exception_fp_denorm_src 0
		.amdhsa_exception_fp_ieee_div_zero 0
		.amdhsa_exception_fp_ieee_overflow 0
		.amdhsa_exception_fp_ieee_underflow 0
		.amdhsa_exception_fp_ieee_inexact 0
		.amdhsa_exception_int_div_zero 0
	.end_amdhsa_kernel
	.section	.text._ZN7rocprim17ROCPRIM_400000_NS6detail17trampoline_kernelINS0_14default_configENS1_25partition_config_selectorILNS1_17partition_subalgoE9EssbEEZZNS1_14partition_implILS5_9ELb0ES3_jN6thrust23THRUST_200600_302600_NS6detail15normal_iteratorINS9_10device_ptrIsEEEESE_PNS0_10empty_typeENS0_5tupleIJSE_SF_EEENSH_IJSE_SG_EEENS0_18inequality_wrapperI22is_equal_div_10_uniqueIsEEEPmJSF_EEE10hipError_tPvRmT3_T4_T5_T6_T7_T9_mT8_P12ihipStream_tbDpT10_ENKUlT_T0_E_clISt17integral_constantIbLb0EES18_EEDaS13_S14_EUlS13_E_NS1_11comp_targetILNS1_3genE10ELNS1_11target_archE1200ELNS1_3gpuE4ELNS1_3repE0EEENS1_30default_config_static_selectorELNS0_4arch9wavefront6targetE0EEEvT1_,"axG",@progbits,_ZN7rocprim17ROCPRIM_400000_NS6detail17trampoline_kernelINS0_14default_configENS1_25partition_config_selectorILNS1_17partition_subalgoE9EssbEEZZNS1_14partition_implILS5_9ELb0ES3_jN6thrust23THRUST_200600_302600_NS6detail15normal_iteratorINS9_10device_ptrIsEEEESE_PNS0_10empty_typeENS0_5tupleIJSE_SF_EEENSH_IJSE_SG_EEENS0_18inequality_wrapperI22is_equal_div_10_uniqueIsEEEPmJSF_EEE10hipError_tPvRmT3_T4_T5_T6_T7_T9_mT8_P12ihipStream_tbDpT10_ENKUlT_T0_E_clISt17integral_constantIbLb0EES18_EEDaS13_S14_EUlS13_E_NS1_11comp_targetILNS1_3genE10ELNS1_11target_archE1200ELNS1_3gpuE4ELNS1_3repE0EEENS1_30default_config_static_selectorELNS0_4arch9wavefront6targetE0EEEvT1_,comdat
.Lfunc_end506:
	.size	_ZN7rocprim17ROCPRIM_400000_NS6detail17trampoline_kernelINS0_14default_configENS1_25partition_config_selectorILNS1_17partition_subalgoE9EssbEEZZNS1_14partition_implILS5_9ELb0ES3_jN6thrust23THRUST_200600_302600_NS6detail15normal_iteratorINS9_10device_ptrIsEEEESE_PNS0_10empty_typeENS0_5tupleIJSE_SF_EEENSH_IJSE_SG_EEENS0_18inequality_wrapperI22is_equal_div_10_uniqueIsEEEPmJSF_EEE10hipError_tPvRmT3_T4_T5_T6_T7_T9_mT8_P12ihipStream_tbDpT10_ENKUlT_T0_E_clISt17integral_constantIbLb0EES18_EEDaS13_S14_EUlS13_E_NS1_11comp_targetILNS1_3genE10ELNS1_11target_archE1200ELNS1_3gpuE4ELNS1_3repE0EEENS1_30default_config_static_selectorELNS0_4arch9wavefront6targetE0EEEvT1_, .Lfunc_end506-_ZN7rocprim17ROCPRIM_400000_NS6detail17trampoline_kernelINS0_14default_configENS1_25partition_config_selectorILNS1_17partition_subalgoE9EssbEEZZNS1_14partition_implILS5_9ELb0ES3_jN6thrust23THRUST_200600_302600_NS6detail15normal_iteratorINS9_10device_ptrIsEEEESE_PNS0_10empty_typeENS0_5tupleIJSE_SF_EEENSH_IJSE_SG_EEENS0_18inequality_wrapperI22is_equal_div_10_uniqueIsEEEPmJSF_EEE10hipError_tPvRmT3_T4_T5_T6_T7_T9_mT8_P12ihipStream_tbDpT10_ENKUlT_T0_E_clISt17integral_constantIbLb0EES18_EEDaS13_S14_EUlS13_E_NS1_11comp_targetILNS1_3genE10ELNS1_11target_archE1200ELNS1_3gpuE4ELNS1_3repE0EEENS1_30default_config_static_selectorELNS0_4arch9wavefront6targetE0EEEvT1_
                                        ; -- End function
	.section	.AMDGPU.csdata,"",@progbits
; Kernel info:
; codeLenInByte = 0
; NumSgprs: 0
; NumVgprs: 0
; ScratchSize: 0
; MemoryBound: 0
; FloatMode: 240
; IeeeMode: 1
; LDSByteSize: 0 bytes/workgroup (compile time only)
; SGPRBlocks: 0
; VGPRBlocks: 0
; NumSGPRsForWavesPerEU: 1
; NumVGPRsForWavesPerEU: 1
; Occupancy: 16
; WaveLimiterHint : 0
; COMPUTE_PGM_RSRC2:SCRATCH_EN: 0
; COMPUTE_PGM_RSRC2:USER_SGPR: 15
; COMPUTE_PGM_RSRC2:TRAP_HANDLER: 0
; COMPUTE_PGM_RSRC2:TGID_X_EN: 1
; COMPUTE_PGM_RSRC2:TGID_Y_EN: 0
; COMPUTE_PGM_RSRC2:TGID_Z_EN: 0
; COMPUTE_PGM_RSRC2:TIDIG_COMP_CNT: 0
	.section	.text._ZN7rocprim17ROCPRIM_400000_NS6detail17trampoline_kernelINS0_14default_configENS1_25partition_config_selectorILNS1_17partition_subalgoE9EssbEEZZNS1_14partition_implILS5_9ELb0ES3_jN6thrust23THRUST_200600_302600_NS6detail15normal_iteratorINS9_10device_ptrIsEEEESE_PNS0_10empty_typeENS0_5tupleIJSE_SF_EEENSH_IJSE_SG_EEENS0_18inequality_wrapperI22is_equal_div_10_uniqueIsEEEPmJSF_EEE10hipError_tPvRmT3_T4_T5_T6_T7_T9_mT8_P12ihipStream_tbDpT10_ENKUlT_T0_E_clISt17integral_constantIbLb0EES18_EEDaS13_S14_EUlS13_E_NS1_11comp_targetILNS1_3genE9ELNS1_11target_archE1100ELNS1_3gpuE3ELNS1_3repE0EEENS1_30default_config_static_selectorELNS0_4arch9wavefront6targetE0EEEvT1_,"axG",@progbits,_ZN7rocprim17ROCPRIM_400000_NS6detail17trampoline_kernelINS0_14default_configENS1_25partition_config_selectorILNS1_17partition_subalgoE9EssbEEZZNS1_14partition_implILS5_9ELb0ES3_jN6thrust23THRUST_200600_302600_NS6detail15normal_iteratorINS9_10device_ptrIsEEEESE_PNS0_10empty_typeENS0_5tupleIJSE_SF_EEENSH_IJSE_SG_EEENS0_18inequality_wrapperI22is_equal_div_10_uniqueIsEEEPmJSF_EEE10hipError_tPvRmT3_T4_T5_T6_T7_T9_mT8_P12ihipStream_tbDpT10_ENKUlT_T0_E_clISt17integral_constantIbLb0EES18_EEDaS13_S14_EUlS13_E_NS1_11comp_targetILNS1_3genE9ELNS1_11target_archE1100ELNS1_3gpuE3ELNS1_3repE0EEENS1_30default_config_static_selectorELNS0_4arch9wavefront6targetE0EEEvT1_,comdat
	.protected	_ZN7rocprim17ROCPRIM_400000_NS6detail17trampoline_kernelINS0_14default_configENS1_25partition_config_selectorILNS1_17partition_subalgoE9EssbEEZZNS1_14partition_implILS5_9ELb0ES3_jN6thrust23THRUST_200600_302600_NS6detail15normal_iteratorINS9_10device_ptrIsEEEESE_PNS0_10empty_typeENS0_5tupleIJSE_SF_EEENSH_IJSE_SG_EEENS0_18inequality_wrapperI22is_equal_div_10_uniqueIsEEEPmJSF_EEE10hipError_tPvRmT3_T4_T5_T6_T7_T9_mT8_P12ihipStream_tbDpT10_ENKUlT_T0_E_clISt17integral_constantIbLb0EES18_EEDaS13_S14_EUlS13_E_NS1_11comp_targetILNS1_3genE9ELNS1_11target_archE1100ELNS1_3gpuE3ELNS1_3repE0EEENS1_30default_config_static_selectorELNS0_4arch9wavefront6targetE0EEEvT1_ ; -- Begin function _ZN7rocprim17ROCPRIM_400000_NS6detail17trampoline_kernelINS0_14default_configENS1_25partition_config_selectorILNS1_17partition_subalgoE9EssbEEZZNS1_14partition_implILS5_9ELb0ES3_jN6thrust23THRUST_200600_302600_NS6detail15normal_iteratorINS9_10device_ptrIsEEEESE_PNS0_10empty_typeENS0_5tupleIJSE_SF_EEENSH_IJSE_SG_EEENS0_18inequality_wrapperI22is_equal_div_10_uniqueIsEEEPmJSF_EEE10hipError_tPvRmT3_T4_T5_T6_T7_T9_mT8_P12ihipStream_tbDpT10_ENKUlT_T0_E_clISt17integral_constantIbLb0EES18_EEDaS13_S14_EUlS13_E_NS1_11comp_targetILNS1_3genE9ELNS1_11target_archE1100ELNS1_3gpuE3ELNS1_3repE0EEENS1_30default_config_static_selectorELNS0_4arch9wavefront6targetE0EEEvT1_
	.globl	_ZN7rocprim17ROCPRIM_400000_NS6detail17trampoline_kernelINS0_14default_configENS1_25partition_config_selectorILNS1_17partition_subalgoE9EssbEEZZNS1_14partition_implILS5_9ELb0ES3_jN6thrust23THRUST_200600_302600_NS6detail15normal_iteratorINS9_10device_ptrIsEEEESE_PNS0_10empty_typeENS0_5tupleIJSE_SF_EEENSH_IJSE_SG_EEENS0_18inequality_wrapperI22is_equal_div_10_uniqueIsEEEPmJSF_EEE10hipError_tPvRmT3_T4_T5_T6_T7_T9_mT8_P12ihipStream_tbDpT10_ENKUlT_T0_E_clISt17integral_constantIbLb0EES18_EEDaS13_S14_EUlS13_E_NS1_11comp_targetILNS1_3genE9ELNS1_11target_archE1100ELNS1_3gpuE3ELNS1_3repE0EEENS1_30default_config_static_selectorELNS0_4arch9wavefront6targetE0EEEvT1_
	.p2align	8
	.type	_ZN7rocprim17ROCPRIM_400000_NS6detail17trampoline_kernelINS0_14default_configENS1_25partition_config_selectorILNS1_17partition_subalgoE9EssbEEZZNS1_14partition_implILS5_9ELb0ES3_jN6thrust23THRUST_200600_302600_NS6detail15normal_iteratorINS9_10device_ptrIsEEEESE_PNS0_10empty_typeENS0_5tupleIJSE_SF_EEENSH_IJSE_SG_EEENS0_18inequality_wrapperI22is_equal_div_10_uniqueIsEEEPmJSF_EEE10hipError_tPvRmT3_T4_T5_T6_T7_T9_mT8_P12ihipStream_tbDpT10_ENKUlT_T0_E_clISt17integral_constantIbLb0EES18_EEDaS13_S14_EUlS13_E_NS1_11comp_targetILNS1_3genE9ELNS1_11target_archE1100ELNS1_3gpuE3ELNS1_3repE0EEENS1_30default_config_static_selectorELNS0_4arch9wavefront6targetE0EEEvT1_,@function
_ZN7rocprim17ROCPRIM_400000_NS6detail17trampoline_kernelINS0_14default_configENS1_25partition_config_selectorILNS1_17partition_subalgoE9EssbEEZZNS1_14partition_implILS5_9ELb0ES3_jN6thrust23THRUST_200600_302600_NS6detail15normal_iteratorINS9_10device_ptrIsEEEESE_PNS0_10empty_typeENS0_5tupleIJSE_SF_EEENSH_IJSE_SG_EEENS0_18inequality_wrapperI22is_equal_div_10_uniqueIsEEEPmJSF_EEE10hipError_tPvRmT3_T4_T5_T6_T7_T9_mT8_P12ihipStream_tbDpT10_ENKUlT_T0_E_clISt17integral_constantIbLb0EES18_EEDaS13_S14_EUlS13_E_NS1_11comp_targetILNS1_3genE9ELNS1_11target_archE1100ELNS1_3gpuE3ELNS1_3repE0EEENS1_30default_config_static_selectorELNS0_4arch9wavefront6targetE0EEEvT1_: ; @_ZN7rocprim17ROCPRIM_400000_NS6detail17trampoline_kernelINS0_14default_configENS1_25partition_config_selectorILNS1_17partition_subalgoE9EssbEEZZNS1_14partition_implILS5_9ELb0ES3_jN6thrust23THRUST_200600_302600_NS6detail15normal_iteratorINS9_10device_ptrIsEEEESE_PNS0_10empty_typeENS0_5tupleIJSE_SF_EEENSH_IJSE_SG_EEENS0_18inequality_wrapperI22is_equal_div_10_uniqueIsEEEPmJSF_EEE10hipError_tPvRmT3_T4_T5_T6_T7_T9_mT8_P12ihipStream_tbDpT10_ENKUlT_T0_E_clISt17integral_constantIbLb0EES18_EEDaS13_S14_EUlS13_E_NS1_11comp_targetILNS1_3genE9ELNS1_11target_archE1100ELNS1_3gpuE3ELNS1_3repE0EEENS1_30default_config_static_selectorELNS0_4arch9wavefront6targetE0EEEvT1_
; %bb.0:
	s_clause 0x4
	s_load_b128 s[4:7], s[0:1], 0x8
	s_load_b32 s14, s[0:1], 0x68
	s_load_b128 s[16:19], s[0:1], 0x40
	s_load_b64 s[2:3], s[0:1], 0x50
	s_load_b64 s[8:9], s[0:1], 0x18
	s_waitcnt lgkmcnt(0)
	s_lshl_b64 s[12:13], s[6:7], 1
	s_mul_i32 s20, s14, 0x600
	s_add_u32 s21, s4, s12
	s_addc_u32 s22, s5, s13
	s_add_i32 s4, s20, s6
	s_load_b64 s[10:11], s[18:19], 0x0
	s_sub_i32 s19, s2, s4
	s_add_i32 s14, s14, -1
	s_addk_i32 s19, 0x600
	s_add_u32 s4, s6, s20
	s_addc_u32 s5, s7, 0
	s_cmp_eq_u32 s15, s14
	v_cmp_ge_u64_e64 s2, s[4:5], s[2:3]
	s_cselect_b32 s14, -1, 0
	s_mov_b32 s5, 0
	s_mul_i32 s4, s15, 0x600
	s_delay_alu instid0(SALU_CYCLE_1) | instskip(NEXT) | instid1(VALU_DEP_1)
	s_lshl_b64 s[4:5], s[4:5], 1
	s_and_b32 s3, s14, s2
	s_delay_alu instid0(SALU_CYCLE_1)
	s_xor_b32 s18, s3, -1
	s_add_u32 s21, s21, s4
	s_addc_u32 s20, s22, s5
	s_and_b32 vcc_lo, exec_lo, s18
	s_mov_b32 s22, -1
	s_cbranch_vccz .LBB507_2
; %bb.1:
	v_lshlrev_b32_e32 v3, 1, v0
	s_mov_b32 s22, 0
	s_delay_alu instid0(VALU_DEP_1) | instskip(NEXT) | instid1(VALU_DEP_1)
	v_add_co_u32 v1, s2, s21, v3
	v_add_co_ci_u32_e64 v2, null, s20, 0, s2
	s_clause 0xb
	flat_load_u16 v4, v[1:2]
	flat_load_u16 v5, v[1:2] offset:256
	flat_load_u16 v6, v[1:2] offset:512
	;; [unrolled: 1-line block ×11, first 2 shown]
	s_waitcnt vmcnt(11) lgkmcnt(0)
	ds_store_b16 v3, v4
	s_waitcnt vmcnt(10)
	ds_store_b16 v3, v5 offset:256
	s_waitcnt vmcnt(9)
	ds_store_b16 v3, v6 offset:512
	;; [unrolled: 2-line block ×11, first 2 shown]
	s_waitcnt lgkmcnt(0)
	s_barrier
.LBB507_2:
	v_cmp_gt_u32_e64 s2, s19, v0
	s_and_not1_b32 vcc_lo, exec_lo, s22
	s_cbranch_vccnz .LBB507_28
; %bb.3:
                                        ; implicit-def: $vgpr1_vgpr2_vgpr3_vgpr4_vgpr5_vgpr6_vgpr7_vgpr8
	s_delay_alu instid0(VALU_DEP_1)
	s_and_saveexec_b32 s22, s2
	s_cbranch_execz .LBB507_5
; %bb.4:
	v_lshlrev_b32_e32 v1, 1, v0
	s_delay_alu instid0(VALU_DEP_1) | instskip(NEXT) | instid1(VALU_DEP_1)
	v_add_co_u32 v1, s2, s21, v1
	v_add_co_ci_u32_e64 v2, null, s20, 0, s2
	flat_load_d16_b16 v1, v[1:2]
.LBB507_5:
	s_or_b32 exec_lo, exec_lo, s22
	v_or_b32_e32 v7, 0x80, v0
	s_mov_b32 s2, exec_lo
	s_delay_alu instid0(VALU_DEP_1)
	v_cmpx_gt_u32_e64 s19, v7
	s_cbranch_execz .LBB507_7
; %bb.6:
	v_lshlrev_b32_e32 v7, 1, v0
	s_delay_alu instid0(VALU_DEP_1) | instskip(NEXT) | instid1(VALU_DEP_1)
	v_add_co_u32 v7, s22, s21, v7
	v_add_co_ci_u32_e64 v8, null, s20, 0, s22
	s_waitcnt vmcnt(0) lgkmcnt(0)
	flat_load_d16_hi_b16 v1, v[7:8] offset:256
.LBB507_7:
	s_or_b32 exec_lo, exec_lo, s2
	v_or_b32_e32 v7, 0x100, v0
	s_mov_b32 s2, exec_lo
	s_delay_alu instid0(VALU_DEP_1)
	v_cmpx_gt_u32_e64 s19, v7
	s_cbranch_execz .LBB507_9
; %bb.8:
	v_lshlrev_b32_e32 v7, 1, v0
	s_delay_alu instid0(VALU_DEP_1) | instskip(NEXT) | instid1(VALU_DEP_1)
	v_add_co_u32 v7, s22, s21, v7
	v_add_co_ci_u32_e64 v8, null, s20, 0, s22
	flat_load_d16_b16 v2, v[7:8] offset:512
.LBB507_9:
	s_or_b32 exec_lo, exec_lo, s2
	v_or_b32_e32 v7, 0x180, v0
	s_mov_b32 s2, exec_lo
	s_delay_alu instid0(VALU_DEP_1)
	v_cmpx_gt_u32_e64 s19, v7
	s_cbranch_execz .LBB507_11
; %bb.10:
	v_lshlrev_b32_e32 v7, 1, v0
	s_delay_alu instid0(VALU_DEP_1) | instskip(NEXT) | instid1(VALU_DEP_1)
	v_add_co_u32 v7, s22, s21, v7
	v_add_co_ci_u32_e64 v8, null, s20, 0, s22
	s_waitcnt vmcnt(0) lgkmcnt(0)
	flat_load_d16_hi_b16 v2, v[7:8] offset:768
.LBB507_11:
	s_or_b32 exec_lo, exec_lo, s2
	v_or_b32_e32 v7, 0x200, v0
	s_mov_b32 s2, exec_lo
	s_delay_alu instid0(VALU_DEP_1)
	v_cmpx_gt_u32_e64 s19, v7
	s_cbranch_execz .LBB507_13
; %bb.12:
	v_lshlrev_b32_e32 v7, 1, v0
	s_delay_alu instid0(VALU_DEP_1) | instskip(NEXT) | instid1(VALU_DEP_1)
	v_add_co_u32 v7, s22, s21, v7
	v_add_co_ci_u32_e64 v8, null, s20, 0, s22
	flat_load_d16_b16 v3, v[7:8] offset:1024
.LBB507_13:
	;; [unrolled: 27-line block ×5, first 2 shown]
	s_or_b32 exec_lo, exec_lo, s2
	v_or_b32_e32 v7, 0x580, v0
	s_mov_b32 s2, exec_lo
	s_delay_alu instid0(VALU_DEP_1)
	v_cmpx_gt_u32_e64 s19, v7
	s_cbranch_execz .LBB507_27
; %bb.26:
	v_lshlrev_b32_e32 v7, 1, v0
	s_delay_alu instid0(VALU_DEP_1) | instskip(NEXT) | instid1(VALU_DEP_1)
	v_add_co_u32 v7, s22, s21, v7
	v_add_co_ci_u32_e64 v8, null, s20, 0, s22
	s_waitcnt vmcnt(0) lgkmcnt(0)
	flat_load_d16_hi_b16 v6, v[7:8] offset:2816
.LBB507_27:
	s_or_b32 exec_lo, exec_lo, s2
	v_lshlrev_b32_e32 v7, 1, v0
	s_waitcnt vmcnt(0) lgkmcnt(0)
	ds_store_b16 v7, v1
	ds_store_b16_d16_hi v7, v1 offset:256
	ds_store_b16 v7, v2 offset:512
	ds_store_b16_d16_hi v7, v2 offset:768
	ds_store_b16 v7, v3 offset:1024
	;; [unrolled: 2-line block ×5, first 2 shown]
	ds_store_b16_d16_hi v7, v6 offset:2816
	s_waitcnt lgkmcnt(0)
	s_barrier
.LBB507_28:
	v_mul_u32_u24_e32 v1, 12, v0
	s_waitcnt lgkmcnt(0)
	buffer_gl0_inv
	s_add_u32 s2, s8, s12
	s_addc_u32 s8, s9, s13
	s_add_u32 s2, s2, s4
	v_lshlrev_b32_e32 v8, 1, v1
	s_addc_u32 s4, s8, s5
	s_and_b32 vcc_lo, exec_lo, s18
	s_mov_b32 s5, -1
	ds_load_2addr_b64 v[18:21], v8 offset1:1
	ds_load_b64 v[27:28], v8 offset:16
	s_waitcnt lgkmcnt(0)
	s_barrier
	buffer_gl0_inv
	s_cbranch_vccz .LBB507_30
; %bb.29:
	v_lshlrev_b32_e32 v4, 1, v0
	s_delay_alu instid0(VALU_DEP_1) | instskip(NEXT) | instid1(VALU_DEP_1)
	v_add_co_u32 v2, s5, s2, v4
	v_add_co_ci_u32_e64 v3, null, s4, 0, s5
	s_mov_b32 s5, 0
	s_clause 0xb
	flat_load_u16 v5, v[2:3]
	flat_load_u16 v6, v[2:3] offset:256
	flat_load_u16 v7, v[2:3] offset:512
	;; [unrolled: 1-line block ×11, first 2 shown]
	s_waitcnt vmcnt(11) lgkmcnt(11)
	ds_store_b16 v4, v5
	s_waitcnt vmcnt(10) lgkmcnt(11)
	ds_store_b16 v4, v6 offset:256
	s_waitcnt vmcnt(9) lgkmcnt(11)
	ds_store_b16 v4, v7 offset:512
	;; [unrolled: 2-line block ×11, first 2 shown]
	s_waitcnt lgkmcnt(0)
	s_barrier
.LBB507_30:
	s_and_not1_b32 vcc_lo, exec_lo, s5
	s_cbranch_vccnz .LBB507_56
; %bb.31:
	s_mov_b32 s5, exec_lo
                                        ; implicit-def: $vgpr2
	v_cmpx_gt_u32_e64 s19, v0
	s_cbranch_execz .LBB507_33
; %bb.32:
	v_lshlrev_b32_e32 v2, 1, v0
	s_delay_alu instid0(VALU_DEP_1) | instskip(NEXT) | instid1(VALU_DEP_1)
	v_add_co_u32 v2, s8, s2, v2
	v_add_co_ci_u32_e64 v3, null, s4, 0, s8
	flat_load_u16 v2, v[2:3]
.LBB507_33:
	s_or_b32 exec_lo, exec_lo, s5
	v_or_b32_e32 v3, 0x80, v0
	s_delay_alu instid0(VALU_DEP_1)
	v_cmp_gt_u32_e32 vcc_lo, s19, v3
                                        ; implicit-def: $vgpr3
	s_and_saveexec_b32 s5, vcc_lo
	s_cbranch_execz .LBB507_35
; %bb.34:
	v_lshlrev_b32_e32 v3, 1, v0
	s_delay_alu instid0(VALU_DEP_1) | instskip(NEXT) | instid1(VALU_DEP_1)
	v_add_co_u32 v3, s8, s2, v3
	v_add_co_ci_u32_e64 v4, null, s4, 0, s8
	flat_load_u16 v3, v[3:4] offset:256
.LBB507_35:
	s_or_b32 exec_lo, exec_lo, s5
	v_or_b32_e32 v4, 0x100, v0
	s_delay_alu instid0(VALU_DEP_1)
	v_cmp_gt_u32_e32 vcc_lo, s19, v4
                                        ; implicit-def: $vgpr4
	s_and_saveexec_b32 s5, vcc_lo
	s_cbranch_execz .LBB507_37
; %bb.36:
	v_lshlrev_b32_e32 v4, 1, v0
	s_delay_alu instid0(VALU_DEP_1) | instskip(NEXT) | instid1(VALU_DEP_1)
	v_add_co_u32 v4, s8, s2, v4
	v_add_co_ci_u32_e64 v5, null, s4, 0, s8
	flat_load_u16 v4, v[4:5] offset:512
.LBB507_37:
	s_or_b32 exec_lo, exec_lo, s5
	v_or_b32_e32 v5, 0x180, v0
	s_delay_alu instid0(VALU_DEP_1)
	v_cmp_gt_u32_e32 vcc_lo, s19, v5
                                        ; implicit-def: $vgpr5
	s_and_saveexec_b32 s5, vcc_lo
	s_cbranch_execz .LBB507_39
; %bb.38:
	v_lshlrev_b32_e32 v5, 1, v0
	s_delay_alu instid0(VALU_DEP_1) | instskip(NEXT) | instid1(VALU_DEP_1)
	v_add_co_u32 v5, s8, s2, v5
	v_add_co_ci_u32_e64 v6, null, s4, 0, s8
	flat_load_u16 v5, v[5:6] offset:768
.LBB507_39:
	s_or_b32 exec_lo, exec_lo, s5
	v_or_b32_e32 v6, 0x200, v0
	s_delay_alu instid0(VALU_DEP_1)
	v_cmp_gt_u32_e32 vcc_lo, s19, v6
                                        ; implicit-def: $vgpr6
	s_and_saveexec_b32 s5, vcc_lo
	s_cbranch_execz .LBB507_41
; %bb.40:
	v_lshlrev_b32_e32 v6, 1, v0
	s_delay_alu instid0(VALU_DEP_1) | instskip(NEXT) | instid1(VALU_DEP_1)
	v_add_co_u32 v6, s8, s2, v6
	v_add_co_ci_u32_e64 v7, null, s4, 0, s8
	flat_load_u16 v6, v[6:7] offset:1024
.LBB507_41:
	s_or_b32 exec_lo, exec_lo, s5
	v_or_b32_e32 v7, 0x280, v0
	s_delay_alu instid0(VALU_DEP_1)
	v_cmp_gt_u32_e32 vcc_lo, s19, v7
                                        ; implicit-def: $vgpr7
	s_and_saveexec_b32 s5, vcc_lo
	s_cbranch_execz .LBB507_43
; %bb.42:
	v_lshlrev_b32_e32 v7, 1, v0
	s_delay_alu instid0(VALU_DEP_1) | instskip(NEXT) | instid1(VALU_DEP_1)
	v_add_co_u32 v9, s8, s2, v7
	v_add_co_ci_u32_e64 v10, null, s4, 0, s8
	flat_load_u16 v7, v[9:10] offset:1280
.LBB507_43:
	s_or_b32 exec_lo, exec_lo, s5
	v_or_b32_e32 v9, 0x300, v0
	s_delay_alu instid0(VALU_DEP_1)
	v_cmp_gt_u32_e32 vcc_lo, s19, v9
                                        ; implicit-def: $vgpr9
	s_and_saveexec_b32 s5, vcc_lo
	s_cbranch_execz .LBB507_45
; %bb.44:
	v_lshlrev_b32_e32 v9, 1, v0
	s_delay_alu instid0(VALU_DEP_1) | instskip(NEXT) | instid1(VALU_DEP_1)
	v_add_co_u32 v9, s8, s2, v9
	v_add_co_ci_u32_e64 v10, null, s4, 0, s8
	flat_load_u16 v9, v[9:10] offset:1536
.LBB507_45:
	s_or_b32 exec_lo, exec_lo, s5
	v_or_b32_e32 v10, 0x380, v0
	s_delay_alu instid0(VALU_DEP_1)
	v_cmp_gt_u32_e32 vcc_lo, s19, v10
                                        ; implicit-def: $vgpr10
	s_and_saveexec_b32 s5, vcc_lo
	s_cbranch_execz .LBB507_47
; %bb.46:
	v_lshlrev_b32_e32 v10, 1, v0
	s_delay_alu instid0(VALU_DEP_1) | instskip(NEXT) | instid1(VALU_DEP_1)
	v_add_co_u32 v10, s8, s2, v10
	v_add_co_ci_u32_e64 v11, null, s4, 0, s8
	flat_load_u16 v10, v[10:11] offset:1792
.LBB507_47:
	s_or_b32 exec_lo, exec_lo, s5
	v_or_b32_e32 v11, 0x400, v0
	s_delay_alu instid0(VALU_DEP_1)
	v_cmp_gt_u32_e32 vcc_lo, s19, v11
                                        ; implicit-def: $vgpr11
	s_and_saveexec_b32 s5, vcc_lo
	s_cbranch_execz .LBB507_49
; %bb.48:
	v_lshlrev_b32_e32 v11, 1, v0
	s_delay_alu instid0(VALU_DEP_1) | instskip(NEXT) | instid1(VALU_DEP_1)
	v_add_co_u32 v11, s8, s2, v11
	v_add_co_ci_u32_e64 v12, null, s4, 0, s8
	flat_load_u16 v11, v[11:12] offset:2048
.LBB507_49:
	s_or_b32 exec_lo, exec_lo, s5
	v_or_b32_e32 v12, 0x480, v0
	s_delay_alu instid0(VALU_DEP_1)
	v_cmp_gt_u32_e32 vcc_lo, s19, v12
                                        ; implicit-def: $vgpr12
	s_and_saveexec_b32 s5, vcc_lo
	s_cbranch_execz .LBB507_51
; %bb.50:
	v_lshlrev_b32_e32 v12, 1, v0
	s_delay_alu instid0(VALU_DEP_1) | instskip(NEXT) | instid1(VALU_DEP_1)
	v_add_co_u32 v12, s8, s2, v12
	v_add_co_ci_u32_e64 v13, null, s4, 0, s8
	flat_load_u16 v12, v[12:13] offset:2304
.LBB507_51:
	s_or_b32 exec_lo, exec_lo, s5
	v_or_b32_e32 v13, 0x500, v0
	s_delay_alu instid0(VALU_DEP_1)
	v_cmp_gt_u32_e32 vcc_lo, s19, v13
                                        ; implicit-def: $vgpr13
	s_and_saveexec_b32 s5, vcc_lo
	s_cbranch_execz .LBB507_53
; %bb.52:
	v_lshlrev_b32_e32 v13, 1, v0
	s_delay_alu instid0(VALU_DEP_1) | instskip(NEXT) | instid1(VALU_DEP_1)
	v_add_co_u32 v13, s8, s2, v13
	v_add_co_ci_u32_e64 v14, null, s4, 0, s8
	flat_load_u16 v13, v[13:14] offset:2560
.LBB507_53:
	s_or_b32 exec_lo, exec_lo, s5
	v_or_b32_e32 v14, 0x580, v0
	s_delay_alu instid0(VALU_DEP_1)
	v_cmp_gt_u32_e32 vcc_lo, s19, v14
                                        ; implicit-def: $vgpr14
	s_and_saveexec_b32 s5, vcc_lo
	s_cbranch_execz .LBB507_55
; %bb.54:
	v_lshlrev_b32_e32 v14, 1, v0
	s_delay_alu instid0(VALU_DEP_1) | instskip(NEXT) | instid1(VALU_DEP_1)
	v_add_co_u32 v14, s2, s2, v14
	v_add_co_ci_u32_e64 v15, null, s4, 0, s2
	flat_load_u16 v14, v[14:15] offset:2816
.LBB507_55:
	s_or_b32 exec_lo, exec_lo, s5
	v_mad_i32_i24 v15, 0xffffffea, v0, v8
	s_waitcnt vmcnt(0) lgkmcnt(0)
	ds_store_b16 v15, v2
	ds_store_b16 v15, v3 offset:256
	ds_store_b16 v15, v4 offset:512
	;; [unrolled: 1-line block ×11, first 2 shown]
	s_waitcnt lgkmcnt(0)
	s_barrier
.LBB507_56:
	buffer_gl0_inv
	ds_load_2addr_b64 v[14:17], v8 offset1:1
	ds_load_b64 v[25:26], v8 offset:16
	s_cmp_lg_u32 s15, 0
	v_lshrrev_b32_e32 v40, 16, v18
	s_cselect_b32 s8, -1, 0
	s_cmp_lg_u64 s[6:7], 0
	v_lshrrev_b32_e32 v39, 16, v19
	s_cselect_b32 s2, -1, 0
	v_lshrrev_b32_e32 v38, 16, v20
	v_lshrrev_b32_e32 v37, 16, v21
	v_or_b32_e32 v12, 1, v1
	v_or_b32_e32 v6, 2, v1
	;; [unrolled: 1-line block ×3, first 2 shown]
	v_add_nc_u32_e32 v7, 4, v1
	v_add_nc_u32_e32 v5, 5, v1
	;; [unrolled: 1-line block ×5, first 2 shown]
	v_lshrrev_b32_e32 v36, 16, v27
	v_lshrrev_b32_e32 v31, 16, v28
	v_add_nc_u32_e32 v10, 9, v1
	v_add_nc_u32_e32 v8, 10, v1
	;; [unrolled: 1-line block ×3, first 2 shown]
	s_or_b32 s2, s8, s2
	s_waitcnt lgkmcnt(0)
	s_and_b32 vcc_lo, exec_lo, s2
	s_mov_b32 s2, 0
	s_barrier
	buffer_gl0_inv
	s_cbranch_vccz .LBB507_61
; %bb.57:
	v_add_co_u32 v22, s2, -2, s21
	s_delay_alu instid0(VALU_DEP_1)
	v_add_co_ci_u32_e64 v23, null, -1, s20, s2
	v_lshlrev_b32_e32 v29, 1, v0
	s_mov_b32 s2, -1
	s_and_b32 vcc_lo, exec_lo, s18
	flat_load_u16 v13, v[22:23]
	ds_store_b16 v29, v31
	s_cbranch_vccz .LBB507_62
; %bb.58:
	s_waitcnt vmcnt(0) lgkmcnt(1)
	v_mov_b32_e32 v22, v13
	s_mov_b32 s2, 0
	s_mov_b32 s4, exec_lo
	s_waitcnt lgkmcnt(0)
	s_barrier
	buffer_gl0_inv
	v_cmpx_ne_u32_e32 0, v0
	s_cbranch_execz .LBB507_60
; %bb.59:
	v_add_nc_u32_e32 v22, -2, v29
	ds_load_u16 v22, v22
.LBB507_60:
	s_or_b32 exec_lo, exec_lo, s4
	v_bfe_i32 v23, v28, 0, 16
	v_bfe_i32 v24, v31, 0, 16
	;; [unrolled: 1-line block ×5, first 2 shown]
	v_mul_i32_i24_e32 v23, 0x6667, v23
	v_mul_i32_i24_e32 v24, 0x6667, v24
	;; [unrolled: 1-line block ×4, first 2 shown]
	v_bfe_i32 v42, v38, 0, 16
	v_lshrrev_b32_e32 v33, 31, v23
	v_ashrrev_i32_e32 v23, 18, v23
	v_lshrrev_b32_e32 v34, 31, v24
	v_ashrrev_i32_e32 v24, 18, v24
	;; [unrolled: 2-line block ×3, first 2 shown]
	v_add_nc_u16 v23, v23, v33
	v_mul_i32_i24_e32 v33, 0x6667, v35
	v_add_nc_u16 v24, v24, v34
	v_bfe_i32 v34, v21, 0, 16
	v_add_nc_u16 v30, v30, v41
	v_lshrrev_b32_e32 v35, 31, v32
	v_ashrrev_i32_e32 v32, 18, v32
	v_cmp_ne_u16_e32 vcc_lo, v23, v24
	v_lshrrev_b32_e32 v41, 31, v33
	v_ashrrev_i32_e32 v33, 18, v33
	v_mul_i32_i24_e32 v34, 0x6667, v34
	v_add_nc_u16 v32, v32, v35
	v_cndmask_b32_e64 v24, 0, 1, vcc_lo
	v_cmp_ne_u16_e32 vcc_lo, v30, v23
	v_add_nc_u16 v33, v33, v41
	v_lshrrev_b32_e32 v35, 31, v34
	v_ashrrev_i32_e32 v34, 18, v34
	v_mul_i32_i24_e32 v41, 0x6667, v42
	v_cndmask_b32_e64 v23, 0, 1, vcc_lo
	v_cmp_ne_u16_e32 vcc_lo, v32, v30
	v_bfe_i32 v42, v39, 0, 16
	v_add_nc_u16 v34, v34, v35
	v_lshrrev_b32_e32 v35, 31, v41
	v_ashrrev_i32_e32 v41, 18, v41
	v_bfe_i32 v44, v19, 0, 16
	v_cndmask_b32_e64 v30, 0, 1, vcc_lo
	v_cmp_ne_u16_e32 vcc_lo, v33, v32
	v_mul_i32_i24_e32 v42, 0x6667, v42
	v_add_nc_u16 v35, v41, v35
	v_mul_i32_i24_e32 v41, 0x6667, v44
	v_bfe_i32 v44, v40, 0, 16
	v_cndmask_b32_e64 v32, 0, 1, vcc_lo
	v_bfe_i32 v43, v20, 0, 16
	v_cmp_ne_u16_e32 vcc_lo, v34, v33
	v_lshrrev_b32_e32 v45, 31, v42
	v_ashrrev_i32_e32 v42, 18, v42
	v_lshrrev_b32_e32 v46, 31, v41
	v_ashrrev_i32_e32 v41, 18, v41
	v_mul_i32_i24_e32 v44, 0x6667, v44
	v_cndmask_b32_e64 v33, 0, 1, vcc_lo
	v_mul_i32_i24_e32 v43, 0x6667, v43
	v_add_nc_u16 v42, v42, v45
	v_add_nc_u16 v41, v41, v46
	v_lshrrev_b32_e32 v45, 31, v44
	v_ashrrev_i32_e32 v44, 18, v44
	v_cmp_ne_u16_e32 vcc_lo, v35, v34
	v_lshrrev_b32_e32 v47, 31, v43
	v_ashrrev_i32_e32 v43, 18, v43
	v_bfe_i32 v46, v18, 0, 16
	v_add_nc_u16 v44, v44, v45
	v_cndmask_b32_e64 v34, 0, 1, vcc_lo
	v_cmp_ne_u16_e32 vcc_lo, v41, v42
	v_add_nc_u16 v43, v43, v47
	v_mul_i32_i24_e32 v45, 0x6667, v46
	s_waitcnt lgkmcnt(0)
	v_bfe_i32 v22, v22, 0, 16
	v_lshlrev_b16 v33, 8, v33
	v_cndmask_b32_e64 v46, 0, 1, vcc_lo
	v_cmp_ne_u16_e32 vcc_lo, v44, v41
	v_lshrrev_b32_e32 v47, 31, v45
	v_ashrrev_i32_e32 v45, 18, v45
	v_mul_i32_i24_e32 v22, 0x6667, v22
	v_lshlrev_b16 v46, 8, v46
	v_cndmask_b32_e64 v41, 0, 1, vcc_lo
	v_cmp_ne_u16_e32 vcc_lo, v43, v35
	v_add_nc_u16 v45, v45, v47
	v_lshlrev_b16 v30, 8, v30
	v_lshlrev_b16 v24, 8, v24
	v_lshrrev_b32_e32 v47, 31, v22
	v_cndmask_b32_e64 v35, 0, 1, vcc_lo
	v_cmp_ne_u16_e32 vcc_lo, v42, v43
	v_ashrrev_i32_e32 v22, 18, v22
	v_or_b32_e32 v41, v41, v46
	v_or_b32_e32 v33, v34, v33
	v_lshlrev_b16 v35, 8, v35
	v_cndmask_b32_e64 v42, 0, 1, vcc_lo
	v_cmp_ne_u16_e32 vcc_lo, v45, v44
	v_or_b32_e32 v30, v32, v30
	v_or_b32_e32 v23, v23, v24
	v_add_nc_u16 v22, v22, v47
	v_or_b32_e32 v35, v42, v35
	v_cndmask_b32_e64 v43, 0, 1, vcc_lo
	v_lshlrev_b32_e32 v41, 16, v41
	v_lshlrev_b32_e32 v33, 16, v33
	v_and_b32_e32 v30, 0xffff, v30
	v_and_b32_e32 v32, 0xffff, v35
	v_lshlrev_b16 v43, 8, v43
	v_lshlrev_b32_e32 v34, 16, v23
	v_cmp_ne_u16_e64 s4, v22, v45
	s_delay_alu instid0(VALU_DEP_4) | instskip(NEXT) | instid1(VALU_DEP_4)
	v_or_b32_e32 v23, v32, v33
	v_and_b32_e32 v24, 0xffff, v43
	s_delay_alu instid0(VALU_DEP_1)
	v_or_b32_e32 v22, v24, v41
	v_or_b32_e32 v41, v30, v34
	s_and_b32 vcc_lo, exec_lo, s2
	s_cbranch_vccnz .LBB507_63
	s_branch .LBB507_90
.LBB507_61:
                                        ; implicit-def: $sgpr4
                                        ; implicit-def: $vgpr41
                                        ; implicit-def: $vgpr22_vgpr23_vgpr24
	s_branch .LBB507_91
.LBB507_62:
                                        ; implicit-def: $sgpr4
                                        ; implicit-def: $vgpr41
                                        ; implicit-def: $vgpr22_vgpr23_vgpr24
	s_and_b32 vcc_lo, exec_lo, s2
	s_cbranch_vccz .LBB507_90
.LBB507_63:
	s_mov_b32 s4, 0
	s_mov_b32 s2, 0
	s_mov_b32 s5, exec_lo
	v_cmpx_gt_u32_e64 s19, v9
	s_cbranch_execz .LBB507_65
; %bb.64:
	v_bfe_i32 v22, v28, 0, 16
	v_bfe_i32 v23, v31, 0, 16
	s_delay_alu instid0(VALU_DEP_2) | instskip(NEXT) | instid1(VALU_DEP_2)
	v_mul_i32_i24_e32 v22, 0x6667, v22
	v_mul_i32_i24_e32 v23, 0x6667, v23
	s_delay_alu instid0(VALU_DEP_2) | instskip(SKIP_1) | instid1(VALU_DEP_3)
	v_lshrrev_b32_e32 v24, 31, v22
	v_ashrrev_i32_e32 v22, 18, v22
	v_lshrrev_b32_e32 v30, 31, v23
	v_ashrrev_i32_e32 v23, 18, v23
	s_delay_alu instid0(VALU_DEP_3) | instskip(NEXT) | instid1(VALU_DEP_2)
	v_add_nc_u16 v22, v22, v24
	v_add_nc_u16 v23, v23, v30
	s_delay_alu instid0(VALU_DEP_1)
	v_cmp_ne_u16_e32 vcc_lo, v22, v23
	s_and_b32 s2, vcc_lo, exec_lo
.LBB507_65:
	s_or_b32 exec_lo, exec_lo, s5
	s_delay_alu instid0(SALU_CYCLE_1)
	s_mov_b32 s5, exec_lo
	v_cmpx_gt_u32_e64 s19, v8
	s_cbranch_execz .LBB507_67
; %bb.66:
	v_bfe_i32 v22, v36, 0, 16
	v_bfe_i32 v23, v28, 0, 16
	s_delay_alu instid0(VALU_DEP_2) | instskip(NEXT) | instid1(VALU_DEP_2)
	v_mul_i32_i24_e32 v22, 0x6667, v22
	v_mul_i32_i24_e32 v23, 0x6667, v23
	s_delay_alu instid0(VALU_DEP_2) | instskip(SKIP_1) | instid1(VALU_DEP_3)
	v_lshrrev_b32_e32 v24, 31, v22
	v_ashrrev_i32_e32 v22, 18, v22
	v_lshrrev_b32_e32 v30, 31, v23
	v_ashrrev_i32_e32 v23, 18, v23
	s_delay_alu instid0(VALU_DEP_3) | instskip(NEXT) | instid1(VALU_DEP_2)
	v_add_nc_u16 v22, v22, v24
	v_add_nc_u16 v23, v23, v30
	s_delay_alu instid0(VALU_DEP_1)
	v_cmp_ne_u16_e32 vcc_lo, v22, v23
	s_and_b32 s4, vcc_lo, exec_lo
.LBB507_67:
	s_or_b32 exec_lo, exec_lo, s5
	s_mov_b32 s6, 0
	s_mov_b32 s5, 0
	s_mov_b32 s7, exec_lo
	v_cmpx_gt_u32_e64 s19, v10
	s_cbranch_execz .LBB507_69
; %bb.68:
	v_bfe_i32 v22, v27, 0, 16
	v_bfe_i32 v23, v36, 0, 16
	s_delay_alu instid0(VALU_DEP_2) | instskip(NEXT) | instid1(VALU_DEP_2)
	v_mul_i32_i24_e32 v22, 0x6667, v22
	v_mul_i32_i24_e32 v23, 0x6667, v23
	s_delay_alu instid0(VALU_DEP_2) | instskip(SKIP_1) | instid1(VALU_DEP_3)
	v_lshrrev_b32_e32 v24, 31, v22
	v_ashrrev_i32_e32 v22, 18, v22
	v_lshrrev_b32_e32 v30, 31, v23
	v_ashrrev_i32_e32 v23, 18, v23
	s_delay_alu instid0(VALU_DEP_3) | instskip(NEXT) | instid1(VALU_DEP_2)
	v_add_nc_u16 v22, v22, v24
	v_add_nc_u16 v23, v23, v30
	s_delay_alu instid0(VALU_DEP_1)
	v_cmp_ne_u16_e32 vcc_lo, v22, v23
	s_and_b32 s5, vcc_lo, exec_lo
.LBB507_69:
	s_or_b32 exec_lo, exec_lo, s7
	s_delay_alu instid0(SALU_CYCLE_1)
	s_mov_b32 s7, exec_lo
	v_cmpx_gt_u32_e64 s19, v11
	s_cbranch_execz .LBB507_71
; %bb.70:
	v_bfe_i32 v22, v37, 0, 16
	v_bfe_i32 v23, v27, 0, 16
	s_delay_alu instid0(VALU_DEP_2) | instskip(NEXT) | instid1(VALU_DEP_2)
	v_mul_i32_i24_e32 v22, 0x6667, v22
	v_mul_i32_i24_e32 v23, 0x6667, v23
	s_delay_alu instid0(VALU_DEP_2) | instskip(SKIP_1) | instid1(VALU_DEP_3)
	v_lshrrev_b32_e32 v24, 31, v22
	v_ashrrev_i32_e32 v22, 18, v22
	v_lshrrev_b32_e32 v30, 31, v23
	v_ashrrev_i32_e32 v23, 18, v23
	s_delay_alu instid0(VALU_DEP_3) | instskip(NEXT) | instid1(VALU_DEP_2)
	v_add_nc_u16 v22, v22, v24
	v_add_nc_u16 v23, v23, v30
	s_delay_alu instid0(VALU_DEP_1)
	v_cmp_ne_u16_e32 vcc_lo, v22, v23
	s_and_b32 s6, vcc_lo, exec_lo
.LBB507_71:
	s_or_b32 exec_lo, exec_lo, s7
	;; [unrolled: 47-line block ×5, first 2 shown]
	s_mov_b32 s22, 0
	s_mov_b32 s23, exec_lo
	v_cmpx_gt_u32_e64 s19, v12
	s_cbranch_execz .LBB507_85
; %bb.84:
	v_bfe_i32 v22, v18, 0, 16
	v_bfe_i32 v23, v40, 0, 16
	s_delay_alu instid0(VALU_DEP_2) | instskip(NEXT) | instid1(VALU_DEP_2)
	v_mul_i32_i24_e32 v22, 0x6667, v22
	v_mul_i32_i24_e32 v23, 0x6667, v23
	s_delay_alu instid0(VALU_DEP_2) | instskip(SKIP_1) | instid1(VALU_DEP_3)
	v_lshrrev_b32_e32 v24, 31, v22
	v_ashrrev_i32_e32 v22, 18, v22
	v_lshrrev_b32_e32 v30, 31, v23
	v_ashrrev_i32_e32 v23, 18, v23
	s_delay_alu instid0(VALU_DEP_3) | instskip(NEXT) | instid1(VALU_DEP_2)
	v_add_nc_u16 v22, v22, v24
	v_add_nc_u16 v23, v23, v30
	s_delay_alu instid0(VALU_DEP_1)
	v_cmp_ne_u16_e32 vcc_lo, v22, v23
	s_and_b32 s22, vcc_lo, exec_lo
.LBB507_85:
	s_or_b32 exec_lo, exec_lo, s23
	s_delay_alu instid0(SALU_CYCLE_1)
	s_mov_b32 s23, exec_lo
	s_waitcnt vmcnt(0) lgkmcnt(0)
	s_barrier
	buffer_gl0_inv
	v_cmpx_ne_u32_e32 0, v0
	s_cbranch_execz .LBB507_87
; %bb.86:
	v_add_nc_u32_e32 v13, -2, v29
	ds_load_u16 v13, v13
.LBB507_87:
	s_or_b32 exec_lo, exec_lo, s23
	v_cndmask_b32_e64 v24, 0, 1, s20
	v_cndmask_b32_e64 v30, 0, 1, s12
	v_cndmask_b32_e64 v33, 0, 1, s7
	v_cndmask_b32_e64 v35, 0, 1, s5
	v_cndmask_b32_e64 v42, 0, 1, s2
	v_cndmask_b32_e64 v23, 0, 1, s21
	v_cndmask_b32_e64 v29, 0, 1, s13
	v_cndmask_b32_e64 v22, 0, 1, s22
	v_cndmask_b32_e64 v32, 0, 1, s9
	v_cndmask_b32_e64 v34, 0, 1, s6
	v_cndmask_b32_e64 v41, 0, 1, s4
	v_lshlrev_b16 v24, 8, v24
	v_lshlrev_b16 v30, 8, v30
	;; [unrolled: 1-line block ×6, first 2 shown]
	v_or_b32_e32 v23, v23, v24
	v_or_b32_e32 v24, v29, v30
	;; [unrolled: 1-line block ×5, first 2 shown]
	v_and_b32_e32 v22, 0xffff, v22
	v_lshlrev_b32_e32 v23, 16, v23
	v_and_b32_e32 v24, 0xffff, v24
	v_lshlrev_b32_e32 v29, 16, v29
	;; [unrolled: 2-line block ×3, first 2 shown]
	s_mov_b32 s4, 0
	s_mov_b32 s2, exec_lo
	v_cmpx_gt_u32_e64 s19, v1
	s_cbranch_execz .LBB507_89
; %bb.88:
	s_waitcnt lgkmcnt(0)
	v_bfe_i32 v13, v13, 0, 16
	v_bfe_i32 v33, v18, 0, 16
	s_delay_alu instid0(VALU_DEP_2) | instskip(NEXT) | instid1(VALU_DEP_2)
	v_mul_i32_i24_e32 v13, 0x6667, v13
	v_mul_i32_i24_e32 v33, 0x6667, v33
	s_delay_alu instid0(VALU_DEP_2) | instskip(SKIP_1) | instid1(VALU_DEP_3)
	v_lshrrev_b32_e32 v34, 31, v13
	v_ashrrev_i32_e32 v13, 18, v13
	v_lshrrev_b32_e32 v35, 31, v33
	v_ashrrev_i32_e32 v33, 18, v33
	s_delay_alu instid0(VALU_DEP_3) | instskip(NEXT) | instid1(VALU_DEP_2)
	v_add_nc_u16 v13, v13, v34
	v_add_nc_u16 v33, v33, v35
	s_delay_alu instid0(VALU_DEP_1)
	v_cmp_ne_u16_e32 vcc_lo, v13, v33
	s_and_b32 s4, vcc_lo, exec_lo
.LBB507_89:
	s_or_b32 exec_lo, exec_lo, s2
	v_or_b32_e32 v22, v22, v23
	v_or_b32_e32 v23, v24, v29
	;; [unrolled: 1-line block ×3, first 2 shown]
.LBB507_90:
	s_mov_b32 s2, -1
	s_cbranch_execnz .LBB507_123
.LBB507_91:
	v_bfe_i32 v22, v28, 0, 16
	v_bfe_i32 v23, v36, 0, 16
	;; [unrolled: 1-line block ×10, first 2 shown]
	s_waitcnt vmcnt(0) lgkmcnt(0)
	v_lshlrev_b32_e32 v13, 1, v0
	v_mul_i32_i24_e32 v45, 0x6667, v22
	v_mul_i32_i24_e32 v44, 0x6667, v23
	;; [unrolled: 1-line block ×10, first 2 shown]
	s_and_b32 vcc_lo, exec_lo, s18
	ds_store_b16 v13, v31
	s_cbranch_vccz .LBB507_95
; %bb.92:
	v_bfe_i32 v22, v31, 0, 16
	v_lshrrev_b32_e32 v23, 31, v45
	v_ashrrev_i32_e32 v24, 18, v45
	v_lshrrev_b32_e32 v41, 31, v44
	v_ashrrev_i32_e32 v46, 18, v44
	v_mul_i32_i24_e32 v22, 0x6667, v22
	v_lshrrev_b32_e32 v47, 31, v43
	v_add_nc_u16 v23, v24, v23
	v_ashrrev_i32_e32 v48, 18, v43
	v_add_nc_u16 v24, v46, v41
	v_lshrrev_b32_e32 v50, 31, v22
	v_ashrrev_i32_e32 v22, 18, v22
	v_lshrrev_b32_e32 v49, 31, v42
	v_ashrrev_i32_e32 v51, 18, v42
	v_cmp_ne_u16_e32 vcc_lo, v24, v23
	v_add_nc_u16 v41, v48, v47
	v_add_nc_u16 v22, v22, v50
	v_ashrrev_i32_e32 v48, 18, v35
	v_add_nc_u16 v46, v51, v49
	v_cndmask_b32_e64 v47, 0, 1, vcc_lo
	v_lshrrev_b32_e32 v49, 31, v34
	v_cmp_ne_u16_e32 vcc_lo, v23, v22
	v_lshrrev_b32_e32 v23, 31, v35
	v_ashrrev_i32_e32 v50, 18, v34
	v_ashrrev_i32_e32 v51, 18, v32
	v_bfe_i32 v52, v18, 0, 16
	v_cndmask_b32_e64 v22, 0, 1, vcc_lo
	v_cmp_ne_u16_e32 vcc_lo, v41, v24
	v_add_nc_u16 v23, v48, v23
	v_add_nc_u16 v48, v50, v49
	v_lshrrev_b32_e32 v49, 31, v33
	v_ashrrev_i32_e32 v50, 18, v33
	v_cndmask_b32_e64 v24, 0, 1, vcc_lo
	v_cmp_ne_u16_e32 vcc_lo, v46, v41
	v_lshrrev_b32_e32 v53, 31, v30
	v_ashrrev_i32_e32 v54, 18, v30
	v_add_nc_u16 v49, v50, v49
	v_lshrrev_b32_e32 v50, 31, v32
	v_cndmask_b32_e64 v41, 0, 1, vcc_lo
	v_cmp_ne_u16_e32 vcc_lo, v23, v46
	v_mul_i32_i24_e32 v52, 0x6667, v52
	v_lshlrev_b16 v56, 8, v24
	v_add_nc_u16 v50, v51, v50
	v_add_nc_u16 v51, v54, v53
	v_cndmask_b32_e64 v46, 0, 1, vcc_lo
	v_cmp_ne_u16_e32 vcc_lo, v48, v23
	v_lshrrev_b32_e32 v53, 31, v29
	v_ashrrev_i32_e32 v54, 18, v29
	v_lshrrev_b32_e32 v55, 31, v52
	v_ashrrev_i32_e32 v52, 18, v52
	v_cndmask_b32_e64 v23, 0, 1, vcc_lo
	v_cmp_ne_u16_e32 vcc_lo, v49, v48
	v_add_nc_u16 v53, v54, v53
	v_lshlrev_b16 v22, 8, v22
	v_add_nc_u16 v24, v52, v55
	v_lshlrev_b16 v46, 8, v46
	v_cndmask_b32_e64 v48, 0, 1, vcc_lo
	v_cmp_ne_u16_e32 vcc_lo, v50, v49
	v_or_b32_e32 v41, v41, v56
	v_or_b32_e32 v22, v47, v22
	;; [unrolled: 1-line block ×3, first 2 shown]
	v_lshlrev_b16 v48, 8, v48
	v_cndmask_b32_e64 v49, 0, 1, vcc_lo
	v_cmp_ne_u16_e32 vcc_lo, v51, v50
	v_and_b32_e32 v41, 0xffff, v41
	v_lshlrev_b32_e32 v22, 16, v22
	v_lshlrev_b32_e32 v23, 16, v23
	v_or_b32_e32 v47, v49, v48
	v_cndmask_b32_e64 v50, 0, 1, vcc_lo
	v_cmp_ne_u16_e32 vcc_lo, v53, v51
	v_or_b32_e32 v41, v41, v22
	s_mov_b32 s5, 0
	v_and_b32_e32 v47, 0xffff, v47
	v_lshlrev_b16 v50, 8, v50
	v_cndmask_b32_e64 v51, 0, 1, vcc_lo
	v_cmp_ne_u16_e32 vcc_lo, v24, v53
	s_mov_b32 s6, exec_lo
	v_or_b32_e32 v23, v47, v23
	s_waitcnt lgkmcnt(0)
	v_or_b32_e32 v46, v51, v50
	v_cndmask_b32_e64 v52, 0, 1, vcc_lo
	s_barrier
	buffer_gl0_inv
                                        ; implicit-def: $sgpr4
	v_lshlrev_b32_e32 v46, 16, v46
	v_lshlrev_b16 v52, 8, v52
	s_delay_alu instid0(VALU_DEP_1) | instskip(NEXT) | instid1(VALU_DEP_1)
	v_or_b32_e32 v48, 1, v52
	v_and_b32_e32 v48, 0xffff, v48
	s_delay_alu instid0(VALU_DEP_1)
	v_or_b32_e32 v22, v48, v46
	v_cmpx_ne_u32_e32 0, v0
	s_xor_b32 s6, exec_lo, s6
	s_cbranch_execz .LBB507_94
; %bb.93:
	v_add_nc_u32_e32 v46, -2, v13
	s_or_b32 s2, s2, exec_lo
	ds_load_i16 v46, v46
	s_waitcnt lgkmcnt(0)
	v_mul_i32_i24_e32 v46, 0x6667, v46
	s_delay_alu instid0(VALU_DEP_1) | instskip(SKIP_1) | instid1(VALU_DEP_1)
	v_lshrrev_b32_e32 v47, 31, v46
	v_ashrrev_i32_e32 v46, 18, v46
	v_add_nc_u16 v46, v46, v47
	s_delay_alu instid0(VALU_DEP_1)
	v_cmp_ne_u16_e32 vcc_lo, v46, v24
	s_and_b32 s4, vcc_lo, exec_lo
.LBB507_94:
	s_or_b32 exec_lo, exec_lo, s6
	s_delay_alu instid0(SALU_CYCLE_1)
	s_and_b32 vcc_lo, exec_lo, s5
	s_cbranch_vccnz .LBB507_96
	s_branch .LBB507_123
.LBB507_95:
                                        ; implicit-def: $sgpr4
                                        ; implicit-def: $vgpr41
                                        ; implicit-def: $vgpr22_vgpr23_vgpr24
	s_cbranch_execz .LBB507_123
.LBB507_96:
	s_mov_b32 s4, 0
	s_mov_b32 s5, 0
	s_mov_b32 s6, exec_lo
	v_cmpx_gt_u32_e64 s19, v9
; %bb.97:
	v_bfe_i32 v22, v31, 0, 16
	v_lshrrev_b32_e32 v23, 31, v45
	v_ashrrev_i32_e32 v24, 18, v45
	s_delay_alu instid0(VALU_DEP_3) | instskip(NEXT) | instid1(VALU_DEP_2)
	v_mul_i32_i24_e32 v22, 0x6667, v22
	v_add_nc_u16 v23, v24, v23
	s_delay_alu instid0(VALU_DEP_2) | instskip(SKIP_1) | instid1(VALU_DEP_1)
	v_lshrrev_b32_e32 v41, 31, v22
	v_ashrrev_i32_e32 v22, 18, v22
	v_add_nc_u16 v22, v22, v41
	s_delay_alu instid0(VALU_DEP_1)
	v_cmp_ne_u16_e32 vcc_lo, v23, v22
	s_and_b32 s5, vcc_lo, exec_lo
; %bb.98:
	s_or_b32 exec_lo, exec_lo, s6
	s_delay_alu instid0(SALU_CYCLE_1)
	s_mov_b32 s6, exec_lo
	v_cmpx_gt_u32_e64 s19, v8
; %bb.99:
	v_lshrrev_b32_e32 v22, 31, v44
	v_ashrrev_i32_e32 v23, 18, v44
	v_lshrrev_b32_e32 v24, 31, v45
	v_ashrrev_i32_e32 v41, 18, v45
	s_delay_alu instid0(VALU_DEP_3) | instskip(NEXT) | instid1(VALU_DEP_2)
	v_add_nc_u16 v22, v23, v22
	v_add_nc_u16 v23, v41, v24
	s_delay_alu instid0(VALU_DEP_1)
	v_cmp_ne_u16_e32 vcc_lo, v22, v23
	s_and_b32 s4, vcc_lo, exec_lo
; %bb.100:
	s_or_b32 exec_lo, exec_lo, s6
	s_mov_b32 s6, 0
	s_mov_b32 s7, 0
	s_mov_b32 s9, exec_lo
	v_cmpx_gt_u32_e64 s19, v10
; %bb.101:
	v_lshrrev_b32_e32 v22, 31, v43
	v_ashrrev_i32_e32 v23, 18, v43
	v_lshrrev_b32_e32 v24, 31, v44
	v_ashrrev_i32_e32 v41, 18, v44
	s_delay_alu instid0(VALU_DEP_3) | instskip(NEXT) | instid1(VALU_DEP_2)
	v_add_nc_u16 v22, v23, v22
	v_add_nc_u16 v23, v41, v24
	s_delay_alu instid0(VALU_DEP_1)
	v_cmp_ne_u16_e32 vcc_lo, v22, v23
	s_and_b32 s7, vcc_lo, exec_lo
; %bb.102:
	s_or_b32 exec_lo, exec_lo, s9
	s_delay_alu instid0(SALU_CYCLE_1)
	s_mov_b32 s9, exec_lo
	v_cmpx_gt_u32_e64 s19, v11
; %bb.103:
	v_lshrrev_b32_e32 v22, 31, v42
	v_ashrrev_i32_e32 v23, 18, v42
	v_lshrrev_b32_e32 v24, 31, v43
	v_ashrrev_i32_e32 v41, 18, v43
	s_delay_alu instid0(VALU_DEP_3) | instskip(NEXT) | instid1(VALU_DEP_2)
	v_add_nc_u16 v22, v23, v22
	v_add_nc_u16 v23, v41, v24
	s_delay_alu instid0(VALU_DEP_1)
	v_cmp_ne_u16_e32 vcc_lo, v22, v23
	s_and_b32 s6, vcc_lo, exec_lo
; %bb.104:
	s_or_b32 exec_lo, exec_lo, s9
	s_mov_b32 s12, 0
	s_mov_b32 s9, 0
	s_mov_b32 s13, exec_lo
	v_cmpx_gt_u32_e64 s19, v2
; %bb.105:
	v_lshrrev_b32_e32 v22, 31, v35
	v_ashrrev_i32_e32 v23, 18, v35
	v_lshrrev_b32_e32 v24, 31, v42
	v_ashrrev_i32_e32 v41, 18, v42
	s_delay_alu instid0(VALU_DEP_3) | instskip(NEXT) | instid1(VALU_DEP_2)
	v_add_nc_u16 v22, v23, v22
	;; [unrolled: 33-line block ×4, first 2 shown]
	v_add_nc_u16 v23, v32, v24
	s_delay_alu instid0(VALU_DEP_1)
	v_cmp_ne_u16_e32 vcc_lo, v22, v23
	s_and_b32 s21, vcc_lo, exec_lo
; %bb.114:
	s_or_b32 exec_lo, exec_lo, s23
	s_delay_alu instid0(SALU_CYCLE_1)
	s_mov_b32 s23, exec_lo
	v_cmpx_gt_u32_e64 s19, v6
; %bb.115:
	v_lshrrev_b32_e32 v22, 31, v29
	v_ashrrev_i32_e32 v23, 18, v29
	v_lshrrev_b32_e32 v24, 31, v30
	v_ashrrev_i32_e32 v30, 18, v30
	s_delay_alu instid0(VALU_DEP_3) | instskip(NEXT) | instid1(VALU_DEP_2)
	v_add_nc_u16 v22, v23, v22
	v_add_nc_u16 v23, v30, v24
	s_delay_alu instid0(VALU_DEP_1)
	v_cmp_ne_u16_e32 vcc_lo, v22, v23
	s_and_b32 s22, vcc_lo, exec_lo
; %bb.116:
	s_or_b32 exec_lo, exec_lo, s23
	s_mov_b32 s23, 0
	s_mov_b32 s24, exec_lo
	v_cmpx_gt_u32_e64 s19, v12
; %bb.117:
	v_bfe_i32 v22, v18, 0, 16
	v_lshrrev_b32_e32 v23, 31, v29
	v_ashrrev_i32_e32 v29, 18, v29
	s_delay_alu instid0(VALU_DEP_3) | instskip(NEXT) | instid1(VALU_DEP_2)
	v_mul_i32_i24_e32 v22, 0x6667, v22
	v_add_nc_u16 v23, v29, v23
	s_delay_alu instid0(VALU_DEP_2) | instskip(SKIP_1) | instid1(VALU_DEP_1)
	v_lshrrev_b32_e32 v24, 31, v22
	v_ashrrev_i32_e32 v22, 18, v22
	v_add_nc_u16 v22, v22, v24
	s_delay_alu instid0(VALU_DEP_1)
	v_cmp_ne_u16_e32 vcc_lo, v22, v23
	s_and_b32 s23, vcc_lo, exec_lo
; %bb.118:
	s_or_b32 exec_lo, exec_lo, s24
	v_cndmask_b32_e64 v22, 0, 1, s7
	v_cndmask_b32_e64 v24, 0, 1, s21
	;; [unrolled: 1-line block ×5, first 2 shown]
	v_lshlrev_b16 v22, 8, v22
	v_cndmask_b32_e64 v35, 0, 1, s9
	v_cndmask_b32_e64 v41, 0, 1, s23
	;; [unrolled: 1-line block ×5, first 2 shown]
	v_or_b32_e32 v22, v30, v22
	v_cndmask_b32_e64 v30, 0, 1, s4
	v_lshlrev_b16 v34, 8, v34
	v_lshlrev_b16 v32, 8, v32
	;; [unrolled: 1-line block ×5, first 2 shown]
	v_or_b32_e32 v30, v30, v34
	v_or_b32_e32 v29, v29, v32
	;; [unrolled: 1-line block ×5, first 2 shown]
	v_and_b32_e32 v22, 0xffff, v22
	v_lshlrev_b32_e32 v24, 16, v30
	v_and_b32_e32 v29, 0xffff, v29
	v_lshlrev_b32_e32 v30, 16, v32
	;; [unrolled: 2-line block ×3, first 2 shown]
	v_or_b32_e32 v41, v22, v24
	s_mov_b32 s5, exec_lo
	v_or_b32_e32 v23, v29, v30
	s_waitcnt lgkmcnt(0)
	v_or_b32_e32 v22, v32, v33
	s_barrier
	buffer_gl0_inv
                                        ; implicit-def: $sgpr4
	v_cmpx_ne_u32_e32 0, v0
	s_cbranch_execz .LBB507_122
; %bb.119:
	s_mov_b32 s6, 0
	s_mov_b32 s4, exec_lo
	v_cmpx_gt_u32_e64 s19, v1
	s_cbranch_execz .LBB507_121
; %bb.120:
	v_add_nc_u32_e32 v13, -2, v13
	v_bfe_i32 v24, v18, 0, 16
	ds_load_i16 v13, v13
	v_mul_i32_i24_e32 v24, 0x6667, v24
	s_delay_alu instid0(VALU_DEP_1) | instskip(SKIP_1) | instid1(VALU_DEP_1)
	v_lshrrev_b32_e32 v29, 31, v24
	v_ashrrev_i32_e32 v24, 18, v24
	v_add_nc_u16 v24, v24, v29
	s_waitcnt lgkmcnt(0)
	v_mul_i32_i24_e32 v13, 0x6667, v13
	s_delay_alu instid0(VALU_DEP_1) | instskip(SKIP_1) | instid1(VALU_DEP_1)
	v_lshrrev_b32_e32 v30, 31, v13
	v_ashrrev_i32_e32 v13, 18, v13
	v_add_nc_u16 v13, v13, v30
	s_delay_alu instid0(VALU_DEP_1)
	v_cmp_ne_u16_e32 vcc_lo, v13, v24
	s_and_b32 s6, vcc_lo, exec_lo
.LBB507_121:
	s_or_b32 exec_lo, exec_lo, s4
	s_delay_alu instid0(SALU_CYCLE_1)
	s_and_b32 s4, s6, exec_lo
	s_or_b32 s2, s2, exec_lo
.LBB507_122:
	s_or_b32 exec_lo, exec_lo, s5
.LBB507_123:
	s_and_saveexec_b32 s5, s2
	s_cbranch_execz .LBB507_125
; %bb.124:
	s_waitcnt vmcnt(0) lgkmcnt(0)
	v_and_b32_e32 v13, 0xffffff00, v22
	v_cndmask_b32_e64 v24, 0, 1, s4
	s_delay_alu instid0(VALU_DEP_1) | instskip(NEXT) | instid1(VALU_DEP_1)
	v_or_b32_e32 v13, v24, v13
	v_and_b32_e32 v13, 0xffff, v13
	s_delay_alu instid0(VALU_DEP_1)
	v_and_or_b32 v22, 0xffff0000, v22, v13
.LBB507_125:
	s_or_b32 exec_lo, exec_lo, s5
	s_load_b64 s[12:13], s[0:1], 0x60
	s_and_not1_b32 vcc_lo, exec_lo, s3
	s_cbranch_vccnz .LBB507_127
; %bb.126:
	v_cmp_gt_u32_e32 vcc_lo, s19, v1
	v_cmp_gt_u32_e64 s3, s19, v6
	v_cmp_gt_u32_e64 s5, s19, v4
	v_cmp_gt_u32_e64 s2, s19, v7
	v_cmp_gt_u32_e64 s4, s19, v5
	v_cndmask_b32_e32 v1, 0, v22, vcc_lo
	v_cmp_gt_u32_e32 vcc_lo, s19, v12
	v_and_b32_e32 v12, 0xffffff00, v23
	v_cmp_gt_u32_e64 s6, s19, v3
	s_delay_alu instid0(VALU_DEP_4) | instskip(NEXT) | instid1(VALU_DEP_3)
	v_and_b32_e32 v1, 0xff, v1
	v_cndmask_b32_e64 v7, v12, v23, s2
	s_delay_alu instid0(VALU_DEP_2) | instskip(SKIP_1) | instid1(VALU_DEP_3)
	v_cndmask_b32_e32 v1, v1, v22, vcc_lo
	v_cmp_gt_u32_e32 vcc_lo, s19, v11
	v_and_b32_e32 v7, 0xffff00ff, v7
	s_delay_alu instid0(VALU_DEP_3) | instskip(SKIP_1) | instid1(VALU_DEP_3)
	v_and_b32_e32 v1, 0xffff, v1
	v_cndmask_b32_e32 v11, 0, v41, vcc_lo
	v_cndmask_b32_e64 v5, v7, v23, s4
	s_delay_alu instid0(VALU_DEP_3) | instskip(SKIP_1) | instid1(VALU_DEP_3)
	v_cndmask_b32_e64 v1, v1, v22, s3
	v_cmp_gt_u32_e64 s3, s19, v10
	v_and_b32_e32 v5, 0xff00ffff, v5
	s_delay_alu instid0(VALU_DEP_3) | instskip(NEXT) | instid1(VALU_DEP_2)
	v_and_b32_e32 v1, 0xffffff, v1
	v_cndmask_b32_e64 v3, v5, v23, s6
	s_delay_alu instid0(VALU_DEP_2) | instskip(SKIP_1) | instid1(VALU_DEP_2)
	v_cndmask_b32_e64 v1, v1, v22, s5
	v_cmp_gt_u32_e64 s5, s19, v8
	v_cndmask_b32_e64 v1, v1, v22, s2
	v_cmp_gt_u32_e64 s2, s19, v9
	s_delay_alu instid0(VALU_DEP_2) | instskip(SKIP_2) | instid1(VALU_DEP_3)
	v_cndmask_b32_e64 v1, v1, v22, s4
	v_cmp_gt_u32_e64 s4, s19, v2
	v_and_b32_e32 v2, 0xffffff, v3
	v_cndmask_b32_e64 v1, v1, v22, s6
	v_and_b32_e32 v11, 0xff, v11
	s_delay_alu instid0(VALU_DEP_1) | instskip(NEXT) | instid1(VALU_DEP_1)
	v_cndmask_b32_e64 v6, v11, v41, s3
	v_and_b32_e32 v6, 0xffff, v6
	s_delay_alu instid0(VALU_DEP_1) | instskip(NEXT) | instid1(VALU_DEP_1)
	v_cndmask_b32_e64 v4, v6, v41, s5
	v_and_b32_e32 v4, 0xffffff, v4
	s_delay_alu instid0(VALU_DEP_1) | instskip(SKIP_1) | instid1(SALU_CYCLE_1)
	v_cndmask_b32_e64 v41, v4, v41, s2
	s_or_b32 s2, s2, s5
	s_or_b32 s2, s2, s3
	s_delay_alu instid0(SALU_CYCLE_1) | instskip(NEXT) | instid1(SALU_CYCLE_1)
	s_or_b32 s2, s2, vcc_lo
	s_or_b32 vcc_lo, s2, s4
	v_dual_cndmask_b32 v22, v1, v22 :: v_dual_cndmask_b32 v23, v2, v23
.LBB507_127:
	s_delay_alu instid0(VALU_DEP_1) | instskip(NEXT) | instid1(VALU_DEP_2)
	v_and_b32_e32 v42, 0xff, v22
	v_alignbit_b32 v1, v23, v22, 24
	v_bfe_u32 v43, v22, 8, 8
	v_bfe_u32 v44, v22, 16, 8
	v_and_b32_e32 v46, 0xff, v23
	v_bfe_u32 v47, v23, 8, 8
	v_and_b32_e32 v45, 0xff, v1
	v_dual_mov_b32 v1, v41 :: v_dual_add_nc_u32 v2, v43, v42
	v_bfe_u32 v48, v23, 16, 8
	v_lshrrev_b32_e32 v24, 24, v23
	v_and_b32_e32 v49, 0xff, v41
	v_mbcnt_lo_u32_b32 v52, -1, 0
	v_add3_u32 v2, v2, v44, v45
	v_bfe_u32 v50, v41, 8, 8
	v_alignbit_b32 v3, s0, v41, 24
	v_bfe_u32 v51, v41, 16, 8
	v_and_b32_e32 v4, 15, v52
	v_add3_u32 v2, v2, v46, v47
	v_or_b32_e32 v5, 31, v0
	v_and_b32_e32 v3, 0xff, v3
	v_and_b32_e32 v6, 16, v52
	v_cmp_eq_u32_e64 s7, 0, v4
	v_add3_u32 v2, v2, v48, v24
	v_cmp_lt_u32_e64 s6, 1, v4
	v_cmp_lt_u32_e64 s5, 3, v4
	;; [unrolled: 1-line block ×3, first 2 shown]
	v_cmp_eq_u32_e64 s3, 0, v6
	v_add3_u32 v2, v2, v49, v50
	v_lshrrev_b32_e32 v53, 5, v0
	v_cmp_eq_u32_e64 s2, v5, v0
	s_and_b32 vcc_lo, exec_lo, s8
	s_mov_b32 s8, -1
	v_add3_u32 v54, v2, v51, v3
	s_waitcnt vmcnt(0) lgkmcnt(0)
	s_barrier
	buffer_gl0_inv
	s_cbranch_vccz .LBB507_153
; %bb.128:
	v_mov_b32_dpp v2, v54 row_shr:1 row_mask:0xf bank_mask:0xf
	s_delay_alu instid0(VALU_DEP_1) | instskip(NEXT) | instid1(VALU_DEP_1)
	v_cndmask_b32_e64 v2, v2, 0, s7
	v_add_nc_u32_e32 v2, v2, v54
	s_delay_alu instid0(VALU_DEP_1) | instskip(NEXT) | instid1(VALU_DEP_1)
	v_mov_b32_dpp v3, v2 row_shr:2 row_mask:0xf bank_mask:0xf
	v_cndmask_b32_e64 v3, 0, v3, s6
	s_delay_alu instid0(VALU_DEP_1) | instskip(NEXT) | instid1(VALU_DEP_1)
	v_add_nc_u32_e32 v2, v2, v3
	v_mov_b32_dpp v3, v2 row_shr:4 row_mask:0xf bank_mask:0xf
	s_delay_alu instid0(VALU_DEP_1) | instskip(NEXT) | instid1(VALU_DEP_1)
	v_cndmask_b32_e64 v3, 0, v3, s5
	v_add_nc_u32_e32 v2, v2, v3
	s_delay_alu instid0(VALU_DEP_1) | instskip(NEXT) | instid1(VALU_DEP_1)
	v_mov_b32_dpp v3, v2 row_shr:8 row_mask:0xf bank_mask:0xf
	v_cndmask_b32_e64 v3, 0, v3, s4
	s_delay_alu instid0(VALU_DEP_1) | instskip(SKIP_3) | instid1(VALU_DEP_1)
	v_add_nc_u32_e32 v2, v2, v3
	ds_swizzle_b32 v3, v2 offset:swizzle(BROADCAST,32,15)
	s_waitcnt lgkmcnt(0)
	v_cndmask_b32_e64 v3, v3, 0, s3
	v_add_nc_u32_e32 v2, v2, v3
	s_and_saveexec_b32 s8, s2
	s_cbranch_execz .LBB507_130
; %bb.129:
	v_lshlrev_b32_e32 v3, 2, v53
	ds_store_b32 v3, v2
.LBB507_130:
	s_or_b32 exec_lo, exec_lo, s8
	s_delay_alu instid0(SALU_CYCLE_1)
	s_mov_b32 s8, exec_lo
	s_waitcnt lgkmcnt(0)
	s_barrier
	buffer_gl0_inv
	v_cmpx_gt_u32_e32 4, v0
	s_cbranch_execz .LBB507_132
; %bb.131:
	v_and_b32_e32 v5, 3, v52
	s_delay_alu instid0(VALU_DEP_1) | instskip(SKIP_4) | instid1(VALU_DEP_1)
	v_cmp_ne_u32_e32 vcc_lo, 0, v5
	v_lshlrev_b32_e32 v3, 2, v0
	ds_load_b32 v4, v3
	s_waitcnt lgkmcnt(0)
	v_mov_b32_dpp v6, v4 row_shr:1 row_mask:0xf bank_mask:0xf
	v_cndmask_b32_e32 v6, 0, v6, vcc_lo
	v_cmp_lt_u32_e32 vcc_lo, 1, v5
	s_delay_alu instid0(VALU_DEP_2) | instskip(NEXT) | instid1(VALU_DEP_1)
	v_add_nc_u32_e32 v4, v6, v4
	v_mov_b32_dpp v6, v4 row_shr:2 row_mask:0xf bank_mask:0xf
	s_delay_alu instid0(VALU_DEP_1) | instskip(NEXT) | instid1(VALU_DEP_1)
	v_cndmask_b32_e32 v5, 0, v6, vcc_lo
	v_add_nc_u32_e32 v4, v4, v5
	ds_store_b32 v3, v4
.LBB507_132:
	s_or_b32 exec_lo, exec_lo, s8
	v_cmp_gt_u32_e32 vcc_lo, 32, v0
	s_mov_b32 s9, exec_lo
	s_waitcnt lgkmcnt(0)
	s_barrier
	buffer_gl0_inv
                                        ; implicit-def: $vgpr10
	v_cmpx_lt_u32_e32 31, v0
	s_cbranch_execz .LBB507_134
; %bb.133:
	v_lshl_add_u32 v3, v53, 2, -4
	ds_load_b32 v10, v3
	s_waitcnt lgkmcnt(0)
	v_add_nc_u32_e32 v2, v10, v2
.LBB507_134:
	s_or_b32 exec_lo, exec_lo, s9
	v_add_nc_u32_e32 v3, -1, v52
	s_delay_alu instid0(VALU_DEP_1) | instskip(NEXT) | instid1(VALU_DEP_1)
	v_cmp_gt_i32_e64 s8, 0, v3
	v_cndmask_b32_e64 v3, v3, v52, s8
	v_cmp_eq_u32_e64 s8, 0, v52
	s_delay_alu instid0(VALU_DEP_2)
	v_lshlrev_b32_e32 v3, 2, v3
	ds_bpermute_b32 v11, v3, v2
	s_and_saveexec_b32 s9, vcc_lo
	s_cbranch_execz .LBB507_152
; %bb.135:
	v_mov_b32_e32 v6, 0
	ds_load_b32 v2, v6 offset:12
	s_and_saveexec_b32 s19, s8
	s_cbranch_execz .LBB507_137
; %bb.136:
	s_add_i32 s20, s15, 32
	s_mov_b32 s21, 0
	v_mov_b32_e32 v3, 1
	s_lshl_b64 s[20:21], s[20:21], 3
	s_delay_alu instid0(SALU_CYCLE_1)
	s_add_u32 s20, s12, s20
	s_addc_u32 s21, s13, s21
	s_waitcnt lgkmcnt(0)
	global_store_b64 v6, v[2:3], s[20:21]
.LBB507_137:
	s_or_b32 exec_lo, exec_lo, s19
	v_xad_u32 v4, v52, -1, s15
	s_mov_b32 s20, 0
	s_mov_b32 s19, exec_lo
	s_delay_alu instid0(VALU_DEP_1) | instskip(NEXT) | instid1(VALU_DEP_1)
	v_add_nc_u32_e32 v5, 32, v4
	v_lshlrev_b64 v[5:6], 3, v[5:6]
	s_delay_alu instid0(VALU_DEP_1) | instskip(NEXT) | instid1(VALU_DEP_2)
	v_add_co_u32 v8, vcc_lo, s12, v5
	v_add_co_ci_u32_e32 v9, vcc_lo, s13, v6, vcc_lo
	global_load_b64 v[6:7], v[8:9], off glc
	s_waitcnt vmcnt(0)
	v_and_b32_e32 v3, 0xff, v7
	s_delay_alu instid0(VALU_DEP_1)
	v_cmpx_eq_u16_e32 0, v3
	s_cbranch_execz .LBB507_140
.LBB507_138:                            ; =>This Inner Loop Header: Depth=1
	global_load_b64 v[6:7], v[8:9], off glc
	s_waitcnt vmcnt(0)
	v_and_b32_e32 v3, 0xff, v7
	s_delay_alu instid0(VALU_DEP_1) | instskip(SKIP_1) | instid1(SALU_CYCLE_1)
	v_cmp_ne_u16_e32 vcc_lo, 0, v3
	s_or_b32 s20, vcc_lo, s20
	s_and_not1_b32 exec_lo, exec_lo, s20
	s_cbranch_execnz .LBB507_138
; %bb.139:
	s_or_b32 exec_lo, exec_lo, s20
.LBB507_140:
	s_delay_alu instid0(SALU_CYCLE_1)
	s_or_b32 exec_lo, exec_lo, s19
	v_cmp_ne_u32_e32 vcc_lo, 31, v52
	v_lshlrev_b32_e64 v13, v52, -1
	v_add_nc_u32_e32 v30, 2, v52
	v_add_nc_u32_e32 v56, 16, v52
	v_add_co_ci_u32_e32 v3, vcc_lo, 0, v52, vcc_lo
	s_delay_alu instid0(VALU_DEP_1)
	v_lshlrev_b32_e32 v12, 2, v3
	v_and_b32_e32 v3, 0xff, v7
	ds_bpermute_b32 v5, v12, v6
	v_cmp_eq_u16_e32 vcc_lo, 2, v3
	v_and_or_b32 v3, vcc_lo, v13, 0x80000000
	v_cmp_gt_u32_e32 vcc_lo, 30, v52
	s_delay_alu instid0(VALU_DEP_2) | instskip(SKIP_1) | instid1(VALU_DEP_2)
	v_ctz_i32_b32_e32 v3, v3
	v_cndmask_b32_e64 v8, 0, 1, vcc_lo
	v_cmp_lt_u32_e32 vcc_lo, v52, v3
	s_waitcnt lgkmcnt(0)
	s_delay_alu instid0(VALU_DEP_2) | instskip(NEXT) | instid1(VALU_DEP_1)
	v_dual_cndmask_b32 v5, 0, v5 :: v_dual_lshlrev_b32 v8, 1, v8
	v_add_lshl_u32 v29, v8, v52, 2
	v_cmp_gt_u32_e32 vcc_lo, 28, v52
	s_delay_alu instid0(VALU_DEP_3) | instskip(SKIP_4) | instid1(VALU_DEP_1)
	v_add_nc_u32_e32 v5, v5, v6
	v_cndmask_b32_e64 v8, 0, 1, vcc_lo
	v_cmp_le_u32_e32 vcc_lo, v30, v3
	ds_bpermute_b32 v6, v29, v5
	v_lshlrev_b32_e32 v8, 2, v8
	v_add_lshl_u32 v32, v8, v52, 2
	s_waitcnt lgkmcnt(0)
	v_cndmask_b32_e32 v6, 0, v6, vcc_lo
	v_cmp_gt_u32_e32 vcc_lo, 24, v52
	s_delay_alu instid0(VALU_DEP_2) | instskip(SKIP_4) | instid1(VALU_DEP_2)
	v_add_nc_u32_e32 v5, v5, v6
	v_cndmask_b32_e64 v8, 0, 1, vcc_lo
	ds_bpermute_b32 v6, v32, v5
	v_add_nc_u32_e32 v33, 4, v52
	v_lshlrev_b32_e32 v8, 3, v8
	v_cmp_le_u32_e32 vcc_lo, v33, v3
	s_delay_alu instid0(VALU_DEP_2) | instskip(SKIP_3) | instid1(VALU_DEP_2)
	v_add_lshl_u32 v34, v8, v52, 2
	s_waitcnt lgkmcnt(0)
	v_cndmask_b32_e32 v6, 0, v6, vcc_lo
	v_cmp_gt_u32_e32 vcc_lo, 16, v52
	v_add_nc_u32_e32 v5, v5, v6
	v_cndmask_b32_e64 v8, 0, 1, vcc_lo
	ds_bpermute_b32 v6, v34, v5
	v_add_nc_u32_e32 v35, 8, v52
	v_lshlrev_b32_e32 v8, 4, v8
	s_delay_alu instid0(VALU_DEP_2) | instskip(NEXT) | instid1(VALU_DEP_2)
	v_cmp_le_u32_e32 vcc_lo, v35, v3
	v_add_lshl_u32 v55, v8, v52, 2
	s_waitcnt lgkmcnt(0)
	v_cndmask_b32_e32 v6, 0, v6, vcc_lo
	v_cmp_le_u32_e32 vcc_lo, v56, v3
	s_delay_alu instid0(VALU_DEP_2) | instskip(SKIP_3) | instid1(VALU_DEP_1)
	v_add_nc_u32_e32 v5, v5, v6
	ds_bpermute_b32 v6, v55, v5
	s_waitcnt lgkmcnt(0)
	v_cndmask_b32_e32 v3, 0, v6, vcc_lo
	v_dual_mov_b32 v5, 0 :: v_dual_add_nc_u32 v6, v5, v3
	s_branch .LBB507_142
.LBB507_141:                            ;   in Loop: Header=BB507_142 Depth=1
	s_or_b32 exec_lo, exec_lo, s19
	ds_bpermute_b32 v9, v12, v6
	v_and_b32_e32 v8, 0xff, v7
	v_subrev_nc_u32_e32 v4, 32, v4
	s_delay_alu instid0(VALU_DEP_2) | instskip(SKIP_1) | instid1(VALU_DEP_1)
	v_cmp_eq_u16_e32 vcc_lo, 2, v8
	v_and_or_b32 v8, vcc_lo, v13, 0x80000000
	v_ctz_i32_b32_e32 v8, v8
	s_delay_alu instid0(VALU_DEP_1) | instskip(SKIP_3) | instid1(VALU_DEP_2)
	v_cmp_lt_u32_e32 vcc_lo, v52, v8
	s_waitcnt lgkmcnt(0)
	v_cndmask_b32_e32 v9, 0, v9, vcc_lo
	v_cmp_le_u32_e32 vcc_lo, v30, v8
	v_add_nc_u32_e32 v6, v9, v6
	ds_bpermute_b32 v9, v29, v6
	s_waitcnt lgkmcnt(0)
	v_cndmask_b32_e32 v9, 0, v9, vcc_lo
	v_cmp_le_u32_e32 vcc_lo, v33, v8
	s_delay_alu instid0(VALU_DEP_2) | instskip(SKIP_4) | instid1(VALU_DEP_2)
	v_add_nc_u32_e32 v6, v6, v9
	ds_bpermute_b32 v9, v32, v6
	s_waitcnt lgkmcnt(0)
	v_cndmask_b32_e32 v9, 0, v9, vcc_lo
	v_cmp_le_u32_e32 vcc_lo, v35, v8
	v_add_nc_u32_e32 v6, v6, v9
	ds_bpermute_b32 v9, v34, v6
	s_waitcnt lgkmcnt(0)
	v_cndmask_b32_e32 v9, 0, v9, vcc_lo
	v_cmp_le_u32_e32 vcc_lo, v56, v8
	s_delay_alu instid0(VALU_DEP_2) | instskip(SKIP_3) | instid1(VALU_DEP_1)
	v_add_nc_u32_e32 v6, v6, v9
	ds_bpermute_b32 v9, v55, v6
	s_waitcnt lgkmcnt(0)
	v_cndmask_b32_e32 v8, 0, v9, vcc_lo
	v_add3_u32 v6, v8, v3, v6
.LBB507_142:                            ; =>This Loop Header: Depth=1
                                        ;     Child Loop BB507_145 Depth 2
	v_and_b32_e32 v3, 0xff, v7
	s_delay_alu instid0(VALU_DEP_1) | instskip(SKIP_2) | instid1(VALU_DEP_1)
	v_cmp_ne_u16_e32 vcc_lo, 2, v3
	v_cndmask_b32_e64 v3, 0, 1, vcc_lo
	;;#ASMSTART
	;;#ASMEND
	v_cmp_ne_u32_e32 vcc_lo, 0, v3
	v_mov_b32_e32 v3, v6
	s_cmp_lg_u32 vcc_lo, exec_lo
	s_cbranch_scc1 .LBB507_147
; %bb.143:                              ;   in Loop: Header=BB507_142 Depth=1
	v_lshlrev_b64 v[6:7], 3, v[4:5]
	s_mov_b32 s19, exec_lo
	s_delay_alu instid0(VALU_DEP_1) | instskip(NEXT) | instid1(VALU_DEP_2)
	v_add_co_u32 v8, vcc_lo, s12, v6
	v_add_co_ci_u32_e32 v9, vcc_lo, s13, v7, vcc_lo
	global_load_b64 v[6:7], v[8:9], off glc
	s_waitcnt vmcnt(0)
	v_and_b32_e32 v57, 0xff, v7
	s_delay_alu instid0(VALU_DEP_1)
	v_cmpx_eq_u16_e32 0, v57
	s_cbranch_execz .LBB507_141
; %bb.144:                              ;   in Loop: Header=BB507_142 Depth=1
	s_mov_b32 s20, 0
.LBB507_145:                            ;   Parent Loop BB507_142 Depth=1
                                        ; =>  This Inner Loop Header: Depth=2
	global_load_b64 v[6:7], v[8:9], off glc
	s_waitcnt vmcnt(0)
	v_and_b32_e32 v57, 0xff, v7
	s_delay_alu instid0(VALU_DEP_1) | instskip(SKIP_1) | instid1(SALU_CYCLE_1)
	v_cmp_ne_u16_e32 vcc_lo, 0, v57
	s_or_b32 s20, vcc_lo, s20
	s_and_not1_b32 exec_lo, exec_lo, s20
	s_cbranch_execnz .LBB507_145
; %bb.146:                              ;   in Loop: Header=BB507_142 Depth=1
	s_or_b32 exec_lo, exec_lo, s20
	s_branch .LBB507_141
.LBB507_147:                            ;   in Loop: Header=BB507_142 Depth=1
                                        ; implicit-def: $vgpr6
                                        ; implicit-def: $vgpr7
	s_cbranch_execz .LBB507_142
; %bb.148:
	s_and_saveexec_b32 s19, s8
	s_cbranch_execz .LBB507_150
; %bb.149:
	s_add_i32 s20, s15, 32
	s_mov_b32 s21, 0
	v_dual_mov_b32 v5, 2 :: v_dual_add_nc_u32 v4, v3, v2
	s_lshl_b64 s[20:21], s[20:21], 3
	v_mov_b32_e32 v6, 0
	s_add_u32 s20, s12, s20
	s_addc_u32 s21, s13, s21
	global_store_b64 v6, v[4:5], s[20:21]
	ds_store_b64 v6, v[2:3] offset:3072
.LBB507_150:
	s_or_b32 exec_lo, exec_lo, s19
	v_cmp_eq_u32_e32 vcc_lo, 0, v0
	s_and_b32 exec_lo, exec_lo, vcc_lo
	s_cbranch_execz .LBB507_152
; %bb.151:
	v_mov_b32_e32 v2, 0
	ds_store_b32 v2, v3 offset:12
.LBB507_152:
	s_or_b32 exec_lo, exec_lo, s9
	s_waitcnt lgkmcnt(0)
	v_cndmask_b32_e64 v3, v11, v10, s8
	v_cmp_ne_u32_e32 vcc_lo, 0, v0
	v_mov_b32_e32 v12, 0
	s_waitcnt_vscnt null, 0x0
	s_barrier
	buffer_gl0_inv
	v_cndmask_b32_e32 v3, 0, v3, vcc_lo
	ds_load_b32 v2, v12 offset:12
	s_waitcnt lgkmcnt(0)
	s_barrier
	buffer_gl0_inv
	ds_load_b64 v[29:30], v12 offset:3072
	v_add_nc_u32_e32 v2, v2, v3
	s_delay_alu instid0(VALU_DEP_1) | instskip(NEXT) | instid1(VALU_DEP_1)
	v_add_nc_u32_e32 v3, v2, v42
	v_add_nc_u32_e32 v4, v3, v43
	s_delay_alu instid0(VALU_DEP_1) | instskip(NEXT) | instid1(VALU_DEP_1)
	v_add_nc_u32_e32 v5, v4, v44
	;; [unrolled: 3-line block ×5, first 2 shown]
	v_add_nc_u32_e32 v12, v11, v50
	s_delay_alu instid0(VALU_DEP_1)
	v_add_nc_u32_e32 v13, v12, v51
	v_lshrrev_b64 v[34:35], 24, v[22:23]
	v_lshrrev_b64 v[32:33], 24, v[1:2]
	s_branch .LBB507_163
.LBB507_153:
                                        ; implicit-def: $vgpr30
                                        ; implicit-def: $vgpr2_vgpr3_vgpr4_vgpr5_vgpr6_vgpr7_vgpr8_vgpr9_vgpr10_vgpr11_vgpr12_vgpr13
                                        ; implicit-def: $vgpr29
	v_lshrrev_b64 v[34:35], 24, v[22:23]
	v_lshrrev_b64 v[32:33], 24, v[1:2]
	s_and_b32 vcc_lo, exec_lo, s8
	s_cbranch_vccz .LBB507_163
; %bb.154:
	v_mov_b32_dpp v1, v54 row_shr:1 row_mask:0xf bank_mask:0xf
	s_delay_alu instid0(VALU_DEP_1) | instskip(NEXT) | instid1(VALU_DEP_1)
	v_cndmask_b32_e64 v1, v1, 0, s7
	v_add_nc_u32_e32 v1, v1, v54
	s_delay_alu instid0(VALU_DEP_1) | instskip(NEXT) | instid1(VALU_DEP_1)
	v_mov_b32_dpp v2, v1 row_shr:2 row_mask:0xf bank_mask:0xf
	v_cndmask_b32_e64 v2, 0, v2, s6
	s_delay_alu instid0(VALU_DEP_1) | instskip(NEXT) | instid1(VALU_DEP_1)
	v_add_nc_u32_e32 v1, v1, v2
	v_mov_b32_dpp v2, v1 row_shr:4 row_mask:0xf bank_mask:0xf
	s_delay_alu instid0(VALU_DEP_1) | instskip(NEXT) | instid1(VALU_DEP_1)
	v_cndmask_b32_e64 v2, 0, v2, s5
	v_add_nc_u32_e32 v1, v1, v2
	s_delay_alu instid0(VALU_DEP_1) | instskip(NEXT) | instid1(VALU_DEP_1)
	v_mov_b32_dpp v2, v1 row_shr:8 row_mask:0xf bank_mask:0xf
	v_cndmask_b32_e64 v2, 0, v2, s4
	s_delay_alu instid0(VALU_DEP_1) | instskip(SKIP_3) | instid1(VALU_DEP_1)
	v_add_nc_u32_e32 v1, v1, v2
	ds_swizzle_b32 v2, v1 offset:swizzle(BROADCAST,32,15)
	s_waitcnt lgkmcnt(0)
	v_cndmask_b32_e64 v2, v2, 0, s3
	v_add_nc_u32_e32 v1, v1, v2
	s_and_saveexec_b32 s3, s2
	s_cbranch_execz .LBB507_156
; %bb.155:
	v_lshlrev_b32_e32 v2, 2, v53
	ds_store_b32 v2, v1
.LBB507_156:
	s_or_b32 exec_lo, exec_lo, s3
	s_delay_alu instid0(SALU_CYCLE_1)
	s_mov_b32 s2, exec_lo
	s_waitcnt lgkmcnt(0)
	s_barrier
	buffer_gl0_inv
	v_cmpx_gt_u32_e32 4, v0
	s_cbranch_execz .LBB507_158
; %bb.157:
	v_and_b32_e32 v4, 3, v52
	s_delay_alu instid0(VALU_DEP_1) | instskip(SKIP_4) | instid1(VALU_DEP_1)
	v_cmp_ne_u32_e32 vcc_lo, 0, v4
	v_lshlrev_b32_e32 v2, 2, v0
	ds_load_b32 v3, v2
	s_waitcnt lgkmcnt(0)
	v_mov_b32_dpp v5, v3 row_shr:1 row_mask:0xf bank_mask:0xf
	v_cndmask_b32_e32 v5, 0, v5, vcc_lo
	v_cmp_lt_u32_e32 vcc_lo, 1, v4
	s_delay_alu instid0(VALU_DEP_2) | instskip(NEXT) | instid1(VALU_DEP_1)
	v_add_nc_u32_e32 v3, v5, v3
	v_mov_b32_dpp v5, v3 row_shr:2 row_mask:0xf bank_mask:0xf
	s_delay_alu instid0(VALU_DEP_1) | instskip(NEXT) | instid1(VALU_DEP_1)
	v_cndmask_b32_e32 v4, 0, v5, vcc_lo
	v_add_nc_u32_e32 v3, v3, v4
	ds_store_b32 v2, v3
.LBB507_158:
	s_or_b32 exec_lo, exec_lo, s2
	v_dual_mov_b32 v3, 0 :: v_dual_mov_b32 v2, 0
	s_mov_b32 s2, exec_lo
	s_waitcnt lgkmcnt(0)
	s_barrier
	buffer_gl0_inv
	v_cmpx_lt_u32_e32 31, v0
	s_cbranch_execz .LBB507_160
; %bb.159:
	v_lshl_add_u32 v2, v53, 2, -4
	ds_load_b32 v2, v2
.LBB507_160:
	s_or_b32 exec_lo, exec_lo, s2
	v_add_nc_u32_e32 v4, -1, v52
	ds_load_b32 v29, v3 offset:12
	s_waitcnt lgkmcnt(1)
	v_add_nc_u32_e32 v1, v2, v1
	v_cmp_gt_i32_e32 vcc_lo, 0, v4
	v_cndmask_b32_e32 v4, v4, v52, vcc_lo
	v_cmp_eq_u32_e32 vcc_lo, 0, v0
	s_delay_alu instid0(VALU_DEP_2)
	v_lshlrev_b32_e32 v4, 2, v4
	ds_bpermute_b32 v1, v4, v1
	s_and_saveexec_b32 s2, vcc_lo
	s_cbranch_execz .LBB507_162
; %bb.161:
	v_dual_mov_b32 v3, 0 :: v_dual_mov_b32 v30, 2
	s_waitcnt lgkmcnt(1)
	global_store_b64 v3, v[29:30], s[12:13] offset:256
.LBB507_162:
	s_or_b32 exec_lo, exec_lo, s2
	v_cmp_eq_u32_e64 s2, 0, v52
	s_waitcnt lgkmcnt(0)
	s_waitcnt_vscnt null, 0x0
	s_barrier
	buffer_gl0_inv
	v_mov_b32_e32 v30, 0
	v_cndmask_b32_e64 v1, v1, v2, s2
	s_delay_alu instid0(VALU_DEP_1) | instskip(NEXT) | instid1(VALU_DEP_1)
	v_cndmask_b32_e64 v2, v1, 0, vcc_lo
	v_add_nc_u32_e32 v3, v2, v42
	s_delay_alu instid0(VALU_DEP_1) | instskip(NEXT) | instid1(VALU_DEP_1)
	v_add_nc_u32_e32 v4, v3, v43
	v_add_nc_u32_e32 v5, v4, v44
	s_delay_alu instid0(VALU_DEP_1) | instskip(NEXT) | instid1(VALU_DEP_1)
	v_add_nc_u32_e32 v6, v5, v45
	;; [unrolled: 3-line block ×5, first 2 shown]
	v_add_nc_u32_e32 v13, v12, v51
.LBB507_163:
	s_load_b128 s[4:7], s[0:1], 0x28
	s_waitcnt lgkmcnt(0)
	v_add_nc_u32_e32 v46, v30, v29
	v_cmp_gt_u32_e64 s0, 0x81, v29
	v_lshrrev_b32_e32 v33, 16, v41
	v_lshrrev_b32_e32 v44, 16, v22
	;; [unrolled: 1-line block ×6, first 2 shown]
	v_cmp_lt_u32_e64 s1, v2, v46
	s_and_b32 vcc_lo, exec_lo, s0
	s_mov_b32 s2, -1
	s_cbranch_vccz .LBB507_201
; %bb.164:
	s_lshl_b64 s[2:3], s[10:11], 1
	s_delay_alu instid0(SALU_CYCLE_1) | instskip(SKIP_2) | instid1(SALU_CYCLE_1)
	s_add_u32 s2, s4, s2
	s_addc_u32 s3, s5, s3
	s_or_b32 s8, s18, s1
	s_and_saveexec_b32 s1, s8
	s_cbranch_execz .LBB507_167
; %bb.165:
	v_and_b32_e32 v1, 1, v22
	s_delay_alu instid0(VALU_DEP_1)
	v_cmp_eq_u32_e32 vcc_lo, 1, v1
	s_and_b32 exec_lo, exec_lo, vcc_lo
	s_cbranch_execz .LBB507_167
; %bb.166:
	v_dual_mov_b32 v48, 0 :: v_dual_mov_b32 v47, v2
	s_delay_alu instid0(VALU_DEP_1) | instskip(NEXT) | instid1(VALU_DEP_1)
	v_lshlrev_b64 v[47:48], 1, v[47:48]
	v_add_co_u32 v47, vcc_lo, s2, v47
	s_delay_alu instid0(VALU_DEP_2)
	v_add_co_ci_u32_e32 v48, vcc_lo, s3, v48, vcc_lo
	global_store_b16 v[47:48], v18, off
.LBB507_167:
	s_or_b32 exec_lo, exec_lo, s1
	v_cmp_lt_u32_e32 vcc_lo, v3, v46
	s_or_b32 s8, s18, vcc_lo
	s_delay_alu instid0(SALU_CYCLE_1)
	s_and_saveexec_b32 s1, s8
	s_cbranch_execz .LBB507_170
; %bb.168:
	v_and_b32_e32 v1, 1, v45
	s_delay_alu instid0(VALU_DEP_1)
	v_cmp_eq_u32_e32 vcc_lo, 1, v1
	s_and_b32 exec_lo, exec_lo, vcc_lo
	s_cbranch_execz .LBB507_170
; %bb.169:
	v_dual_mov_b32 v48, 0 :: v_dual_mov_b32 v47, v3
	s_delay_alu instid0(VALU_DEP_1) | instskip(NEXT) | instid1(VALU_DEP_1)
	v_lshlrev_b64 v[47:48], 1, v[47:48]
	v_add_co_u32 v47, vcc_lo, s2, v47
	s_delay_alu instid0(VALU_DEP_2)
	v_add_co_ci_u32_e32 v48, vcc_lo, s3, v48, vcc_lo
	global_store_b16 v[47:48], v40, off
.LBB507_170:
	s_or_b32 exec_lo, exec_lo, s1
	v_cmp_lt_u32_e32 vcc_lo, v4, v46
	s_or_b32 s8, s18, vcc_lo
	s_delay_alu instid0(SALU_CYCLE_1)
	;; [unrolled: 21-line block ×11, first 2 shown]
	s_and_saveexec_b32 s1, s8
	s_cbranch_execz .LBB507_200
; %bb.198:
	v_and_b32_e32 v1, 1, v32
	s_delay_alu instid0(VALU_DEP_1)
	v_cmp_eq_u32_e32 vcc_lo, 1, v1
	s_and_b32 exec_lo, exec_lo, vcc_lo
	s_cbranch_execz .LBB507_200
; %bb.199:
	v_dual_mov_b32 v48, 0 :: v_dual_mov_b32 v47, v13
	s_delay_alu instid0(VALU_DEP_1) | instskip(NEXT) | instid1(VALU_DEP_1)
	v_lshlrev_b64 v[47:48], 1, v[47:48]
	v_add_co_u32 v47, vcc_lo, s2, v47
	s_delay_alu instid0(VALU_DEP_2)
	v_add_co_ci_u32_e32 v48, vcc_lo, s3, v48, vcc_lo
	global_store_b16 v[47:48], v31, off
.LBB507_200:
	s_or_b32 exec_lo, exec_lo, s1
	s_mov_b32 s2, 0
.LBB507_201:
	v_and_b32_e32 v22, 1, v22
	s_and_b32 vcc_lo, exec_lo, s2
	s_delay_alu instid0(VALU_DEP_1)
	v_cmp_eq_u32_e64 s1, 1, v22
	s_cbranch_vccz .LBB507_242
; %bb.202:
	s_delay_alu instid0(VALU_DEP_1)
	s_and_saveexec_b32 s2, s1
	s_cbranch_execz .LBB507_204
; %bb.203:
	v_sub_nc_u32_e32 v1, v2, v30
	s_delay_alu instid0(VALU_DEP_1)
	v_lshlrev_b32_e32 v1, 1, v1
	ds_store_b16 v1, v18
.LBB507_204:
	s_or_b32 exec_lo, exec_lo, s2
	v_and_b32_e32 v1, 1, v45
	s_mov_b32 s1, exec_lo
	s_delay_alu instid0(VALU_DEP_1)
	v_cmpx_eq_u32_e32 1, v1
	s_cbranch_execz .LBB507_206
; %bb.205:
	v_sub_nc_u32_e32 v1, v3, v30
	s_delay_alu instid0(VALU_DEP_1)
	v_lshlrev_b32_e32 v1, 1, v1
	ds_store_b16 v1, v40
.LBB507_206:
	s_or_b32 exec_lo, exec_lo, s1
	v_and_b32_e32 v1, 1, v44
	s_mov_b32 s1, exec_lo
	s_delay_alu instid0(VALU_DEP_1)
	v_cmpx_eq_u32_e32 1, v1
	;; [unrolled: 12-line block ×11, first 2 shown]
	s_cbranch_execz .LBB507_226
; %bb.225:
	v_sub_nc_u32_e32 v1, v13, v30
	s_delay_alu instid0(VALU_DEP_1)
	v_lshlrev_b32_e32 v1, 1, v1
	ds_store_b16 v1, v31
.LBB507_226:
	s_or_b32 exec_lo, exec_lo, s1
	s_delay_alu instid0(SALU_CYCLE_1)
	s_mov_b32 s3, exec_lo
	s_waitcnt lgkmcnt(0)
	s_waitcnt_vscnt null, 0x0
	s_barrier
	buffer_gl0_inv
	v_cmpx_lt_u32_e64 v0, v29
	s_cbranch_execz .LBB507_241
; %bb.227:
	v_mov_b32_e32 v31, 0
	s_lshl_b64 s[8:9], s[10:11], 1
	v_xad_u32 v1, v0, -1, v29
	s_add_u32 s2, s4, s8
	s_addc_u32 s4, s5, s9
	v_lshlrev_b64 v[18:19], 1, v[30:31]
	s_delay_alu instid0(VALU_DEP_2) | instskip(NEXT) | instid1(VALU_DEP_2)
	v_cmp_gt_u32_e32 vcc_lo, 0xc80, v1
	v_add_co_u32 v27, s2, s2, v18
	v_mov_b32_e32 v18, v0
	s_delay_alu instid0(VALU_DEP_4)
	v_add_co_ci_u32_e64 v28, s2, s4, v19, s2
	s_mov_b32 s2, -1
	s_mov_b32 s4, exec_lo
	v_cmpx_lt_u32_e32 0xc7f, v1
	s_cbranch_execz .LBB507_238
; %bb.228:
	v_sub_nc_u32_e32 v18, v0, v29
	s_delay_alu instid0(VALU_DEP_1) | instskip(NEXT) | instid1(VALU_DEP_1)
	v_or_b32_e32 v18, 0x7f, v18
	v_cmp_ge_u32_e64 s1, v18, v0
	v_mov_b32_e32 v18, v0
	s_delay_alu instid0(VALU_DEP_2)
	s_and_saveexec_b32 s5, s1
	s_cbranch_execz .LBB507_237
; %bb.229:
	v_lshrrev_b32_e32 v31, 7, v1
	v_or_b32_e32 v1, 0x80, v0
	s_delay_alu instid0(VALU_DEP_2) | instskip(NEXT) | instid1(VALU_DEP_1)
	v_dual_mov_b32 v39, 0 :: v_dual_add_nc_u32 v18, -1, v31
	v_lshrrev_b32_e32 v19, 1, v18
	v_cmp_lt_u32_e64 s1, 13, v18
	s_delay_alu instid0(VALU_DEP_2) | instskip(SKIP_1) | instid1(VALU_DEP_3)
	v_dual_mov_b32 v19, v1 :: v_dual_add_nc_u32 v36, 1, v19
	v_mov_b32_e32 v18, v0
	s_and_saveexec_b32 s2, s1
	s_cbranch_execz .LBB507_233
; %bb.230:
	v_mov_b32_e32 v19, v1
	v_dual_mov_b32 v18, v0 :: v_dual_and_b32 v37, -8, v36
	v_dual_mov_b32 v21, 0 :: v_dual_lshlrev_b32 v38, 1, v0
	s_mov_b32 s8, 0
	s_mov_b32 s9, 0
.LBB507_231:                            ; =>This Inner Loop Header: Depth=1
	s_delay_alu instid0(VALU_DEP_2) | instskip(NEXT) | instid1(VALU_DEP_2)
	v_dual_mov_b32 v20, v18 :: v_dual_add_nc_u32 v47, 0x100, v19
	v_dual_mov_b32 v60, v21 :: v_dual_add_nc_u32 v37, -8, v37
	v_dual_mov_b32 v48, v21 :: v_dual_add_nc_u32 v49, 0x200, v19
	s_delay_alu instid0(VALU_DEP_3) | instskip(SKIP_1) | instid1(VALU_DEP_4)
	v_lshlrev_b64 v[61:62], 1, v[20:21]
	v_dual_mov_b32 v50, v21 :: v_dual_add_nc_u32 v51, 0x300, v19
	v_cmp_eq_u32_e64 s1, 0, v37
	s_delay_alu instid0(VALU_DEP_4)
	v_lshlrev_b64 v[47:48], 1, v[47:48]
	v_dual_mov_b32 v52, v21 :: v_dual_add_nc_u32 v53, 0x400, v19
	s_add_i32 s9, s9, 16
	v_lshlrev_b64 v[49:50], 1, v[49:50]
	s_or_b32 s8, s1, s8
	v_add_co_u32 v61, s1, v27, v61
	v_dual_mov_b32 v54, v21 :: v_dual_add_nc_u32 v55, 0x500, v19
	v_add_co_ci_u32_e64 v62, s1, v28, v62, s1
	v_lshlrev_b64 v[51:52], 1, v[51:52]
	v_add_co_u32 v47, s1, v27, v47
	v_dual_mov_b32 v56, v21 :: v_dual_add_nc_u32 v57, 0x600, v19
	v_add_co_ci_u32_e64 v48, s1, v28, v48, s1
	v_lshlrev_b64 v[53:54], 1, v[53:54]
	;; [unrolled: 4-line block ×4, first 2 shown]
	v_add_co_u32 v53, s1, v27, v53
	ds_load_u16 v1, v38
	ds_load_u16 v40, v38 offset:256
	ds_load_u16 v67, v38 offset:512
	;; [unrolled: 1-line block ×7, first 2 shown]
	v_add_co_ci_u32_e64 v54, s1, v28, v54, s1
	v_lshlrev_b64 v[59:60], 1, v[59:60]
	v_add_co_u32 v55, s1, v27, v55
	v_lshlrev_b64 v[63:64], 1, v[20:21]
	v_add_nc_u32_e32 v20, 0x100, v18
	v_add_co_ci_u32_e64 v56, s1, v28, v56, s1
	v_add_co_u32 v57, s1, v27, v57
	s_delay_alu instid0(VALU_DEP_1)
	v_add_co_ci_u32_e64 v58, s1, v28, v58, s1
	v_add_co_u32 v59, s1, v27, v59
	v_lshlrev_b64 v[65:66], 1, v[20:21]
	v_add_nc_u32_e32 v20, 0x200, v18
	v_add_co_ci_u32_e64 v60, s1, v28, v60, s1
	v_add_co_u32 v63, s1, v27, v63
	ds_load_u16 v73, v38 offset:2048
	ds_load_u16 v74, v38 offset:2304
	;; [unrolled: 1-line block ×8, first 2 shown]
	v_add_co_ci_u32_e64 v64, s1, v28, v64, s1
	s_waitcnt lgkmcnt(15)
	global_store_b16 v[61:62], v1, off
	v_lshlrev_b64 v[61:62], 1, v[20:21]
	v_add_nc_u32_e32 v20, 0x300, v18
	v_add_co_u32 v65, s1, v27, v65
	s_delay_alu instid0(VALU_DEP_1)
	v_add_co_ci_u32_e64 v66, s1, v28, v66, s1
	s_waitcnt lgkmcnt(14)
	global_store_b16 v[63:64], v40, off
	v_lshlrev_b64 v[63:64], 1, v[20:21]
	v_add_nc_u32_e32 v20, 0x400, v18
	s_waitcnt lgkmcnt(13)
	global_store_b16 v[65:66], v67, off
	s_waitcnt lgkmcnt(12)
	global_store_b16 v[47:48], v68, off
	v_add_co_u32 v47, s1, v27, v61
	s_delay_alu instid0(VALU_DEP_1) | instskip(SKIP_3) | instid1(VALU_DEP_1)
	v_add_co_ci_u32_e64 v48, s1, v28, v62, s1
	v_lshlrev_b64 v[61:62], 1, v[20:21]
	v_add_nc_u32_e32 v20, 0x500, v18
	v_add_co_u32 v63, s1, v27, v63
	v_add_co_ci_u32_e64 v64, s1, v28, v64, s1
	s_waitcnt lgkmcnt(11)
	global_store_b16 v[47:48], v69, off
	s_waitcnt lgkmcnt(10)
	global_store_b16 v[49:50], v70, off
	v_lshlrev_b64 v[47:48], 1, v[20:21]
	v_add_nc_u32_e32 v20, 0x600, v18
	v_add_co_u32 v49, s1, v27, v61
	s_waitcnt lgkmcnt(9)
	global_store_b16 v[63:64], v71, off
	s_waitcnt lgkmcnt(8)
	global_store_b16 v[51:52], v72, off
	v_add_co_ci_u32_e64 v50, s1, v28, v62, s1
	v_lshlrev_b64 v[51:52], 1, v[20:21]
	v_add_nc_u32_e32 v20, 0x700, v18
	v_add_co_u32 v47, s1, v27, v47
	s_delay_alu instid0(VALU_DEP_1)
	v_add_co_ci_u32_e64 v48, s1, v28, v48, s1
	s_waitcnt lgkmcnt(7)
	global_store_b16 v[49:50], v73, off
	s_waitcnt lgkmcnt(6)
	global_store_b16 v[53:54], v74, off
	v_lshlrev_b64 v[49:50], 1, v[20:21]
	v_dual_mov_b32 v39, s9 :: v_dual_add_nc_u32 v38, 0x1000, v38
	s_waitcnt lgkmcnt(5)
	global_store_b16 v[47:48], v75, off
	v_add_co_u32 v47, s1, v27, v51
	v_add_nc_u32_e32 v18, 0x800, v18
	v_add_co_ci_u32_e64 v48, s1, v28, v52, s1
	v_add_co_u32 v49, s1, v27, v49
	s_delay_alu instid0(VALU_DEP_1)
	v_add_co_ci_u32_e64 v50, s1, v28, v50, s1
	s_waitcnt lgkmcnt(4)
	global_store_b16 v[55:56], v76, off
	s_waitcnt lgkmcnt(3)
	global_store_b16 v[47:48], v77, off
	;; [unrolled: 2-line block ×5, first 2 shown]
	s_and_not1_b32 exec_lo, exec_lo, s8
	s_cbranch_execnz .LBB507_231
; %bb.232:
	s_or_b32 exec_lo, exec_lo, s8
.LBB507_233:
	s_delay_alu instid0(SALU_CYCLE_1) | instskip(SKIP_3) | instid1(VALU_DEP_1)
	s_or_b32 exec_lo, exec_lo, s2
	v_and_b32_e32 v1, 7, v36
	s_mov_b32 s9, 0
	s_mov_b32 s8, exec_lo
	v_cmpx_ne_u32_e32 0, v1
	s_cbranch_execz .LBB507_236
; %bb.234:
	v_dual_mov_b32 v21, 0 :: v_dual_lshlrev_b32 v20, 1, v0
	s_delay_alu instid0(VALU_DEP_1)
	v_lshl_or_b32 v36, v39, 8, v20
	s_set_inst_prefetch_distance 0x1
	.p2align	6
.LBB507_235:                            ; =>This Inner Loop Header: Depth=1
	v_dual_mov_b32 v20, v18 :: v_dual_add_nc_u32 v1, -1, v1
	ds_load_u16 v47, v36
	ds_load_u16 v48, v36 offset:256
	v_add_nc_u32_e32 v18, 0x100, v18
	v_add_nc_u32_e32 v36, 0x200, v36
	v_lshlrev_b64 v[37:38], 1, v[20:21]
	v_dual_mov_b32 v20, v19 :: v_dual_add_nc_u32 v19, 0x100, v19
	v_cmp_eq_u32_e64 s1, 0, v1
	s_delay_alu instid0(VALU_DEP_2) | instskip(NEXT) | instid1(VALU_DEP_4)
	v_lshlrev_b64 v[39:40], 1, v[20:21]
	v_add_co_u32 v37, s2, v27, v37
	s_delay_alu instid0(VALU_DEP_1) | instskip(NEXT) | instid1(VALU_DEP_4)
	v_add_co_ci_u32_e64 v38, s2, v28, v38, s2
	s_or_b32 s9, s1, s9
	s_delay_alu instid0(VALU_DEP_3) | instskip(NEXT) | instid1(VALU_DEP_1)
	v_add_co_u32 v39, s2, v27, v39
	v_add_co_ci_u32_e64 v40, s2, v28, v40, s2
	s_waitcnt lgkmcnt(1)
	global_store_b16 v[37:38], v47, off
	s_waitcnt lgkmcnt(0)
	global_store_b16 v[39:40], v48, off
	s_and_not1_b32 exec_lo, exec_lo, s9
	s_cbranch_execnz .LBB507_235
.LBB507_236:
	s_set_inst_prefetch_distance 0x2
	s_or_b32 exec_lo, exec_lo, s8
	v_add_nc_u32_e32 v1, 1, v31
	s_delay_alu instid0(VALU_DEP_1) | instskip(NEXT) | instid1(VALU_DEP_1)
	v_and_b32_e32 v18, 0x3fffffe, v1
	v_cmp_ne_u32_e64 s1, v1, v18
	v_lshl_or_b32 v18, v18, 7, v0
	s_delay_alu instid0(VALU_DEP_2)
	s_or_not1_b32 s2, s1, exec_lo
.LBB507_237:
	s_or_b32 exec_lo, exec_lo, s5
	s_delay_alu instid0(SALU_CYCLE_1) | instskip(SKIP_1) | instid1(SALU_CYCLE_1)
	s_and_not1_b32 s1, vcc_lo, exec_lo
	s_and_b32 s2, s2, exec_lo
	s_or_b32 vcc_lo, s1, s2
.LBB507_238:
	s_or_b32 exec_lo, exec_lo, s4
	s_delay_alu instid0(SALU_CYCLE_1)
	s_and_b32 exec_lo, exec_lo, vcc_lo
	s_cbranch_execz .LBB507_241
; %bb.239:
	v_lshlrev_b32_e32 v1, 1, v18
	v_mov_b32_e32 v19, 0
	s_mov_b32 s2, 0
	.p2align	6
.LBB507_240:                            ; =>This Inner Loop Header: Depth=1
	ds_load_u16 v31, v1
	v_lshlrev_b64 v[20:21], 1, v[18:19]
	v_add_nc_u32_e32 v18, 0x80, v18
	v_add_nc_u32_e32 v1, 0x100, v1
	s_delay_alu instid0(VALU_DEP_2) | instskip(NEXT) | instid1(VALU_DEP_4)
	v_cmp_ge_u32_e32 vcc_lo, v18, v29
	v_add_co_u32 v20, s1, v27, v20
	s_delay_alu instid0(VALU_DEP_1)
	v_add_co_ci_u32_e64 v21, s1, v28, v21, s1
	s_or_b32 s2, vcc_lo, s2
	s_waitcnt lgkmcnt(0)
	global_store_b16 v[20:21], v31, off
	s_and_not1_b32 exec_lo, exec_lo, s2
	s_cbranch_execnz .LBB507_240
.LBB507_241:
	s_or_b32 exec_lo, exec_lo, s3
.LBB507_242:
	v_lshrrev_b32_e32 v27, 16, v14
	v_lshrrev_b32_e32 v21, 16, v15
	v_lshrrev_b32_e32 v20, 16, v16
	v_lshrrev_b32_e32 v19, 16, v17
	v_lshrrev_b32_e32 v18, 16, v25
	v_lshrrev_b32_e32 v1, 16, v26
	s_and_b32 vcc_lo, exec_lo, s0
	s_mov_b32 s0, -1
	s_waitcnt_vscnt null, 0x0
	s_barrier
	buffer_gl0_inv
	s_cbranch_vccnz .LBB507_246
; %bb.243:
	s_and_b32 vcc_lo, exec_lo, s0
	s_cbranch_vccnz .LBB507_283
.LBB507_244:
	v_cmp_eq_u32_e32 vcc_lo, 0, v0
	s_and_b32 s0, vcc_lo, s14
	s_delay_alu instid0(SALU_CYCLE_1)
	s_and_saveexec_b32 s1, s0
	s_cbranch_execnz .LBB507_323
.LBB507_245:
	s_nop 0
	s_sendmsg sendmsg(MSG_DEALLOC_VGPRS)
	s_endpgm
.LBB507_246:
	v_cmp_lt_u32_e32 vcc_lo, v2, v46
	s_lshl_b64 s[0:1], s[10:11], 1
	s_delay_alu instid0(SALU_CYCLE_1) | instskip(SKIP_2) | instid1(SALU_CYCLE_1)
	s_add_u32 s0, s6, s0
	s_addc_u32 s1, s7, s1
	s_or_b32 s3, s18, vcc_lo
	s_and_saveexec_b32 s2, s3
	s_cbranch_execz .LBB507_249
; %bb.247:
	v_cmp_eq_u32_e32 vcc_lo, 1, v22
	s_and_b32 exec_lo, exec_lo, vcc_lo
	s_cbranch_execz .LBB507_249
; %bb.248:
	v_dual_mov_b32 v37, 0 :: v_dual_mov_b32 v36, v2
	s_delay_alu instid0(VALU_DEP_1) | instskip(NEXT) | instid1(VALU_DEP_1)
	v_lshlrev_b64 v[36:37], 1, v[36:37]
	v_add_co_u32 v36, vcc_lo, s0, v36
	s_delay_alu instid0(VALU_DEP_2)
	v_add_co_ci_u32_e32 v37, vcc_lo, s1, v37, vcc_lo
	global_store_b16 v[36:37], v14, off
.LBB507_249:
	s_or_b32 exec_lo, exec_lo, s2
	v_cmp_lt_u32_e32 vcc_lo, v3, v46
	s_or_b32 s3, s18, vcc_lo
	s_delay_alu instid0(SALU_CYCLE_1)
	s_and_saveexec_b32 s2, s3
	s_cbranch_execz .LBB507_252
; %bb.250:
	v_and_b32_e32 v28, 1, v45
	s_delay_alu instid0(VALU_DEP_1)
	v_cmp_eq_u32_e32 vcc_lo, 1, v28
	s_and_b32 exec_lo, exec_lo, vcc_lo
	s_cbranch_execz .LBB507_252
; %bb.251:
	v_dual_mov_b32 v37, 0 :: v_dual_mov_b32 v36, v3
	s_delay_alu instid0(VALU_DEP_1) | instskip(NEXT) | instid1(VALU_DEP_1)
	v_lshlrev_b64 v[36:37], 1, v[36:37]
	v_add_co_u32 v36, vcc_lo, s0, v36
	s_delay_alu instid0(VALU_DEP_2)
	v_add_co_ci_u32_e32 v37, vcc_lo, s1, v37, vcc_lo
	global_store_b16 v[36:37], v27, off
.LBB507_252:
	s_or_b32 exec_lo, exec_lo, s2
	v_cmp_lt_u32_e32 vcc_lo, v4, v46
	s_or_b32 s3, s18, vcc_lo
	s_delay_alu instid0(SALU_CYCLE_1)
	s_and_saveexec_b32 s2, s3
	s_cbranch_execz .LBB507_255
; %bb.253:
	v_and_b32_e32 v28, 1, v44
	s_delay_alu instid0(VALU_DEP_1)
	v_cmp_eq_u32_e32 vcc_lo, 1, v28
	s_and_b32 exec_lo, exec_lo, vcc_lo
	s_cbranch_execz .LBB507_255
; %bb.254:
	v_dual_mov_b32 v37, 0 :: v_dual_mov_b32 v36, v4
	s_delay_alu instid0(VALU_DEP_1) | instskip(NEXT) | instid1(VALU_DEP_1)
	v_lshlrev_b64 v[36:37], 1, v[36:37]
	v_add_co_u32 v36, vcc_lo, s0, v36
	s_delay_alu instid0(VALU_DEP_2)
	v_add_co_ci_u32_e32 v37, vcc_lo, s1, v37, vcc_lo
	global_store_b16 v[36:37], v15, off
.LBB507_255:
	;; [unrolled: 21-line block ×11, first 2 shown]
	s_or_b32 exec_lo, exec_lo, s2
	s_branch .LBB507_244
.LBB507_283:
	s_mov_b32 s0, exec_lo
	v_cmpx_eq_u32_e32 1, v22
	s_cbranch_execz .LBB507_285
; %bb.284:
	v_sub_nc_u32_e32 v2, v2, v30
	s_delay_alu instid0(VALU_DEP_1)
	v_lshlrev_b32_e32 v2, 1, v2
	ds_store_b16 v2, v14
.LBB507_285:
	s_or_b32 exec_lo, exec_lo, s0
	v_and_b32_e32 v2, 1, v45
	s_mov_b32 s0, exec_lo
	s_delay_alu instid0(VALU_DEP_1)
	v_cmpx_eq_u32_e32 1, v2
	s_cbranch_execz .LBB507_287
; %bb.286:
	v_sub_nc_u32_e32 v2, v3, v30
	s_delay_alu instid0(VALU_DEP_1)
	v_lshlrev_b32_e32 v2, 1, v2
	ds_store_b16 v2, v27
.LBB507_287:
	s_or_b32 exec_lo, exec_lo, s0
	v_and_b32_e32 v2, 1, v44
	s_mov_b32 s0, exec_lo
	s_delay_alu instid0(VALU_DEP_1)
	;; [unrolled: 12-line block ×11, first 2 shown]
	v_cmpx_eq_u32_e32 1, v2
	s_cbranch_execz .LBB507_307
; %bb.306:
	v_sub_nc_u32_e32 v2, v13, v30
	s_delay_alu instid0(VALU_DEP_1)
	v_lshlrev_b32_e32 v2, 1, v2
	ds_store_b16 v2, v1
.LBB507_307:
	s_or_b32 exec_lo, exec_lo, s0
	s_delay_alu instid0(SALU_CYCLE_1)
	s_mov_b32 s2, exec_lo
	s_waitcnt lgkmcnt(0)
	s_waitcnt_vscnt null, 0x0
	s_barrier
	buffer_gl0_inv
	v_cmpx_lt_u32_e64 v0, v29
	s_cbranch_execz .LBB507_322
; %bb.308:
	v_mov_b32_e32 v31, 0
	s_lshl_b64 s[0:1], s[10:11], 1
	v_xad_u32 v2, v0, -1, v29
	s_add_u32 s3, s6, s0
	s_addc_u32 s4, s7, s1
	v_lshlrev_b64 v[3:4], 1, v[30:31]
	v_mov_b32_e32 v1, v0
	v_cmp_gt_u32_e32 vcc_lo, 0xc80, v2
	s_delay_alu instid0(VALU_DEP_3) | instskip(NEXT) | instid1(VALU_DEP_1)
	v_add_co_u32 v6, s1, s3, v3
	v_add_co_ci_u32_e64 v7, s1, s4, v4, s1
	s_mov_b32 s1, -1
	s_mov_b32 s3, exec_lo
	v_cmpx_lt_u32_e32 0xc7f, v2
	s_cbranch_execz .LBB507_319
; %bb.309:
	v_sub_nc_u32_e32 v1, v0, v29
	s_delay_alu instid0(VALU_DEP_1) | instskip(NEXT) | instid1(VALU_DEP_1)
	v_or_b32_e32 v1, 0x7f, v1
	v_cmp_ge_u32_e64 s0, v1, v0
	v_mov_b32_e32 v1, v0
	s_delay_alu instid0(VALU_DEP_2)
	s_and_saveexec_b32 s4, s0
	s_cbranch_execz .LBB507_318
; %bb.310:
	v_lshrrev_b32_e32 v8, 7, v2
	v_or_b32_e32 v1, 0x80, v0
	v_lshlrev_b32_e32 v9, 1, v0
	s_delay_alu instid0(VALU_DEP_3) | instskip(NEXT) | instid1(VALU_DEP_1)
	v_dual_mov_b32 v13, 0 :: v_dual_add_nc_u32 v2, -1, v8
	v_lshrrev_b32_e32 v3, 1, v2
	v_cmp_lt_u32_e64 s0, 13, v2
	s_delay_alu instid0(VALU_DEP_2) | instskip(SKIP_1) | instid1(VALU_DEP_3)
	v_dual_mov_b32 v3, v1 :: v_dual_add_nc_u32 v10, 1, v3
	v_mov_b32_e32 v2, v0
	s_and_saveexec_b32 s1, s0
	s_cbranch_execz .LBB507_314
; %bb.311:
	v_mov_b32_e32 v3, v1
	v_dual_mov_b32 v12, v9 :: v_dual_and_b32 v11, -8, v10
	v_dual_mov_b32 v5, 0 :: v_dual_mov_b32 v2, v0
	s_mov_b32 s5, 0
	s_mov_b32 s6, 0
.LBB507_312:                            ; =>This Inner Loop Header: Depth=1
	s_delay_alu instid0(VALU_DEP_1) | instskip(SKIP_2) | instid1(VALU_DEP_3)
	v_dual_mov_b32 v4, v2 :: v_dual_mov_b32 v15, v5
	v_add_nc_u32_e32 v11, -8, v11
	v_dual_mov_b32 v17, v5 :: v_dual_add_nc_u32 v14, 0x100, v3
	v_lshlrev_b64 v[31:32], 1, v[4:5]
	v_dual_mov_b32 v19, v5 :: v_dual_add_nc_u32 v16, 0x200, v3
	v_mov_b32_e32 v4, v3
	v_cmp_eq_u32_e64 s0, 0, v11
	v_lshlrev_b64 v[14:15], 1, v[14:15]
	v_dual_mov_b32 v21, v5 :: v_dual_add_nc_u32 v18, 0x300, v3
	s_add_i32 s6, s6, 16
	v_lshlrev_b64 v[16:17], 1, v[16:17]
	s_or_b32 s5, s0, s5
	v_add_co_u32 v31, s0, v6, v31
	v_dual_mov_b32 v23, v5 :: v_dual_add_nc_u32 v20, 0x400, v3
	v_add_co_ci_u32_e64 v32, s0, v7, v32, s0
	v_lshlrev_b64 v[18:19], 1, v[18:19]
	v_add_co_u32 v14, s0, v6, v14
	v_dual_mov_b32 v25, v5 :: v_dual_add_nc_u32 v22, 0x500, v3
	v_add_co_ci_u32_e64 v15, s0, v7, v15, s0
	v_lshlrev_b64 v[20:21], 1, v[20:21]
	v_add_co_u32 v16, s0, v6, v16
	v_dual_mov_b32 v27, v5 :: v_dual_add_nc_u32 v24, 0x600, v3
	v_add_co_ci_u32_e64 v17, s0, v7, v17, s0
	v_lshlrev_b64 v[22:23], 1, v[22:23]
	v_add_co_u32 v18, s0, v6, v18
	v_dual_mov_b32 v13, s6 :: v_dual_add_nc_u32 v26, 0x700, v3
	v_add_co_ci_u32_e64 v19, s0, v7, v19, s0
	v_lshlrev_b64 v[24:25], 1, v[24:25]
	v_add_co_u32 v20, s0, v6, v20
	ds_load_u16 v1, v12
	ds_load_u16 v28, v12 offset:256
	ds_load_u16 v37, v12 offset:512
	;; [unrolled: 1-line block ×7, first 2 shown]
	v_add_co_ci_u32_e64 v21, s0, v7, v21, s0
	v_lshlrev_b64 v[26:27], 1, v[26:27]
	v_add_co_u32 v22, s0, v6, v22
	v_lshlrev_b64 v[33:34], 1, v[4:5]
	v_add_nc_u32_e32 v4, 0x100, v2
	v_add_co_ci_u32_e64 v23, s0, v7, v23, s0
	v_add_co_u32 v24, s0, v6, v24
	s_delay_alu instid0(VALU_DEP_1)
	v_add_co_ci_u32_e64 v25, s0, v7, v25, s0
	v_add_co_u32 v26, s0, v6, v26
	v_lshlrev_b64 v[35:36], 1, v[4:5]
	v_add_nc_u32_e32 v4, 0x200, v2
	v_add_co_ci_u32_e64 v27, s0, v7, v27, s0
	v_add_co_u32 v33, s0, v6, v33
	ds_load_u16 v43, v12 offset:2048
	ds_load_u16 v44, v12 offset:2304
	;; [unrolled: 1-line block ×8, first 2 shown]
	v_add_co_ci_u32_e64 v34, s0, v7, v34, s0
	s_waitcnt lgkmcnt(15)
	global_store_b16 v[31:32], v1, off
	v_lshlrev_b64 v[31:32], 1, v[4:5]
	v_add_nc_u32_e32 v4, 0x300, v2
	v_add_co_u32 v35, s0, v6, v35
	s_delay_alu instid0(VALU_DEP_1)
	v_add_co_ci_u32_e64 v36, s0, v7, v36, s0
	s_waitcnt lgkmcnt(14)
	global_store_b16 v[33:34], v28, off
	v_lshlrev_b64 v[33:34], 1, v[4:5]
	v_add_nc_u32_e32 v4, 0x400, v2
	s_waitcnt lgkmcnt(13)
	global_store_b16 v[35:36], v37, off
	s_waitcnt lgkmcnt(12)
	global_store_b16 v[14:15], v38, off
	v_add_co_u32 v14, s0, v6, v31
	s_delay_alu instid0(VALU_DEP_1) | instskip(SKIP_3) | instid1(VALU_DEP_1)
	v_add_co_ci_u32_e64 v15, s0, v7, v32, s0
	v_lshlrev_b64 v[31:32], 1, v[4:5]
	v_add_nc_u32_e32 v4, 0x500, v2
	v_add_co_u32 v33, s0, v6, v33
	v_add_co_ci_u32_e64 v34, s0, v7, v34, s0
	s_waitcnt lgkmcnt(11)
	global_store_b16 v[14:15], v39, off
	s_waitcnt lgkmcnt(10)
	global_store_b16 v[16:17], v40, off
	v_lshlrev_b64 v[14:15], 1, v[4:5]
	v_add_nc_u32_e32 v4, 0x600, v2
	v_add_co_u32 v16, s0, v6, v31
	s_waitcnt lgkmcnt(9)
	global_store_b16 v[33:34], v41, off
	s_waitcnt lgkmcnt(8)
	global_store_b16 v[18:19], v42, off
	v_add_co_ci_u32_e64 v17, s0, v7, v32, s0
	v_lshlrev_b64 v[18:19], 1, v[4:5]
	v_add_nc_u32_e32 v4, 0x700, v2
	v_add_co_u32 v14, s0, v6, v14
	s_delay_alu instid0(VALU_DEP_1)
	v_add_co_ci_u32_e64 v15, s0, v7, v15, s0
	s_waitcnt lgkmcnt(7)
	global_store_b16 v[16:17], v43, off
	s_waitcnt lgkmcnt(6)
	global_store_b16 v[20:21], v44, off
	v_lshlrev_b64 v[16:17], 1, v[4:5]
	v_add_nc_u32_e32 v12, 0x1000, v12
	s_waitcnt lgkmcnt(5)
	global_store_b16 v[14:15], v45, off
	v_add_co_u32 v14, s0, v6, v18
	v_add_nc_u32_e32 v3, 0x800, v3
	v_add_nc_u32_e32 v2, 0x800, v2
	v_add_co_ci_u32_e64 v15, s0, v7, v19, s0
	v_add_co_u32 v16, s0, v6, v16
	s_delay_alu instid0(VALU_DEP_1)
	v_add_co_ci_u32_e64 v17, s0, v7, v17, s0
	s_waitcnt lgkmcnt(4)
	global_store_b16 v[22:23], v46, off
	s_waitcnt lgkmcnt(3)
	global_store_b16 v[14:15], v47, off
	;; [unrolled: 2-line block ×5, first 2 shown]
	s_and_not1_b32 exec_lo, exec_lo, s5
	s_cbranch_execnz .LBB507_312
; %bb.313:
	s_or_b32 exec_lo, exec_lo, s5
.LBB507_314:
	s_delay_alu instid0(SALU_CYCLE_1) | instskip(SKIP_3) | instid1(VALU_DEP_1)
	s_or_b32 exec_lo, exec_lo, s1
	v_and_b32_e32 v1, 7, v10
	s_mov_b32 s6, 0
	s_mov_b32 s5, exec_lo
	v_cmpx_ne_u32_e32 0, v1
	s_cbranch_execz .LBB507_317
; %bb.315:
	v_lshl_or_b32 v9, v13, 8, v9
	v_mov_b32_e32 v5, 0
	s_set_inst_prefetch_distance 0x1
	.p2align	6
.LBB507_316:                            ; =>This Inner Loop Header: Depth=1
	v_dual_mov_b32 v4, v2 :: v_dual_add_nc_u32 v1, -1, v1
	ds_load_u16 v14, v9
	ds_load_u16 v15, v9 offset:256
	v_add_nc_u32_e32 v2, 0x100, v2
	v_add_nc_u32_e32 v9, 0x200, v9
	v_lshlrev_b64 v[10:11], 1, v[4:5]
	v_mov_b32_e32 v4, v3
	v_cmp_eq_u32_e64 s0, 0, v1
	v_add_nc_u32_e32 v3, 0x100, v3
	s_delay_alu instid0(VALU_DEP_3) | instskip(SKIP_1) | instid1(VALU_DEP_1)
	v_lshlrev_b64 v[12:13], 1, v[4:5]
	v_add_co_u32 v10, s1, v6, v10
	v_add_co_ci_u32_e64 v11, s1, v7, v11, s1
	s_or_b32 s6, s0, s6
	s_delay_alu instid0(VALU_DEP_3) | instskip(NEXT) | instid1(VALU_DEP_1)
	v_add_co_u32 v12, s1, v6, v12
	v_add_co_ci_u32_e64 v13, s1, v7, v13, s1
	s_waitcnt lgkmcnt(1)
	global_store_b16 v[10:11], v14, off
	s_waitcnt lgkmcnt(0)
	global_store_b16 v[12:13], v15, off
	s_and_not1_b32 exec_lo, exec_lo, s6
	s_cbranch_execnz .LBB507_316
.LBB507_317:
	s_set_inst_prefetch_distance 0x2
	s_or_b32 exec_lo, exec_lo, s5
	v_add_nc_u32_e32 v1, 1, v8
	s_delay_alu instid0(VALU_DEP_1) | instskip(NEXT) | instid1(VALU_DEP_1)
	v_and_b32_e32 v2, 0x3fffffe, v1
	v_cmp_ne_u32_e64 s0, v1, v2
	v_lshl_or_b32 v1, v2, 7, v0
	s_delay_alu instid0(VALU_DEP_2)
	s_or_not1_b32 s1, s0, exec_lo
.LBB507_318:
	s_or_b32 exec_lo, exec_lo, s4
	s_delay_alu instid0(SALU_CYCLE_1) | instskip(SKIP_1) | instid1(SALU_CYCLE_1)
	s_and_not1_b32 s0, vcc_lo, exec_lo
	s_and_b32 s1, s1, exec_lo
	s_or_b32 vcc_lo, s0, s1
.LBB507_319:
	s_or_b32 exec_lo, exec_lo, s3
	s_delay_alu instid0(SALU_CYCLE_1)
	s_and_b32 exec_lo, exec_lo, vcc_lo
	s_cbranch_execz .LBB507_322
; %bb.320:
	v_dual_mov_b32 v2, 0 :: v_dual_lshlrev_b32 v3, 1, v1
	s_mov_b32 s1, 0
	.p2align	6
.LBB507_321:                            ; =>This Inner Loop Header: Depth=1
	ds_load_u16 v8, v3
	v_lshlrev_b64 v[4:5], 1, v[1:2]
	v_add_nc_u32_e32 v1, 0x80, v1
	v_add_nc_u32_e32 v3, 0x100, v3
	s_delay_alu instid0(VALU_DEP_2) | instskip(NEXT) | instid1(VALU_DEP_4)
	v_cmp_ge_u32_e32 vcc_lo, v1, v29
	v_add_co_u32 v4, s0, v6, v4
	s_delay_alu instid0(VALU_DEP_1)
	v_add_co_ci_u32_e64 v5, s0, v7, v5, s0
	s_or_b32 s1, vcc_lo, s1
	s_waitcnt lgkmcnt(0)
	global_store_b16 v[4:5], v8, off
	s_and_not1_b32 exec_lo, exec_lo, s1
	s_cbranch_execnz .LBB507_321
.LBB507_322:
	s_or_b32 exec_lo, exec_lo, s2
	v_cmp_eq_u32_e32 vcc_lo, 0, v0
	s_and_b32 s0, vcc_lo, s14
	s_delay_alu instid0(SALU_CYCLE_1)
	s_and_saveexec_b32 s1, s0
	s_cbranch_execz .LBB507_245
.LBB507_323:
	v_add_co_u32 v0, s0, s10, v29
	s_delay_alu instid0(VALU_DEP_1) | instskip(SKIP_1) | instid1(VALU_DEP_3)
	v_add_co_ci_u32_e64 v1, null, s11, 0, s0
	v_mov_b32_e32 v2, 0
	v_add_co_u32 v0, vcc_lo, v0, v30
	s_delay_alu instid0(VALU_DEP_3)
	v_add_co_ci_u32_e32 v1, vcc_lo, 0, v1, vcc_lo
	global_store_b64 v2, v[0:1], s[16:17]
	s_nop 0
	s_sendmsg sendmsg(MSG_DEALLOC_VGPRS)
	s_endpgm
	.section	.rodata,"a",@progbits
	.p2align	6, 0x0
	.amdhsa_kernel _ZN7rocprim17ROCPRIM_400000_NS6detail17trampoline_kernelINS0_14default_configENS1_25partition_config_selectorILNS1_17partition_subalgoE9EssbEEZZNS1_14partition_implILS5_9ELb0ES3_jN6thrust23THRUST_200600_302600_NS6detail15normal_iteratorINS9_10device_ptrIsEEEESE_PNS0_10empty_typeENS0_5tupleIJSE_SF_EEENSH_IJSE_SG_EEENS0_18inequality_wrapperI22is_equal_div_10_uniqueIsEEEPmJSF_EEE10hipError_tPvRmT3_T4_T5_T6_T7_T9_mT8_P12ihipStream_tbDpT10_ENKUlT_T0_E_clISt17integral_constantIbLb0EES18_EEDaS13_S14_EUlS13_E_NS1_11comp_targetILNS1_3genE9ELNS1_11target_archE1100ELNS1_3gpuE3ELNS1_3repE0EEENS1_30default_config_static_selectorELNS0_4arch9wavefront6targetE0EEEvT1_
		.amdhsa_group_segment_fixed_size 3080
		.amdhsa_private_segment_fixed_size 0
		.amdhsa_kernarg_size 112
		.amdhsa_user_sgpr_count 15
		.amdhsa_user_sgpr_dispatch_ptr 0
		.amdhsa_user_sgpr_queue_ptr 0
		.amdhsa_user_sgpr_kernarg_segment_ptr 1
		.amdhsa_user_sgpr_dispatch_id 0
		.amdhsa_user_sgpr_private_segment_size 0
		.amdhsa_wavefront_size32 1
		.amdhsa_uses_dynamic_stack 0
		.amdhsa_enable_private_segment 0
		.amdhsa_system_sgpr_workgroup_id_x 1
		.amdhsa_system_sgpr_workgroup_id_y 0
		.amdhsa_system_sgpr_workgroup_id_z 0
		.amdhsa_system_sgpr_workgroup_info 0
		.amdhsa_system_vgpr_workitem_id 0
		.amdhsa_next_free_vgpr 81
		.amdhsa_next_free_sgpr 25
		.amdhsa_reserve_vcc 1
		.amdhsa_float_round_mode_32 0
		.amdhsa_float_round_mode_16_64 0
		.amdhsa_float_denorm_mode_32 3
		.amdhsa_float_denorm_mode_16_64 3
		.amdhsa_dx10_clamp 1
		.amdhsa_ieee_mode 1
		.amdhsa_fp16_overflow 0
		.amdhsa_workgroup_processor_mode 1
		.amdhsa_memory_ordered 1
		.amdhsa_forward_progress 0
		.amdhsa_shared_vgpr_count 0
		.amdhsa_exception_fp_ieee_invalid_op 0
		.amdhsa_exception_fp_denorm_src 0
		.amdhsa_exception_fp_ieee_div_zero 0
		.amdhsa_exception_fp_ieee_overflow 0
		.amdhsa_exception_fp_ieee_underflow 0
		.amdhsa_exception_fp_ieee_inexact 0
		.amdhsa_exception_int_div_zero 0
	.end_amdhsa_kernel
	.section	.text._ZN7rocprim17ROCPRIM_400000_NS6detail17trampoline_kernelINS0_14default_configENS1_25partition_config_selectorILNS1_17partition_subalgoE9EssbEEZZNS1_14partition_implILS5_9ELb0ES3_jN6thrust23THRUST_200600_302600_NS6detail15normal_iteratorINS9_10device_ptrIsEEEESE_PNS0_10empty_typeENS0_5tupleIJSE_SF_EEENSH_IJSE_SG_EEENS0_18inequality_wrapperI22is_equal_div_10_uniqueIsEEEPmJSF_EEE10hipError_tPvRmT3_T4_T5_T6_T7_T9_mT8_P12ihipStream_tbDpT10_ENKUlT_T0_E_clISt17integral_constantIbLb0EES18_EEDaS13_S14_EUlS13_E_NS1_11comp_targetILNS1_3genE9ELNS1_11target_archE1100ELNS1_3gpuE3ELNS1_3repE0EEENS1_30default_config_static_selectorELNS0_4arch9wavefront6targetE0EEEvT1_,"axG",@progbits,_ZN7rocprim17ROCPRIM_400000_NS6detail17trampoline_kernelINS0_14default_configENS1_25partition_config_selectorILNS1_17partition_subalgoE9EssbEEZZNS1_14partition_implILS5_9ELb0ES3_jN6thrust23THRUST_200600_302600_NS6detail15normal_iteratorINS9_10device_ptrIsEEEESE_PNS0_10empty_typeENS0_5tupleIJSE_SF_EEENSH_IJSE_SG_EEENS0_18inequality_wrapperI22is_equal_div_10_uniqueIsEEEPmJSF_EEE10hipError_tPvRmT3_T4_T5_T6_T7_T9_mT8_P12ihipStream_tbDpT10_ENKUlT_T0_E_clISt17integral_constantIbLb0EES18_EEDaS13_S14_EUlS13_E_NS1_11comp_targetILNS1_3genE9ELNS1_11target_archE1100ELNS1_3gpuE3ELNS1_3repE0EEENS1_30default_config_static_selectorELNS0_4arch9wavefront6targetE0EEEvT1_,comdat
.Lfunc_end507:
	.size	_ZN7rocprim17ROCPRIM_400000_NS6detail17trampoline_kernelINS0_14default_configENS1_25partition_config_selectorILNS1_17partition_subalgoE9EssbEEZZNS1_14partition_implILS5_9ELb0ES3_jN6thrust23THRUST_200600_302600_NS6detail15normal_iteratorINS9_10device_ptrIsEEEESE_PNS0_10empty_typeENS0_5tupleIJSE_SF_EEENSH_IJSE_SG_EEENS0_18inequality_wrapperI22is_equal_div_10_uniqueIsEEEPmJSF_EEE10hipError_tPvRmT3_T4_T5_T6_T7_T9_mT8_P12ihipStream_tbDpT10_ENKUlT_T0_E_clISt17integral_constantIbLb0EES18_EEDaS13_S14_EUlS13_E_NS1_11comp_targetILNS1_3genE9ELNS1_11target_archE1100ELNS1_3gpuE3ELNS1_3repE0EEENS1_30default_config_static_selectorELNS0_4arch9wavefront6targetE0EEEvT1_, .Lfunc_end507-_ZN7rocprim17ROCPRIM_400000_NS6detail17trampoline_kernelINS0_14default_configENS1_25partition_config_selectorILNS1_17partition_subalgoE9EssbEEZZNS1_14partition_implILS5_9ELb0ES3_jN6thrust23THRUST_200600_302600_NS6detail15normal_iteratorINS9_10device_ptrIsEEEESE_PNS0_10empty_typeENS0_5tupleIJSE_SF_EEENSH_IJSE_SG_EEENS0_18inequality_wrapperI22is_equal_div_10_uniqueIsEEEPmJSF_EEE10hipError_tPvRmT3_T4_T5_T6_T7_T9_mT8_P12ihipStream_tbDpT10_ENKUlT_T0_E_clISt17integral_constantIbLb0EES18_EEDaS13_S14_EUlS13_E_NS1_11comp_targetILNS1_3genE9ELNS1_11target_archE1100ELNS1_3gpuE3ELNS1_3repE0EEENS1_30default_config_static_selectorELNS0_4arch9wavefront6targetE0EEEvT1_
                                        ; -- End function
	.section	.AMDGPU.csdata,"",@progbits
; Kernel info:
; codeLenInByte = 16404
; NumSgprs: 27
; NumVgprs: 81
; ScratchSize: 0
; MemoryBound: 0
; FloatMode: 240
; IeeeMode: 1
; LDSByteSize: 3080 bytes/workgroup (compile time only)
; SGPRBlocks: 3
; VGPRBlocks: 10
; NumSGPRsForWavesPerEU: 27
; NumVGPRsForWavesPerEU: 81
; Occupancy: 16
; WaveLimiterHint : 1
; COMPUTE_PGM_RSRC2:SCRATCH_EN: 0
; COMPUTE_PGM_RSRC2:USER_SGPR: 15
; COMPUTE_PGM_RSRC2:TRAP_HANDLER: 0
; COMPUTE_PGM_RSRC2:TGID_X_EN: 1
; COMPUTE_PGM_RSRC2:TGID_Y_EN: 0
; COMPUTE_PGM_RSRC2:TGID_Z_EN: 0
; COMPUTE_PGM_RSRC2:TIDIG_COMP_CNT: 0
	.section	.text._ZN7rocprim17ROCPRIM_400000_NS6detail17trampoline_kernelINS0_14default_configENS1_25partition_config_selectorILNS1_17partition_subalgoE9EssbEEZZNS1_14partition_implILS5_9ELb0ES3_jN6thrust23THRUST_200600_302600_NS6detail15normal_iteratorINS9_10device_ptrIsEEEESE_PNS0_10empty_typeENS0_5tupleIJSE_SF_EEENSH_IJSE_SG_EEENS0_18inequality_wrapperI22is_equal_div_10_uniqueIsEEEPmJSF_EEE10hipError_tPvRmT3_T4_T5_T6_T7_T9_mT8_P12ihipStream_tbDpT10_ENKUlT_T0_E_clISt17integral_constantIbLb0EES18_EEDaS13_S14_EUlS13_E_NS1_11comp_targetILNS1_3genE8ELNS1_11target_archE1030ELNS1_3gpuE2ELNS1_3repE0EEENS1_30default_config_static_selectorELNS0_4arch9wavefront6targetE0EEEvT1_,"axG",@progbits,_ZN7rocprim17ROCPRIM_400000_NS6detail17trampoline_kernelINS0_14default_configENS1_25partition_config_selectorILNS1_17partition_subalgoE9EssbEEZZNS1_14partition_implILS5_9ELb0ES3_jN6thrust23THRUST_200600_302600_NS6detail15normal_iteratorINS9_10device_ptrIsEEEESE_PNS0_10empty_typeENS0_5tupleIJSE_SF_EEENSH_IJSE_SG_EEENS0_18inequality_wrapperI22is_equal_div_10_uniqueIsEEEPmJSF_EEE10hipError_tPvRmT3_T4_T5_T6_T7_T9_mT8_P12ihipStream_tbDpT10_ENKUlT_T0_E_clISt17integral_constantIbLb0EES18_EEDaS13_S14_EUlS13_E_NS1_11comp_targetILNS1_3genE8ELNS1_11target_archE1030ELNS1_3gpuE2ELNS1_3repE0EEENS1_30default_config_static_selectorELNS0_4arch9wavefront6targetE0EEEvT1_,comdat
	.protected	_ZN7rocprim17ROCPRIM_400000_NS6detail17trampoline_kernelINS0_14default_configENS1_25partition_config_selectorILNS1_17partition_subalgoE9EssbEEZZNS1_14partition_implILS5_9ELb0ES3_jN6thrust23THRUST_200600_302600_NS6detail15normal_iteratorINS9_10device_ptrIsEEEESE_PNS0_10empty_typeENS0_5tupleIJSE_SF_EEENSH_IJSE_SG_EEENS0_18inequality_wrapperI22is_equal_div_10_uniqueIsEEEPmJSF_EEE10hipError_tPvRmT3_T4_T5_T6_T7_T9_mT8_P12ihipStream_tbDpT10_ENKUlT_T0_E_clISt17integral_constantIbLb0EES18_EEDaS13_S14_EUlS13_E_NS1_11comp_targetILNS1_3genE8ELNS1_11target_archE1030ELNS1_3gpuE2ELNS1_3repE0EEENS1_30default_config_static_selectorELNS0_4arch9wavefront6targetE0EEEvT1_ ; -- Begin function _ZN7rocprim17ROCPRIM_400000_NS6detail17trampoline_kernelINS0_14default_configENS1_25partition_config_selectorILNS1_17partition_subalgoE9EssbEEZZNS1_14partition_implILS5_9ELb0ES3_jN6thrust23THRUST_200600_302600_NS6detail15normal_iteratorINS9_10device_ptrIsEEEESE_PNS0_10empty_typeENS0_5tupleIJSE_SF_EEENSH_IJSE_SG_EEENS0_18inequality_wrapperI22is_equal_div_10_uniqueIsEEEPmJSF_EEE10hipError_tPvRmT3_T4_T5_T6_T7_T9_mT8_P12ihipStream_tbDpT10_ENKUlT_T0_E_clISt17integral_constantIbLb0EES18_EEDaS13_S14_EUlS13_E_NS1_11comp_targetILNS1_3genE8ELNS1_11target_archE1030ELNS1_3gpuE2ELNS1_3repE0EEENS1_30default_config_static_selectorELNS0_4arch9wavefront6targetE0EEEvT1_
	.globl	_ZN7rocprim17ROCPRIM_400000_NS6detail17trampoline_kernelINS0_14default_configENS1_25partition_config_selectorILNS1_17partition_subalgoE9EssbEEZZNS1_14partition_implILS5_9ELb0ES3_jN6thrust23THRUST_200600_302600_NS6detail15normal_iteratorINS9_10device_ptrIsEEEESE_PNS0_10empty_typeENS0_5tupleIJSE_SF_EEENSH_IJSE_SG_EEENS0_18inequality_wrapperI22is_equal_div_10_uniqueIsEEEPmJSF_EEE10hipError_tPvRmT3_T4_T5_T6_T7_T9_mT8_P12ihipStream_tbDpT10_ENKUlT_T0_E_clISt17integral_constantIbLb0EES18_EEDaS13_S14_EUlS13_E_NS1_11comp_targetILNS1_3genE8ELNS1_11target_archE1030ELNS1_3gpuE2ELNS1_3repE0EEENS1_30default_config_static_selectorELNS0_4arch9wavefront6targetE0EEEvT1_
	.p2align	8
	.type	_ZN7rocprim17ROCPRIM_400000_NS6detail17trampoline_kernelINS0_14default_configENS1_25partition_config_selectorILNS1_17partition_subalgoE9EssbEEZZNS1_14partition_implILS5_9ELb0ES3_jN6thrust23THRUST_200600_302600_NS6detail15normal_iteratorINS9_10device_ptrIsEEEESE_PNS0_10empty_typeENS0_5tupleIJSE_SF_EEENSH_IJSE_SG_EEENS0_18inequality_wrapperI22is_equal_div_10_uniqueIsEEEPmJSF_EEE10hipError_tPvRmT3_T4_T5_T6_T7_T9_mT8_P12ihipStream_tbDpT10_ENKUlT_T0_E_clISt17integral_constantIbLb0EES18_EEDaS13_S14_EUlS13_E_NS1_11comp_targetILNS1_3genE8ELNS1_11target_archE1030ELNS1_3gpuE2ELNS1_3repE0EEENS1_30default_config_static_selectorELNS0_4arch9wavefront6targetE0EEEvT1_,@function
_ZN7rocprim17ROCPRIM_400000_NS6detail17trampoline_kernelINS0_14default_configENS1_25partition_config_selectorILNS1_17partition_subalgoE9EssbEEZZNS1_14partition_implILS5_9ELb0ES3_jN6thrust23THRUST_200600_302600_NS6detail15normal_iteratorINS9_10device_ptrIsEEEESE_PNS0_10empty_typeENS0_5tupleIJSE_SF_EEENSH_IJSE_SG_EEENS0_18inequality_wrapperI22is_equal_div_10_uniqueIsEEEPmJSF_EEE10hipError_tPvRmT3_T4_T5_T6_T7_T9_mT8_P12ihipStream_tbDpT10_ENKUlT_T0_E_clISt17integral_constantIbLb0EES18_EEDaS13_S14_EUlS13_E_NS1_11comp_targetILNS1_3genE8ELNS1_11target_archE1030ELNS1_3gpuE2ELNS1_3repE0EEENS1_30default_config_static_selectorELNS0_4arch9wavefront6targetE0EEEvT1_: ; @_ZN7rocprim17ROCPRIM_400000_NS6detail17trampoline_kernelINS0_14default_configENS1_25partition_config_selectorILNS1_17partition_subalgoE9EssbEEZZNS1_14partition_implILS5_9ELb0ES3_jN6thrust23THRUST_200600_302600_NS6detail15normal_iteratorINS9_10device_ptrIsEEEESE_PNS0_10empty_typeENS0_5tupleIJSE_SF_EEENSH_IJSE_SG_EEENS0_18inequality_wrapperI22is_equal_div_10_uniqueIsEEEPmJSF_EEE10hipError_tPvRmT3_T4_T5_T6_T7_T9_mT8_P12ihipStream_tbDpT10_ENKUlT_T0_E_clISt17integral_constantIbLb0EES18_EEDaS13_S14_EUlS13_E_NS1_11comp_targetILNS1_3genE8ELNS1_11target_archE1030ELNS1_3gpuE2ELNS1_3repE0EEENS1_30default_config_static_selectorELNS0_4arch9wavefront6targetE0EEEvT1_
; %bb.0:
	.section	.rodata,"a",@progbits
	.p2align	6, 0x0
	.amdhsa_kernel _ZN7rocprim17ROCPRIM_400000_NS6detail17trampoline_kernelINS0_14default_configENS1_25partition_config_selectorILNS1_17partition_subalgoE9EssbEEZZNS1_14partition_implILS5_9ELb0ES3_jN6thrust23THRUST_200600_302600_NS6detail15normal_iteratorINS9_10device_ptrIsEEEESE_PNS0_10empty_typeENS0_5tupleIJSE_SF_EEENSH_IJSE_SG_EEENS0_18inequality_wrapperI22is_equal_div_10_uniqueIsEEEPmJSF_EEE10hipError_tPvRmT3_T4_T5_T6_T7_T9_mT8_P12ihipStream_tbDpT10_ENKUlT_T0_E_clISt17integral_constantIbLb0EES18_EEDaS13_S14_EUlS13_E_NS1_11comp_targetILNS1_3genE8ELNS1_11target_archE1030ELNS1_3gpuE2ELNS1_3repE0EEENS1_30default_config_static_selectorELNS0_4arch9wavefront6targetE0EEEvT1_
		.amdhsa_group_segment_fixed_size 0
		.amdhsa_private_segment_fixed_size 0
		.amdhsa_kernarg_size 112
		.amdhsa_user_sgpr_count 15
		.amdhsa_user_sgpr_dispatch_ptr 0
		.amdhsa_user_sgpr_queue_ptr 0
		.amdhsa_user_sgpr_kernarg_segment_ptr 1
		.amdhsa_user_sgpr_dispatch_id 0
		.amdhsa_user_sgpr_private_segment_size 0
		.amdhsa_wavefront_size32 1
		.amdhsa_uses_dynamic_stack 0
		.amdhsa_enable_private_segment 0
		.amdhsa_system_sgpr_workgroup_id_x 1
		.amdhsa_system_sgpr_workgroup_id_y 0
		.amdhsa_system_sgpr_workgroup_id_z 0
		.amdhsa_system_sgpr_workgroup_info 0
		.amdhsa_system_vgpr_workitem_id 0
		.amdhsa_next_free_vgpr 1
		.amdhsa_next_free_sgpr 1
		.amdhsa_reserve_vcc 0
		.amdhsa_float_round_mode_32 0
		.amdhsa_float_round_mode_16_64 0
		.amdhsa_float_denorm_mode_32 3
		.amdhsa_float_denorm_mode_16_64 3
		.amdhsa_dx10_clamp 1
		.amdhsa_ieee_mode 1
		.amdhsa_fp16_overflow 0
		.amdhsa_workgroup_processor_mode 1
		.amdhsa_memory_ordered 1
		.amdhsa_forward_progress 0
		.amdhsa_shared_vgpr_count 0
		.amdhsa_exception_fp_ieee_invalid_op 0
		.amdhsa_exception_fp_denorm_src 0
		.amdhsa_exception_fp_ieee_div_zero 0
		.amdhsa_exception_fp_ieee_overflow 0
		.amdhsa_exception_fp_ieee_underflow 0
		.amdhsa_exception_fp_ieee_inexact 0
		.amdhsa_exception_int_div_zero 0
	.end_amdhsa_kernel
	.section	.text._ZN7rocprim17ROCPRIM_400000_NS6detail17trampoline_kernelINS0_14default_configENS1_25partition_config_selectorILNS1_17partition_subalgoE9EssbEEZZNS1_14partition_implILS5_9ELb0ES3_jN6thrust23THRUST_200600_302600_NS6detail15normal_iteratorINS9_10device_ptrIsEEEESE_PNS0_10empty_typeENS0_5tupleIJSE_SF_EEENSH_IJSE_SG_EEENS0_18inequality_wrapperI22is_equal_div_10_uniqueIsEEEPmJSF_EEE10hipError_tPvRmT3_T4_T5_T6_T7_T9_mT8_P12ihipStream_tbDpT10_ENKUlT_T0_E_clISt17integral_constantIbLb0EES18_EEDaS13_S14_EUlS13_E_NS1_11comp_targetILNS1_3genE8ELNS1_11target_archE1030ELNS1_3gpuE2ELNS1_3repE0EEENS1_30default_config_static_selectorELNS0_4arch9wavefront6targetE0EEEvT1_,"axG",@progbits,_ZN7rocprim17ROCPRIM_400000_NS6detail17trampoline_kernelINS0_14default_configENS1_25partition_config_selectorILNS1_17partition_subalgoE9EssbEEZZNS1_14partition_implILS5_9ELb0ES3_jN6thrust23THRUST_200600_302600_NS6detail15normal_iteratorINS9_10device_ptrIsEEEESE_PNS0_10empty_typeENS0_5tupleIJSE_SF_EEENSH_IJSE_SG_EEENS0_18inequality_wrapperI22is_equal_div_10_uniqueIsEEEPmJSF_EEE10hipError_tPvRmT3_T4_T5_T6_T7_T9_mT8_P12ihipStream_tbDpT10_ENKUlT_T0_E_clISt17integral_constantIbLb0EES18_EEDaS13_S14_EUlS13_E_NS1_11comp_targetILNS1_3genE8ELNS1_11target_archE1030ELNS1_3gpuE2ELNS1_3repE0EEENS1_30default_config_static_selectorELNS0_4arch9wavefront6targetE0EEEvT1_,comdat
.Lfunc_end508:
	.size	_ZN7rocprim17ROCPRIM_400000_NS6detail17trampoline_kernelINS0_14default_configENS1_25partition_config_selectorILNS1_17partition_subalgoE9EssbEEZZNS1_14partition_implILS5_9ELb0ES3_jN6thrust23THRUST_200600_302600_NS6detail15normal_iteratorINS9_10device_ptrIsEEEESE_PNS0_10empty_typeENS0_5tupleIJSE_SF_EEENSH_IJSE_SG_EEENS0_18inequality_wrapperI22is_equal_div_10_uniqueIsEEEPmJSF_EEE10hipError_tPvRmT3_T4_T5_T6_T7_T9_mT8_P12ihipStream_tbDpT10_ENKUlT_T0_E_clISt17integral_constantIbLb0EES18_EEDaS13_S14_EUlS13_E_NS1_11comp_targetILNS1_3genE8ELNS1_11target_archE1030ELNS1_3gpuE2ELNS1_3repE0EEENS1_30default_config_static_selectorELNS0_4arch9wavefront6targetE0EEEvT1_, .Lfunc_end508-_ZN7rocprim17ROCPRIM_400000_NS6detail17trampoline_kernelINS0_14default_configENS1_25partition_config_selectorILNS1_17partition_subalgoE9EssbEEZZNS1_14partition_implILS5_9ELb0ES3_jN6thrust23THRUST_200600_302600_NS6detail15normal_iteratorINS9_10device_ptrIsEEEESE_PNS0_10empty_typeENS0_5tupleIJSE_SF_EEENSH_IJSE_SG_EEENS0_18inequality_wrapperI22is_equal_div_10_uniqueIsEEEPmJSF_EEE10hipError_tPvRmT3_T4_T5_T6_T7_T9_mT8_P12ihipStream_tbDpT10_ENKUlT_T0_E_clISt17integral_constantIbLb0EES18_EEDaS13_S14_EUlS13_E_NS1_11comp_targetILNS1_3genE8ELNS1_11target_archE1030ELNS1_3gpuE2ELNS1_3repE0EEENS1_30default_config_static_selectorELNS0_4arch9wavefront6targetE0EEEvT1_
                                        ; -- End function
	.section	.AMDGPU.csdata,"",@progbits
; Kernel info:
; codeLenInByte = 0
; NumSgprs: 0
; NumVgprs: 0
; ScratchSize: 0
; MemoryBound: 0
; FloatMode: 240
; IeeeMode: 1
; LDSByteSize: 0 bytes/workgroup (compile time only)
; SGPRBlocks: 0
; VGPRBlocks: 0
; NumSGPRsForWavesPerEU: 1
; NumVGPRsForWavesPerEU: 1
; Occupancy: 15
; WaveLimiterHint : 0
; COMPUTE_PGM_RSRC2:SCRATCH_EN: 0
; COMPUTE_PGM_RSRC2:USER_SGPR: 15
; COMPUTE_PGM_RSRC2:TRAP_HANDLER: 0
; COMPUTE_PGM_RSRC2:TGID_X_EN: 1
; COMPUTE_PGM_RSRC2:TGID_Y_EN: 0
; COMPUTE_PGM_RSRC2:TGID_Z_EN: 0
; COMPUTE_PGM_RSRC2:TIDIG_COMP_CNT: 0
	.section	.text._ZN7rocprim17ROCPRIM_400000_NS6detail17trampoline_kernelINS0_14default_configENS1_25partition_config_selectorILNS1_17partition_subalgoE9EssbEEZZNS1_14partition_implILS5_9ELb0ES3_jN6thrust23THRUST_200600_302600_NS6detail15normal_iteratorINS9_10device_ptrIsEEEESE_PNS0_10empty_typeENS0_5tupleIJSE_SF_EEENSH_IJSE_SG_EEENS0_18inequality_wrapperI22is_equal_div_10_uniqueIsEEEPmJSF_EEE10hipError_tPvRmT3_T4_T5_T6_T7_T9_mT8_P12ihipStream_tbDpT10_ENKUlT_T0_E_clISt17integral_constantIbLb1EES18_EEDaS13_S14_EUlS13_E_NS1_11comp_targetILNS1_3genE0ELNS1_11target_archE4294967295ELNS1_3gpuE0ELNS1_3repE0EEENS1_30default_config_static_selectorELNS0_4arch9wavefront6targetE0EEEvT1_,"axG",@progbits,_ZN7rocprim17ROCPRIM_400000_NS6detail17trampoline_kernelINS0_14default_configENS1_25partition_config_selectorILNS1_17partition_subalgoE9EssbEEZZNS1_14partition_implILS5_9ELb0ES3_jN6thrust23THRUST_200600_302600_NS6detail15normal_iteratorINS9_10device_ptrIsEEEESE_PNS0_10empty_typeENS0_5tupleIJSE_SF_EEENSH_IJSE_SG_EEENS0_18inequality_wrapperI22is_equal_div_10_uniqueIsEEEPmJSF_EEE10hipError_tPvRmT3_T4_T5_T6_T7_T9_mT8_P12ihipStream_tbDpT10_ENKUlT_T0_E_clISt17integral_constantIbLb1EES18_EEDaS13_S14_EUlS13_E_NS1_11comp_targetILNS1_3genE0ELNS1_11target_archE4294967295ELNS1_3gpuE0ELNS1_3repE0EEENS1_30default_config_static_selectorELNS0_4arch9wavefront6targetE0EEEvT1_,comdat
	.protected	_ZN7rocprim17ROCPRIM_400000_NS6detail17trampoline_kernelINS0_14default_configENS1_25partition_config_selectorILNS1_17partition_subalgoE9EssbEEZZNS1_14partition_implILS5_9ELb0ES3_jN6thrust23THRUST_200600_302600_NS6detail15normal_iteratorINS9_10device_ptrIsEEEESE_PNS0_10empty_typeENS0_5tupleIJSE_SF_EEENSH_IJSE_SG_EEENS0_18inequality_wrapperI22is_equal_div_10_uniqueIsEEEPmJSF_EEE10hipError_tPvRmT3_T4_T5_T6_T7_T9_mT8_P12ihipStream_tbDpT10_ENKUlT_T0_E_clISt17integral_constantIbLb1EES18_EEDaS13_S14_EUlS13_E_NS1_11comp_targetILNS1_3genE0ELNS1_11target_archE4294967295ELNS1_3gpuE0ELNS1_3repE0EEENS1_30default_config_static_selectorELNS0_4arch9wavefront6targetE0EEEvT1_ ; -- Begin function _ZN7rocprim17ROCPRIM_400000_NS6detail17trampoline_kernelINS0_14default_configENS1_25partition_config_selectorILNS1_17partition_subalgoE9EssbEEZZNS1_14partition_implILS5_9ELb0ES3_jN6thrust23THRUST_200600_302600_NS6detail15normal_iteratorINS9_10device_ptrIsEEEESE_PNS0_10empty_typeENS0_5tupleIJSE_SF_EEENSH_IJSE_SG_EEENS0_18inequality_wrapperI22is_equal_div_10_uniqueIsEEEPmJSF_EEE10hipError_tPvRmT3_T4_T5_T6_T7_T9_mT8_P12ihipStream_tbDpT10_ENKUlT_T0_E_clISt17integral_constantIbLb1EES18_EEDaS13_S14_EUlS13_E_NS1_11comp_targetILNS1_3genE0ELNS1_11target_archE4294967295ELNS1_3gpuE0ELNS1_3repE0EEENS1_30default_config_static_selectorELNS0_4arch9wavefront6targetE0EEEvT1_
	.globl	_ZN7rocprim17ROCPRIM_400000_NS6detail17trampoline_kernelINS0_14default_configENS1_25partition_config_selectorILNS1_17partition_subalgoE9EssbEEZZNS1_14partition_implILS5_9ELb0ES3_jN6thrust23THRUST_200600_302600_NS6detail15normal_iteratorINS9_10device_ptrIsEEEESE_PNS0_10empty_typeENS0_5tupleIJSE_SF_EEENSH_IJSE_SG_EEENS0_18inequality_wrapperI22is_equal_div_10_uniqueIsEEEPmJSF_EEE10hipError_tPvRmT3_T4_T5_T6_T7_T9_mT8_P12ihipStream_tbDpT10_ENKUlT_T0_E_clISt17integral_constantIbLb1EES18_EEDaS13_S14_EUlS13_E_NS1_11comp_targetILNS1_3genE0ELNS1_11target_archE4294967295ELNS1_3gpuE0ELNS1_3repE0EEENS1_30default_config_static_selectorELNS0_4arch9wavefront6targetE0EEEvT1_
	.p2align	8
	.type	_ZN7rocprim17ROCPRIM_400000_NS6detail17trampoline_kernelINS0_14default_configENS1_25partition_config_selectorILNS1_17partition_subalgoE9EssbEEZZNS1_14partition_implILS5_9ELb0ES3_jN6thrust23THRUST_200600_302600_NS6detail15normal_iteratorINS9_10device_ptrIsEEEESE_PNS0_10empty_typeENS0_5tupleIJSE_SF_EEENSH_IJSE_SG_EEENS0_18inequality_wrapperI22is_equal_div_10_uniqueIsEEEPmJSF_EEE10hipError_tPvRmT3_T4_T5_T6_T7_T9_mT8_P12ihipStream_tbDpT10_ENKUlT_T0_E_clISt17integral_constantIbLb1EES18_EEDaS13_S14_EUlS13_E_NS1_11comp_targetILNS1_3genE0ELNS1_11target_archE4294967295ELNS1_3gpuE0ELNS1_3repE0EEENS1_30default_config_static_selectorELNS0_4arch9wavefront6targetE0EEEvT1_,@function
_ZN7rocprim17ROCPRIM_400000_NS6detail17trampoline_kernelINS0_14default_configENS1_25partition_config_selectorILNS1_17partition_subalgoE9EssbEEZZNS1_14partition_implILS5_9ELb0ES3_jN6thrust23THRUST_200600_302600_NS6detail15normal_iteratorINS9_10device_ptrIsEEEESE_PNS0_10empty_typeENS0_5tupleIJSE_SF_EEENSH_IJSE_SG_EEENS0_18inequality_wrapperI22is_equal_div_10_uniqueIsEEEPmJSF_EEE10hipError_tPvRmT3_T4_T5_T6_T7_T9_mT8_P12ihipStream_tbDpT10_ENKUlT_T0_E_clISt17integral_constantIbLb1EES18_EEDaS13_S14_EUlS13_E_NS1_11comp_targetILNS1_3genE0ELNS1_11target_archE4294967295ELNS1_3gpuE0ELNS1_3repE0EEENS1_30default_config_static_selectorELNS0_4arch9wavefront6targetE0EEEvT1_: ; @_ZN7rocprim17ROCPRIM_400000_NS6detail17trampoline_kernelINS0_14default_configENS1_25partition_config_selectorILNS1_17partition_subalgoE9EssbEEZZNS1_14partition_implILS5_9ELb0ES3_jN6thrust23THRUST_200600_302600_NS6detail15normal_iteratorINS9_10device_ptrIsEEEESE_PNS0_10empty_typeENS0_5tupleIJSE_SF_EEENSH_IJSE_SG_EEENS0_18inequality_wrapperI22is_equal_div_10_uniqueIsEEEPmJSF_EEE10hipError_tPvRmT3_T4_T5_T6_T7_T9_mT8_P12ihipStream_tbDpT10_ENKUlT_T0_E_clISt17integral_constantIbLb1EES18_EEDaS13_S14_EUlS13_E_NS1_11comp_targetILNS1_3genE0ELNS1_11target_archE4294967295ELNS1_3gpuE0ELNS1_3repE0EEENS1_30default_config_static_selectorELNS0_4arch9wavefront6targetE0EEEvT1_
; %bb.0:
	.section	.rodata,"a",@progbits
	.p2align	6, 0x0
	.amdhsa_kernel _ZN7rocprim17ROCPRIM_400000_NS6detail17trampoline_kernelINS0_14default_configENS1_25partition_config_selectorILNS1_17partition_subalgoE9EssbEEZZNS1_14partition_implILS5_9ELb0ES3_jN6thrust23THRUST_200600_302600_NS6detail15normal_iteratorINS9_10device_ptrIsEEEESE_PNS0_10empty_typeENS0_5tupleIJSE_SF_EEENSH_IJSE_SG_EEENS0_18inequality_wrapperI22is_equal_div_10_uniqueIsEEEPmJSF_EEE10hipError_tPvRmT3_T4_T5_T6_T7_T9_mT8_P12ihipStream_tbDpT10_ENKUlT_T0_E_clISt17integral_constantIbLb1EES18_EEDaS13_S14_EUlS13_E_NS1_11comp_targetILNS1_3genE0ELNS1_11target_archE4294967295ELNS1_3gpuE0ELNS1_3repE0EEENS1_30default_config_static_selectorELNS0_4arch9wavefront6targetE0EEEvT1_
		.amdhsa_group_segment_fixed_size 0
		.amdhsa_private_segment_fixed_size 0
		.amdhsa_kernarg_size 128
		.amdhsa_user_sgpr_count 15
		.amdhsa_user_sgpr_dispatch_ptr 0
		.amdhsa_user_sgpr_queue_ptr 0
		.amdhsa_user_sgpr_kernarg_segment_ptr 1
		.amdhsa_user_sgpr_dispatch_id 0
		.amdhsa_user_sgpr_private_segment_size 0
		.amdhsa_wavefront_size32 1
		.amdhsa_uses_dynamic_stack 0
		.amdhsa_enable_private_segment 0
		.amdhsa_system_sgpr_workgroup_id_x 1
		.amdhsa_system_sgpr_workgroup_id_y 0
		.amdhsa_system_sgpr_workgroup_id_z 0
		.amdhsa_system_sgpr_workgroup_info 0
		.amdhsa_system_vgpr_workitem_id 0
		.amdhsa_next_free_vgpr 1
		.amdhsa_next_free_sgpr 1
		.amdhsa_reserve_vcc 0
		.amdhsa_float_round_mode_32 0
		.amdhsa_float_round_mode_16_64 0
		.amdhsa_float_denorm_mode_32 3
		.amdhsa_float_denorm_mode_16_64 3
		.amdhsa_dx10_clamp 1
		.amdhsa_ieee_mode 1
		.amdhsa_fp16_overflow 0
		.amdhsa_workgroup_processor_mode 1
		.amdhsa_memory_ordered 1
		.amdhsa_forward_progress 0
		.amdhsa_shared_vgpr_count 0
		.amdhsa_exception_fp_ieee_invalid_op 0
		.amdhsa_exception_fp_denorm_src 0
		.amdhsa_exception_fp_ieee_div_zero 0
		.amdhsa_exception_fp_ieee_overflow 0
		.amdhsa_exception_fp_ieee_underflow 0
		.amdhsa_exception_fp_ieee_inexact 0
		.amdhsa_exception_int_div_zero 0
	.end_amdhsa_kernel
	.section	.text._ZN7rocprim17ROCPRIM_400000_NS6detail17trampoline_kernelINS0_14default_configENS1_25partition_config_selectorILNS1_17partition_subalgoE9EssbEEZZNS1_14partition_implILS5_9ELb0ES3_jN6thrust23THRUST_200600_302600_NS6detail15normal_iteratorINS9_10device_ptrIsEEEESE_PNS0_10empty_typeENS0_5tupleIJSE_SF_EEENSH_IJSE_SG_EEENS0_18inequality_wrapperI22is_equal_div_10_uniqueIsEEEPmJSF_EEE10hipError_tPvRmT3_T4_T5_T6_T7_T9_mT8_P12ihipStream_tbDpT10_ENKUlT_T0_E_clISt17integral_constantIbLb1EES18_EEDaS13_S14_EUlS13_E_NS1_11comp_targetILNS1_3genE0ELNS1_11target_archE4294967295ELNS1_3gpuE0ELNS1_3repE0EEENS1_30default_config_static_selectorELNS0_4arch9wavefront6targetE0EEEvT1_,"axG",@progbits,_ZN7rocprim17ROCPRIM_400000_NS6detail17trampoline_kernelINS0_14default_configENS1_25partition_config_selectorILNS1_17partition_subalgoE9EssbEEZZNS1_14partition_implILS5_9ELb0ES3_jN6thrust23THRUST_200600_302600_NS6detail15normal_iteratorINS9_10device_ptrIsEEEESE_PNS0_10empty_typeENS0_5tupleIJSE_SF_EEENSH_IJSE_SG_EEENS0_18inequality_wrapperI22is_equal_div_10_uniqueIsEEEPmJSF_EEE10hipError_tPvRmT3_T4_T5_T6_T7_T9_mT8_P12ihipStream_tbDpT10_ENKUlT_T0_E_clISt17integral_constantIbLb1EES18_EEDaS13_S14_EUlS13_E_NS1_11comp_targetILNS1_3genE0ELNS1_11target_archE4294967295ELNS1_3gpuE0ELNS1_3repE0EEENS1_30default_config_static_selectorELNS0_4arch9wavefront6targetE0EEEvT1_,comdat
.Lfunc_end509:
	.size	_ZN7rocprim17ROCPRIM_400000_NS6detail17trampoline_kernelINS0_14default_configENS1_25partition_config_selectorILNS1_17partition_subalgoE9EssbEEZZNS1_14partition_implILS5_9ELb0ES3_jN6thrust23THRUST_200600_302600_NS6detail15normal_iteratorINS9_10device_ptrIsEEEESE_PNS0_10empty_typeENS0_5tupleIJSE_SF_EEENSH_IJSE_SG_EEENS0_18inequality_wrapperI22is_equal_div_10_uniqueIsEEEPmJSF_EEE10hipError_tPvRmT3_T4_T5_T6_T7_T9_mT8_P12ihipStream_tbDpT10_ENKUlT_T0_E_clISt17integral_constantIbLb1EES18_EEDaS13_S14_EUlS13_E_NS1_11comp_targetILNS1_3genE0ELNS1_11target_archE4294967295ELNS1_3gpuE0ELNS1_3repE0EEENS1_30default_config_static_selectorELNS0_4arch9wavefront6targetE0EEEvT1_, .Lfunc_end509-_ZN7rocprim17ROCPRIM_400000_NS6detail17trampoline_kernelINS0_14default_configENS1_25partition_config_selectorILNS1_17partition_subalgoE9EssbEEZZNS1_14partition_implILS5_9ELb0ES3_jN6thrust23THRUST_200600_302600_NS6detail15normal_iteratorINS9_10device_ptrIsEEEESE_PNS0_10empty_typeENS0_5tupleIJSE_SF_EEENSH_IJSE_SG_EEENS0_18inequality_wrapperI22is_equal_div_10_uniqueIsEEEPmJSF_EEE10hipError_tPvRmT3_T4_T5_T6_T7_T9_mT8_P12ihipStream_tbDpT10_ENKUlT_T0_E_clISt17integral_constantIbLb1EES18_EEDaS13_S14_EUlS13_E_NS1_11comp_targetILNS1_3genE0ELNS1_11target_archE4294967295ELNS1_3gpuE0ELNS1_3repE0EEENS1_30default_config_static_selectorELNS0_4arch9wavefront6targetE0EEEvT1_
                                        ; -- End function
	.section	.AMDGPU.csdata,"",@progbits
; Kernel info:
; codeLenInByte = 0
; NumSgprs: 0
; NumVgprs: 0
; ScratchSize: 0
; MemoryBound: 0
; FloatMode: 240
; IeeeMode: 1
; LDSByteSize: 0 bytes/workgroup (compile time only)
; SGPRBlocks: 0
; VGPRBlocks: 0
; NumSGPRsForWavesPerEU: 1
; NumVGPRsForWavesPerEU: 1
; Occupancy: 16
; WaveLimiterHint : 0
; COMPUTE_PGM_RSRC2:SCRATCH_EN: 0
; COMPUTE_PGM_RSRC2:USER_SGPR: 15
; COMPUTE_PGM_RSRC2:TRAP_HANDLER: 0
; COMPUTE_PGM_RSRC2:TGID_X_EN: 1
; COMPUTE_PGM_RSRC2:TGID_Y_EN: 0
; COMPUTE_PGM_RSRC2:TGID_Z_EN: 0
; COMPUTE_PGM_RSRC2:TIDIG_COMP_CNT: 0
	.section	.text._ZN7rocprim17ROCPRIM_400000_NS6detail17trampoline_kernelINS0_14default_configENS1_25partition_config_selectorILNS1_17partition_subalgoE9EssbEEZZNS1_14partition_implILS5_9ELb0ES3_jN6thrust23THRUST_200600_302600_NS6detail15normal_iteratorINS9_10device_ptrIsEEEESE_PNS0_10empty_typeENS0_5tupleIJSE_SF_EEENSH_IJSE_SG_EEENS0_18inequality_wrapperI22is_equal_div_10_uniqueIsEEEPmJSF_EEE10hipError_tPvRmT3_T4_T5_T6_T7_T9_mT8_P12ihipStream_tbDpT10_ENKUlT_T0_E_clISt17integral_constantIbLb1EES18_EEDaS13_S14_EUlS13_E_NS1_11comp_targetILNS1_3genE5ELNS1_11target_archE942ELNS1_3gpuE9ELNS1_3repE0EEENS1_30default_config_static_selectorELNS0_4arch9wavefront6targetE0EEEvT1_,"axG",@progbits,_ZN7rocprim17ROCPRIM_400000_NS6detail17trampoline_kernelINS0_14default_configENS1_25partition_config_selectorILNS1_17partition_subalgoE9EssbEEZZNS1_14partition_implILS5_9ELb0ES3_jN6thrust23THRUST_200600_302600_NS6detail15normal_iteratorINS9_10device_ptrIsEEEESE_PNS0_10empty_typeENS0_5tupleIJSE_SF_EEENSH_IJSE_SG_EEENS0_18inequality_wrapperI22is_equal_div_10_uniqueIsEEEPmJSF_EEE10hipError_tPvRmT3_T4_T5_T6_T7_T9_mT8_P12ihipStream_tbDpT10_ENKUlT_T0_E_clISt17integral_constantIbLb1EES18_EEDaS13_S14_EUlS13_E_NS1_11comp_targetILNS1_3genE5ELNS1_11target_archE942ELNS1_3gpuE9ELNS1_3repE0EEENS1_30default_config_static_selectorELNS0_4arch9wavefront6targetE0EEEvT1_,comdat
	.protected	_ZN7rocprim17ROCPRIM_400000_NS6detail17trampoline_kernelINS0_14default_configENS1_25partition_config_selectorILNS1_17partition_subalgoE9EssbEEZZNS1_14partition_implILS5_9ELb0ES3_jN6thrust23THRUST_200600_302600_NS6detail15normal_iteratorINS9_10device_ptrIsEEEESE_PNS0_10empty_typeENS0_5tupleIJSE_SF_EEENSH_IJSE_SG_EEENS0_18inequality_wrapperI22is_equal_div_10_uniqueIsEEEPmJSF_EEE10hipError_tPvRmT3_T4_T5_T6_T7_T9_mT8_P12ihipStream_tbDpT10_ENKUlT_T0_E_clISt17integral_constantIbLb1EES18_EEDaS13_S14_EUlS13_E_NS1_11comp_targetILNS1_3genE5ELNS1_11target_archE942ELNS1_3gpuE9ELNS1_3repE0EEENS1_30default_config_static_selectorELNS0_4arch9wavefront6targetE0EEEvT1_ ; -- Begin function _ZN7rocprim17ROCPRIM_400000_NS6detail17trampoline_kernelINS0_14default_configENS1_25partition_config_selectorILNS1_17partition_subalgoE9EssbEEZZNS1_14partition_implILS5_9ELb0ES3_jN6thrust23THRUST_200600_302600_NS6detail15normal_iteratorINS9_10device_ptrIsEEEESE_PNS0_10empty_typeENS0_5tupleIJSE_SF_EEENSH_IJSE_SG_EEENS0_18inequality_wrapperI22is_equal_div_10_uniqueIsEEEPmJSF_EEE10hipError_tPvRmT3_T4_T5_T6_T7_T9_mT8_P12ihipStream_tbDpT10_ENKUlT_T0_E_clISt17integral_constantIbLb1EES18_EEDaS13_S14_EUlS13_E_NS1_11comp_targetILNS1_3genE5ELNS1_11target_archE942ELNS1_3gpuE9ELNS1_3repE0EEENS1_30default_config_static_selectorELNS0_4arch9wavefront6targetE0EEEvT1_
	.globl	_ZN7rocprim17ROCPRIM_400000_NS6detail17trampoline_kernelINS0_14default_configENS1_25partition_config_selectorILNS1_17partition_subalgoE9EssbEEZZNS1_14partition_implILS5_9ELb0ES3_jN6thrust23THRUST_200600_302600_NS6detail15normal_iteratorINS9_10device_ptrIsEEEESE_PNS0_10empty_typeENS0_5tupleIJSE_SF_EEENSH_IJSE_SG_EEENS0_18inequality_wrapperI22is_equal_div_10_uniqueIsEEEPmJSF_EEE10hipError_tPvRmT3_T4_T5_T6_T7_T9_mT8_P12ihipStream_tbDpT10_ENKUlT_T0_E_clISt17integral_constantIbLb1EES18_EEDaS13_S14_EUlS13_E_NS1_11comp_targetILNS1_3genE5ELNS1_11target_archE942ELNS1_3gpuE9ELNS1_3repE0EEENS1_30default_config_static_selectorELNS0_4arch9wavefront6targetE0EEEvT1_
	.p2align	8
	.type	_ZN7rocprim17ROCPRIM_400000_NS6detail17trampoline_kernelINS0_14default_configENS1_25partition_config_selectorILNS1_17partition_subalgoE9EssbEEZZNS1_14partition_implILS5_9ELb0ES3_jN6thrust23THRUST_200600_302600_NS6detail15normal_iteratorINS9_10device_ptrIsEEEESE_PNS0_10empty_typeENS0_5tupleIJSE_SF_EEENSH_IJSE_SG_EEENS0_18inequality_wrapperI22is_equal_div_10_uniqueIsEEEPmJSF_EEE10hipError_tPvRmT3_T4_T5_T6_T7_T9_mT8_P12ihipStream_tbDpT10_ENKUlT_T0_E_clISt17integral_constantIbLb1EES18_EEDaS13_S14_EUlS13_E_NS1_11comp_targetILNS1_3genE5ELNS1_11target_archE942ELNS1_3gpuE9ELNS1_3repE0EEENS1_30default_config_static_selectorELNS0_4arch9wavefront6targetE0EEEvT1_,@function
_ZN7rocprim17ROCPRIM_400000_NS6detail17trampoline_kernelINS0_14default_configENS1_25partition_config_selectorILNS1_17partition_subalgoE9EssbEEZZNS1_14partition_implILS5_9ELb0ES3_jN6thrust23THRUST_200600_302600_NS6detail15normal_iteratorINS9_10device_ptrIsEEEESE_PNS0_10empty_typeENS0_5tupleIJSE_SF_EEENSH_IJSE_SG_EEENS0_18inequality_wrapperI22is_equal_div_10_uniqueIsEEEPmJSF_EEE10hipError_tPvRmT3_T4_T5_T6_T7_T9_mT8_P12ihipStream_tbDpT10_ENKUlT_T0_E_clISt17integral_constantIbLb1EES18_EEDaS13_S14_EUlS13_E_NS1_11comp_targetILNS1_3genE5ELNS1_11target_archE942ELNS1_3gpuE9ELNS1_3repE0EEENS1_30default_config_static_selectorELNS0_4arch9wavefront6targetE0EEEvT1_: ; @_ZN7rocprim17ROCPRIM_400000_NS6detail17trampoline_kernelINS0_14default_configENS1_25partition_config_selectorILNS1_17partition_subalgoE9EssbEEZZNS1_14partition_implILS5_9ELb0ES3_jN6thrust23THRUST_200600_302600_NS6detail15normal_iteratorINS9_10device_ptrIsEEEESE_PNS0_10empty_typeENS0_5tupleIJSE_SF_EEENSH_IJSE_SG_EEENS0_18inequality_wrapperI22is_equal_div_10_uniqueIsEEEPmJSF_EEE10hipError_tPvRmT3_T4_T5_T6_T7_T9_mT8_P12ihipStream_tbDpT10_ENKUlT_T0_E_clISt17integral_constantIbLb1EES18_EEDaS13_S14_EUlS13_E_NS1_11comp_targetILNS1_3genE5ELNS1_11target_archE942ELNS1_3gpuE9ELNS1_3repE0EEENS1_30default_config_static_selectorELNS0_4arch9wavefront6targetE0EEEvT1_
; %bb.0:
	.section	.rodata,"a",@progbits
	.p2align	6, 0x0
	.amdhsa_kernel _ZN7rocprim17ROCPRIM_400000_NS6detail17trampoline_kernelINS0_14default_configENS1_25partition_config_selectorILNS1_17partition_subalgoE9EssbEEZZNS1_14partition_implILS5_9ELb0ES3_jN6thrust23THRUST_200600_302600_NS6detail15normal_iteratorINS9_10device_ptrIsEEEESE_PNS0_10empty_typeENS0_5tupleIJSE_SF_EEENSH_IJSE_SG_EEENS0_18inequality_wrapperI22is_equal_div_10_uniqueIsEEEPmJSF_EEE10hipError_tPvRmT3_T4_T5_T6_T7_T9_mT8_P12ihipStream_tbDpT10_ENKUlT_T0_E_clISt17integral_constantIbLb1EES18_EEDaS13_S14_EUlS13_E_NS1_11comp_targetILNS1_3genE5ELNS1_11target_archE942ELNS1_3gpuE9ELNS1_3repE0EEENS1_30default_config_static_selectorELNS0_4arch9wavefront6targetE0EEEvT1_
		.amdhsa_group_segment_fixed_size 0
		.amdhsa_private_segment_fixed_size 0
		.amdhsa_kernarg_size 128
		.amdhsa_user_sgpr_count 15
		.amdhsa_user_sgpr_dispatch_ptr 0
		.amdhsa_user_sgpr_queue_ptr 0
		.amdhsa_user_sgpr_kernarg_segment_ptr 1
		.amdhsa_user_sgpr_dispatch_id 0
		.amdhsa_user_sgpr_private_segment_size 0
		.amdhsa_wavefront_size32 1
		.amdhsa_uses_dynamic_stack 0
		.amdhsa_enable_private_segment 0
		.amdhsa_system_sgpr_workgroup_id_x 1
		.amdhsa_system_sgpr_workgroup_id_y 0
		.amdhsa_system_sgpr_workgroup_id_z 0
		.amdhsa_system_sgpr_workgroup_info 0
		.amdhsa_system_vgpr_workitem_id 0
		.amdhsa_next_free_vgpr 1
		.amdhsa_next_free_sgpr 1
		.amdhsa_reserve_vcc 0
		.amdhsa_float_round_mode_32 0
		.amdhsa_float_round_mode_16_64 0
		.amdhsa_float_denorm_mode_32 3
		.amdhsa_float_denorm_mode_16_64 3
		.amdhsa_dx10_clamp 1
		.amdhsa_ieee_mode 1
		.amdhsa_fp16_overflow 0
		.amdhsa_workgroup_processor_mode 1
		.amdhsa_memory_ordered 1
		.amdhsa_forward_progress 0
		.amdhsa_shared_vgpr_count 0
		.amdhsa_exception_fp_ieee_invalid_op 0
		.amdhsa_exception_fp_denorm_src 0
		.amdhsa_exception_fp_ieee_div_zero 0
		.amdhsa_exception_fp_ieee_overflow 0
		.amdhsa_exception_fp_ieee_underflow 0
		.amdhsa_exception_fp_ieee_inexact 0
		.amdhsa_exception_int_div_zero 0
	.end_amdhsa_kernel
	.section	.text._ZN7rocprim17ROCPRIM_400000_NS6detail17trampoline_kernelINS0_14default_configENS1_25partition_config_selectorILNS1_17partition_subalgoE9EssbEEZZNS1_14partition_implILS5_9ELb0ES3_jN6thrust23THRUST_200600_302600_NS6detail15normal_iteratorINS9_10device_ptrIsEEEESE_PNS0_10empty_typeENS0_5tupleIJSE_SF_EEENSH_IJSE_SG_EEENS0_18inequality_wrapperI22is_equal_div_10_uniqueIsEEEPmJSF_EEE10hipError_tPvRmT3_T4_T5_T6_T7_T9_mT8_P12ihipStream_tbDpT10_ENKUlT_T0_E_clISt17integral_constantIbLb1EES18_EEDaS13_S14_EUlS13_E_NS1_11comp_targetILNS1_3genE5ELNS1_11target_archE942ELNS1_3gpuE9ELNS1_3repE0EEENS1_30default_config_static_selectorELNS0_4arch9wavefront6targetE0EEEvT1_,"axG",@progbits,_ZN7rocprim17ROCPRIM_400000_NS6detail17trampoline_kernelINS0_14default_configENS1_25partition_config_selectorILNS1_17partition_subalgoE9EssbEEZZNS1_14partition_implILS5_9ELb0ES3_jN6thrust23THRUST_200600_302600_NS6detail15normal_iteratorINS9_10device_ptrIsEEEESE_PNS0_10empty_typeENS0_5tupleIJSE_SF_EEENSH_IJSE_SG_EEENS0_18inequality_wrapperI22is_equal_div_10_uniqueIsEEEPmJSF_EEE10hipError_tPvRmT3_T4_T5_T6_T7_T9_mT8_P12ihipStream_tbDpT10_ENKUlT_T0_E_clISt17integral_constantIbLb1EES18_EEDaS13_S14_EUlS13_E_NS1_11comp_targetILNS1_3genE5ELNS1_11target_archE942ELNS1_3gpuE9ELNS1_3repE0EEENS1_30default_config_static_selectorELNS0_4arch9wavefront6targetE0EEEvT1_,comdat
.Lfunc_end510:
	.size	_ZN7rocprim17ROCPRIM_400000_NS6detail17trampoline_kernelINS0_14default_configENS1_25partition_config_selectorILNS1_17partition_subalgoE9EssbEEZZNS1_14partition_implILS5_9ELb0ES3_jN6thrust23THRUST_200600_302600_NS6detail15normal_iteratorINS9_10device_ptrIsEEEESE_PNS0_10empty_typeENS0_5tupleIJSE_SF_EEENSH_IJSE_SG_EEENS0_18inequality_wrapperI22is_equal_div_10_uniqueIsEEEPmJSF_EEE10hipError_tPvRmT3_T4_T5_T6_T7_T9_mT8_P12ihipStream_tbDpT10_ENKUlT_T0_E_clISt17integral_constantIbLb1EES18_EEDaS13_S14_EUlS13_E_NS1_11comp_targetILNS1_3genE5ELNS1_11target_archE942ELNS1_3gpuE9ELNS1_3repE0EEENS1_30default_config_static_selectorELNS0_4arch9wavefront6targetE0EEEvT1_, .Lfunc_end510-_ZN7rocprim17ROCPRIM_400000_NS6detail17trampoline_kernelINS0_14default_configENS1_25partition_config_selectorILNS1_17partition_subalgoE9EssbEEZZNS1_14partition_implILS5_9ELb0ES3_jN6thrust23THRUST_200600_302600_NS6detail15normal_iteratorINS9_10device_ptrIsEEEESE_PNS0_10empty_typeENS0_5tupleIJSE_SF_EEENSH_IJSE_SG_EEENS0_18inequality_wrapperI22is_equal_div_10_uniqueIsEEEPmJSF_EEE10hipError_tPvRmT3_T4_T5_T6_T7_T9_mT8_P12ihipStream_tbDpT10_ENKUlT_T0_E_clISt17integral_constantIbLb1EES18_EEDaS13_S14_EUlS13_E_NS1_11comp_targetILNS1_3genE5ELNS1_11target_archE942ELNS1_3gpuE9ELNS1_3repE0EEENS1_30default_config_static_selectorELNS0_4arch9wavefront6targetE0EEEvT1_
                                        ; -- End function
	.section	.AMDGPU.csdata,"",@progbits
; Kernel info:
; codeLenInByte = 0
; NumSgprs: 0
; NumVgprs: 0
; ScratchSize: 0
; MemoryBound: 0
; FloatMode: 240
; IeeeMode: 1
; LDSByteSize: 0 bytes/workgroup (compile time only)
; SGPRBlocks: 0
; VGPRBlocks: 0
; NumSGPRsForWavesPerEU: 1
; NumVGPRsForWavesPerEU: 1
; Occupancy: 16
; WaveLimiterHint : 0
; COMPUTE_PGM_RSRC2:SCRATCH_EN: 0
; COMPUTE_PGM_RSRC2:USER_SGPR: 15
; COMPUTE_PGM_RSRC2:TRAP_HANDLER: 0
; COMPUTE_PGM_RSRC2:TGID_X_EN: 1
; COMPUTE_PGM_RSRC2:TGID_Y_EN: 0
; COMPUTE_PGM_RSRC2:TGID_Z_EN: 0
; COMPUTE_PGM_RSRC2:TIDIG_COMP_CNT: 0
	.section	.text._ZN7rocprim17ROCPRIM_400000_NS6detail17trampoline_kernelINS0_14default_configENS1_25partition_config_selectorILNS1_17partition_subalgoE9EssbEEZZNS1_14partition_implILS5_9ELb0ES3_jN6thrust23THRUST_200600_302600_NS6detail15normal_iteratorINS9_10device_ptrIsEEEESE_PNS0_10empty_typeENS0_5tupleIJSE_SF_EEENSH_IJSE_SG_EEENS0_18inequality_wrapperI22is_equal_div_10_uniqueIsEEEPmJSF_EEE10hipError_tPvRmT3_T4_T5_T6_T7_T9_mT8_P12ihipStream_tbDpT10_ENKUlT_T0_E_clISt17integral_constantIbLb1EES18_EEDaS13_S14_EUlS13_E_NS1_11comp_targetILNS1_3genE4ELNS1_11target_archE910ELNS1_3gpuE8ELNS1_3repE0EEENS1_30default_config_static_selectorELNS0_4arch9wavefront6targetE0EEEvT1_,"axG",@progbits,_ZN7rocprim17ROCPRIM_400000_NS6detail17trampoline_kernelINS0_14default_configENS1_25partition_config_selectorILNS1_17partition_subalgoE9EssbEEZZNS1_14partition_implILS5_9ELb0ES3_jN6thrust23THRUST_200600_302600_NS6detail15normal_iteratorINS9_10device_ptrIsEEEESE_PNS0_10empty_typeENS0_5tupleIJSE_SF_EEENSH_IJSE_SG_EEENS0_18inequality_wrapperI22is_equal_div_10_uniqueIsEEEPmJSF_EEE10hipError_tPvRmT3_T4_T5_T6_T7_T9_mT8_P12ihipStream_tbDpT10_ENKUlT_T0_E_clISt17integral_constantIbLb1EES18_EEDaS13_S14_EUlS13_E_NS1_11comp_targetILNS1_3genE4ELNS1_11target_archE910ELNS1_3gpuE8ELNS1_3repE0EEENS1_30default_config_static_selectorELNS0_4arch9wavefront6targetE0EEEvT1_,comdat
	.protected	_ZN7rocprim17ROCPRIM_400000_NS6detail17trampoline_kernelINS0_14default_configENS1_25partition_config_selectorILNS1_17partition_subalgoE9EssbEEZZNS1_14partition_implILS5_9ELb0ES3_jN6thrust23THRUST_200600_302600_NS6detail15normal_iteratorINS9_10device_ptrIsEEEESE_PNS0_10empty_typeENS0_5tupleIJSE_SF_EEENSH_IJSE_SG_EEENS0_18inequality_wrapperI22is_equal_div_10_uniqueIsEEEPmJSF_EEE10hipError_tPvRmT3_T4_T5_T6_T7_T9_mT8_P12ihipStream_tbDpT10_ENKUlT_T0_E_clISt17integral_constantIbLb1EES18_EEDaS13_S14_EUlS13_E_NS1_11comp_targetILNS1_3genE4ELNS1_11target_archE910ELNS1_3gpuE8ELNS1_3repE0EEENS1_30default_config_static_selectorELNS0_4arch9wavefront6targetE0EEEvT1_ ; -- Begin function _ZN7rocprim17ROCPRIM_400000_NS6detail17trampoline_kernelINS0_14default_configENS1_25partition_config_selectorILNS1_17partition_subalgoE9EssbEEZZNS1_14partition_implILS5_9ELb0ES3_jN6thrust23THRUST_200600_302600_NS6detail15normal_iteratorINS9_10device_ptrIsEEEESE_PNS0_10empty_typeENS0_5tupleIJSE_SF_EEENSH_IJSE_SG_EEENS0_18inequality_wrapperI22is_equal_div_10_uniqueIsEEEPmJSF_EEE10hipError_tPvRmT3_T4_T5_T6_T7_T9_mT8_P12ihipStream_tbDpT10_ENKUlT_T0_E_clISt17integral_constantIbLb1EES18_EEDaS13_S14_EUlS13_E_NS1_11comp_targetILNS1_3genE4ELNS1_11target_archE910ELNS1_3gpuE8ELNS1_3repE0EEENS1_30default_config_static_selectorELNS0_4arch9wavefront6targetE0EEEvT1_
	.globl	_ZN7rocprim17ROCPRIM_400000_NS6detail17trampoline_kernelINS0_14default_configENS1_25partition_config_selectorILNS1_17partition_subalgoE9EssbEEZZNS1_14partition_implILS5_9ELb0ES3_jN6thrust23THRUST_200600_302600_NS6detail15normal_iteratorINS9_10device_ptrIsEEEESE_PNS0_10empty_typeENS0_5tupleIJSE_SF_EEENSH_IJSE_SG_EEENS0_18inequality_wrapperI22is_equal_div_10_uniqueIsEEEPmJSF_EEE10hipError_tPvRmT3_T4_T5_T6_T7_T9_mT8_P12ihipStream_tbDpT10_ENKUlT_T0_E_clISt17integral_constantIbLb1EES18_EEDaS13_S14_EUlS13_E_NS1_11comp_targetILNS1_3genE4ELNS1_11target_archE910ELNS1_3gpuE8ELNS1_3repE0EEENS1_30default_config_static_selectorELNS0_4arch9wavefront6targetE0EEEvT1_
	.p2align	8
	.type	_ZN7rocprim17ROCPRIM_400000_NS6detail17trampoline_kernelINS0_14default_configENS1_25partition_config_selectorILNS1_17partition_subalgoE9EssbEEZZNS1_14partition_implILS5_9ELb0ES3_jN6thrust23THRUST_200600_302600_NS6detail15normal_iteratorINS9_10device_ptrIsEEEESE_PNS0_10empty_typeENS0_5tupleIJSE_SF_EEENSH_IJSE_SG_EEENS0_18inequality_wrapperI22is_equal_div_10_uniqueIsEEEPmJSF_EEE10hipError_tPvRmT3_T4_T5_T6_T7_T9_mT8_P12ihipStream_tbDpT10_ENKUlT_T0_E_clISt17integral_constantIbLb1EES18_EEDaS13_S14_EUlS13_E_NS1_11comp_targetILNS1_3genE4ELNS1_11target_archE910ELNS1_3gpuE8ELNS1_3repE0EEENS1_30default_config_static_selectorELNS0_4arch9wavefront6targetE0EEEvT1_,@function
_ZN7rocprim17ROCPRIM_400000_NS6detail17trampoline_kernelINS0_14default_configENS1_25partition_config_selectorILNS1_17partition_subalgoE9EssbEEZZNS1_14partition_implILS5_9ELb0ES3_jN6thrust23THRUST_200600_302600_NS6detail15normal_iteratorINS9_10device_ptrIsEEEESE_PNS0_10empty_typeENS0_5tupleIJSE_SF_EEENSH_IJSE_SG_EEENS0_18inequality_wrapperI22is_equal_div_10_uniqueIsEEEPmJSF_EEE10hipError_tPvRmT3_T4_T5_T6_T7_T9_mT8_P12ihipStream_tbDpT10_ENKUlT_T0_E_clISt17integral_constantIbLb1EES18_EEDaS13_S14_EUlS13_E_NS1_11comp_targetILNS1_3genE4ELNS1_11target_archE910ELNS1_3gpuE8ELNS1_3repE0EEENS1_30default_config_static_selectorELNS0_4arch9wavefront6targetE0EEEvT1_: ; @_ZN7rocprim17ROCPRIM_400000_NS6detail17trampoline_kernelINS0_14default_configENS1_25partition_config_selectorILNS1_17partition_subalgoE9EssbEEZZNS1_14partition_implILS5_9ELb0ES3_jN6thrust23THRUST_200600_302600_NS6detail15normal_iteratorINS9_10device_ptrIsEEEESE_PNS0_10empty_typeENS0_5tupleIJSE_SF_EEENSH_IJSE_SG_EEENS0_18inequality_wrapperI22is_equal_div_10_uniqueIsEEEPmJSF_EEE10hipError_tPvRmT3_T4_T5_T6_T7_T9_mT8_P12ihipStream_tbDpT10_ENKUlT_T0_E_clISt17integral_constantIbLb1EES18_EEDaS13_S14_EUlS13_E_NS1_11comp_targetILNS1_3genE4ELNS1_11target_archE910ELNS1_3gpuE8ELNS1_3repE0EEENS1_30default_config_static_selectorELNS0_4arch9wavefront6targetE0EEEvT1_
; %bb.0:
	.section	.rodata,"a",@progbits
	.p2align	6, 0x0
	.amdhsa_kernel _ZN7rocprim17ROCPRIM_400000_NS6detail17trampoline_kernelINS0_14default_configENS1_25partition_config_selectorILNS1_17partition_subalgoE9EssbEEZZNS1_14partition_implILS5_9ELb0ES3_jN6thrust23THRUST_200600_302600_NS6detail15normal_iteratorINS9_10device_ptrIsEEEESE_PNS0_10empty_typeENS0_5tupleIJSE_SF_EEENSH_IJSE_SG_EEENS0_18inequality_wrapperI22is_equal_div_10_uniqueIsEEEPmJSF_EEE10hipError_tPvRmT3_T4_T5_T6_T7_T9_mT8_P12ihipStream_tbDpT10_ENKUlT_T0_E_clISt17integral_constantIbLb1EES18_EEDaS13_S14_EUlS13_E_NS1_11comp_targetILNS1_3genE4ELNS1_11target_archE910ELNS1_3gpuE8ELNS1_3repE0EEENS1_30default_config_static_selectorELNS0_4arch9wavefront6targetE0EEEvT1_
		.amdhsa_group_segment_fixed_size 0
		.amdhsa_private_segment_fixed_size 0
		.amdhsa_kernarg_size 128
		.amdhsa_user_sgpr_count 15
		.amdhsa_user_sgpr_dispatch_ptr 0
		.amdhsa_user_sgpr_queue_ptr 0
		.amdhsa_user_sgpr_kernarg_segment_ptr 1
		.amdhsa_user_sgpr_dispatch_id 0
		.amdhsa_user_sgpr_private_segment_size 0
		.amdhsa_wavefront_size32 1
		.amdhsa_uses_dynamic_stack 0
		.amdhsa_enable_private_segment 0
		.amdhsa_system_sgpr_workgroup_id_x 1
		.amdhsa_system_sgpr_workgroup_id_y 0
		.amdhsa_system_sgpr_workgroup_id_z 0
		.amdhsa_system_sgpr_workgroup_info 0
		.amdhsa_system_vgpr_workitem_id 0
		.amdhsa_next_free_vgpr 1
		.amdhsa_next_free_sgpr 1
		.amdhsa_reserve_vcc 0
		.amdhsa_float_round_mode_32 0
		.amdhsa_float_round_mode_16_64 0
		.amdhsa_float_denorm_mode_32 3
		.amdhsa_float_denorm_mode_16_64 3
		.amdhsa_dx10_clamp 1
		.amdhsa_ieee_mode 1
		.amdhsa_fp16_overflow 0
		.amdhsa_workgroup_processor_mode 1
		.amdhsa_memory_ordered 1
		.amdhsa_forward_progress 0
		.amdhsa_shared_vgpr_count 0
		.amdhsa_exception_fp_ieee_invalid_op 0
		.amdhsa_exception_fp_denorm_src 0
		.amdhsa_exception_fp_ieee_div_zero 0
		.amdhsa_exception_fp_ieee_overflow 0
		.amdhsa_exception_fp_ieee_underflow 0
		.amdhsa_exception_fp_ieee_inexact 0
		.amdhsa_exception_int_div_zero 0
	.end_amdhsa_kernel
	.section	.text._ZN7rocprim17ROCPRIM_400000_NS6detail17trampoline_kernelINS0_14default_configENS1_25partition_config_selectorILNS1_17partition_subalgoE9EssbEEZZNS1_14partition_implILS5_9ELb0ES3_jN6thrust23THRUST_200600_302600_NS6detail15normal_iteratorINS9_10device_ptrIsEEEESE_PNS0_10empty_typeENS0_5tupleIJSE_SF_EEENSH_IJSE_SG_EEENS0_18inequality_wrapperI22is_equal_div_10_uniqueIsEEEPmJSF_EEE10hipError_tPvRmT3_T4_T5_T6_T7_T9_mT8_P12ihipStream_tbDpT10_ENKUlT_T0_E_clISt17integral_constantIbLb1EES18_EEDaS13_S14_EUlS13_E_NS1_11comp_targetILNS1_3genE4ELNS1_11target_archE910ELNS1_3gpuE8ELNS1_3repE0EEENS1_30default_config_static_selectorELNS0_4arch9wavefront6targetE0EEEvT1_,"axG",@progbits,_ZN7rocprim17ROCPRIM_400000_NS6detail17trampoline_kernelINS0_14default_configENS1_25partition_config_selectorILNS1_17partition_subalgoE9EssbEEZZNS1_14partition_implILS5_9ELb0ES3_jN6thrust23THRUST_200600_302600_NS6detail15normal_iteratorINS9_10device_ptrIsEEEESE_PNS0_10empty_typeENS0_5tupleIJSE_SF_EEENSH_IJSE_SG_EEENS0_18inequality_wrapperI22is_equal_div_10_uniqueIsEEEPmJSF_EEE10hipError_tPvRmT3_T4_T5_T6_T7_T9_mT8_P12ihipStream_tbDpT10_ENKUlT_T0_E_clISt17integral_constantIbLb1EES18_EEDaS13_S14_EUlS13_E_NS1_11comp_targetILNS1_3genE4ELNS1_11target_archE910ELNS1_3gpuE8ELNS1_3repE0EEENS1_30default_config_static_selectorELNS0_4arch9wavefront6targetE0EEEvT1_,comdat
.Lfunc_end511:
	.size	_ZN7rocprim17ROCPRIM_400000_NS6detail17trampoline_kernelINS0_14default_configENS1_25partition_config_selectorILNS1_17partition_subalgoE9EssbEEZZNS1_14partition_implILS5_9ELb0ES3_jN6thrust23THRUST_200600_302600_NS6detail15normal_iteratorINS9_10device_ptrIsEEEESE_PNS0_10empty_typeENS0_5tupleIJSE_SF_EEENSH_IJSE_SG_EEENS0_18inequality_wrapperI22is_equal_div_10_uniqueIsEEEPmJSF_EEE10hipError_tPvRmT3_T4_T5_T6_T7_T9_mT8_P12ihipStream_tbDpT10_ENKUlT_T0_E_clISt17integral_constantIbLb1EES18_EEDaS13_S14_EUlS13_E_NS1_11comp_targetILNS1_3genE4ELNS1_11target_archE910ELNS1_3gpuE8ELNS1_3repE0EEENS1_30default_config_static_selectorELNS0_4arch9wavefront6targetE0EEEvT1_, .Lfunc_end511-_ZN7rocprim17ROCPRIM_400000_NS6detail17trampoline_kernelINS0_14default_configENS1_25partition_config_selectorILNS1_17partition_subalgoE9EssbEEZZNS1_14partition_implILS5_9ELb0ES3_jN6thrust23THRUST_200600_302600_NS6detail15normal_iteratorINS9_10device_ptrIsEEEESE_PNS0_10empty_typeENS0_5tupleIJSE_SF_EEENSH_IJSE_SG_EEENS0_18inequality_wrapperI22is_equal_div_10_uniqueIsEEEPmJSF_EEE10hipError_tPvRmT3_T4_T5_T6_T7_T9_mT8_P12ihipStream_tbDpT10_ENKUlT_T0_E_clISt17integral_constantIbLb1EES18_EEDaS13_S14_EUlS13_E_NS1_11comp_targetILNS1_3genE4ELNS1_11target_archE910ELNS1_3gpuE8ELNS1_3repE0EEENS1_30default_config_static_selectorELNS0_4arch9wavefront6targetE0EEEvT1_
                                        ; -- End function
	.section	.AMDGPU.csdata,"",@progbits
; Kernel info:
; codeLenInByte = 0
; NumSgprs: 0
; NumVgprs: 0
; ScratchSize: 0
; MemoryBound: 0
; FloatMode: 240
; IeeeMode: 1
; LDSByteSize: 0 bytes/workgroup (compile time only)
; SGPRBlocks: 0
; VGPRBlocks: 0
; NumSGPRsForWavesPerEU: 1
; NumVGPRsForWavesPerEU: 1
; Occupancy: 16
; WaveLimiterHint : 0
; COMPUTE_PGM_RSRC2:SCRATCH_EN: 0
; COMPUTE_PGM_RSRC2:USER_SGPR: 15
; COMPUTE_PGM_RSRC2:TRAP_HANDLER: 0
; COMPUTE_PGM_RSRC2:TGID_X_EN: 1
; COMPUTE_PGM_RSRC2:TGID_Y_EN: 0
; COMPUTE_PGM_RSRC2:TGID_Z_EN: 0
; COMPUTE_PGM_RSRC2:TIDIG_COMP_CNT: 0
	.section	.text._ZN7rocprim17ROCPRIM_400000_NS6detail17trampoline_kernelINS0_14default_configENS1_25partition_config_selectorILNS1_17partition_subalgoE9EssbEEZZNS1_14partition_implILS5_9ELb0ES3_jN6thrust23THRUST_200600_302600_NS6detail15normal_iteratorINS9_10device_ptrIsEEEESE_PNS0_10empty_typeENS0_5tupleIJSE_SF_EEENSH_IJSE_SG_EEENS0_18inequality_wrapperI22is_equal_div_10_uniqueIsEEEPmJSF_EEE10hipError_tPvRmT3_T4_T5_T6_T7_T9_mT8_P12ihipStream_tbDpT10_ENKUlT_T0_E_clISt17integral_constantIbLb1EES18_EEDaS13_S14_EUlS13_E_NS1_11comp_targetILNS1_3genE3ELNS1_11target_archE908ELNS1_3gpuE7ELNS1_3repE0EEENS1_30default_config_static_selectorELNS0_4arch9wavefront6targetE0EEEvT1_,"axG",@progbits,_ZN7rocprim17ROCPRIM_400000_NS6detail17trampoline_kernelINS0_14default_configENS1_25partition_config_selectorILNS1_17partition_subalgoE9EssbEEZZNS1_14partition_implILS5_9ELb0ES3_jN6thrust23THRUST_200600_302600_NS6detail15normal_iteratorINS9_10device_ptrIsEEEESE_PNS0_10empty_typeENS0_5tupleIJSE_SF_EEENSH_IJSE_SG_EEENS0_18inequality_wrapperI22is_equal_div_10_uniqueIsEEEPmJSF_EEE10hipError_tPvRmT3_T4_T5_T6_T7_T9_mT8_P12ihipStream_tbDpT10_ENKUlT_T0_E_clISt17integral_constantIbLb1EES18_EEDaS13_S14_EUlS13_E_NS1_11comp_targetILNS1_3genE3ELNS1_11target_archE908ELNS1_3gpuE7ELNS1_3repE0EEENS1_30default_config_static_selectorELNS0_4arch9wavefront6targetE0EEEvT1_,comdat
	.protected	_ZN7rocprim17ROCPRIM_400000_NS6detail17trampoline_kernelINS0_14default_configENS1_25partition_config_selectorILNS1_17partition_subalgoE9EssbEEZZNS1_14partition_implILS5_9ELb0ES3_jN6thrust23THRUST_200600_302600_NS6detail15normal_iteratorINS9_10device_ptrIsEEEESE_PNS0_10empty_typeENS0_5tupleIJSE_SF_EEENSH_IJSE_SG_EEENS0_18inequality_wrapperI22is_equal_div_10_uniqueIsEEEPmJSF_EEE10hipError_tPvRmT3_T4_T5_T6_T7_T9_mT8_P12ihipStream_tbDpT10_ENKUlT_T0_E_clISt17integral_constantIbLb1EES18_EEDaS13_S14_EUlS13_E_NS1_11comp_targetILNS1_3genE3ELNS1_11target_archE908ELNS1_3gpuE7ELNS1_3repE0EEENS1_30default_config_static_selectorELNS0_4arch9wavefront6targetE0EEEvT1_ ; -- Begin function _ZN7rocprim17ROCPRIM_400000_NS6detail17trampoline_kernelINS0_14default_configENS1_25partition_config_selectorILNS1_17partition_subalgoE9EssbEEZZNS1_14partition_implILS5_9ELb0ES3_jN6thrust23THRUST_200600_302600_NS6detail15normal_iteratorINS9_10device_ptrIsEEEESE_PNS0_10empty_typeENS0_5tupleIJSE_SF_EEENSH_IJSE_SG_EEENS0_18inequality_wrapperI22is_equal_div_10_uniqueIsEEEPmJSF_EEE10hipError_tPvRmT3_T4_T5_T6_T7_T9_mT8_P12ihipStream_tbDpT10_ENKUlT_T0_E_clISt17integral_constantIbLb1EES18_EEDaS13_S14_EUlS13_E_NS1_11comp_targetILNS1_3genE3ELNS1_11target_archE908ELNS1_3gpuE7ELNS1_3repE0EEENS1_30default_config_static_selectorELNS0_4arch9wavefront6targetE0EEEvT1_
	.globl	_ZN7rocprim17ROCPRIM_400000_NS6detail17trampoline_kernelINS0_14default_configENS1_25partition_config_selectorILNS1_17partition_subalgoE9EssbEEZZNS1_14partition_implILS5_9ELb0ES3_jN6thrust23THRUST_200600_302600_NS6detail15normal_iteratorINS9_10device_ptrIsEEEESE_PNS0_10empty_typeENS0_5tupleIJSE_SF_EEENSH_IJSE_SG_EEENS0_18inequality_wrapperI22is_equal_div_10_uniqueIsEEEPmJSF_EEE10hipError_tPvRmT3_T4_T5_T6_T7_T9_mT8_P12ihipStream_tbDpT10_ENKUlT_T0_E_clISt17integral_constantIbLb1EES18_EEDaS13_S14_EUlS13_E_NS1_11comp_targetILNS1_3genE3ELNS1_11target_archE908ELNS1_3gpuE7ELNS1_3repE0EEENS1_30default_config_static_selectorELNS0_4arch9wavefront6targetE0EEEvT1_
	.p2align	8
	.type	_ZN7rocprim17ROCPRIM_400000_NS6detail17trampoline_kernelINS0_14default_configENS1_25partition_config_selectorILNS1_17partition_subalgoE9EssbEEZZNS1_14partition_implILS5_9ELb0ES3_jN6thrust23THRUST_200600_302600_NS6detail15normal_iteratorINS9_10device_ptrIsEEEESE_PNS0_10empty_typeENS0_5tupleIJSE_SF_EEENSH_IJSE_SG_EEENS0_18inequality_wrapperI22is_equal_div_10_uniqueIsEEEPmJSF_EEE10hipError_tPvRmT3_T4_T5_T6_T7_T9_mT8_P12ihipStream_tbDpT10_ENKUlT_T0_E_clISt17integral_constantIbLb1EES18_EEDaS13_S14_EUlS13_E_NS1_11comp_targetILNS1_3genE3ELNS1_11target_archE908ELNS1_3gpuE7ELNS1_3repE0EEENS1_30default_config_static_selectorELNS0_4arch9wavefront6targetE0EEEvT1_,@function
_ZN7rocprim17ROCPRIM_400000_NS6detail17trampoline_kernelINS0_14default_configENS1_25partition_config_selectorILNS1_17partition_subalgoE9EssbEEZZNS1_14partition_implILS5_9ELb0ES3_jN6thrust23THRUST_200600_302600_NS6detail15normal_iteratorINS9_10device_ptrIsEEEESE_PNS0_10empty_typeENS0_5tupleIJSE_SF_EEENSH_IJSE_SG_EEENS0_18inequality_wrapperI22is_equal_div_10_uniqueIsEEEPmJSF_EEE10hipError_tPvRmT3_T4_T5_T6_T7_T9_mT8_P12ihipStream_tbDpT10_ENKUlT_T0_E_clISt17integral_constantIbLb1EES18_EEDaS13_S14_EUlS13_E_NS1_11comp_targetILNS1_3genE3ELNS1_11target_archE908ELNS1_3gpuE7ELNS1_3repE0EEENS1_30default_config_static_selectorELNS0_4arch9wavefront6targetE0EEEvT1_: ; @_ZN7rocprim17ROCPRIM_400000_NS6detail17trampoline_kernelINS0_14default_configENS1_25partition_config_selectorILNS1_17partition_subalgoE9EssbEEZZNS1_14partition_implILS5_9ELb0ES3_jN6thrust23THRUST_200600_302600_NS6detail15normal_iteratorINS9_10device_ptrIsEEEESE_PNS0_10empty_typeENS0_5tupleIJSE_SF_EEENSH_IJSE_SG_EEENS0_18inequality_wrapperI22is_equal_div_10_uniqueIsEEEPmJSF_EEE10hipError_tPvRmT3_T4_T5_T6_T7_T9_mT8_P12ihipStream_tbDpT10_ENKUlT_T0_E_clISt17integral_constantIbLb1EES18_EEDaS13_S14_EUlS13_E_NS1_11comp_targetILNS1_3genE3ELNS1_11target_archE908ELNS1_3gpuE7ELNS1_3repE0EEENS1_30default_config_static_selectorELNS0_4arch9wavefront6targetE0EEEvT1_
; %bb.0:
	.section	.rodata,"a",@progbits
	.p2align	6, 0x0
	.amdhsa_kernel _ZN7rocprim17ROCPRIM_400000_NS6detail17trampoline_kernelINS0_14default_configENS1_25partition_config_selectorILNS1_17partition_subalgoE9EssbEEZZNS1_14partition_implILS5_9ELb0ES3_jN6thrust23THRUST_200600_302600_NS6detail15normal_iteratorINS9_10device_ptrIsEEEESE_PNS0_10empty_typeENS0_5tupleIJSE_SF_EEENSH_IJSE_SG_EEENS0_18inequality_wrapperI22is_equal_div_10_uniqueIsEEEPmJSF_EEE10hipError_tPvRmT3_T4_T5_T6_T7_T9_mT8_P12ihipStream_tbDpT10_ENKUlT_T0_E_clISt17integral_constantIbLb1EES18_EEDaS13_S14_EUlS13_E_NS1_11comp_targetILNS1_3genE3ELNS1_11target_archE908ELNS1_3gpuE7ELNS1_3repE0EEENS1_30default_config_static_selectorELNS0_4arch9wavefront6targetE0EEEvT1_
		.amdhsa_group_segment_fixed_size 0
		.amdhsa_private_segment_fixed_size 0
		.amdhsa_kernarg_size 128
		.amdhsa_user_sgpr_count 15
		.amdhsa_user_sgpr_dispatch_ptr 0
		.amdhsa_user_sgpr_queue_ptr 0
		.amdhsa_user_sgpr_kernarg_segment_ptr 1
		.amdhsa_user_sgpr_dispatch_id 0
		.amdhsa_user_sgpr_private_segment_size 0
		.amdhsa_wavefront_size32 1
		.amdhsa_uses_dynamic_stack 0
		.amdhsa_enable_private_segment 0
		.amdhsa_system_sgpr_workgroup_id_x 1
		.amdhsa_system_sgpr_workgroup_id_y 0
		.amdhsa_system_sgpr_workgroup_id_z 0
		.amdhsa_system_sgpr_workgroup_info 0
		.amdhsa_system_vgpr_workitem_id 0
		.amdhsa_next_free_vgpr 1
		.amdhsa_next_free_sgpr 1
		.amdhsa_reserve_vcc 0
		.amdhsa_float_round_mode_32 0
		.amdhsa_float_round_mode_16_64 0
		.amdhsa_float_denorm_mode_32 3
		.amdhsa_float_denorm_mode_16_64 3
		.amdhsa_dx10_clamp 1
		.amdhsa_ieee_mode 1
		.amdhsa_fp16_overflow 0
		.amdhsa_workgroup_processor_mode 1
		.amdhsa_memory_ordered 1
		.amdhsa_forward_progress 0
		.amdhsa_shared_vgpr_count 0
		.amdhsa_exception_fp_ieee_invalid_op 0
		.amdhsa_exception_fp_denorm_src 0
		.amdhsa_exception_fp_ieee_div_zero 0
		.amdhsa_exception_fp_ieee_overflow 0
		.amdhsa_exception_fp_ieee_underflow 0
		.amdhsa_exception_fp_ieee_inexact 0
		.amdhsa_exception_int_div_zero 0
	.end_amdhsa_kernel
	.section	.text._ZN7rocprim17ROCPRIM_400000_NS6detail17trampoline_kernelINS0_14default_configENS1_25partition_config_selectorILNS1_17partition_subalgoE9EssbEEZZNS1_14partition_implILS5_9ELb0ES3_jN6thrust23THRUST_200600_302600_NS6detail15normal_iteratorINS9_10device_ptrIsEEEESE_PNS0_10empty_typeENS0_5tupleIJSE_SF_EEENSH_IJSE_SG_EEENS0_18inequality_wrapperI22is_equal_div_10_uniqueIsEEEPmJSF_EEE10hipError_tPvRmT3_T4_T5_T6_T7_T9_mT8_P12ihipStream_tbDpT10_ENKUlT_T0_E_clISt17integral_constantIbLb1EES18_EEDaS13_S14_EUlS13_E_NS1_11comp_targetILNS1_3genE3ELNS1_11target_archE908ELNS1_3gpuE7ELNS1_3repE0EEENS1_30default_config_static_selectorELNS0_4arch9wavefront6targetE0EEEvT1_,"axG",@progbits,_ZN7rocprim17ROCPRIM_400000_NS6detail17trampoline_kernelINS0_14default_configENS1_25partition_config_selectorILNS1_17partition_subalgoE9EssbEEZZNS1_14partition_implILS5_9ELb0ES3_jN6thrust23THRUST_200600_302600_NS6detail15normal_iteratorINS9_10device_ptrIsEEEESE_PNS0_10empty_typeENS0_5tupleIJSE_SF_EEENSH_IJSE_SG_EEENS0_18inequality_wrapperI22is_equal_div_10_uniqueIsEEEPmJSF_EEE10hipError_tPvRmT3_T4_T5_T6_T7_T9_mT8_P12ihipStream_tbDpT10_ENKUlT_T0_E_clISt17integral_constantIbLb1EES18_EEDaS13_S14_EUlS13_E_NS1_11comp_targetILNS1_3genE3ELNS1_11target_archE908ELNS1_3gpuE7ELNS1_3repE0EEENS1_30default_config_static_selectorELNS0_4arch9wavefront6targetE0EEEvT1_,comdat
.Lfunc_end512:
	.size	_ZN7rocprim17ROCPRIM_400000_NS6detail17trampoline_kernelINS0_14default_configENS1_25partition_config_selectorILNS1_17partition_subalgoE9EssbEEZZNS1_14partition_implILS5_9ELb0ES3_jN6thrust23THRUST_200600_302600_NS6detail15normal_iteratorINS9_10device_ptrIsEEEESE_PNS0_10empty_typeENS0_5tupleIJSE_SF_EEENSH_IJSE_SG_EEENS0_18inequality_wrapperI22is_equal_div_10_uniqueIsEEEPmJSF_EEE10hipError_tPvRmT3_T4_T5_T6_T7_T9_mT8_P12ihipStream_tbDpT10_ENKUlT_T0_E_clISt17integral_constantIbLb1EES18_EEDaS13_S14_EUlS13_E_NS1_11comp_targetILNS1_3genE3ELNS1_11target_archE908ELNS1_3gpuE7ELNS1_3repE0EEENS1_30default_config_static_selectorELNS0_4arch9wavefront6targetE0EEEvT1_, .Lfunc_end512-_ZN7rocprim17ROCPRIM_400000_NS6detail17trampoline_kernelINS0_14default_configENS1_25partition_config_selectorILNS1_17partition_subalgoE9EssbEEZZNS1_14partition_implILS5_9ELb0ES3_jN6thrust23THRUST_200600_302600_NS6detail15normal_iteratorINS9_10device_ptrIsEEEESE_PNS0_10empty_typeENS0_5tupleIJSE_SF_EEENSH_IJSE_SG_EEENS0_18inequality_wrapperI22is_equal_div_10_uniqueIsEEEPmJSF_EEE10hipError_tPvRmT3_T4_T5_T6_T7_T9_mT8_P12ihipStream_tbDpT10_ENKUlT_T0_E_clISt17integral_constantIbLb1EES18_EEDaS13_S14_EUlS13_E_NS1_11comp_targetILNS1_3genE3ELNS1_11target_archE908ELNS1_3gpuE7ELNS1_3repE0EEENS1_30default_config_static_selectorELNS0_4arch9wavefront6targetE0EEEvT1_
                                        ; -- End function
	.section	.AMDGPU.csdata,"",@progbits
; Kernel info:
; codeLenInByte = 0
; NumSgprs: 0
; NumVgprs: 0
; ScratchSize: 0
; MemoryBound: 0
; FloatMode: 240
; IeeeMode: 1
; LDSByteSize: 0 bytes/workgroup (compile time only)
; SGPRBlocks: 0
; VGPRBlocks: 0
; NumSGPRsForWavesPerEU: 1
; NumVGPRsForWavesPerEU: 1
; Occupancy: 16
; WaveLimiterHint : 0
; COMPUTE_PGM_RSRC2:SCRATCH_EN: 0
; COMPUTE_PGM_RSRC2:USER_SGPR: 15
; COMPUTE_PGM_RSRC2:TRAP_HANDLER: 0
; COMPUTE_PGM_RSRC2:TGID_X_EN: 1
; COMPUTE_PGM_RSRC2:TGID_Y_EN: 0
; COMPUTE_PGM_RSRC2:TGID_Z_EN: 0
; COMPUTE_PGM_RSRC2:TIDIG_COMP_CNT: 0
	.section	.text._ZN7rocprim17ROCPRIM_400000_NS6detail17trampoline_kernelINS0_14default_configENS1_25partition_config_selectorILNS1_17partition_subalgoE9EssbEEZZNS1_14partition_implILS5_9ELb0ES3_jN6thrust23THRUST_200600_302600_NS6detail15normal_iteratorINS9_10device_ptrIsEEEESE_PNS0_10empty_typeENS0_5tupleIJSE_SF_EEENSH_IJSE_SG_EEENS0_18inequality_wrapperI22is_equal_div_10_uniqueIsEEEPmJSF_EEE10hipError_tPvRmT3_T4_T5_T6_T7_T9_mT8_P12ihipStream_tbDpT10_ENKUlT_T0_E_clISt17integral_constantIbLb1EES18_EEDaS13_S14_EUlS13_E_NS1_11comp_targetILNS1_3genE2ELNS1_11target_archE906ELNS1_3gpuE6ELNS1_3repE0EEENS1_30default_config_static_selectorELNS0_4arch9wavefront6targetE0EEEvT1_,"axG",@progbits,_ZN7rocprim17ROCPRIM_400000_NS6detail17trampoline_kernelINS0_14default_configENS1_25partition_config_selectorILNS1_17partition_subalgoE9EssbEEZZNS1_14partition_implILS5_9ELb0ES3_jN6thrust23THRUST_200600_302600_NS6detail15normal_iteratorINS9_10device_ptrIsEEEESE_PNS0_10empty_typeENS0_5tupleIJSE_SF_EEENSH_IJSE_SG_EEENS0_18inequality_wrapperI22is_equal_div_10_uniqueIsEEEPmJSF_EEE10hipError_tPvRmT3_T4_T5_T6_T7_T9_mT8_P12ihipStream_tbDpT10_ENKUlT_T0_E_clISt17integral_constantIbLb1EES18_EEDaS13_S14_EUlS13_E_NS1_11comp_targetILNS1_3genE2ELNS1_11target_archE906ELNS1_3gpuE6ELNS1_3repE0EEENS1_30default_config_static_selectorELNS0_4arch9wavefront6targetE0EEEvT1_,comdat
	.protected	_ZN7rocprim17ROCPRIM_400000_NS6detail17trampoline_kernelINS0_14default_configENS1_25partition_config_selectorILNS1_17partition_subalgoE9EssbEEZZNS1_14partition_implILS5_9ELb0ES3_jN6thrust23THRUST_200600_302600_NS6detail15normal_iteratorINS9_10device_ptrIsEEEESE_PNS0_10empty_typeENS0_5tupleIJSE_SF_EEENSH_IJSE_SG_EEENS0_18inequality_wrapperI22is_equal_div_10_uniqueIsEEEPmJSF_EEE10hipError_tPvRmT3_T4_T5_T6_T7_T9_mT8_P12ihipStream_tbDpT10_ENKUlT_T0_E_clISt17integral_constantIbLb1EES18_EEDaS13_S14_EUlS13_E_NS1_11comp_targetILNS1_3genE2ELNS1_11target_archE906ELNS1_3gpuE6ELNS1_3repE0EEENS1_30default_config_static_selectorELNS0_4arch9wavefront6targetE0EEEvT1_ ; -- Begin function _ZN7rocprim17ROCPRIM_400000_NS6detail17trampoline_kernelINS0_14default_configENS1_25partition_config_selectorILNS1_17partition_subalgoE9EssbEEZZNS1_14partition_implILS5_9ELb0ES3_jN6thrust23THRUST_200600_302600_NS6detail15normal_iteratorINS9_10device_ptrIsEEEESE_PNS0_10empty_typeENS0_5tupleIJSE_SF_EEENSH_IJSE_SG_EEENS0_18inequality_wrapperI22is_equal_div_10_uniqueIsEEEPmJSF_EEE10hipError_tPvRmT3_T4_T5_T6_T7_T9_mT8_P12ihipStream_tbDpT10_ENKUlT_T0_E_clISt17integral_constantIbLb1EES18_EEDaS13_S14_EUlS13_E_NS1_11comp_targetILNS1_3genE2ELNS1_11target_archE906ELNS1_3gpuE6ELNS1_3repE0EEENS1_30default_config_static_selectorELNS0_4arch9wavefront6targetE0EEEvT1_
	.globl	_ZN7rocprim17ROCPRIM_400000_NS6detail17trampoline_kernelINS0_14default_configENS1_25partition_config_selectorILNS1_17partition_subalgoE9EssbEEZZNS1_14partition_implILS5_9ELb0ES3_jN6thrust23THRUST_200600_302600_NS6detail15normal_iteratorINS9_10device_ptrIsEEEESE_PNS0_10empty_typeENS0_5tupleIJSE_SF_EEENSH_IJSE_SG_EEENS0_18inequality_wrapperI22is_equal_div_10_uniqueIsEEEPmJSF_EEE10hipError_tPvRmT3_T4_T5_T6_T7_T9_mT8_P12ihipStream_tbDpT10_ENKUlT_T0_E_clISt17integral_constantIbLb1EES18_EEDaS13_S14_EUlS13_E_NS1_11comp_targetILNS1_3genE2ELNS1_11target_archE906ELNS1_3gpuE6ELNS1_3repE0EEENS1_30default_config_static_selectorELNS0_4arch9wavefront6targetE0EEEvT1_
	.p2align	8
	.type	_ZN7rocprim17ROCPRIM_400000_NS6detail17trampoline_kernelINS0_14default_configENS1_25partition_config_selectorILNS1_17partition_subalgoE9EssbEEZZNS1_14partition_implILS5_9ELb0ES3_jN6thrust23THRUST_200600_302600_NS6detail15normal_iteratorINS9_10device_ptrIsEEEESE_PNS0_10empty_typeENS0_5tupleIJSE_SF_EEENSH_IJSE_SG_EEENS0_18inequality_wrapperI22is_equal_div_10_uniqueIsEEEPmJSF_EEE10hipError_tPvRmT3_T4_T5_T6_T7_T9_mT8_P12ihipStream_tbDpT10_ENKUlT_T0_E_clISt17integral_constantIbLb1EES18_EEDaS13_S14_EUlS13_E_NS1_11comp_targetILNS1_3genE2ELNS1_11target_archE906ELNS1_3gpuE6ELNS1_3repE0EEENS1_30default_config_static_selectorELNS0_4arch9wavefront6targetE0EEEvT1_,@function
_ZN7rocprim17ROCPRIM_400000_NS6detail17trampoline_kernelINS0_14default_configENS1_25partition_config_selectorILNS1_17partition_subalgoE9EssbEEZZNS1_14partition_implILS5_9ELb0ES3_jN6thrust23THRUST_200600_302600_NS6detail15normal_iteratorINS9_10device_ptrIsEEEESE_PNS0_10empty_typeENS0_5tupleIJSE_SF_EEENSH_IJSE_SG_EEENS0_18inequality_wrapperI22is_equal_div_10_uniqueIsEEEPmJSF_EEE10hipError_tPvRmT3_T4_T5_T6_T7_T9_mT8_P12ihipStream_tbDpT10_ENKUlT_T0_E_clISt17integral_constantIbLb1EES18_EEDaS13_S14_EUlS13_E_NS1_11comp_targetILNS1_3genE2ELNS1_11target_archE906ELNS1_3gpuE6ELNS1_3repE0EEENS1_30default_config_static_selectorELNS0_4arch9wavefront6targetE0EEEvT1_: ; @_ZN7rocprim17ROCPRIM_400000_NS6detail17trampoline_kernelINS0_14default_configENS1_25partition_config_selectorILNS1_17partition_subalgoE9EssbEEZZNS1_14partition_implILS5_9ELb0ES3_jN6thrust23THRUST_200600_302600_NS6detail15normal_iteratorINS9_10device_ptrIsEEEESE_PNS0_10empty_typeENS0_5tupleIJSE_SF_EEENSH_IJSE_SG_EEENS0_18inequality_wrapperI22is_equal_div_10_uniqueIsEEEPmJSF_EEE10hipError_tPvRmT3_T4_T5_T6_T7_T9_mT8_P12ihipStream_tbDpT10_ENKUlT_T0_E_clISt17integral_constantIbLb1EES18_EEDaS13_S14_EUlS13_E_NS1_11comp_targetILNS1_3genE2ELNS1_11target_archE906ELNS1_3gpuE6ELNS1_3repE0EEENS1_30default_config_static_selectorELNS0_4arch9wavefront6targetE0EEEvT1_
; %bb.0:
	.section	.rodata,"a",@progbits
	.p2align	6, 0x0
	.amdhsa_kernel _ZN7rocprim17ROCPRIM_400000_NS6detail17trampoline_kernelINS0_14default_configENS1_25partition_config_selectorILNS1_17partition_subalgoE9EssbEEZZNS1_14partition_implILS5_9ELb0ES3_jN6thrust23THRUST_200600_302600_NS6detail15normal_iteratorINS9_10device_ptrIsEEEESE_PNS0_10empty_typeENS0_5tupleIJSE_SF_EEENSH_IJSE_SG_EEENS0_18inequality_wrapperI22is_equal_div_10_uniqueIsEEEPmJSF_EEE10hipError_tPvRmT3_T4_T5_T6_T7_T9_mT8_P12ihipStream_tbDpT10_ENKUlT_T0_E_clISt17integral_constantIbLb1EES18_EEDaS13_S14_EUlS13_E_NS1_11comp_targetILNS1_3genE2ELNS1_11target_archE906ELNS1_3gpuE6ELNS1_3repE0EEENS1_30default_config_static_selectorELNS0_4arch9wavefront6targetE0EEEvT1_
		.amdhsa_group_segment_fixed_size 0
		.amdhsa_private_segment_fixed_size 0
		.amdhsa_kernarg_size 128
		.amdhsa_user_sgpr_count 15
		.amdhsa_user_sgpr_dispatch_ptr 0
		.amdhsa_user_sgpr_queue_ptr 0
		.amdhsa_user_sgpr_kernarg_segment_ptr 1
		.amdhsa_user_sgpr_dispatch_id 0
		.amdhsa_user_sgpr_private_segment_size 0
		.amdhsa_wavefront_size32 1
		.amdhsa_uses_dynamic_stack 0
		.amdhsa_enable_private_segment 0
		.amdhsa_system_sgpr_workgroup_id_x 1
		.amdhsa_system_sgpr_workgroup_id_y 0
		.amdhsa_system_sgpr_workgroup_id_z 0
		.amdhsa_system_sgpr_workgroup_info 0
		.amdhsa_system_vgpr_workitem_id 0
		.amdhsa_next_free_vgpr 1
		.amdhsa_next_free_sgpr 1
		.amdhsa_reserve_vcc 0
		.amdhsa_float_round_mode_32 0
		.amdhsa_float_round_mode_16_64 0
		.amdhsa_float_denorm_mode_32 3
		.amdhsa_float_denorm_mode_16_64 3
		.amdhsa_dx10_clamp 1
		.amdhsa_ieee_mode 1
		.amdhsa_fp16_overflow 0
		.amdhsa_workgroup_processor_mode 1
		.amdhsa_memory_ordered 1
		.amdhsa_forward_progress 0
		.amdhsa_shared_vgpr_count 0
		.amdhsa_exception_fp_ieee_invalid_op 0
		.amdhsa_exception_fp_denorm_src 0
		.amdhsa_exception_fp_ieee_div_zero 0
		.amdhsa_exception_fp_ieee_overflow 0
		.amdhsa_exception_fp_ieee_underflow 0
		.amdhsa_exception_fp_ieee_inexact 0
		.amdhsa_exception_int_div_zero 0
	.end_amdhsa_kernel
	.section	.text._ZN7rocprim17ROCPRIM_400000_NS6detail17trampoline_kernelINS0_14default_configENS1_25partition_config_selectorILNS1_17partition_subalgoE9EssbEEZZNS1_14partition_implILS5_9ELb0ES3_jN6thrust23THRUST_200600_302600_NS6detail15normal_iteratorINS9_10device_ptrIsEEEESE_PNS0_10empty_typeENS0_5tupleIJSE_SF_EEENSH_IJSE_SG_EEENS0_18inequality_wrapperI22is_equal_div_10_uniqueIsEEEPmJSF_EEE10hipError_tPvRmT3_T4_T5_T6_T7_T9_mT8_P12ihipStream_tbDpT10_ENKUlT_T0_E_clISt17integral_constantIbLb1EES18_EEDaS13_S14_EUlS13_E_NS1_11comp_targetILNS1_3genE2ELNS1_11target_archE906ELNS1_3gpuE6ELNS1_3repE0EEENS1_30default_config_static_selectorELNS0_4arch9wavefront6targetE0EEEvT1_,"axG",@progbits,_ZN7rocprim17ROCPRIM_400000_NS6detail17trampoline_kernelINS0_14default_configENS1_25partition_config_selectorILNS1_17partition_subalgoE9EssbEEZZNS1_14partition_implILS5_9ELb0ES3_jN6thrust23THRUST_200600_302600_NS6detail15normal_iteratorINS9_10device_ptrIsEEEESE_PNS0_10empty_typeENS0_5tupleIJSE_SF_EEENSH_IJSE_SG_EEENS0_18inequality_wrapperI22is_equal_div_10_uniqueIsEEEPmJSF_EEE10hipError_tPvRmT3_T4_T5_T6_T7_T9_mT8_P12ihipStream_tbDpT10_ENKUlT_T0_E_clISt17integral_constantIbLb1EES18_EEDaS13_S14_EUlS13_E_NS1_11comp_targetILNS1_3genE2ELNS1_11target_archE906ELNS1_3gpuE6ELNS1_3repE0EEENS1_30default_config_static_selectorELNS0_4arch9wavefront6targetE0EEEvT1_,comdat
.Lfunc_end513:
	.size	_ZN7rocprim17ROCPRIM_400000_NS6detail17trampoline_kernelINS0_14default_configENS1_25partition_config_selectorILNS1_17partition_subalgoE9EssbEEZZNS1_14partition_implILS5_9ELb0ES3_jN6thrust23THRUST_200600_302600_NS6detail15normal_iteratorINS9_10device_ptrIsEEEESE_PNS0_10empty_typeENS0_5tupleIJSE_SF_EEENSH_IJSE_SG_EEENS0_18inequality_wrapperI22is_equal_div_10_uniqueIsEEEPmJSF_EEE10hipError_tPvRmT3_T4_T5_T6_T7_T9_mT8_P12ihipStream_tbDpT10_ENKUlT_T0_E_clISt17integral_constantIbLb1EES18_EEDaS13_S14_EUlS13_E_NS1_11comp_targetILNS1_3genE2ELNS1_11target_archE906ELNS1_3gpuE6ELNS1_3repE0EEENS1_30default_config_static_selectorELNS0_4arch9wavefront6targetE0EEEvT1_, .Lfunc_end513-_ZN7rocprim17ROCPRIM_400000_NS6detail17trampoline_kernelINS0_14default_configENS1_25partition_config_selectorILNS1_17partition_subalgoE9EssbEEZZNS1_14partition_implILS5_9ELb0ES3_jN6thrust23THRUST_200600_302600_NS6detail15normal_iteratorINS9_10device_ptrIsEEEESE_PNS0_10empty_typeENS0_5tupleIJSE_SF_EEENSH_IJSE_SG_EEENS0_18inequality_wrapperI22is_equal_div_10_uniqueIsEEEPmJSF_EEE10hipError_tPvRmT3_T4_T5_T6_T7_T9_mT8_P12ihipStream_tbDpT10_ENKUlT_T0_E_clISt17integral_constantIbLb1EES18_EEDaS13_S14_EUlS13_E_NS1_11comp_targetILNS1_3genE2ELNS1_11target_archE906ELNS1_3gpuE6ELNS1_3repE0EEENS1_30default_config_static_selectorELNS0_4arch9wavefront6targetE0EEEvT1_
                                        ; -- End function
	.section	.AMDGPU.csdata,"",@progbits
; Kernel info:
; codeLenInByte = 0
; NumSgprs: 0
; NumVgprs: 0
; ScratchSize: 0
; MemoryBound: 0
; FloatMode: 240
; IeeeMode: 1
; LDSByteSize: 0 bytes/workgroup (compile time only)
; SGPRBlocks: 0
; VGPRBlocks: 0
; NumSGPRsForWavesPerEU: 1
; NumVGPRsForWavesPerEU: 1
; Occupancy: 16
; WaveLimiterHint : 0
; COMPUTE_PGM_RSRC2:SCRATCH_EN: 0
; COMPUTE_PGM_RSRC2:USER_SGPR: 15
; COMPUTE_PGM_RSRC2:TRAP_HANDLER: 0
; COMPUTE_PGM_RSRC2:TGID_X_EN: 1
; COMPUTE_PGM_RSRC2:TGID_Y_EN: 0
; COMPUTE_PGM_RSRC2:TGID_Z_EN: 0
; COMPUTE_PGM_RSRC2:TIDIG_COMP_CNT: 0
	.section	.text._ZN7rocprim17ROCPRIM_400000_NS6detail17trampoline_kernelINS0_14default_configENS1_25partition_config_selectorILNS1_17partition_subalgoE9EssbEEZZNS1_14partition_implILS5_9ELb0ES3_jN6thrust23THRUST_200600_302600_NS6detail15normal_iteratorINS9_10device_ptrIsEEEESE_PNS0_10empty_typeENS0_5tupleIJSE_SF_EEENSH_IJSE_SG_EEENS0_18inequality_wrapperI22is_equal_div_10_uniqueIsEEEPmJSF_EEE10hipError_tPvRmT3_T4_T5_T6_T7_T9_mT8_P12ihipStream_tbDpT10_ENKUlT_T0_E_clISt17integral_constantIbLb1EES18_EEDaS13_S14_EUlS13_E_NS1_11comp_targetILNS1_3genE10ELNS1_11target_archE1200ELNS1_3gpuE4ELNS1_3repE0EEENS1_30default_config_static_selectorELNS0_4arch9wavefront6targetE0EEEvT1_,"axG",@progbits,_ZN7rocprim17ROCPRIM_400000_NS6detail17trampoline_kernelINS0_14default_configENS1_25partition_config_selectorILNS1_17partition_subalgoE9EssbEEZZNS1_14partition_implILS5_9ELb0ES3_jN6thrust23THRUST_200600_302600_NS6detail15normal_iteratorINS9_10device_ptrIsEEEESE_PNS0_10empty_typeENS0_5tupleIJSE_SF_EEENSH_IJSE_SG_EEENS0_18inequality_wrapperI22is_equal_div_10_uniqueIsEEEPmJSF_EEE10hipError_tPvRmT3_T4_T5_T6_T7_T9_mT8_P12ihipStream_tbDpT10_ENKUlT_T0_E_clISt17integral_constantIbLb1EES18_EEDaS13_S14_EUlS13_E_NS1_11comp_targetILNS1_3genE10ELNS1_11target_archE1200ELNS1_3gpuE4ELNS1_3repE0EEENS1_30default_config_static_selectorELNS0_4arch9wavefront6targetE0EEEvT1_,comdat
	.protected	_ZN7rocprim17ROCPRIM_400000_NS6detail17trampoline_kernelINS0_14default_configENS1_25partition_config_selectorILNS1_17partition_subalgoE9EssbEEZZNS1_14partition_implILS5_9ELb0ES3_jN6thrust23THRUST_200600_302600_NS6detail15normal_iteratorINS9_10device_ptrIsEEEESE_PNS0_10empty_typeENS0_5tupleIJSE_SF_EEENSH_IJSE_SG_EEENS0_18inequality_wrapperI22is_equal_div_10_uniqueIsEEEPmJSF_EEE10hipError_tPvRmT3_T4_T5_T6_T7_T9_mT8_P12ihipStream_tbDpT10_ENKUlT_T0_E_clISt17integral_constantIbLb1EES18_EEDaS13_S14_EUlS13_E_NS1_11comp_targetILNS1_3genE10ELNS1_11target_archE1200ELNS1_3gpuE4ELNS1_3repE0EEENS1_30default_config_static_selectorELNS0_4arch9wavefront6targetE0EEEvT1_ ; -- Begin function _ZN7rocprim17ROCPRIM_400000_NS6detail17trampoline_kernelINS0_14default_configENS1_25partition_config_selectorILNS1_17partition_subalgoE9EssbEEZZNS1_14partition_implILS5_9ELb0ES3_jN6thrust23THRUST_200600_302600_NS6detail15normal_iteratorINS9_10device_ptrIsEEEESE_PNS0_10empty_typeENS0_5tupleIJSE_SF_EEENSH_IJSE_SG_EEENS0_18inequality_wrapperI22is_equal_div_10_uniqueIsEEEPmJSF_EEE10hipError_tPvRmT3_T4_T5_T6_T7_T9_mT8_P12ihipStream_tbDpT10_ENKUlT_T0_E_clISt17integral_constantIbLb1EES18_EEDaS13_S14_EUlS13_E_NS1_11comp_targetILNS1_3genE10ELNS1_11target_archE1200ELNS1_3gpuE4ELNS1_3repE0EEENS1_30default_config_static_selectorELNS0_4arch9wavefront6targetE0EEEvT1_
	.globl	_ZN7rocprim17ROCPRIM_400000_NS6detail17trampoline_kernelINS0_14default_configENS1_25partition_config_selectorILNS1_17partition_subalgoE9EssbEEZZNS1_14partition_implILS5_9ELb0ES3_jN6thrust23THRUST_200600_302600_NS6detail15normal_iteratorINS9_10device_ptrIsEEEESE_PNS0_10empty_typeENS0_5tupleIJSE_SF_EEENSH_IJSE_SG_EEENS0_18inequality_wrapperI22is_equal_div_10_uniqueIsEEEPmJSF_EEE10hipError_tPvRmT3_T4_T5_T6_T7_T9_mT8_P12ihipStream_tbDpT10_ENKUlT_T0_E_clISt17integral_constantIbLb1EES18_EEDaS13_S14_EUlS13_E_NS1_11comp_targetILNS1_3genE10ELNS1_11target_archE1200ELNS1_3gpuE4ELNS1_3repE0EEENS1_30default_config_static_selectorELNS0_4arch9wavefront6targetE0EEEvT1_
	.p2align	8
	.type	_ZN7rocprim17ROCPRIM_400000_NS6detail17trampoline_kernelINS0_14default_configENS1_25partition_config_selectorILNS1_17partition_subalgoE9EssbEEZZNS1_14partition_implILS5_9ELb0ES3_jN6thrust23THRUST_200600_302600_NS6detail15normal_iteratorINS9_10device_ptrIsEEEESE_PNS0_10empty_typeENS0_5tupleIJSE_SF_EEENSH_IJSE_SG_EEENS0_18inequality_wrapperI22is_equal_div_10_uniqueIsEEEPmJSF_EEE10hipError_tPvRmT3_T4_T5_T6_T7_T9_mT8_P12ihipStream_tbDpT10_ENKUlT_T0_E_clISt17integral_constantIbLb1EES18_EEDaS13_S14_EUlS13_E_NS1_11comp_targetILNS1_3genE10ELNS1_11target_archE1200ELNS1_3gpuE4ELNS1_3repE0EEENS1_30default_config_static_selectorELNS0_4arch9wavefront6targetE0EEEvT1_,@function
_ZN7rocprim17ROCPRIM_400000_NS6detail17trampoline_kernelINS0_14default_configENS1_25partition_config_selectorILNS1_17partition_subalgoE9EssbEEZZNS1_14partition_implILS5_9ELb0ES3_jN6thrust23THRUST_200600_302600_NS6detail15normal_iteratorINS9_10device_ptrIsEEEESE_PNS0_10empty_typeENS0_5tupleIJSE_SF_EEENSH_IJSE_SG_EEENS0_18inequality_wrapperI22is_equal_div_10_uniqueIsEEEPmJSF_EEE10hipError_tPvRmT3_T4_T5_T6_T7_T9_mT8_P12ihipStream_tbDpT10_ENKUlT_T0_E_clISt17integral_constantIbLb1EES18_EEDaS13_S14_EUlS13_E_NS1_11comp_targetILNS1_3genE10ELNS1_11target_archE1200ELNS1_3gpuE4ELNS1_3repE0EEENS1_30default_config_static_selectorELNS0_4arch9wavefront6targetE0EEEvT1_: ; @_ZN7rocprim17ROCPRIM_400000_NS6detail17trampoline_kernelINS0_14default_configENS1_25partition_config_selectorILNS1_17partition_subalgoE9EssbEEZZNS1_14partition_implILS5_9ELb0ES3_jN6thrust23THRUST_200600_302600_NS6detail15normal_iteratorINS9_10device_ptrIsEEEESE_PNS0_10empty_typeENS0_5tupleIJSE_SF_EEENSH_IJSE_SG_EEENS0_18inequality_wrapperI22is_equal_div_10_uniqueIsEEEPmJSF_EEE10hipError_tPvRmT3_T4_T5_T6_T7_T9_mT8_P12ihipStream_tbDpT10_ENKUlT_T0_E_clISt17integral_constantIbLb1EES18_EEDaS13_S14_EUlS13_E_NS1_11comp_targetILNS1_3genE10ELNS1_11target_archE1200ELNS1_3gpuE4ELNS1_3repE0EEENS1_30default_config_static_selectorELNS0_4arch9wavefront6targetE0EEEvT1_
; %bb.0:
	.section	.rodata,"a",@progbits
	.p2align	6, 0x0
	.amdhsa_kernel _ZN7rocprim17ROCPRIM_400000_NS6detail17trampoline_kernelINS0_14default_configENS1_25partition_config_selectorILNS1_17partition_subalgoE9EssbEEZZNS1_14partition_implILS5_9ELb0ES3_jN6thrust23THRUST_200600_302600_NS6detail15normal_iteratorINS9_10device_ptrIsEEEESE_PNS0_10empty_typeENS0_5tupleIJSE_SF_EEENSH_IJSE_SG_EEENS0_18inequality_wrapperI22is_equal_div_10_uniqueIsEEEPmJSF_EEE10hipError_tPvRmT3_T4_T5_T6_T7_T9_mT8_P12ihipStream_tbDpT10_ENKUlT_T0_E_clISt17integral_constantIbLb1EES18_EEDaS13_S14_EUlS13_E_NS1_11comp_targetILNS1_3genE10ELNS1_11target_archE1200ELNS1_3gpuE4ELNS1_3repE0EEENS1_30default_config_static_selectorELNS0_4arch9wavefront6targetE0EEEvT1_
		.amdhsa_group_segment_fixed_size 0
		.amdhsa_private_segment_fixed_size 0
		.amdhsa_kernarg_size 128
		.amdhsa_user_sgpr_count 15
		.amdhsa_user_sgpr_dispatch_ptr 0
		.amdhsa_user_sgpr_queue_ptr 0
		.amdhsa_user_sgpr_kernarg_segment_ptr 1
		.amdhsa_user_sgpr_dispatch_id 0
		.amdhsa_user_sgpr_private_segment_size 0
		.amdhsa_wavefront_size32 1
		.amdhsa_uses_dynamic_stack 0
		.amdhsa_enable_private_segment 0
		.amdhsa_system_sgpr_workgroup_id_x 1
		.amdhsa_system_sgpr_workgroup_id_y 0
		.amdhsa_system_sgpr_workgroup_id_z 0
		.amdhsa_system_sgpr_workgroup_info 0
		.amdhsa_system_vgpr_workitem_id 0
		.amdhsa_next_free_vgpr 1
		.amdhsa_next_free_sgpr 1
		.amdhsa_reserve_vcc 0
		.amdhsa_float_round_mode_32 0
		.amdhsa_float_round_mode_16_64 0
		.amdhsa_float_denorm_mode_32 3
		.amdhsa_float_denorm_mode_16_64 3
		.amdhsa_dx10_clamp 1
		.amdhsa_ieee_mode 1
		.amdhsa_fp16_overflow 0
		.amdhsa_workgroup_processor_mode 1
		.amdhsa_memory_ordered 1
		.amdhsa_forward_progress 0
		.amdhsa_shared_vgpr_count 0
		.amdhsa_exception_fp_ieee_invalid_op 0
		.amdhsa_exception_fp_denorm_src 0
		.amdhsa_exception_fp_ieee_div_zero 0
		.amdhsa_exception_fp_ieee_overflow 0
		.amdhsa_exception_fp_ieee_underflow 0
		.amdhsa_exception_fp_ieee_inexact 0
		.amdhsa_exception_int_div_zero 0
	.end_amdhsa_kernel
	.section	.text._ZN7rocprim17ROCPRIM_400000_NS6detail17trampoline_kernelINS0_14default_configENS1_25partition_config_selectorILNS1_17partition_subalgoE9EssbEEZZNS1_14partition_implILS5_9ELb0ES3_jN6thrust23THRUST_200600_302600_NS6detail15normal_iteratorINS9_10device_ptrIsEEEESE_PNS0_10empty_typeENS0_5tupleIJSE_SF_EEENSH_IJSE_SG_EEENS0_18inequality_wrapperI22is_equal_div_10_uniqueIsEEEPmJSF_EEE10hipError_tPvRmT3_T4_T5_T6_T7_T9_mT8_P12ihipStream_tbDpT10_ENKUlT_T0_E_clISt17integral_constantIbLb1EES18_EEDaS13_S14_EUlS13_E_NS1_11comp_targetILNS1_3genE10ELNS1_11target_archE1200ELNS1_3gpuE4ELNS1_3repE0EEENS1_30default_config_static_selectorELNS0_4arch9wavefront6targetE0EEEvT1_,"axG",@progbits,_ZN7rocprim17ROCPRIM_400000_NS6detail17trampoline_kernelINS0_14default_configENS1_25partition_config_selectorILNS1_17partition_subalgoE9EssbEEZZNS1_14partition_implILS5_9ELb0ES3_jN6thrust23THRUST_200600_302600_NS6detail15normal_iteratorINS9_10device_ptrIsEEEESE_PNS0_10empty_typeENS0_5tupleIJSE_SF_EEENSH_IJSE_SG_EEENS0_18inequality_wrapperI22is_equal_div_10_uniqueIsEEEPmJSF_EEE10hipError_tPvRmT3_T4_T5_T6_T7_T9_mT8_P12ihipStream_tbDpT10_ENKUlT_T0_E_clISt17integral_constantIbLb1EES18_EEDaS13_S14_EUlS13_E_NS1_11comp_targetILNS1_3genE10ELNS1_11target_archE1200ELNS1_3gpuE4ELNS1_3repE0EEENS1_30default_config_static_selectorELNS0_4arch9wavefront6targetE0EEEvT1_,comdat
.Lfunc_end514:
	.size	_ZN7rocprim17ROCPRIM_400000_NS6detail17trampoline_kernelINS0_14default_configENS1_25partition_config_selectorILNS1_17partition_subalgoE9EssbEEZZNS1_14partition_implILS5_9ELb0ES3_jN6thrust23THRUST_200600_302600_NS6detail15normal_iteratorINS9_10device_ptrIsEEEESE_PNS0_10empty_typeENS0_5tupleIJSE_SF_EEENSH_IJSE_SG_EEENS0_18inequality_wrapperI22is_equal_div_10_uniqueIsEEEPmJSF_EEE10hipError_tPvRmT3_T4_T5_T6_T7_T9_mT8_P12ihipStream_tbDpT10_ENKUlT_T0_E_clISt17integral_constantIbLb1EES18_EEDaS13_S14_EUlS13_E_NS1_11comp_targetILNS1_3genE10ELNS1_11target_archE1200ELNS1_3gpuE4ELNS1_3repE0EEENS1_30default_config_static_selectorELNS0_4arch9wavefront6targetE0EEEvT1_, .Lfunc_end514-_ZN7rocprim17ROCPRIM_400000_NS6detail17trampoline_kernelINS0_14default_configENS1_25partition_config_selectorILNS1_17partition_subalgoE9EssbEEZZNS1_14partition_implILS5_9ELb0ES3_jN6thrust23THRUST_200600_302600_NS6detail15normal_iteratorINS9_10device_ptrIsEEEESE_PNS0_10empty_typeENS0_5tupleIJSE_SF_EEENSH_IJSE_SG_EEENS0_18inequality_wrapperI22is_equal_div_10_uniqueIsEEEPmJSF_EEE10hipError_tPvRmT3_T4_T5_T6_T7_T9_mT8_P12ihipStream_tbDpT10_ENKUlT_T0_E_clISt17integral_constantIbLb1EES18_EEDaS13_S14_EUlS13_E_NS1_11comp_targetILNS1_3genE10ELNS1_11target_archE1200ELNS1_3gpuE4ELNS1_3repE0EEENS1_30default_config_static_selectorELNS0_4arch9wavefront6targetE0EEEvT1_
                                        ; -- End function
	.section	.AMDGPU.csdata,"",@progbits
; Kernel info:
; codeLenInByte = 0
; NumSgprs: 0
; NumVgprs: 0
; ScratchSize: 0
; MemoryBound: 0
; FloatMode: 240
; IeeeMode: 1
; LDSByteSize: 0 bytes/workgroup (compile time only)
; SGPRBlocks: 0
; VGPRBlocks: 0
; NumSGPRsForWavesPerEU: 1
; NumVGPRsForWavesPerEU: 1
; Occupancy: 16
; WaveLimiterHint : 0
; COMPUTE_PGM_RSRC2:SCRATCH_EN: 0
; COMPUTE_PGM_RSRC2:USER_SGPR: 15
; COMPUTE_PGM_RSRC2:TRAP_HANDLER: 0
; COMPUTE_PGM_RSRC2:TGID_X_EN: 1
; COMPUTE_PGM_RSRC2:TGID_Y_EN: 0
; COMPUTE_PGM_RSRC2:TGID_Z_EN: 0
; COMPUTE_PGM_RSRC2:TIDIG_COMP_CNT: 0
	.section	.text._ZN7rocprim17ROCPRIM_400000_NS6detail17trampoline_kernelINS0_14default_configENS1_25partition_config_selectorILNS1_17partition_subalgoE9EssbEEZZNS1_14partition_implILS5_9ELb0ES3_jN6thrust23THRUST_200600_302600_NS6detail15normal_iteratorINS9_10device_ptrIsEEEESE_PNS0_10empty_typeENS0_5tupleIJSE_SF_EEENSH_IJSE_SG_EEENS0_18inequality_wrapperI22is_equal_div_10_uniqueIsEEEPmJSF_EEE10hipError_tPvRmT3_T4_T5_T6_T7_T9_mT8_P12ihipStream_tbDpT10_ENKUlT_T0_E_clISt17integral_constantIbLb1EES18_EEDaS13_S14_EUlS13_E_NS1_11comp_targetILNS1_3genE9ELNS1_11target_archE1100ELNS1_3gpuE3ELNS1_3repE0EEENS1_30default_config_static_selectorELNS0_4arch9wavefront6targetE0EEEvT1_,"axG",@progbits,_ZN7rocprim17ROCPRIM_400000_NS6detail17trampoline_kernelINS0_14default_configENS1_25partition_config_selectorILNS1_17partition_subalgoE9EssbEEZZNS1_14partition_implILS5_9ELb0ES3_jN6thrust23THRUST_200600_302600_NS6detail15normal_iteratorINS9_10device_ptrIsEEEESE_PNS0_10empty_typeENS0_5tupleIJSE_SF_EEENSH_IJSE_SG_EEENS0_18inequality_wrapperI22is_equal_div_10_uniqueIsEEEPmJSF_EEE10hipError_tPvRmT3_T4_T5_T6_T7_T9_mT8_P12ihipStream_tbDpT10_ENKUlT_T0_E_clISt17integral_constantIbLb1EES18_EEDaS13_S14_EUlS13_E_NS1_11comp_targetILNS1_3genE9ELNS1_11target_archE1100ELNS1_3gpuE3ELNS1_3repE0EEENS1_30default_config_static_selectorELNS0_4arch9wavefront6targetE0EEEvT1_,comdat
	.protected	_ZN7rocprim17ROCPRIM_400000_NS6detail17trampoline_kernelINS0_14default_configENS1_25partition_config_selectorILNS1_17partition_subalgoE9EssbEEZZNS1_14partition_implILS5_9ELb0ES3_jN6thrust23THRUST_200600_302600_NS6detail15normal_iteratorINS9_10device_ptrIsEEEESE_PNS0_10empty_typeENS0_5tupleIJSE_SF_EEENSH_IJSE_SG_EEENS0_18inequality_wrapperI22is_equal_div_10_uniqueIsEEEPmJSF_EEE10hipError_tPvRmT3_T4_T5_T6_T7_T9_mT8_P12ihipStream_tbDpT10_ENKUlT_T0_E_clISt17integral_constantIbLb1EES18_EEDaS13_S14_EUlS13_E_NS1_11comp_targetILNS1_3genE9ELNS1_11target_archE1100ELNS1_3gpuE3ELNS1_3repE0EEENS1_30default_config_static_selectorELNS0_4arch9wavefront6targetE0EEEvT1_ ; -- Begin function _ZN7rocprim17ROCPRIM_400000_NS6detail17trampoline_kernelINS0_14default_configENS1_25partition_config_selectorILNS1_17partition_subalgoE9EssbEEZZNS1_14partition_implILS5_9ELb0ES3_jN6thrust23THRUST_200600_302600_NS6detail15normal_iteratorINS9_10device_ptrIsEEEESE_PNS0_10empty_typeENS0_5tupleIJSE_SF_EEENSH_IJSE_SG_EEENS0_18inequality_wrapperI22is_equal_div_10_uniqueIsEEEPmJSF_EEE10hipError_tPvRmT3_T4_T5_T6_T7_T9_mT8_P12ihipStream_tbDpT10_ENKUlT_T0_E_clISt17integral_constantIbLb1EES18_EEDaS13_S14_EUlS13_E_NS1_11comp_targetILNS1_3genE9ELNS1_11target_archE1100ELNS1_3gpuE3ELNS1_3repE0EEENS1_30default_config_static_selectorELNS0_4arch9wavefront6targetE0EEEvT1_
	.globl	_ZN7rocprim17ROCPRIM_400000_NS6detail17trampoline_kernelINS0_14default_configENS1_25partition_config_selectorILNS1_17partition_subalgoE9EssbEEZZNS1_14partition_implILS5_9ELb0ES3_jN6thrust23THRUST_200600_302600_NS6detail15normal_iteratorINS9_10device_ptrIsEEEESE_PNS0_10empty_typeENS0_5tupleIJSE_SF_EEENSH_IJSE_SG_EEENS0_18inequality_wrapperI22is_equal_div_10_uniqueIsEEEPmJSF_EEE10hipError_tPvRmT3_T4_T5_T6_T7_T9_mT8_P12ihipStream_tbDpT10_ENKUlT_T0_E_clISt17integral_constantIbLb1EES18_EEDaS13_S14_EUlS13_E_NS1_11comp_targetILNS1_3genE9ELNS1_11target_archE1100ELNS1_3gpuE3ELNS1_3repE0EEENS1_30default_config_static_selectorELNS0_4arch9wavefront6targetE0EEEvT1_
	.p2align	8
	.type	_ZN7rocprim17ROCPRIM_400000_NS6detail17trampoline_kernelINS0_14default_configENS1_25partition_config_selectorILNS1_17partition_subalgoE9EssbEEZZNS1_14partition_implILS5_9ELb0ES3_jN6thrust23THRUST_200600_302600_NS6detail15normal_iteratorINS9_10device_ptrIsEEEESE_PNS0_10empty_typeENS0_5tupleIJSE_SF_EEENSH_IJSE_SG_EEENS0_18inequality_wrapperI22is_equal_div_10_uniqueIsEEEPmJSF_EEE10hipError_tPvRmT3_T4_T5_T6_T7_T9_mT8_P12ihipStream_tbDpT10_ENKUlT_T0_E_clISt17integral_constantIbLb1EES18_EEDaS13_S14_EUlS13_E_NS1_11comp_targetILNS1_3genE9ELNS1_11target_archE1100ELNS1_3gpuE3ELNS1_3repE0EEENS1_30default_config_static_selectorELNS0_4arch9wavefront6targetE0EEEvT1_,@function
_ZN7rocprim17ROCPRIM_400000_NS6detail17trampoline_kernelINS0_14default_configENS1_25partition_config_selectorILNS1_17partition_subalgoE9EssbEEZZNS1_14partition_implILS5_9ELb0ES3_jN6thrust23THRUST_200600_302600_NS6detail15normal_iteratorINS9_10device_ptrIsEEEESE_PNS0_10empty_typeENS0_5tupleIJSE_SF_EEENSH_IJSE_SG_EEENS0_18inequality_wrapperI22is_equal_div_10_uniqueIsEEEPmJSF_EEE10hipError_tPvRmT3_T4_T5_T6_T7_T9_mT8_P12ihipStream_tbDpT10_ENKUlT_T0_E_clISt17integral_constantIbLb1EES18_EEDaS13_S14_EUlS13_E_NS1_11comp_targetILNS1_3genE9ELNS1_11target_archE1100ELNS1_3gpuE3ELNS1_3repE0EEENS1_30default_config_static_selectorELNS0_4arch9wavefront6targetE0EEEvT1_: ; @_ZN7rocprim17ROCPRIM_400000_NS6detail17trampoline_kernelINS0_14default_configENS1_25partition_config_selectorILNS1_17partition_subalgoE9EssbEEZZNS1_14partition_implILS5_9ELb0ES3_jN6thrust23THRUST_200600_302600_NS6detail15normal_iteratorINS9_10device_ptrIsEEEESE_PNS0_10empty_typeENS0_5tupleIJSE_SF_EEENSH_IJSE_SG_EEENS0_18inequality_wrapperI22is_equal_div_10_uniqueIsEEEPmJSF_EEE10hipError_tPvRmT3_T4_T5_T6_T7_T9_mT8_P12ihipStream_tbDpT10_ENKUlT_T0_E_clISt17integral_constantIbLb1EES18_EEDaS13_S14_EUlS13_E_NS1_11comp_targetILNS1_3genE9ELNS1_11target_archE1100ELNS1_3gpuE3ELNS1_3repE0EEENS1_30default_config_static_selectorELNS0_4arch9wavefront6targetE0EEEvT1_
; %bb.0:
	s_clause 0x4
	s_load_b128 s[4:7], s[0:1], 0x8
	s_load_b64 s[18:19], s[0:1], 0x18
	s_load_b128 s[8:11], s[0:1], 0x40
	s_load_b64 s[22:23], s[0:1], 0x50
	s_load_b64 s[16:17], s[0:1], 0x60
	v_cmp_ne_u32_e64 s3, 0, v0
	v_cmp_eq_u32_e64 s2, 0, v0
	s_delay_alu instid0(VALU_DEP_1)
	s_and_saveexec_b32 s12, s2
	s_cbranch_execz .LBB515_4
; %bb.1:
	s_mov_b32 s14, exec_lo
	s_mov_b32 s13, exec_lo
	v_mbcnt_lo_u32_b32 v1, s14, 0
                                        ; implicit-def: $vgpr2
	s_delay_alu instid0(VALU_DEP_1)
	v_cmpx_eq_u32_e32 0, v1
	s_cbranch_execz .LBB515_3
; %bb.2:
	s_load_b64 s[20:21], s[0:1], 0x70
	s_bcnt1_i32_b32 s14, s14
	s_delay_alu instid0(SALU_CYCLE_1)
	v_dual_mov_b32 v2, 0 :: v_dual_mov_b32 v3, s14
	s_waitcnt lgkmcnt(0)
	global_atomic_add_u32 v2, v2, v3, s[20:21] glc
.LBB515_3:
	s_or_b32 exec_lo, exec_lo, s13
	s_waitcnt vmcnt(0)
	v_readfirstlane_b32 s13, v2
	s_delay_alu instid0(VALU_DEP_1)
	v_dual_mov_b32 v2, 0 :: v_dual_add_nc_u32 v1, s13, v1
	ds_store_b32 v2, v1
.LBB515_4:
	s_or_b32 exec_lo, exec_lo, s12
	v_mov_b32_e32 v1, 0
	s_clause 0x1
	s_load_b128 s[12:15], s[0:1], 0x28
	s_load_b32 s0, s[0:1], 0x68
	s_waitcnt lgkmcnt(0)
	s_barrier
	buffer_gl0_inv
	ds_load_b32 v3, v1
	s_waitcnt lgkmcnt(0)
	s_barrier
	buffer_gl0_inv
	global_load_b64 v[1:2], v1, s[10:11]
	s_lshl_b64 s[20:21], s[6:7], 1
	s_mov_b32 s28, -1
	s_add_u32 s10, s4, s20
	s_addc_u32 s11, s5, s21
	s_mov_b32 s5, 0
	s_mul_i32 s1, s0, 0x600
	s_delay_alu instid0(SALU_CYCLE_1) | instskip(NEXT) | instid1(SALU_CYCLE_1)
	s_add_i32 s4, s1, s6
	s_sub_i32 s25, s22, s4
	s_add_i32 s4, s0, -1
	s_addk_i32 s25, 0x600
	s_add_u32 s0, s6, s1
	v_readfirstlane_b32 s24, v3
	s_addc_u32 s1, s7, 0
	s_delay_alu instid0(SALU_CYCLE_1) | instskip(NEXT) | instid1(VALU_DEP_2)
	v_cmp_ge_u64_e64 s0, s[0:1], s[22:23]
	s_cmp_eq_u32 s24, s4
	s_mul_i32 s4, s24, 0x600
	s_cselect_b32 s22, -1, 0
	s_lshl_b64 s[4:5], s[4:5], 1
	s_delay_alu instid0(VALU_DEP_1) | instskip(NEXT) | instid1(SALU_CYCLE_1)
	s_and_b32 s1, s0, s22
	s_xor_b32 s23, s1, -1
	s_add_u32 s27, s10, s4
	s_addc_u32 s26, s11, s5
	s_and_b32 vcc_lo, exec_lo, s23
	s_waitcnt vmcnt(0)
	v_readfirstlane_b32 s10, v1
	v_readfirstlane_b32 s11, v2
	s_cbranch_vccz .LBB515_6
; %bb.5:
	v_lshlrev_b32_e32 v3, 1, v0
	s_mov_b32 s28, 0
	s_delay_alu instid0(VALU_DEP_1) | instskip(NEXT) | instid1(VALU_DEP_1)
	v_add_co_u32 v1, s0, s27, v3
	v_add_co_ci_u32_e64 v2, null, s26, 0, s0
	s_clause 0xb
	flat_load_u16 v4, v[1:2]
	flat_load_u16 v5, v[1:2] offset:256
	flat_load_u16 v6, v[1:2] offset:512
	;; [unrolled: 1-line block ×11, first 2 shown]
	s_waitcnt vmcnt(11) lgkmcnt(11)
	ds_store_b16 v3, v4
	s_waitcnt vmcnt(10) lgkmcnt(11)
	ds_store_b16 v3, v5 offset:256
	s_waitcnt vmcnt(9) lgkmcnt(11)
	ds_store_b16 v3, v6 offset:512
	;; [unrolled: 2-line block ×11, first 2 shown]
	s_waitcnt lgkmcnt(0)
	s_barrier
.LBB515_6:
	v_cmp_gt_u32_e64 s0, s25, v0
	s_and_not1_b32 vcc_lo, exec_lo, s28
	s_cbranch_vccnz .LBB515_32
; %bb.7:
                                        ; implicit-def: $vgpr1_vgpr2_vgpr3_vgpr4_vgpr5_vgpr6_vgpr7_vgpr8
	s_delay_alu instid0(VALU_DEP_1)
	s_and_saveexec_b32 s28, s0
	s_cbranch_execz .LBB515_9
; %bb.8:
	v_lshlrev_b32_e32 v1, 1, v0
	s_delay_alu instid0(VALU_DEP_1) | instskip(NEXT) | instid1(VALU_DEP_1)
	v_add_co_u32 v1, s0, s27, v1
	v_add_co_ci_u32_e64 v2, null, s26, 0, s0
	flat_load_d16_b16 v1, v[1:2]
.LBB515_9:
	s_or_b32 exec_lo, exec_lo, s28
	v_or_b32_e32 v7, 0x80, v0
	s_mov_b32 s0, exec_lo
	s_delay_alu instid0(VALU_DEP_1)
	v_cmpx_gt_u32_e64 s25, v7
	s_cbranch_execz .LBB515_11
; %bb.10:
	v_lshlrev_b32_e32 v7, 1, v0
	s_delay_alu instid0(VALU_DEP_1) | instskip(NEXT) | instid1(VALU_DEP_1)
	v_add_co_u32 v7, s28, s27, v7
	v_add_co_ci_u32_e64 v8, null, s26, 0, s28
	s_waitcnt vmcnt(0) lgkmcnt(0)
	flat_load_d16_hi_b16 v1, v[7:8] offset:256
.LBB515_11:
	s_or_b32 exec_lo, exec_lo, s0
	v_or_b32_e32 v7, 0x100, v0
	s_mov_b32 s0, exec_lo
	s_delay_alu instid0(VALU_DEP_1)
	v_cmpx_gt_u32_e64 s25, v7
	s_cbranch_execz .LBB515_13
; %bb.12:
	v_lshlrev_b32_e32 v7, 1, v0
	s_delay_alu instid0(VALU_DEP_1) | instskip(NEXT) | instid1(VALU_DEP_1)
	v_add_co_u32 v7, s28, s27, v7
	v_add_co_ci_u32_e64 v8, null, s26, 0, s28
	flat_load_d16_b16 v2, v[7:8] offset:512
.LBB515_13:
	s_or_b32 exec_lo, exec_lo, s0
	v_or_b32_e32 v7, 0x180, v0
	s_mov_b32 s0, exec_lo
	s_delay_alu instid0(VALU_DEP_1)
	v_cmpx_gt_u32_e64 s25, v7
	s_cbranch_execz .LBB515_15
; %bb.14:
	v_lshlrev_b32_e32 v7, 1, v0
	s_delay_alu instid0(VALU_DEP_1) | instskip(NEXT) | instid1(VALU_DEP_1)
	v_add_co_u32 v7, s28, s27, v7
	v_add_co_ci_u32_e64 v8, null, s26, 0, s28
	s_waitcnt vmcnt(0) lgkmcnt(0)
	flat_load_d16_hi_b16 v2, v[7:8] offset:768
.LBB515_15:
	s_or_b32 exec_lo, exec_lo, s0
	v_or_b32_e32 v7, 0x200, v0
	s_mov_b32 s0, exec_lo
	s_delay_alu instid0(VALU_DEP_1)
	v_cmpx_gt_u32_e64 s25, v7
	s_cbranch_execz .LBB515_17
; %bb.16:
	v_lshlrev_b32_e32 v7, 1, v0
	s_delay_alu instid0(VALU_DEP_1) | instskip(NEXT) | instid1(VALU_DEP_1)
	v_add_co_u32 v7, s28, s27, v7
	v_add_co_ci_u32_e64 v8, null, s26, 0, s28
	flat_load_d16_b16 v3, v[7:8] offset:1024
.LBB515_17:
	;; [unrolled: 27-line block ×5, first 2 shown]
	s_or_b32 exec_lo, exec_lo, s0
	v_or_b32_e32 v7, 0x580, v0
	s_mov_b32 s0, exec_lo
	s_delay_alu instid0(VALU_DEP_1)
	v_cmpx_gt_u32_e64 s25, v7
	s_cbranch_execz .LBB515_31
; %bb.30:
	v_lshlrev_b32_e32 v7, 1, v0
	s_delay_alu instid0(VALU_DEP_1) | instskip(NEXT) | instid1(VALU_DEP_1)
	v_add_co_u32 v7, s28, s27, v7
	v_add_co_ci_u32_e64 v8, null, s26, 0, s28
	s_waitcnt vmcnt(0) lgkmcnt(0)
	flat_load_d16_hi_b16 v6, v[7:8] offset:2816
.LBB515_31:
	s_or_b32 exec_lo, exec_lo, s0
	v_lshlrev_b32_e32 v7, 1, v0
	s_waitcnt vmcnt(0) lgkmcnt(0)
	ds_store_b16 v7, v1
	ds_store_b16_d16_hi v7, v1 offset:256
	ds_store_b16 v7, v2 offset:512
	ds_store_b16_d16_hi v7, v2 offset:768
	ds_store_b16 v7, v3 offset:1024
	;; [unrolled: 2-line block ×5, first 2 shown]
	ds_store_b16_d16_hi v7, v6 offset:2816
	s_waitcnt lgkmcnt(0)
	s_barrier
.LBB515_32:
	v_mul_u32_u24_e32 v1, 12, v0
	buffer_gl0_inv
	s_add_u32 s0, s18, s20
	s_addc_u32 s18, s19, s21
	s_add_u32 s0, s0, s4
	v_lshlrev_b32_e32 v8, 1, v1
	s_addc_u32 s4, s18, s5
	s_and_b32 vcc_lo, exec_lo, s23
	s_mov_b32 s5, -1
	ds_load_2addr_b64 v[18:21], v8 offset1:1
	ds_load_b64 v[27:28], v8 offset:16
	s_waitcnt lgkmcnt(0)
	s_barrier
	buffer_gl0_inv
	s_cbranch_vccz .LBB515_34
; %bb.33:
	v_lshlrev_b32_e32 v4, 1, v0
	s_delay_alu instid0(VALU_DEP_1) | instskip(NEXT) | instid1(VALU_DEP_1)
	v_add_co_u32 v2, s5, s0, v4
	v_add_co_ci_u32_e64 v3, null, s4, 0, s5
	s_mov_b32 s5, 0
	s_clause 0xb
	flat_load_u16 v5, v[2:3]
	flat_load_u16 v6, v[2:3] offset:256
	flat_load_u16 v7, v[2:3] offset:512
	;; [unrolled: 1-line block ×11, first 2 shown]
	s_waitcnt vmcnt(11) lgkmcnt(11)
	ds_store_b16 v4, v5
	s_waitcnt vmcnt(10) lgkmcnt(11)
	ds_store_b16 v4, v6 offset:256
	s_waitcnt vmcnt(9) lgkmcnt(11)
	ds_store_b16 v4, v7 offset:512
	;; [unrolled: 2-line block ×11, first 2 shown]
	s_waitcnt lgkmcnt(0)
	s_barrier
.LBB515_34:
	s_and_not1_b32 vcc_lo, exec_lo, s5
	s_cbranch_vccnz .LBB515_60
; %bb.35:
	s_mov_b32 s5, exec_lo
                                        ; implicit-def: $vgpr2
	v_cmpx_gt_u32_e64 s25, v0
	s_cbranch_execz .LBB515_37
; %bb.36:
	v_lshlrev_b32_e32 v2, 1, v0
	s_delay_alu instid0(VALU_DEP_1) | instskip(NEXT) | instid1(VALU_DEP_1)
	v_add_co_u32 v2, s18, s0, v2
	v_add_co_ci_u32_e64 v3, null, s4, 0, s18
	flat_load_u16 v2, v[2:3]
.LBB515_37:
	s_or_b32 exec_lo, exec_lo, s5
	v_or_b32_e32 v3, 0x80, v0
	s_delay_alu instid0(VALU_DEP_1)
	v_cmp_gt_u32_e32 vcc_lo, s25, v3
                                        ; implicit-def: $vgpr3
	s_and_saveexec_b32 s5, vcc_lo
	s_cbranch_execz .LBB515_39
; %bb.38:
	v_lshlrev_b32_e32 v3, 1, v0
	s_delay_alu instid0(VALU_DEP_1) | instskip(NEXT) | instid1(VALU_DEP_1)
	v_add_co_u32 v3, s18, s0, v3
	v_add_co_ci_u32_e64 v4, null, s4, 0, s18
	flat_load_u16 v3, v[3:4] offset:256
.LBB515_39:
	s_or_b32 exec_lo, exec_lo, s5
	v_or_b32_e32 v4, 0x100, v0
	s_delay_alu instid0(VALU_DEP_1)
	v_cmp_gt_u32_e32 vcc_lo, s25, v4
                                        ; implicit-def: $vgpr4
	s_and_saveexec_b32 s5, vcc_lo
	s_cbranch_execz .LBB515_41
; %bb.40:
	v_lshlrev_b32_e32 v4, 1, v0
	s_delay_alu instid0(VALU_DEP_1) | instskip(NEXT) | instid1(VALU_DEP_1)
	v_add_co_u32 v4, s18, s0, v4
	v_add_co_ci_u32_e64 v5, null, s4, 0, s18
	flat_load_u16 v4, v[4:5] offset:512
.LBB515_41:
	s_or_b32 exec_lo, exec_lo, s5
	v_or_b32_e32 v5, 0x180, v0
	s_delay_alu instid0(VALU_DEP_1)
	v_cmp_gt_u32_e32 vcc_lo, s25, v5
                                        ; implicit-def: $vgpr5
	s_and_saveexec_b32 s5, vcc_lo
	s_cbranch_execz .LBB515_43
; %bb.42:
	v_lshlrev_b32_e32 v5, 1, v0
	s_delay_alu instid0(VALU_DEP_1) | instskip(NEXT) | instid1(VALU_DEP_1)
	v_add_co_u32 v5, s18, s0, v5
	v_add_co_ci_u32_e64 v6, null, s4, 0, s18
	flat_load_u16 v5, v[5:6] offset:768
.LBB515_43:
	s_or_b32 exec_lo, exec_lo, s5
	v_or_b32_e32 v6, 0x200, v0
	s_delay_alu instid0(VALU_DEP_1)
	v_cmp_gt_u32_e32 vcc_lo, s25, v6
                                        ; implicit-def: $vgpr6
	s_and_saveexec_b32 s5, vcc_lo
	s_cbranch_execz .LBB515_45
; %bb.44:
	v_lshlrev_b32_e32 v6, 1, v0
	s_delay_alu instid0(VALU_DEP_1) | instskip(NEXT) | instid1(VALU_DEP_1)
	v_add_co_u32 v6, s18, s0, v6
	v_add_co_ci_u32_e64 v7, null, s4, 0, s18
	flat_load_u16 v6, v[6:7] offset:1024
.LBB515_45:
	s_or_b32 exec_lo, exec_lo, s5
	v_or_b32_e32 v7, 0x280, v0
	s_delay_alu instid0(VALU_DEP_1)
	v_cmp_gt_u32_e32 vcc_lo, s25, v7
                                        ; implicit-def: $vgpr7
	s_and_saveexec_b32 s5, vcc_lo
	s_cbranch_execz .LBB515_47
; %bb.46:
	v_lshlrev_b32_e32 v7, 1, v0
	s_delay_alu instid0(VALU_DEP_1) | instskip(NEXT) | instid1(VALU_DEP_1)
	v_add_co_u32 v9, s18, s0, v7
	v_add_co_ci_u32_e64 v10, null, s4, 0, s18
	flat_load_u16 v7, v[9:10] offset:1280
.LBB515_47:
	s_or_b32 exec_lo, exec_lo, s5
	v_or_b32_e32 v9, 0x300, v0
	s_delay_alu instid0(VALU_DEP_1)
	v_cmp_gt_u32_e32 vcc_lo, s25, v9
                                        ; implicit-def: $vgpr9
	s_and_saveexec_b32 s5, vcc_lo
	s_cbranch_execz .LBB515_49
; %bb.48:
	v_lshlrev_b32_e32 v9, 1, v0
	s_delay_alu instid0(VALU_DEP_1) | instskip(NEXT) | instid1(VALU_DEP_1)
	v_add_co_u32 v9, s18, s0, v9
	v_add_co_ci_u32_e64 v10, null, s4, 0, s18
	flat_load_u16 v9, v[9:10] offset:1536
.LBB515_49:
	s_or_b32 exec_lo, exec_lo, s5
	v_or_b32_e32 v10, 0x380, v0
	s_delay_alu instid0(VALU_DEP_1)
	v_cmp_gt_u32_e32 vcc_lo, s25, v10
                                        ; implicit-def: $vgpr10
	s_and_saveexec_b32 s5, vcc_lo
	s_cbranch_execz .LBB515_51
; %bb.50:
	v_lshlrev_b32_e32 v10, 1, v0
	s_delay_alu instid0(VALU_DEP_1) | instskip(NEXT) | instid1(VALU_DEP_1)
	v_add_co_u32 v10, s18, s0, v10
	v_add_co_ci_u32_e64 v11, null, s4, 0, s18
	flat_load_u16 v10, v[10:11] offset:1792
.LBB515_51:
	s_or_b32 exec_lo, exec_lo, s5
	v_or_b32_e32 v11, 0x400, v0
	s_delay_alu instid0(VALU_DEP_1)
	v_cmp_gt_u32_e32 vcc_lo, s25, v11
                                        ; implicit-def: $vgpr11
	s_and_saveexec_b32 s5, vcc_lo
	s_cbranch_execz .LBB515_53
; %bb.52:
	v_lshlrev_b32_e32 v11, 1, v0
	s_delay_alu instid0(VALU_DEP_1) | instskip(NEXT) | instid1(VALU_DEP_1)
	v_add_co_u32 v11, s18, s0, v11
	v_add_co_ci_u32_e64 v12, null, s4, 0, s18
	flat_load_u16 v11, v[11:12] offset:2048
.LBB515_53:
	s_or_b32 exec_lo, exec_lo, s5
	v_or_b32_e32 v12, 0x480, v0
	s_delay_alu instid0(VALU_DEP_1)
	v_cmp_gt_u32_e32 vcc_lo, s25, v12
                                        ; implicit-def: $vgpr12
	s_and_saveexec_b32 s5, vcc_lo
	s_cbranch_execz .LBB515_55
; %bb.54:
	v_lshlrev_b32_e32 v12, 1, v0
	s_delay_alu instid0(VALU_DEP_1) | instskip(NEXT) | instid1(VALU_DEP_1)
	v_add_co_u32 v12, s18, s0, v12
	v_add_co_ci_u32_e64 v13, null, s4, 0, s18
	flat_load_u16 v12, v[12:13] offset:2304
.LBB515_55:
	s_or_b32 exec_lo, exec_lo, s5
	v_or_b32_e32 v13, 0x500, v0
	s_delay_alu instid0(VALU_DEP_1)
	v_cmp_gt_u32_e32 vcc_lo, s25, v13
                                        ; implicit-def: $vgpr13
	s_and_saveexec_b32 s5, vcc_lo
	s_cbranch_execz .LBB515_57
; %bb.56:
	v_lshlrev_b32_e32 v13, 1, v0
	s_delay_alu instid0(VALU_DEP_1) | instskip(NEXT) | instid1(VALU_DEP_1)
	v_add_co_u32 v13, s18, s0, v13
	v_add_co_ci_u32_e64 v14, null, s4, 0, s18
	flat_load_u16 v13, v[13:14] offset:2560
.LBB515_57:
	s_or_b32 exec_lo, exec_lo, s5
	v_or_b32_e32 v14, 0x580, v0
	s_delay_alu instid0(VALU_DEP_1)
	v_cmp_gt_u32_e32 vcc_lo, s25, v14
                                        ; implicit-def: $vgpr14
	s_and_saveexec_b32 s5, vcc_lo
	s_cbranch_execz .LBB515_59
; %bb.58:
	v_lshlrev_b32_e32 v14, 1, v0
	s_delay_alu instid0(VALU_DEP_1) | instskip(NEXT) | instid1(VALU_DEP_1)
	v_add_co_u32 v14, s0, s0, v14
	v_add_co_ci_u32_e64 v15, null, s4, 0, s0
	flat_load_u16 v14, v[14:15] offset:2816
.LBB515_59:
	s_or_b32 exec_lo, exec_lo, s5
	v_mad_i32_i24 v15, 0xffffffea, v0, v8
	s_waitcnt vmcnt(0) lgkmcnt(0)
	ds_store_b16 v15, v2
	ds_store_b16 v15, v3 offset:256
	ds_store_b16 v15, v4 offset:512
	ds_store_b16 v15, v5 offset:768
	ds_store_b16 v15, v6 offset:1024
	ds_store_b16 v15, v7 offset:1280
	ds_store_b16 v15, v9 offset:1536
	ds_store_b16 v15, v10 offset:1792
	ds_store_b16 v15, v11 offset:2048
	ds_store_b16 v15, v12 offset:2304
	ds_store_b16 v15, v13 offset:2560
	ds_store_b16 v15, v14 offset:2816
	s_waitcnt lgkmcnt(0)
	s_barrier
.LBB515_60:
	buffer_gl0_inv
	ds_load_2addr_b64 v[14:17], v8 offset1:1
	ds_load_b64 v[25:26], v8 offset:16
	s_cmp_lg_u32 s24, 0
	v_lshrrev_b32_e32 v40, 16, v18
	s_cselect_b32 s18, -1, 0
	s_cmp_lg_u64 s[6:7], 0
	v_lshrrev_b32_e32 v39, 16, v19
	s_cselect_b32 s0, -1, 0
	v_lshrrev_b32_e32 v38, 16, v20
	v_lshrrev_b32_e32 v37, 16, v21
	v_or_b32_e32 v12, 1, v1
	v_or_b32_e32 v6, 2, v1
	;; [unrolled: 1-line block ×3, first 2 shown]
	v_add_nc_u32_e32 v7, 4, v1
	v_add_nc_u32_e32 v5, 5, v1
	v_add_nc_u32_e32 v3, 6, v1
	v_add_nc_u32_e32 v2, 7, v1
	v_add_nc_u32_e32 v11, 8, v1
	v_lshrrev_b32_e32 v36, 16, v27
	v_lshrrev_b32_e32 v31, 16, v28
	v_add_nc_u32_e32 v10, 9, v1
	v_add_nc_u32_e32 v8, 10, v1
	v_add_nc_u32_e32 v9, 11, v1
	s_or_b32 s0, s0, s18
	s_waitcnt lgkmcnt(0)
	s_and_b32 vcc_lo, exec_lo, s0
	s_mov_b32 s0, 0
	s_barrier
	buffer_gl0_inv
	s_cbranch_vccz .LBB515_65
; %bb.61:
	v_add_co_u32 v22, s0, -2, s27
	s_delay_alu instid0(VALU_DEP_1)
	v_add_co_ci_u32_e64 v23, null, -1, s26, s0
	v_lshlrev_b32_e32 v29, 1, v0
	s_mov_b32 s0, -1
	s_and_b32 vcc_lo, exec_lo, s23
	flat_load_u16 v13, v[22:23]
	ds_store_b16 v29, v31
	s_cbranch_vccz .LBB515_66
; %bb.62:
	s_waitcnt vmcnt(0) lgkmcnt(1)
	v_mov_b32_e32 v22, v13
	s_waitcnt lgkmcnt(0)
	s_barrier
	buffer_gl0_inv
	s_and_saveexec_b32 s0, s3
	s_cbranch_execz .LBB515_64
; %bb.63:
	v_add_nc_u32_e32 v22, -2, v29
	ds_load_u16 v22, v22
.LBB515_64:
	s_or_b32 exec_lo, exec_lo, s0
	v_bfe_i32 v23, v28, 0, 16
	v_bfe_i32 v24, v31, 0, 16
	;; [unrolled: 1-line block ×5, first 2 shown]
	v_mul_i32_i24_e32 v23, 0x6667, v23
	v_mul_i32_i24_e32 v24, 0x6667, v24
	;; [unrolled: 1-line block ×4, first 2 shown]
	v_bfe_i32 v42, v38, 0, 16
	v_lshrrev_b32_e32 v33, 31, v23
	v_ashrrev_i32_e32 v23, 18, v23
	v_lshrrev_b32_e32 v34, 31, v24
	v_ashrrev_i32_e32 v24, 18, v24
	;; [unrolled: 2-line block ×3, first 2 shown]
	v_add_nc_u16 v23, v23, v33
	v_mul_i32_i24_e32 v33, 0x6667, v35
	v_add_nc_u16 v24, v24, v34
	v_bfe_i32 v34, v21, 0, 16
	v_add_nc_u16 v30, v30, v41
	v_lshrrev_b32_e32 v35, 31, v32
	v_ashrrev_i32_e32 v32, 18, v32
	v_cmp_ne_u16_e32 vcc_lo, v23, v24
	v_lshrrev_b32_e32 v41, 31, v33
	v_ashrrev_i32_e32 v33, 18, v33
	v_mul_i32_i24_e32 v34, 0x6667, v34
	v_add_nc_u16 v32, v32, v35
	v_cndmask_b32_e64 v24, 0, 1, vcc_lo
	v_cmp_ne_u16_e32 vcc_lo, v30, v23
	v_add_nc_u16 v33, v33, v41
	v_lshrrev_b32_e32 v35, 31, v34
	v_ashrrev_i32_e32 v34, 18, v34
	v_mul_i32_i24_e32 v41, 0x6667, v42
	v_cndmask_b32_e64 v23, 0, 1, vcc_lo
	v_cmp_ne_u16_e32 vcc_lo, v32, v30
	v_bfe_i32 v42, v39, 0, 16
	v_add_nc_u16 v34, v34, v35
	v_lshrrev_b32_e32 v35, 31, v41
	v_ashrrev_i32_e32 v41, 18, v41
	v_bfe_i32 v44, v19, 0, 16
	v_cndmask_b32_e64 v30, 0, 1, vcc_lo
	v_cmp_ne_u16_e32 vcc_lo, v33, v32
	v_mul_i32_i24_e32 v42, 0x6667, v42
	v_add_nc_u16 v35, v41, v35
	v_mul_i32_i24_e32 v41, 0x6667, v44
	v_bfe_i32 v44, v40, 0, 16
	v_cndmask_b32_e64 v32, 0, 1, vcc_lo
	v_bfe_i32 v43, v20, 0, 16
	v_cmp_ne_u16_e32 vcc_lo, v34, v33
	v_lshrrev_b32_e32 v45, 31, v42
	v_ashrrev_i32_e32 v42, 18, v42
	v_lshrrev_b32_e32 v46, 31, v41
	v_ashrrev_i32_e32 v41, 18, v41
	v_mul_i32_i24_e32 v44, 0x6667, v44
	v_cndmask_b32_e64 v33, 0, 1, vcc_lo
	v_mul_i32_i24_e32 v43, 0x6667, v43
	v_add_nc_u16 v42, v42, v45
	v_add_nc_u16 v41, v41, v46
	v_lshrrev_b32_e32 v45, 31, v44
	v_ashrrev_i32_e32 v44, 18, v44
	v_cmp_ne_u16_e32 vcc_lo, v35, v34
	v_lshrrev_b32_e32 v47, 31, v43
	v_ashrrev_i32_e32 v43, 18, v43
	v_bfe_i32 v46, v18, 0, 16
	v_add_nc_u16 v44, v44, v45
	v_cndmask_b32_e64 v34, 0, 1, vcc_lo
	v_cmp_ne_u16_e32 vcc_lo, v41, v42
	v_add_nc_u16 v43, v43, v47
	v_mul_i32_i24_e32 v45, 0x6667, v46
	s_waitcnt lgkmcnt(0)
	v_bfe_i32 v22, v22, 0, 16
	v_lshlrev_b16 v33, 8, v33
	v_cndmask_b32_e64 v46, 0, 1, vcc_lo
	v_cmp_ne_u16_e32 vcc_lo, v44, v41
	v_lshrrev_b32_e32 v47, 31, v45
	v_ashrrev_i32_e32 v45, 18, v45
	v_mul_i32_i24_e32 v22, 0x6667, v22
	v_lshlrev_b16 v46, 8, v46
	v_cndmask_b32_e64 v41, 0, 1, vcc_lo
	v_cmp_ne_u16_e32 vcc_lo, v43, v35
	v_add_nc_u16 v45, v45, v47
	v_lshlrev_b16 v30, 8, v30
	v_lshlrev_b16 v24, 8, v24
	v_lshrrev_b32_e32 v47, 31, v22
	v_cndmask_b32_e64 v35, 0, 1, vcc_lo
	v_cmp_ne_u16_e32 vcc_lo, v42, v43
	v_ashrrev_i32_e32 v22, 18, v22
	v_or_b32_e32 v41, v41, v46
	v_or_b32_e32 v33, v34, v33
	v_lshlrev_b16 v35, 8, v35
	v_cndmask_b32_e64 v42, 0, 1, vcc_lo
	v_cmp_ne_u16_e32 vcc_lo, v45, v44
	v_or_b32_e32 v30, v32, v30
	v_or_b32_e32 v23, v23, v24
	v_add_nc_u16 v22, v22, v47
	v_or_b32_e32 v35, v42, v35
	v_cndmask_b32_e64 v43, 0, 1, vcc_lo
	v_lshlrev_b32_e32 v41, 16, v41
	v_lshlrev_b32_e32 v33, 16, v33
	v_and_b32_e32 v30, 0xffff, v30
	v_and_b32_e32 v32, 0xffff, v35
	v_lshlrev_b16 v43, 8, v43
	v_lshlrev_b32_e32 v34, 16, v23
	v_cmp_ne_u16_e64 s4, v22, v45
	s_delay_alu instid0(VALU_DEP_4) | instskip(NEXT) | instid1(VALU_DEP_4)
	v_or_b32_e32 v23, v32, v33
	v_and_b32_e32 v24, 0xffff, v43
	s_delay_alu instid0(VALU_DEP_1)
	v_or_b32_e32 v22, v24, v41
	v_or_b32_e32 v41, v30, v34
	s_branch .LBB515_94
.LBB515_65:
                                        ; implicit-def: $sgpr4
                                        ; implicit-def: $vgpr41
                                        ; implicit-def: $vgpr22_vgpr23_vgpr24
	s_branch .LBB515_95
.LBB515_66:
                                        ; implicit-def: $sgpr4
                                        ; implicit-def: $vgpr41
                                        ; implicit-def: $vgpr22_vgpr23_vgpr24
	s_and_b32 vcc_lo, exec_lo, s0
	s_cbranch_vccz .LBB515_94
; %bb.67:
	s_mov_b32 s4, 0
	s_mov_b32 s0, 0
	s_mov_b32 s5, exec_lo
	v_cmpx_gt_u32_e64 s25, v9
	s_cbranch_execz .LBB515_69
; %bb.68:
	v_bfe_i32 v22, v28, 0, 16
	v_bfe_i32 v23, v31, 0, 16
	s_delay_alu instid0(VALU_DEP_2) | instskip(NEXT) | instid1(VALU_DEP_2)
	v_mul_i32_i24_e32 v22, 0x6667, v22
	v_mul_i32_i24_e32 v23, 0x6667, v23
	s_delay_alu instid0(VALU_DEP_2) | instskip(SKIP_1) | instid1(VALU_DEP_3)
	v_lshrrev_b32_e32 v24, 31, v22
	v_ashrrev_i32_e32 v22, 18, v22
	v_lshrrev_b32_e32 v30, 31, v23
	v_ashrrev_i32_e32 v23, 18, v23
	s_delay_alu instid0(VALU_DEP_3) | instskip(NEXT) | instid1(VALU_DEP_2)
	v_add_nc_u16 v22, v22, v24
	v_add_nc_u16 v23, v23, v30
	s_delay_alu instid0(VALU_DEP_1)
	v_cmp_ne_u16_e32 vcc_lo, v22, v23
	s_and_b32 s0, vcc_lo, exec_lo
.LBB515_69:
	s_or_b32 exec_lo, exec_lo, s5
	s_delay_alu instid0(SALU_CYCLE_1)
	s_mov_b32 s5, exec_lo
	v_cmpx_gt_u32_e64 s25, v8
	s_cbranch_execz .LBB515_71
; %bb.70:
	v_bfe_i32 v22, v36, 0, 16
	v_bfe_i32 v23, v28, 0, 16
	s_delay_alu instid0(VALU_DEP_2) | instskip(NEXT) | instid1(VALU_DEP_2)
	v_mul_i32_i24_e32 v22, 0x6667, v22
	v_mul_i32_i24_e32 v23, 0x6667, v23
	s_delay_alu instid0(VALU_DEP_2) | instskip(SKIP_1) | instid1(VALU_DEP_3)
	v_lshrrev_b32_e32 v24, 31, v22
	v_ashrrev_i32_e32 v22, 18, v22
	v_lshrrev_b32_e32 v30, 31, v23
	v_ashrrev_i32_e32 v23, 18, v23
	s_delay_alu instid0(VALU_DEP_3) | instskip(NEXT) | instid1(VALU_DEP_2)
	v_add_nc_u16 v22, v22, v24
	v_add_nc_u16 v23, v23, v30
	s_delay_alu instid0(VALU_DEP_1)
	v_cmp_ne_u16_e32 vcc_lo, v22, v23
	s_and_b32 s4, vcc_lo, exec_lo
.LBB515_71:
	s_or_b32 exec_lo, exec_lo, s5
	s_mov_b32 s6, 0
	s_mov_b32 s5, 0
	s_mov_b32 s7, exec_lo
	v_cmpx_gt_u32_e64 s25, v10
	s_cbranch_execz .LBB515_73
; %bb.72:
	v_bfe_i32 v22, v27, 0, 16
	v_bfe_i32 v23, v36, 0, 16
	s_delay_alu instid0(VALU_DEP_2) | instskip(NEXT) | instid1(VALU_DEP_2)
	v_mul_i32_i24_e32 v22, 0x6667, v22
	v_mul_i32_i24_e32 v23, 0x6667, v23
	s_delay_alu instid0(VALU_DEP_2) | instskip(SKIP_1) | instid1(VALU_DEP_3)
	v_lshrrev_b32_e32 v24, 31, v22
	v_ashrrev_i32_e32 v22, 18, v22
	v_lshrrev_b32_e32 v30, 31, v23
	v_ashrrev_i32_e32 v23, 18, v23
	s_delay_alu instid0(VALU_DEP_3) | instskip(NEXT) | instid1(VALU_DEP_2)
	v_add_nc_u16 v22, v22, v24
	v_add_nc_u16 v23, v23, v30
	s_delay_alu instid0(VALU_DEP_1)
	v_cmp_ne_u16_e32 vcc_lo, v22, v23
	s_and_b32 s5, vcc_lo, exec_lo
.LBB515_73:
	s_or_b32 exec_lo, exec_lo, s7
	s_delay_alu instid0(SALU_CYCLE_1)
	s_mov_b32 s7, exec_lo
	v_cmpx_gt_u32_e64 s25, v11
	s_cbranch_execz .LBB515_75
; %bb.74:
	v_bfe_i32 v22, v37, 0, 16
	v_bfe_i32 v23, v27, 0, 16
	s_delay_alu instid0(VALU_DEP_2) | instskip(NEXT) | instid1(VALU_DEP_2)
	v_mul_i32_i24_e32 v22, 0x6667, v22
	v_mul_i32_i24_e32 v23, 0x6667, v23
	s_delay_alu instid0(VALU_DEP_2) | instskip(SKIP_1) | instid1(VALU_DEP_3)
	v_lshrrev_b32_e32 v24, 31, v22
	v_ashrrev_i32_e32 v22, 18, v22
	v_lshrrev_b32_e32 v30, 31, v23
	v_ashrrev_i32_e32 v23, 18, v23
	s_delay_alu instid0(VALU_DEP_3) | instskip(NEXT) | instid1(VALU_DEP_2)
	v_add_nc_u16 v22, v22, v24
	v_add_nc_u16 v23, v23, v30
	s_delay_alu instid0(VALU_DEP_1)
	v_cmp_ne_u16_e32 vcc_lo, v22, v23
	s_and_b32 s6, vcc_lo, exec_lo
.LBB515_75:
	s_or_b32 exec_lo, exec_lo, s7
	;; [unrolled: 47-line block ×5, first 2 shown]
	s_mov_b32 s28, 0
	s_mov_b32 s29, exec_lo
	v_cmpx_gt_u32_e64 s25, v12
	s_cbranch_execz .LBB515_89
; %bb.88:
	v_bfe_i32 v22, v18, 0, 16
	v_bfe_i32 v23, v40, 0, 16
	s_delay_alu instid0(VALU_DEP_2) | instskip(NEXT) | instid1(VALU_DEP_2)
	v_mul_i32_i24_e32 v22, 0x6667, v22
	v_mul_i32_i24_e32 v23, 0x6667, v23
	s_delay_alu instid0(VALU_DEP_2) | instskip(SKIP_1) | instid1(VALU_DEP_3)
	v_lshrrev_b32_e32 v24, 31, v22
	v_ashrrev_i32_e32 v22, 18, v22
	v_lshrrev_b32_e32 v30, 31, v23
	v_ashrrev_i32_e32 v23, 18, v23
	s_delay_alu instid0(VALU_DEP_3) | instskip(NEXT) | instid1(VALU_DEP_2)
	v_add_nc_u16 v22, v22, v24
	v_add_nc_u16 v23, v23, v30
	s_delay_alu instid0(VALU_DEP_1)
	v_cmp_ne_u16_e32 vcc_lo, v22, v23
	s_and_b32 s28, vcc_lo, exec_lo
.LBB515_89:
	s_or_b32 exec_lo, exec_lo, s29
	s_waitcnt vmcnt(0) lgkmcnt(0)
	s_barrier
	buffer_gl0_inv
	s_and_saveexec_b32 s29, s3
	s_cbranch_execz .LBB515_91
; %bb.90:
	v_add_nc_u32_e32 v13, -2, v29
	ds_load_u16 v13, v13
.LBB515_91:
	s_or_b32 exec_lo, exec_lo, s29
	v_cndmask_b32_e64 v24, 0, 1, s26
	v_cndmask_b32_e64 v30, 0, 1, s20
	v_cndmask_b32_e64 v33, 0, 1, s7
	v_cndmask_b32_e64 v35, 0, 1, s5
	v_cndmask_b32_e64 v42, 0, 1, s0
	v_cndmask_b32_e64 v23, 0, 1, s27
	v_cndmask_b32_e64 v29, 0, 1, s21
	v_cndmask_b32_e64 v22, 0, 1, s28
	v_cndmask_b32_e64 v32, 0, 1, s19
	v_cndmask_b32_e64 v34, 0, 1, s6
	v_cndmask_b32_e64 v41, 0, 1, s4
	v_lshlrev_b16 v24, 8, v24
	v_lshlrev_b16 v30, 8, v30
	;; [unrolled: 1-line block ×6, first 2 shown]
	v_or_b32_e32 v23, v23, v24
	v_or_b32_e32 v24, v29, v30
	;; [unrolled: 1-line block ×5, first 2 shown]
	v_and_b32_e32 v22, 0xffff, v22
	v_lshlrev_b32_e32 v23, 16, v23
	v_and_b32_e32 v24, 0xffff, v24
	v_lshlrev_b32_e32 v29, 16, v29
	v_and_b32_e32 v30, 0xffff, v30
	v_lshlrev_b32_e32 v32, 16, v32
	s_mov_b32 s4, 0
	s_mov_b32 s0, exec_lo
	v_cmpx_gt_u32_e64 s25, v1
	s_cbranch_execz .LBB515_93
; %bb.92:
	s_waitcnt lgkmcnt(0)
	v_bfe_i32 v13, v13, 0, 16
	v_bfe_i32 v33, v18, 0, 16
	s_delay_alu instid0(VALU_DEP_2) | instskip(NEXT) | instid1(VALU_DEP_2)
	v_mul_i32_i24_e32 v13, 0x6667, v13
	v_mul_i32_i24_e32 v33, 0x6667, v33
	s_delay_alu instid0(VALU_DEP_2) | instskip(SKIP_1) | instid1(VALU_DEP_3)
	v_lshrrev_b32_e32 v34, 31, v13
	v_ashrrev_i32_e32 v13, 18, v13
	v_lshrrev_b32_e32 v35, 31, v33
	v_ashrrev_i32_e32 v33, 18, v33
	s_delay_alu instid0(VALU_DEP_3) | instskip(NEXT) | instid1(VALU_DEP_2)
	v_add_nc_u16 v13, v13, v34
	v_add_nc_u16 v33, v33, v35
	s_delay_alu instid0(VALU_DEP_1)
	v_cmp_ne_u16_e32 vcc_lo, v13, v33
	s_and_b32 s4, vcc_lo, exec_lo
.LBB515_93:
	s_or_b32 exec_lo, exec_lo, s0
	v_or_b32_e32 v22, v22, v23
	v_or_b32_e32 v23, v24, v29
	;; [unrolled: 1-line block ×3, first 2 shown]
.LBB515_94:
	s_mov_b32 s0, -1
	s_cbranch_execnz .LBB515_127
.LBB515_95:
	v_bfe_i32 v22, v28, 0, 16
	v_bfe_i32 v23, v36, 0, 16
	v_bfe_i32 v24, v27, 0, 16
	v_bfe_i32 v29, v37, 0, 16
	v_bfe_i32 v30, v21, 0, 16
	v_bfe_i32 v32, v38, 0, 16
	v_bfe_i32 v33, v20, 0, 16
	v_bfe_i32 v41, v39, 0, 16
	v_bfe_i32 v46, v19, 0, 16
	v_bfe_i32 v47, v40, 0, 16
	s_waitcnt vmcnt(0) lgkmcnt(0)
	v_lshlrev_b32_e32 v13, 1, v0
	v_mul_i32_i24_e32 v45, 0x6667, v22
	v_mul_i32_i24_e32 v44, 0x6667, v23
	;; [unrolled: 1-line block ×10, first 2 shown]
	s_and_b32 vcc_lo, exec_lo, s23
	ds_store_b16 v13, v31
	s_cbranch_vccz .LBB515_99
; %bb.96:
	v_bfe_i32 v22, v31, 0, 16
	v_lshrrev_b32_e32 v23, 31, v45
	v_ashrrev_i32_e32 v24, 18, v45
	v_lshrrev_b32_e32 v41, 31, v44
	v_ashrrev_i32_e32 v46, 18, v44
	v_mul_i32_i24_e32 v22, 0x6667, v22
	v_lshrrev_b32_e32 v47, 31, v43
	v_add_nc_u16 v23, v24, v23
	v_ashrrev_i32_e32 v48, 18, v43
	v_add_nc_u16 v24, v46, v41
	v_lshrrev_b32_e32 v50, 31, v22
	v_ashrrev_i32_e32 v22, 18, v22
	v_lshrrev_b32_e32 v49, 31, v42
	v_ashrrev_i32_e32 v51, 18, v42
	v_cmp_ne_u16_e32 vcc_lo, v24, v23
	v_add_nc_u16 v41, v48, v47
	v_add_nc_u16 v22, v22, v50
	v_ashrrev_i32_e32 v48, 18, v35
	v_add_nc_u16 v46, v51, v49
	v_cndmask_b32_e64 v47, 0, 1, vcc_lo
	v_lshrrev_b32_e32 v49, 31, v34
	v_cmp_ne_u16_e32 vcc_lo, v23, v22
	v_lshrrev_b32_e32 v23, 31, v35
	v_ashrrev_i32_e32 v50, 18, v34
	v_ashrrev_i32_e32 v51, 18, v32
	v_bfe_i32 v52, v18, 0, 16
	v_cndmask_b32_e64 v22, 0, 1, vcc_lo
	v_cmp_ne_u16_e32 vcc_lo, v41, v24
	v_add_nc_u16 v23, v48, v23
	v_add_nc_u16 v48, v50, v49
	v_lshrrev_b32_e32 v49, 31, v33
	v_ashrrev_i32_e32 v50, 18, v33
	v_cndmask_b32_e64 v24, 0, 1, vcc_lo
	v_cmp_ne_u16_e32 vcc_lo, v46, v41
	v_lshrrev_b32_e32 v53, 31, v30
	v_ashrrev_i32_e32 v54, 18, v30
	v_add_nc_u16 v49, v50, v49
	v_lshrrev_b32_e32 v50, 31, v32
	v_cndmask_b32_e64 v41, 0, 1, vcc_lo
	v_cmp_ne_u16_e32 vcc_lo, v23, v46
	v_mul_i32_i24_e32 v52, 0x6667, v52
	v_lshlrev_b16 v56, 8, v24
	v_add_nc_u16 v50, v51, v50
	v_add_nc_u16 v51, v54, v53
	v_cndmask_b32_e64 v46, 0, 1, vcc_lo
	v_cmp_ne_u16_e32 vcc_lo, v48, v23
	v_lshrrev_b32_e32 v53, 31, v29
	v_ashrrev_i32_e32 v54, 18, v29
	v_lshrrev_b32_e32 v55, 31, v52
	v_ashrrev_i32_e32 v52, 18, v52
	v_cndmask_b32_e64 v23, 0, 1, vcc_lo
	v_cmp_ne_u16_e32 vcc_lo, v49, v48
	v_add_nc_u16 v53, v54, v53
	v_lshlrev_b16 v22, 8, v22
	v_add_nc_u16 v24, v52, v55
	v_lshlrev_b16 v46, 8, v46
	v_cndmask_b32_e64 v48, 0, 1, vcc_lo
	v_cmp_ne_u16_e32 vcc_lo, v50, v49
	v_or_b32_e32 v41, v41, v56
	v_or_b32_e32 v22, v47, v22
	;; [unrolled: 1-line block ×3, first 2 shown]
	v_lshlrev_b16 v48, 8, v48
	v_cndmask_b32_e64 v49, 0, 1, vcc_lo
	v_cmp_ne_u16_e32 vcc_lo, v51, v50
	v_and_b32_e32 v41, 0xffff, v41
	v_lshlrev_b32_e32 v22, 16, v22
	v_lshlrev_b32_e32 v23, 16, v23
	v_or_b32_e32 v47, v49, v48
	v_cndmask_b32_e64 v50, 0, 1, vcc_lo
	v_cmp_ne_u16_e32 vcc_lo, v53, v51
	v_or_b32_e32 v41, v41, v22
	s_waitcnt lgkmcnt(0)
	v_and_b32_e32 v47, 0xffff, v47
	v_lshlrev_b16 v50, 8, v50
	v_cndmask_b32_e64 v51, 0, 1, vcc_lo
	v_cmp_ne_u16_e32 vcc_lo, v24, v53
	s_barrier
	v_or_b32_e32 v23, v47, v23
	buffer_gl0_inv
	v_or_b32_e32 v46, v51, v50
	v_cndmask_b32_e64 v52, 0, 1, vcc_lo
                                        ; implicit-def: $sgpr4
	s_delay_alu instid0(VALU_DEP_2) | instskip(NEXT) | instid1(VALU_DEP_2)
	v_lshlrev_b32_e32 v46, 16, v46
	v_lshlrev_b16 v52, 8, v52
	s_delay_alu instid0(VALU_DEP_1) | instskip(NEXT) | instid1(VALU_DEP_1)
	v_or_b32_e32 v48, 1, v52
	v_and_b32_e32 v48, 0xffff, v48
	s_delay_alu instid0(VALU_DEP_1) | instskip(SKIP_1) | instid1(SALU_CYCLE_1)
	v_or_b32_e32 v22, v48, v46
	s_and_saveexec_b32 s5, s3
	s_xor_b32 s5, exec_lo, s5
	s_cbranch_execz .LBB515_98
; %bb.97:
	v_add_nc_u32_e32 v46, -2, v13
	s_or_b32 s0, s0, exec_lo
	ds_load_i16 v46, v46
	s_waitcnt lgkmcnt(0)
	v_mul_i32_i24_e32 v46, 0x6667, v46
	s_delay_alu instid0(VALU_DEP_1) | instskip(SKIP_1) | instid1(VALU_DEP_1)
	v_lshrrev_b32_e32 v47, 31, v46
	v_ashrrev_i32_e32 v46, 18, v46
	v_add_nc_u16 v46, v46, v47
	s_delay_alu instid0(VALU_DEP_1)
	v_cmp_ne_u16_e32 vcc_lo, v46, v24
	s_and_b32 s4, vcc_lo, exec_lo
.LBB515_98:
	s_or_b32 exec_lo, exec_lo, s5
	s_branch .LBB515_127
.LBB515_99:
                                        ; implicit-def: $sgpr4
                                        ; implicit-def: $vgpr41
                                        ; implicit-def: $vgpr22_vgpr23_vgpr24
	s_cbranch_execz .LBB515_127
; %bb.100:
	s_mov_b32 s4, 0
	s_mov_b32 s5, 0
	s_mov_b32 s6, exec_lo
	v_cmpx_gt_u32_e64 s25, v9
; %bb.101:
	v_bfe_i32 v22, v31, 0, 16
	v_lshrrev_b32_e32 v23, 31, v45
	v_ashrrev_i32_e32 v24, 18, v45
	s_delay_alu instid0(VALU_DEP_3) | instskip(NEXT) | instid1(VALU_DEP_2)
	v_mul_i32_i24_e32 v22, 0x6667, v22
	v_add_nc_u16 v23, v24, v23
	s_delay_alu instid0(VALU_DEP_2) | instskip(SKIP_1) | instid1(VALU_DEP_1)
	v_lshrrev_b32_e32 v41, 31, v22
	v_ashrrev_i32_e32 v22, 18, v22
	v_add_nc_u16 v22, v22, v41
	s_delay_alu instid0(VALU_DEP_1)
	v_cmp_ne_u16_e32 vcc_lo, v23, v22
	s_and_b32 s5, vcc_lo, exec_lo
; %bb.102:
	s_or_b32 exec_lo, exec_lo, s6
	s_delay_alu instid0(SALU_CYCLE_1)
	s_mov_b32 s6, exec_lo
	v_cmpx_gt_u32_e64 s25, v8
; %bb.103:
	v_lshrrev_b32_e32 v22, 31, v44
	v_ashrrev_i32_e32 v23, 18, v44
	v_lshrrev_b32_e32 v24, 31, v45
	v_ashrrev_i32_e32 v41, 18, v45
	s_delay_alu instid0(VALU_DEP_3) | instskip(NEXT) | instid1(VALU_DEP_2)
	v_add_nc_u16 v22, v23, v22
	v_add_nc_u16 v23, v41, v24
	s_delay_alu instid0(VALU_DEP_1)
	v_cmp_ne_u16_e32 vcc_lo, v22, v23
	s_and_b32 s4, vcc_lo, exec_lo
; %bb.104:
	s_or_b32 exec_lo, exec_lo, s6
	s_mov_b32 s6, 0
	s_mov_b32 s7, 0
	s_mov_b32 s19, exec_lo
	v_cmpx_gt_u32_e64 s25, v10
; %bb.105:
	v_lshrrev_b32_e32 v22, 31, v43
	v_ashrrev_i32_e32 v23, 18, v43
	v_lshrrev_b32_e32 v24, 31, v44
	v_ashrrev_i32_e32 v41, 18, v44
	s_delay_alu instid0(VALU_DEP_3) | instskip(NEXT) | instid1(VALU_DEP_2)
	v_add_nc_u16 v22, v23, v22
	v_add_nc_u16 v23, v41, v24
	s_delay_alu instid0(VALU_DEP_1)
	v_cmp_ne_u16_e32 vcc_lo, v22, v23
	s_and_b32 s7, vcc_lo, exec_lo
; %bb.106:
	s_or_b32 exec_lo, exec_lo, s19
	s_delay_alu instid0(SALU_CYCLE_1)
	s_mov_b32 s19, exec_lo
	v_cmpx_gt_u32_e64 s25, v11
; %bb.107:
	v_lshrrev_b32_e32 v22, 31, v42
	v_ashrrev_i32_e32 v23, 18, v42
	v_lshrrev_b32_e32 v24, 31, v43
	v_ashrrev_i32_e32 v41, 18, v43
	s_delay_alu instid0(VALU_DEP_3) | instskip(NEXT) | instid1(VALU_DEP_2)
	v_add_nc_u16 v22, v23, v22
	v_add_nc_u16 v23, v41, v24
	s_delay_alu instid0(VALU_DEP_1)
	v_cmp_ne_u16_e32 vcc_lo, v22, v23
	s_and_b32 s6, vcc_lo, exec_lo
; %bb.108:
	s_or_b32 exec_lo, exec_lo, s19
	s_mov_b32 s20, 0
	s_mov_b32 s19, 0
	s_mov_b32 s21, exec_lo
	v_cmpx_gt_u32_e64 s25, v2
; %bb.109:
	v_lshrrev_b32_e32 v22, 31, v35
	v_ashrrev_i32_e32 v23, 18, v35
	v_lshrrev_b32_e32 v24, 31, v42
	v_ashrrev_i32_e32 v41, 18, v42
	s_delay_alu instid0(VALU_DEP_3) | instskip(NEXT) | instid1(VALU_DEP_2)
	v_add_nc_u16 v22, v23, v22
	;; [unrolled: 33-line block ×4, first 2 shown]
	v_add_nc_u16 v23, v32, v24
	s_delay_alu instid0(VALU_DEP_1)
	v_cmp_ne_u16_e32 vcc_lo, v22, v23
	s_and_b32 s27, vcc_lo, exec_lo
; %bb.118:
	s_or_b32 exec_lo, exec_lo, s29
	s_delay_alu instid0(SALU_CYCLE_1)
	s_mov_b32 s29, exec_lo
	v_cmpx_gt_u32_e64 s25, v6
; %bb.119:
	v_lshrrev_b32_e32 v22, 31, v29
	v_ashrrev_i32_e32 v23, 18, v29
	v_lshrrev_b32_e32 v24, 31, v30
	v_ashrrev_i32_e32 v30, 18, v30
	s_delay_alu instid0(VALU_DEP_3) | instskip(NEXT) | instid1(VALU_DEP_2)
	v_add_nc_u16 v22, v23, v22
	v_add_nc_u16 v23, v30, v24
	s_delay_alu instid0(VALU_DEP_1)
	v_cmp_ne_u16_e32 vcc_lo, v22, v23
	s_and_b32 s28, vcc_lo, exec_lo
; %bb.120:
	s_or_b32 exec_lo, exec_lo, s29
	s_mov_b32 s29, 0
	s_mov_b32 s30, exec_lo
	v_cmpx_gt_u32_e64 s25, v12
; %bb.121:
	v_bfe_i32 v22, v18, 0, 16
	v_lshrrev_b32_e32 v23, 31, v29
	v_ashrrev_i32_e32 v29, 18, v29
	s_delay_alu instid0(VALU_DEP_3) | instskip(NEXT) | instid1(VALU_DEP_2)
	v_mul_i32_i24_e32 v22, 0x6667, v22
	v_add_nc_u16 v23, v29, v23
	s_delay_alu instid0(VALU_DEP_2) | instskip(SKIP_1) | instid1(VALU_DEP_1)
	v_lshrrev_b32_e32 v24, 31, v22
	v_ashrrev_i32_e32 v22, 18, v22
	v_add_nc_u16 v22, v22, v24
	s_delay_alu instid0(VALU_DEP_1)
	v_cmp_ne_u16_e32 vcc_lo, v22, v23
	s_and_b32 s29, vcc_lo, exec_lo
; %bb.122:
	s_or_b32 exec_lo, exec_lo, s30
	v_cndmask_b32_e64 v22, 0, 1, s7
	v_cndmask_b32_e64 v24, 0, 1, s27
	;; [unrolled: 1-line block ×5, first 2 shown]
	v_lshlrev_b16 v22, 8, v22
	v_cndmask_b32_e64 v35, 0, 1, s19
	v_cndmask_b32_e64 v41, 0, 1, s29
	;; [unrolled: 1-line block ×5, first 2 shown]
	v_or_b32_e32 v22, v30, v22
	v_cndmask_b32_e64 v30, 0, 1, s4
	v_lshlrev_b16 v34, 8, v34
	v_lshlrev_b16 v32, 8, v32
	;; [unrolled: 1-line block ×5, first 2 shown]
	v_or_b32_e32 v30, v30, v34
	v_or_b32_e32 v29, v29, v32
	;; [unrolled: 1-line block ×5, first 2 shown]
	v_and_b32_e32 v22, 0xffff, v22
	v_lshlrev_b32_e32 v24, 16, v30
	v_and_b32_e32 v29, 0xffff, v29
	v_lshlrev_b32_e32 v30, 16, v32
	;; [unrolled: 2-line block ×3, first 2 shown]
	v_or_b32_e32 v41, v22, v24
	s_waitcnt lgkmcnt(0)
	v_or_b32_e32 v23, v29, v30
	s_barrier
	v_or_b32_e32 v22, v32, v33
	buffer_gl0_inv
                                        ; implicit-def: $sgpr4
	s_and_saveexec_b32 s5, s3
	s_cbranch_execz .LBB515_126
; %bb.123:
	s_mov_b32 s4, 0
	s_mov_b32 s3, exec_lo
	v_cmpx_gt_u32_e64 s25, v1
	s_cbranch_execz .LBB515_125
; %bb.124:
	v_add_nc_u32_e32 v13, -2, v13
	v_bfe_i32 v24, v18, 0, 16
	ds_load_i16 v13, v13
	v_mul_i32_i24_e32 v24, 0x6667, v24
	s_delay_alu instid0(VALU_DEP_1) | instskip(SKIP_1) | instid1(VALU_DEP_1)
	v_lshrrev_b32_e32 v29, 31, v24
	v_ashrrev_i32_e32 v24, 18, v24
	v_add_nc_u16 v24, v24, v29
	s_waitcnt lgkmcnt(0)
	v_mul_i32_i24_e32 v13, 0x6667, v13
	s_delay_alu instid0(VALU_DEP_1) | instskip(SKIP_1) | instid1(VALU_DEP_1)
	v_lshrrev_b32_e32 v30, 31, v13
	v_ashrrev_i32_e32 v13, 18, v13
	v_add_nc_u16 v13, v13, v30
	s_delay_alu instid0(VALU_DEP_1)
	v_cmp_ne_u16_e32 vcc_lo, v13, v24
	s_and_b32 s4, vcc_lo, exec_lo
.LBB515_125:
	s_or_b32 exec_lo, exec_lo, s3
	s_delay_alu instid0(SALU_CYCLE_1)
	s_and_b32 s4, s4, exec_lo
	s_or_b32 s0, s0, exec_lo
.LBB515_126:
	s_or_b32 exec_lo, exec_lo, s5
.LBB515_127:
	s_and_saveexec_b32 s3, s0
	s_cbranch_execz .LBB515_129
; %bb.128:
	s_waitcnt vmcnt(0) lgkmcnt(0)
	v_and_b32_e32 v13, 0xffffff00, v22
	v_cndmask_b32_e64 v24, 0, 1, s4
	s_delay_alu instid0(VALU_DEP_1) | instskip(NEXT) | instid1(VALU_DEP_1)
	v_or_b32_e32 v13, v24, v13
	v_and_b32_e32 v13, 0xffff, v13
	s_delay_alu instid0(VALU_DEP_1)
	v_and_or_b32 v22, 0xffff0000, v22, v13
.LBB515_129:
	s_or_b32 exec_lo, exec_lo, s3
	s_delay_alu instid0(SALU_CYCLE_1)
	s_and_not1_b32 vcc_lo, exec_lo, s1
	s_cbranch_vccnz .LBB515_131
; %bb.130:
	v_cmp_gt_u32_e32 vcc_lo, s25, v1
	v_cmp_gt_u32_e64 s1, s25, v6
	v_cmp_gt_u32_e64 s4, s25, v4
	;; [unrolled: 1-line block ×4, first 2 shown]
	v_cndmask_b32_e32 v1, 0, v22, vcc_lo
	v_cmp_gt_u32_e32 vcc_lo, s25, v12
	v_and_b32_e32 v12, 0xffffff00, v23
	v_cmp_gt_u32_e64 s5, s25, v3
	s_delay_alu instid0(VALU_DEP_4) | instskip(NEXT) | instid1(VALU_DEP_3)
	v_and_b32_e32 v1, 0xff, v1
	v_cndmask_b32_e64 v7, v12, v23, s0
	s_delay_alu instid0(VALU_DEP_2) | instskip(SKIP_1) | instid1(VALU_DEP_3)
	v_cndmask_b32_e32 v1, v1, v22, vcc_lo
	v_cmp_gt_u32_e32 vcc_lo, s25, v11
	v_and_b32_e32 v7, 0xffff00ff, v7
	s_delay_alu instid0(VALU_DEP_3) | instskip(SKIP_1) | instid1(VALU_DEP_3)
	v_and_b32_e32 v1, 0xffff, v1
	v_cndmask_b32_e32 v11, 0, v41, vcc_lo
	v_cndmask_b32_e64 v5, v7, v23, s3
	s_delay_alu instid0(VALU_DEP_3) | instskip(SKIP_1) | instid1(VALU_DEP_3)
	v_cndmask_b32_e64 v1, v1, v22, s1
	v_cmp_gt_u32_e64 s1, s25, v10
	v_and_b32_e32 v5, 0xff00ffff, v5
	s_delay_alu instid0(VALU_DEP_3) | instskip(NEXT) | instid1(VALU_DEP_2)
	v_and_b32_e32 v1, 0xffffff, v1
	v_cndmask_b32_e64 v3, v5, v23, s5
	s_delay_alu instid0(VALU_DEP_2) | instskip(SKIP_1) | instid1(VALU_DEP_2)
	v_cndmask_b32_e64 v1, v1, v22, s4
	v_cmp_gt_u32_e64 s4, s25, v8
	v_cndmask_b32_e64 v1, v1, v22, s0
	v_cmp_gt_u32_e64 s0, s25, v9
	s_delay_alu instid0(VALU_DEP_2) | instskip(SKIP_2) | instid1(VALU_DEP_3)
	v_cndmask_b32_e64 v1, v1, v22, s3
	v_cmp_gt_u32_e64 s3, s25, v2
	v_and_b32_e32 v2, 0xffffff, v3
	v_cndmask_b32_e64 v1, v1, v22, s5
	v_and_b32_e32 v11, 0xff, v11
	s_delay_alu instid0(VALU_DEP_1) | instskip(NEXT) | instid1(VALU_DEP_1)
	v_cndmask_b32_e64 v6, v11, v41, s1
	v_and_b32_e32 v6, 0xffff, v6
	s_delay_alu instid0(VALU_DEP_1) | instskip(NEXT) | instid1(VALU_DEP_1)
	v_cndmask_b32_e64 v4, v6, v41, s4
	v_and_b32_e32 v4, 0xffffff, v4
	s_delay_alu instid0(VALU_DEP_1) | instskip(SKIP_1) | instid1(SALU_CYCLE_1)
	v_cndmask_b32_e64 v41, v4, v41, s0
	s_or_b32 s0, s0, s4
	s_or_b32 s0, s0, s1
	s_delay_alu instid0(SALU_CYCLE_1) | instskip(NEXT) | instid1(SALU_CYCLE_1)
	s_or_b32 s0, s0, vcc_lo
	s_or_b32 vcc_lo, s0, s3
	v_dual_cndmask_b32 v22, v1, v22 :: v_dual_cndmask_b32 v23, v2, v23
.LBB515_131:
	s_delay_alu instid0(VALU_DEP_1) | instskip(NEXT) | instid1(VALU_DEP_2)
	v_and_b32_e32 v42, 0xff, v22
	v_alignbit_b32 v1, v23, v22, 24
	v_bfe_u32 v43, v22, 8, 8
	v_bfe_u32 v44, v22, 16, 8
	v_and_b32_e32 v46, 0xff, v23
	v_bfe_u32 v47, v23, 8, 8
	v_and_b32_e32 v45, 0xff, v1
	v_dual_mov_b32 v1, v41 :: v_dual_add_nc_u32 v2, v43, v42
	v_bfe_u32 v48, v23, 16, 8
	v_lshrrev_b32_e32 v24, 24, v23
	v_and_b32_e32 v49, 0xff, v41
	v_mbcnt_lo_u32_b32 v52, -1, 0
	v_add3_u32 v2, v2, v44, v45
	v_bfe_u32 v50, v41, 8, 8
	v_alignbit_b32 v3, s0, v41, 24
	v_bfe_u32 v51, v41, 16, 8
	v_and_b32_e32 v4, 15, v52
	v_add3_u32 v2, v2, v46, v47
	v_or_b32_e32 v5, 31, v0
	v_and_b32_e32 v3, 0xff, v3
	v_and_b32_e32 v6, 16, v52
	v_cmp_eq_u32_e64 s6, 0, v4
	v_add3_u32 v2, v2, v48, v24
	v_cmp_lt_u32_e64 s5, 1, v4
	v_cmp_lt_u32_e64 s4, 3, v4
	;; [unrolled: 1-line block ×3, first 2 shown]
	v_cmp_eq_u32_e64 s1, 0, v6
	v_add3_u32 v2, v2, v49, v50
	v_lshrrev_b32_e32 v53, 5, v0
	v_cmp_eq_u32_e64 s0, v5, v0
	s_and_b32 vcc_lo, exec_lo, s18
	s_mov_b32 s7, -1
	v_add3_u32 v54, v2, v51, v3
	s_waitcnt vmcnt(0) lgkmcnt(0)
	s_barrier
	buffer_gl0_inv
	s_cbranch_vccz .LBB515_162
; %bb.132:
	v_mov_b32_dpp v2, v54 row_shr:1 row_mask:0xf bank_mask:0xf
	s_delay_alu instid0(VALU_DEP_1) | instskip(NEXT) | instid1(VALU_DEP_1)
	v_cndmask_b32_e64 v2, v2, 0, s6
	v_add_nc_u32_e32 v2, v2, v54
	s_delay_alu instid0(VALU_DEP_1) | instskip(NEXT) | instid1(VALU_DEP_1)
	v_mov_b32_dpp v3, v2 row_shr:2 row_mask:0xf bank_mask:0xf
	v_cndmask_b32_e64 v3, 0, v3, s5
	s_delay_alu instid0(VALU_DEP_1) | instskip(NEXT) | instid1(VALU_DEP_1)
	v_add_nc_u32_e32 v2, v2, v3
	v_mov_b32_dpp v3, v2 row_shr:4 row_mask:0xf bank_mask:0xf
	s_delay_alu instid0(VALU_DEP_1) | instskip(NEXT) | instid1(VALU_DEP_1)
	v_cndmask_b32_e64 v3, 0, v3, s4
	v_add_nc_u32_e32 v2, v2, v3
	s_delay_alu instid0(VALU_DEP_1) | instskip(NEXT) | instid1(VALU_DEP_1)
	v_mov_b32_dpp v3, v2 row_shr:8 row_mask:0xf bank_mask:0xf
	v_cndmask_b32_e64 v3, 0, v3, s3
	s_delay_alu instid0(VALU_DEP_1) | instskip(SKIP_3) | instid1(VALU_DEP_1)
	v_add_nc_u32_e32 v2, v2, v3
	ds_swizzle_b32 v3, v2 offset:swizzle(BROADCAST,32,15)
	s_waitcnt lgkmcnt(0)
	v_cndmask_b32_e64 v3, v3, 0, s1
	v_add_nc_u32_e32 v2, v2, v3
	s_and_saveexec_b32 s7, s0
	s_cbranch_execz .LBB515_134
; %bb.133:
	v_lshlrev_b32_e32 v3, 2, v53
	ds_store_b32 v3, v2
.LBB515_134:
	s_or_b32 exec_lo, exec_lo, s7
	s_delay_alu instid0(SALU_CYCLE_1)
	s_mov_b32 s7, exec_lo
	s_waitcnt lgkmcnt(0)
	s_barrier
	buffer_gl0_inv
	v_cmpx_gt_u32_e32 4, v0
	s_cbranch_execz .LBB515_136
; %bb.135:
	v_and_b32_e32 v5, 3, v52
	s_delay_alu instid0(VALU_DEP_1) | instskip(SKIP_4) | instid1(VALU_DEP_1)
	v_cmp_ne_u32_e32 vcc_lo, 0, v5
	v_lshlrev_b32_e32 v3, 2, v0
	ds_load_b32 v4, v3
	s_waitcnt lgkmcnt(0)
	v_mov_b32_dpp v6, v4 row_shr:1 row_mask:0xf bank_mask:0xf
	v_cndmask_b32_e32 v6, 0, v6, vcc_lo
	v_cmp_lt_u32_e32 vcc_lo, 1, v5
	s_delay_alu instid0(VALU_DEP_2) | instskip(NEXT) | instid1(VALU_DEP_1)
	v_add_nc_u32_e32 v4, v6, v4
	v_mov_b32_dpp v6, v4 row_shr:2 row_mask:0xf bank_mask:0xf
	s_delay_alu instid0(VALU_DEP_1) | instskip(NEXT) | instid1(VALU_DEP_1)
	v_cndmask_b32_e32 v5, 0, v6, vcc_lo
	v_add_nc_u32_e32 v4, v4, v5
	ds_store_b32 v3, v4
.LBB515_136:
	s_or_b32 exec_lo, exec_lo, s7
	v_cmp_gt_u32_e32 vcc_lo, 32, v0
	s_mov_b32 s18, exec_lo
	s_waitcnt lgkmcnt(0)
	s_barrier
	buffer_gl0_inv
                                        ; implicit-def: $vgpr10
	v_cmpx_lt_u32_e32 31, v0
	s_cbranch_execz .LBB515_138
; %bb.137:
	v_lshl_add_u32 v3, v53, 2, -4
	ds_load_b32 v10, v3
	s_waitcnt lgkmcnt(0)
	v_add_nc_u32_e32 v2, v10, v2
.LBB515_138:
	s_or_b32 exec_lo, exec_lo, s18
	v_add_nc_u32_e32 v3, -1, v52
	s_delay_alu instid0(VALU_DEP_1) | instskip(NEXT) | instid1(VALU_DEP_1)
	v_cmp_gt_i32_e64 s7, 0, v3
	v_cndmask_b32_e64 v3, v3, v52, s7
	v_cmp_eq_u32_e64 s7, 0, v52
	s_delay_alu instid0(VALU_DEP_2)
	v_lshlrev_b32_e32 v3, 2, v3
	ds_bpermute_b32 v11, v3, v2
	s_and_saveexec_b32 s18, vcc_lo
	s_cbranch_execz .LBB515_161
; %bb.139:
	v_mov_b32_e32 v6, 0
	ds_load_b32 v2, v6 offset:12
	s_and_saveexec_b32 s19, s7
	s_cbranch_execz .LBB515_141
; %bb.140:
	s_add_i32 s20, s24, 32
	s_mov_b32 s21, 0
	v_mov_b32_e32 v3, 1
	s_lshl_b64 s[20:21], s[20:21], 3
	s_delay_alu instid0(SALU_CYCLE_1)
	s_add_u32 s20, s16, s20
	s_addc_u32 s21, s17, s21
	s_waitcnt lgkmcnt(0)
	global_store_b64 v6, v[2:3], s[20:21]
.LBB515_141:
	s_or_b32 exec_lo, exec_lo, s19
	v_xad_u32 v4, v52, -1, s24
	s_mov_b32 s20, 0
	s_mov_b32 s19, exec_lo
	s_delay_alu instid0(VALU_DEP_1) | instskip(NEXT) | instid1(VALU_DEP_1)
	v_add_nc_u32_e32 v5, 32, v4
	v_lshlrev_b64 v[5:6], 3, v[5:6]
	s_delay_alu instid0(VALU_DEP_1) | instskip(NEXT) | instid1(VALU_DEP_2)
	v_add_co_u32 v8, vcc_lo, s16, v5
	v_add_co_ci_u32_e32 v9, vcc_lo, s17, v6, vcc_lo
	global_load_b64 v[6:7], v[8:9], off glc
	s_waitcnt vmcnt(0)
	v_and_b32_e32 v3, 0xff, v7
	s_delay_alu instid0(VALU_DEP_1)
	v_cmpx_eq_u16_e32 0, v3
	s_cbranch_execz .LBB515_147
; %bb.142:
	s_mov_b32 s21, 1
	.p2align	6
.LBB515_143:                            ; =>This Loop Header: Depth=1
                                        ;     Child Loop BB515_144 Depth 2
	s_delay_alu instid0(SALU_CYCLE_1)
	s_max_u32 s25, s21, 1
.LBB515_144:                            ;   Parent Loop BB515_143 Depth=1
                                        ; =>  This Inner Loop Header: Depth=2
	s_delay_alu instid0(SALU_CYCLE_1)
	s_add_i32 s25, s25, -1
	s_sleep 1
	s_cmp_eq_u32 s25, 0
	s_cbranch_scc0 .LBB515_144
; %bb.145:                              ;   in Loop: Header=BB515_143 Depth=1
	global_load_b64 v[6:7], v[8:9], off glc
	s_cmp_lt_u32 s21, 32
	s_cselect_b32 s25, -1, 0
	s_delay_alu instid0(SALU_CYCLE_1) | instskip(SKIP_3) | instid1(VALU_DEP_1)
	s_cmp_lg_u32 s25, 0
	s_addc_u32 s21, s21, 0
	s_waitcnt vmcnt(0)
	v_and_b32_e32 v3, 0xff, v7
	v_cmp_ne_u16_e32 vcc_lo, 0, v3
	s_or_b32 s20, vcc_lo, s20
	s_delay_alu instid0(SALU_CYCLE_1)
	s_and_not1_b32 exec_lo, exec_lo, s20
	s_cbranch_execnz .LBB515_143
; %bb.146:
	s_or_b32 exec_lo, exec_lo, s20
.LBB515_147:
	s_delay_alu instid0(SALU_CYCLE_1)
	s_or_b32 exec_lo, exec_lo, s19
	v_cmp_ne_u32_e32 vcc_lo, 31, v52
	v_lshlrev_b32_e64 v13, v52, -1
	v_add_nc_u32_e32 v30, 2, v52
	v_add_nc_u32_e32 v56, 16, v52
	v_add_co_ci_u32_e32 v3, vcc_lo, 0, v52, vcc_lo
	s_delay_alu instid0(VALU_DEP_1)
	v_lshlrev_b32_e32 v12, 2, v3
	v_and_b32_e32 v3, 0xff, v7
	ds_bpermute_b32 v5, v12, v6
	v_cmp_eq_u16_e32 vcc_lo, 2, v3
	v_and_or_b32 v3, vcc_lo, v13, 0x80000000
	v_cmp_gt_u32_e32 vcc_lo, 30, v52
	s_delay_alu instid0(VALU_DEP_2) | instskip(SKIP_1) | instid1(VALU_DEP_2)
	v_ctz_i32_b32_e32 v3, v3
	v_cndmask_b32_e64 v8, 0, 1, vcc_lo
	v_cmp_lt_u32_e32 vcc_lo, v52, v3
	s_waitcnt lgkmcnt(0)
	s_delay_alu instid0(VALU_DEP_2) | instskip(NEXT) | instid1(VALU_DEP_1)
	v_dual_cndmask_b32 v5, 0, v5 :: v_dual_lshlrev_b32 v8, 1, v8
	v_add_lshl_u32 v29, v8, v52, 2
	v_cmp_gt_u32_e32 vcc_lo, 28, v52
	s_delay_alu instid0(VALU_DEP_3) | instskip(SKIP_4) | instid1(VALU_DEP_1)
	v_add_nc_u32_e32 v5, v5, v6
	v_cndmask_b32_e64 v8, 0, 1, vcc_lo
	v_cmp_le_u32_e32 vcc_lo, v30, v3
	ds_bpermute_b32 v6, v29, v5
	v_lshlrev_b32_e32 v8, 2, v8
	v_add_lshl_u32 v32, v8, v52, 2
	s_waitcnt lgkmcnt(0)
	v_cndmask_b32_e32 v6, 0, v6, vcc_lo
	v_cmp_gt_u32_e32 vcc_lo, 24, v52
	s_delay_alu instid0(VALU_DEP_2) | instskip(SKIP_4) | instid1(VALU_DEP_2)
	v_add_nc_u32_e32 v5, v5, v6
	v_cndmask_b32_e64 v8, 0, 1, vcc_lo
	ds_bpermute_b32 v6, v32, v5
	v_add_nc_u32_e32 v33, 4, v52
	v_lshlrev_b32_e32 v8, 3, v8
	v_cmp_le_u32_e32 vcc_lo, v33, v3
	s_delay_alu instid0(VALU_DEP_2) | instskip(SKIP_3) | instid1(VALU_DEP_2)
	v_add_lshl_u32 v34, v8, v52, 2
	s_waitcnt lgkmcnt(0)
	v_cndmask_b32_e32 v6, 0, v6, vcc_lo
	v_cmp_gt_u32_e32 vcc_lo, 16, v52
	v_add_nc_u32_e32 v5, v5, v6
	v_cndmask_b32_e64 v8, 0, 1, vcc_lo
	ds_bpermute_b32 v6, v34, v5
	v_add_nc_u32_e32 v35, 8, v52
	v_lshlrev_b32_e32 v8, 4, v8
	s_delay_alu instid0(VALU_DEP_2) | instskip(NEXT) | instid1(VALU_DEP_2)
	v_cmp_le_u32_e32 vcc_lo, v35, v3
	v_add_lshl_u32 v55, v8, v52, 2
	s_waitcnt lgkmcnt(0)
	v_cndmask_b32_e32 v6, 0, v6, vcc_lo
	v_cmp_le_u32_e32 vcc_lo, v56, v3
	s_delay_alu instid0(VALU_DEP_2) | instskip(SKIP_3) | instid1(VALU_DEP_1)
	v_add_nc_u32_e32 v5, v5, v6
	ds_bpermute_b32 v6, v55, v5
	s_waitcnt lgkmcnt(0)
	v_cndmask_b32_e32 v3, 0, v6, vcc_lo
	v_dual_mov_b32 v5, 0 :: v_dual_add_nc_u32 v6, v5, v3
	s_branch .LBB515_149
.LBB515_148:                            ;   in Loop: Header=BB515_149 Depth=1
	s_or_b32 exec_lo, exec_lo, s19
	ds_bpermute_b32 v9, v12, v6
	v_and_b32_e32 v8, 0xff, v7
	v_subrev_nc_u32_e32 v4, 32, v4
	s_delay_alu instid0(VALU_DEP_2) | instskip(SKIP_1) | instid1(VALU_DEP_1)
	v_cmp_eq_u16_e32 vcc_lo, 2, v8
	v_and_or_b32 v8, vcc_lo, v13, 0x80000000
	v_ctz_i32_b32_e32 v8, v8
	s_delay_alu instid0(VALU_DEP_1) | instskip(SKIP_3) | instid1(VALU_DEP_2)
	v_cmp_lt_u32_e32 vcc_lo, v52, v8
	s_waitcnt lgkmcnt(0)
	v_cndmask_b32_e32 v9, 0, v9, vcc_lo
	v_cmp_le_u32_e32 vcc_lo, v30, v8
	v_add_nc_u32_e32 v6, v9, v6
	ds_bpermute_b32 v9, v29, v6
	s_waitcnt lgkmcnt(0)
	v_cndmask_b32_e32 v9, 0, v9, vcc_lo
	v_cmp_le_u32_e32 vcc_lo, v33, v8
	s_delay_alu instid0(VALU_DEP_2) | instskip(SKIP_4) | instid1(VALU_DEP_2)
	v_add_nc_u32_e32 v6, v6, v9
	ds_bpermute_b32 v9, v32, v6
	s_waitcnt lgkmcnt(0)
	v_cndmask_b32_e32 v9, 0, v9, vcc_lo
	v_cmp_le_u32_e32 vcc_lo, v35, v8
	v_add_nc_u32_e32 v6, v6, v9
	ds_bpermute_b32 v9, v34, v6
	s_waitcnt lgkmcnt(0)
	v_cndmask_b32_e32 v9, 0, v9, vcc_lo
	v_cmp_le_u32_e32 vcc_lo, v56, v8
	s_delay_alu instid0(VALU_DEP_2) | instskip(SKIP_3) | instid1(VALU_DEP_1)
	v_add_nc_u32_e32 v6, v6, v9
	ds_bpermute_b32 v9, v55, v6
	s_waitcnt lgkmcnt(0)
	v_cndmask_b32_e32 v8, 0, v9, vcc_lo
	v_add3_u32 v6, v8, v3, v6
.LBB515_149:                            ; =>This Loop Header: Depth=1
                                        ;     Child Loop BB515_152 Depth 2
                                        ;       Child Loop BB515_153 Depth 3
	v_and_b32_e32 v3, 0xff, v7
	s_delay_alu instid0(VALU_DEP_1) | instskip(SKIP_2) | instid1(VALU_DEP_1)
	v_cmp_ne_u16_e32 vcc_lo, 2, v3
	v_cndmask_b32_e64 v3, 0, 1, vcc_lo
	;;#ASMSTART
	;;#ASMEND
	v_cmp_ne_u32_e32 vcc_lo, 0, v3
	v_mov_b32_e32 v3, v6
	s_cmp_lg_u32 vcc_lo, exec_lo
	s_cbranch_scc1 .LBB515_156
; %bb.150:                              ;   in Loop: Header=BB515_149 Depth=1
	v_lshlrev_b64 v[6:7], 3, v[4:5]
	s_mov_b32 s19, exec_lo
	s_delay_alu instid0(VALU_DEP_1) | instskip(NEXT) | instid1(VALU_DEP_2)
	v_add_co_u32 v8, vcc_lo, s16, v6
	v_add_co_ci_u32_e32 v9, vcc_lo, s17, v7, vcc_lo
	global_load_b64 v[6:7], v[8:9], off glc
	s_waitcnt vmcnt(0)
	v_and_b32_e32 v57, 0xff, v7
	s_delay_alu instid0(VALU_DEP_1)
	v_cmpx_eq_u16_e32 0, v57
	s_cbranch_execz .LBB515_148
; %bb.151:                              ;   in Loop: Header=BB515_149 Depth=1
	s_mov_b32 s21, 1
	s_mov_b32 s20, 0
	.p2align	6
.LBB515_152:                            ;   Parent Loop BB515_149 Depth=1
                                        ; =>  This Loop Header: Depth=2
                                        ;       Child Loop BB515_153 Depth 3
	s_max_u32 s25, s21, 1
.LBB515_153:                            ;   Parent Loop BB515_149 Depth=1
                                        ;     Parent Loop BB515_152 Depth=2
                                        ; =>    This Inner Loop Header: Depth=3
	s_delay_alu instid0(SALU_CYCLE_1)
	s_add_i32 s25, s25, -1
	s_sleep 1
	s_cmp_eq_u32 s25, 0
	s_cbranch_scc0 .LBB515_153
; %bb.154:                              ;   in Loop: Header=BB515_152 Depth=2
	global_load_b64 v[6:7], v[8:9], off glc
	s_cmp_lt_u32 s21, 32
	s_cselect_b32 s25, -1, 0
	s_delay_alu instid0(SALU_CYCLE_1) | instskip(SKIP_3) | instid1(VALU_DEP_1)
	s_cmp_lg_u32 s25, 0
	s_addc_u32 s21, s21, 0
	s_waitcnt vmcnt(0)
	v_and_b32_e32 v57, 0xff, v7
	v_cmp_ne_u16_e32 vcc_lo, 0, v57
	s_or_b32 s20, vcc_lo, s20
	s_delay_alu instid0(SALU_CYCLE_1)
	s_and_not1_b32 exec_lo, exec_lo, s20
	s_cbranch_execnz .LBB515_152
; %bb.155:                              ;   in Loop: Header=BB515_149 Depth=1
	s_or_b32 exec_lo, exec_lo, s20
	s_branch .LBB515_148
.LBB515_156:                            ;   in Loop: Header=BB515_149 Depth=1
                                        ; implicit-def: $vgpr6
                                        ; implicit-def: $vgpr7
	s_cbranch_execz .LBB515_149
; %bb.157:
	s_and_saveexec_b32 s19, s7
	s_cbranch_execz .LBB515_159
; %bb.158:
	s_add_i32 s20, s24, 32
	s_mov_b32 s21, 0
	v_dual_mov_b32 v5, 2 :: v_dual_add_nc_u32 v4, v3, v2
	s_lshl_b64 s[20:21], s[20:21], 3
	v_mov_b32_e32 v6, 0
	s_add_u32 s20, s16, s20
	s_addc_u32 s21, s17, s21
	global_store_b64 v6, v[4:5], s[20:21]
	ds_store_b64 v6, v[2:3] offset:3072
.LBB515_159:
	s_or_b32 exec_lo, exec_lo, s19
	s_delay_alu instid0(SALU_CYCLE_1)
	s_and_b32 exec_lo, exec_lo, s2
	s_cbranch_execz .LBB515_161
; %bb.160:
	v_mov_b32_e32 v2, 0
	ds_store_b32 v2, v3 offset:12
.LBB515_161:
	s_or_b32 exec_lo, exec_lo, s18
	v_mov_b32_e32 v12, 0
	s_waitcnt lgkmcnt(0)
	s_waitcnt_vscnt null, 0x0
	s_barrier
	buffer_gl0_inv
	v_cndmask_b32_e64 v3, v11, v10, s7
	ds_load_b32 v2, v12 offset:12
	s_waitcnt lgkmcnt(0)
	s_barrier
	buffer_gl0_inv
	v_cndmask_b32_e64 v3, v3, 0, s2
	s_delay_alu instid0(VALU_DEP_1) | instskip(NEXT) | instid1(VALU_DEP_1)
	v_add_nc_u32_e32 v2, v2, v3
	v_add_nc_u32_e32 v3, v2, v42
	ds_load_b64 v[29:30], v12 offset:3072
	v_add_nc_u32_e32 v4, v3, v43
	s_delay_alu instid0(VALU_DEP_1) | instskip(NEXT) | instid1(VALU_DEP_1)
	v_add_nc_u32_e32 v5, v4, v44
	v_add_nc_u32_e32 v6, v5, v45
	s_delay_alu instid0(VALU_DEP_1) | instskip(NEXT) | instid1(VALU_DEP_1)
	v_add_nc_u32_e32 v7, v6, v46
	;; [unrolled: 3-line block ×4, first 2 shown]
	v_add_nc_u32_e32 v12, v11, v50
	s_delay_alu instid0(VALU_DEP_1)
	v_add_nc_u32_e32 v13, v12, v51
	v_lshrrev_b64 v[34:35], 24, v[22:23]
	v_lshrrev_b64 v[32:33], 24, v[1:2]
	s_branch .LBB515_172
.LBB515_162:
                                        ; implicit-def: $vgpr30
                                        ; implicit-def: $vgpr2_vgpr3_vgpr4_vgpr5_vgpr6_vgpr7_vgpr8_vgpr9_vgpr10_vgpr11_vgpr12_vgpr13
                                        ; implicit-def: $vgpr29
	v_lshrrev_b64 v[34:35], 24, v[22:23]
	v_lshrrev_b64 v[32:33], 24, v[1:2]
	s_and_b32 vcc_lo, exec_lo, s7
	s_cbranch_vccz .LBB515_172
; %bb.163:
	v_mov_b32_dpp v1, v54 row_shr:1 row_mask:0xf bank_mask:0xf
	s_delay_alu instid0(VALU_DEP_1) | instskip(NEXT) | instid1(VALU_DEP_1)
	v_cndmask_b32_e64 v1, v1, 0, s6
	v_add_nc_u32_e32 v1, v1, v54
	s_delay_alu instid0(VALU_DEP_1) | instskip(NEXT) | instid1(VALU_DEP_1)
	v_mov_b32_dpp v2, v1 row_shr:2 row_mask:0xf bank_mask:0xf
	v_cndmask_b32_e64 v2, 0, v2, s5
	s_delay_alu instid0(VALU_DEP_1) | instskip(NEXT) | instid1(VALU_DEP_1)
	v_add_nc_u32_e32 v1, v1, v2
	v_mov_b32_dpp v2, v1 row_shr:4 row_mask:0xf bank_mask:0xf
	s_delay_alu instid0(VALU_DEP_1) | instskip(NEXT) | instid1(VALU_DEP_1)
	v_cndmask_b32_e64 v2, 0, v2, s4
	v_add_nc_u32_e32 v1, v1, v2
	s_delay_alu instid0(VALU_DEP_1) | instskip(NEXT) | instid1(VALU_DEP_1)
	v_mov_b32_dpp v2, v1 row_shr:8 row_mask:0xf bank_mask:0xf
	v_cndmask_b32_e64 v2, 0, v2, s3
	s_delay_alu instid0(VALU_DEP_1) | instskip(SKIP_3) | instid1(VALU_DEP_1)
	v_add_nc_u32_e32 v1, v1, v2
	ds_swizzle_b32 v2, v1 offset:swizzle(BROADCAST,32,15)
	s_waitcnt lgkmcnt(0)
	v_cndmask_b32_e64 v2, v2, 0, s1
	v_add_nc_u32_e32 v1, v1, v2
	s_and_saveexec_b32 s1, s0
	s_cbranch_execz .LBB515_165
; %bb.164:
	v_lshlrev_b32_e32 v2, 2, v53
	ds_store_b32 v2, v1
.LBB515_165:
	s_or_b32 exec_lo, exec_lo, s1
	s_delay_alu instid0(SALU_CYCLE_1)
	s_mov_b32 s0, exec_lo
	s_waitcnt lgkmcnt(0)
	s_barrier
	buffer_gl0_inv
	v_cmpx_gt_u32_e32 4, v0
	s_cbranch_execz .LBB515_167
; %bb.166:
	v_and_b32_e32 v4, 3, v52
	s_delay_alu instid0(VALU_DEP_1) | instskip(SKIP_4) | instid1(VALU_DEP_1)
	v_cmp_ne_u32_e32 vcc_lo, 0, v4
	v_lshlrev_b32_e32 v2, 2, v0
	ds_load_b32 v3, v2
	s_waitcnt lgkmcnt(0)
	v_mov_b32_dpp v5, v3 row_shr:1 row_mask:0xf bank_mask:0xf
	v_cndmask_b32_e32 v5, 0, v5, vcc_lo
	v_cmp_lt_u32_e32 vcc_lo, 1, v4
	s_delay_alu instid0(VALU_DEP_2) | instskip(NEXT) | instid1(VALU_DEP_1)
	v_add_nc_u32_e32 v3, v5, v3
	v_mov_b32_dpp v5, v3 row_shr:2 row_mask:0xf bank_mask:0xf
	s_delay_alu instid0(VALU_DEP_1) | instskip(NEXT) | instid1(VALU_DEP_1)
	v_cndmask_b32_e32 v4, 0, v5, vcc_lo
	v_add_nc_u32_e32 v3, v3, v4
	ds_store_b32 v2, v3
.LBB515_167:
	s_or_b32 exec_lo, exec_lo, s0
	v_dual_mov_b32 v3, 0 :: v_dual_mov_b32 v2, 0
	s_mov_b32 s0, exec_lo
	s_waitcnt lgkmcnt(0)
	s_barrier
	buffer_gl0_inv
	v_cmpx_lt_u32_e32 31, v0
	s_cbranch_execz .LBB515_169
; %bb.168:
	v_lshl_add_u32 v2, v53, 2, -4
	ds_load_b32 v2, v2
.LBB515_169:
	s_or_b32 exec_lo, exec_lo, s0
	v_add_nc_u32_e32 v4, -1, v52
	ds_load_b32 v29, v3 offset:12
	s_waitcnt lgkmcnt(1)
	v_add_nc_u32_e32 v1, v2, v1
	v_cmp_gt_i32_e32 vcc_lo, 0, v4
	v_cndmask_b32_e32 v4, v4, v52, vcc_lo
	s_delay_alu instid0(VALU_DEP_1)
	v_lshlrev_b32_e32 v4, 2, v4
	ds_bpermute_b32 v1, v4, v1
	s_and_saveexec_b32 s0, s2
	s_cbranch_execz .LBB515_171
; %bb.170:
	v_dual_mov_b32 v3, 0 :: v_dual_mov_b32 v30, 2
	s_waitcnt lgkmcnt(1)
	global_store_b64 v3, v[29:30], s[16:17] offset:256
.LBB515_171:
	s_or_b32 exec_lo, exec_lo, s0
	v_cmp_eq_u32_e32 vcc_lo, 0, v52
	s_waitcnt lgkmcnt(0)
	s_waitcnt_vscnt null, 0x0
	s_barrier
	buffer_gl0_inv
	v_dual_mov_b32 v30, 0 :: v_dual_cndmask_b32 v1, v1, v2
	s_delay_alu instid0(VALU_DEP_1) | instskip(NEXT) | instid1(VALU_DEP_1)
	v_cndmask_b32_e64 v2, v1, 0, s2
	v_add_nc_u32_e32 v3, v2, v42
	s_delay_alu instid0(VALU_DEP_1) | instskip(NEXT) | instid1(VALU_DEP_1)
	v_add_nc_u32_e32 v4, v3, v43
	v_add_nc_u32_e32 v5, v4, v44
	s_delay_alu instid0(VALU_DEP_1) | instskip(NEXT) | instid1(VALU_DEP_1)
	v_add_nc_u32_e32 v6, v5, v45
	;; [unrolled: 3-line block ×5, first 2 shown]
	v_add_nc_u32_e32 v13, v12, v51
.LBB515_172:
	s_waitcnt lgkmcnt(0)
	v_add_nc_u32_e32 v46, v30, v29
	v_cmp_gt_u32_e64 s0, 0x81, v29
	v_lshrrev_b32_e32 v33, 16, v41
	v_lshrrev_b32_e32 v44, 16, v22
	;; [unrolled: 1-line block ×6, first 2 shown]
	v_cmp_lt_u32_e64 s1, v2, v46
	s_and_b32 vcc_lo, exec_lo, s0
	s_mov_b32 s3, -1
	s_cbranch_vccz .LBB515_210
; %bb.173:
	s_lshl_b64 s[4:5], s[10:11], 1
	s_delay_alu instid0(SALU_CYCLE_1) | instskip(SKIP_2) | instid1(SALU_CYCLE_1)
	s_add_u32 s3, s12, s4
	s_addc_u32 s4, s13, s5
	s_or_b32 s5, s23, s1
	s_and_saveexec_b32 s1, s5
	s_cbranch_execz .LBB515_176
; %bb.174:
	v_and_b32_e32 v1, 1, v22
	s_delay_alu instid0(VALU_DEP_1)
	v_cmp_eq_u32_e32 vcc_lo, 1, v1
	s_and_b32 exec_lo, exec_lo, vcc_lo
	s_cbranch_execz .LBB515_176
; %bb.175:
	v_dual_mov_b32 v48, 0 :: v_dual_mov_b32 v47, v2
	s_delay_alu instid0(VALU_DEP_1) | instskip(NEXT) | instid1(VALU_DEP_1)
	v_lshlrev_b64 v[47:48], 1, v[47:48]
	v_add_co_u32 v47, vcc_lo, s3, v47
	s_delay_alu instid0(VALU_DEP_2)
	v_add_co_ci_u32_e32 v48, vcc_lo, s4, v48, vcc_lo
	global_store_b16 v[47:48], v18, off
.LBB515_176:
	s_or_b32 exec_lo, exec_lo, s1
	v_cmp_lt_u32_e32 vcc_lo, v3, v46
	s_or_b32 s5, s23, vcc_lo
	s_delay_alu instid0(SALU_CYCLE_1)
	s_and_saveexec_b32 s1, s5
	s_cbranch_execz .LBB515_179
; %bb.177:
	v_and_b32_e32 v1, 1, v45
	s_delay_alu instid0(VALU_DEP_1)
	v_cmp_eq_u32_e32 vcc_lo, 1, v1
	s_and_b32 exec_lo, exec_lo, vcc_lo
	s_cbranch_execz .LBB515_179
; %bb.178:
	v_dual_mov_b32 v48, 0 :: v_dual_mov_b32 v47, v3
	s_delay_alu instid0(VALU_DEP_1) | instskip(NEXT) | instid1(VALU_DEP_1)
	v_lshlrev_b64 v[47:48], 1, v[47:48]
	v_add_co_u32 v47, vcc_lo, s3, v47
	s_delay_alu instid0(VALU_DEP_2)
	v_add_co_ci_u32_e32 v48, vcc_lo, s4, v48, vcc_lo
	global_store_b16 v[47:48], v40, off
.LBB515_179:
	s_or_b32 exec_lo, exec_lo, s1
	v_cmp_lt_u32_e32 vcc_lo, v4, v46
	s_or_b32 s5, s23, vcc_lo
	s_delay_alu instid0(SALU_CYCLE_1)
	;; [unrolled: 21-line block ×11, first 2 shown]
	s_and_saveexec_b32 s1, s5
	s_cbranch_execz .LBB515_209
; %bb.207:
	v_and_b32_e32 v1, 1, v32
	s_delay_alu instid0(VALU_DEP_1)
	v_cmp_eq_u32_e32 vcc_lo, 1, v1
	s_and_b32 exec_lo, exec_lo, vcc_lo
	s_cbranch_execz .LBB515_209
; %bb.208:
	v_dual_mov_b32 v48, 0 :: v_dual_mov_b32 v47, v13
	s_delay_alu instid0(VALU_DEP_1) | instskip(NEXT) | instid1(VALU_DEP_1)
	v_lshlrev_b64 v[47:48], 1, v[47:48]
	v_add_co_u32 v47, vcc_lo, s3, v47
	s_delay_alu instid0(VALU_DEP_2)
	v_add_co_ci_u32_e32 v48, vcc_lo, s4, v48, vcc_lo
	global_store_b16 v[47:48], v31, off
.LBB515_209:
	s_or_b32 exec_lo, exec_lo, s1
	s_mov_b32 s3, 0
.LBB515_210:
	v_and_b32_e32 v22, 1, v22
	s_and_b32 vcc_lo, exec_lo, s3
	s_delay_alu instid0(VALU_DEP_1)
	v_cmp_eq_u32_e64 s1, 1, v22
	s_cbranch_vccz .LBB515_251
; %bb.211:
	s_delay_alu instid0(VALU_DEP_1)
	s_and_saveexec_b32 s3, s1
	s_cbranch_execz .LBB515_213
; %bb.212:
	v_sub_nc_u32_e32 v1, v2, v30
	s_delay_alu instid0(VALU_DEP_1)
	v_lshlrev_b32_e32 v1, 1, v1
	ds_store_b16 v1, v18
.LBB515_213:
	s_or_b32 exec_lo, exec_lo, s3
	v_and_b32_e32 v1, 1, v45
	s_mov_b32 s1, exec_lo
	s_delay_alu instid0(VALU_DEP_1)
	v_cmpx_eq_u32_e32 1, v1
	s_cbranch_execz .LBB515_215
; %bb.214:
	v_sub_nc_u32_e32 v1, v3, v30
	s_delay_alu instid0(VALU_DEP_1)
	v_lshlrev_b32_e32 v1, 1, v1
	ds_store_b16 v1, v40
.LBB515_215:
	s_or_b32 exec_lo, exec_lo, s1
	v_and_b32_e32 v1, 1, v44
	s_mov_b32 s1, exec_lo
	s_delay_alu instid0(VALU_DEP_1)
	v_cmpx_eq_u32_e32 1, v1
	s_cbranch_execz .LBB515_217
; %bb.216:
	v_sub_nc_u32_e32 v1, v4, v30
	s_delay_alu instid0(VALU_DEP_1)
	v_lshlrev_b32_e32 v1, 1, v1
	ds_store_b16 v1, v19
.LBB515_217:
	s_or_b32 exec_lo, exec_lo, s1
	v_and_b32_e32 v1, 1, v34
	s_mov_b32 s1, exec_lo
	s_delay_alu instid0(VALU_DEP_1)
	v_cmpx_eq_u32_e32 1, v1
	s_cbranch_execz .LBB515_219
; %bb.218:
	v_sub_nc_u32_e32 v1, v5, v30
	s_delay_alu instid0(VALU_DEP_1)
	v_lshlrev_b32_e32 v1, 1, v1
	ds_store_b16 v1, v39
.LBB515_219:
	s_or_b32 exec_lo, exec_lo, s1
	v_and_b32_e32 v1, 1, v23
	s_mov_b32 s1, exec_lo
	s_delay_alu instid0(VALU_DEP_1)
	v_cmpx_eq_u32_e32 1, v1
	s_cbranch_execz .LBB515_221
; %bb.220:
	v_sub_nc_u32_e32 v1, v6, v30
	s_delay_alu instid0(VALU_DEP_1)
	v_lshlrev_b32_e32 v1, 1, v1
	ds_store_b16 v1, v20
.LBB515_221:
	s_or_b32 exec_lo, exec_lo, s1
	v_and_b32_e32 v1, 1, v43
	s_mov_b32 s1, exec_lo
	s_delay_alu instid0(VALU_DEP_1)
	v_cmpx_eq_u32_e32 1, v1
	s_cbranch_execz .LBB515_223
; %bb.222:
	v_sub_nc_u32_e32 v1, v7, v30
	s_delay_alu instid0(VALU_DEP_1)
	v_lshlrev_b32_e32 v1, 1, v1
	ds_store_b16 v1, v38
.LBB515_223:
	s_or_b32 exec_lo, exec_lo, s1
	v_and_b32_e32 v1, 1, v42
	s_mov_b32 s1, exec_lo
	s_delay_alu instid0(VALU_DEP_1)
	v_cmpx_eq_u32_e32 1, v1
	s_cbranch_execz .LBB515_225
; %bb.224:
	v_sub_nc_u32_e32 v1, v8, v30
	s_delay_alu instid0(VALU_DEP_1)
	v_lshlrev_b32_e32 v1, 1, v1
	ds_store_b16 v1, v21
.LBB515_225:
	s_or_b32 exec_lo, exec_lo, s1
	v_and_b32_e32 v1, 1, v24
	s_mov_b32 s1, exec_lo
	s_delay_alu instid0(VALU_DEP_1)
	v_cmpx_eq_u32_e32 1, v1
	s_cbranch_execz .LBB515_227
; %bb.226:
	v_sub_nc_u32_e32 v1, v9, v30
	s_delay_alu instid0(VALU_DEP_1)
	v_lshlrev_b32_e32 v1, 1, v1
	ds_store_b16 v1, v37
.LBB515_227:
	s_or_b32 exec_lo, exec_lo, s1
	v_and_b32_e32 v1, 1, v41
	s_mov_b32 s1, exec_lo
	s_delay_alu instid0(VALU_DEP_1)
	v_cmpx_eq_u32_e32 1, v1
	s_cbranch_execz .LBB515_229
; %bb.228:
	v_sub_nc_u32_e32 v1, v10, v30
	s_delay_alu instid0(VALU_DEP_1)
	v_lshlrev_b32_e32 v1, 1, v1
	ds_store_b16 v1, v27
.LBB515_229:
	s_or_b32 exec_lo, exec_lo, s1
	v_and_b32_e32 v1, 1, v35
	s_mov_b32 s1, exec_lo
	s_delay_alu instid0(VALU_DEP_1)
	v_cmpx_eq_u32_e32 1, v1
	s_cbranch_execz .LBB515_231
; %bb.230:
	v_sub_nc_u32_e32 v1, v11, v30
	s_delay_alu instid0(VALU_DEP_1)
	v_lshlrev_b32_e32 v1, 1, v1
	ds_store_b16 v1, v36
.LBB515_231:
	s_or_b32 exec_lo, exec_lo, s1
	v_and_b32_e32 v1, 1, v33
	s_mov_b32 s1, exec_lo
	s_delay_alu instid0(VALU_DEP_1)
	v_cmpx_eq_u32_e32 1, v1
	s_cbranch_execz .LBB515_233
; %bb.232:
	v_sub_nc_u32_e32 v1, v12, v30
	s_delay_alu instid0(VALU_DEP_1)
	v_lshlrev_b32_e32 v1, 1, v1
	ds_store_b16 v1, v28
.LBB515_233:
	s_or_b32 exec_lo, exec_lo, s1
	v_and_b32_e32 v1, 1, v32
	s_mov_b32 s1, exec_lo
	s_delay_alu instid0(VALU_DEP_1)
	v_cmpx_eq_u32_e32 1, v1
	s_cbranch_execz .LBB515_235
; %bb.234:
	v_sub_nc_u32_e32 v1, v13, v30
	s_delay_alu instid0(VALU_DEP_1)
	v_lshlrev_b32_e32 v1, 1, v1
	ds_store_b16 v1, v31
.LBB515_235:
	s_or_b32 exec_lo, exec_lo, s1
	s_delay_alu instid0(SALU_CYCLE_1)
	s_mov_b32 s4, exec_lo
	s_waitcnt lgkmcnt(0)
	s_waitcnt_vscnt null, 0x0
	s_barrier
	buffer_gl0_inv
	v_cmpx_lt_u32_e64 v0, v29
	s_cbranch_execz .LBB515_250
; %bb.236:
	v_mov_b32_e32 v31, 0
	s_lshl_b64 s[6:7], s[10:11], 1
	v_xad_u32 v1, v0, -1, v29
	s_add_u32 s3, s12, s6
	s_addc_u32 s5, s13, s7
	v_lshlrev_b64 v[18:19], 1, v[30:31]
	s_delay_alu instid0(VALU_DEP_2) | instskip(NEXT) | instid1(VALU_DEP_2)
	v_cmp_gt_u32_e32 vcc_lo, 0xc80, v1
	v_add_co_u32 v27, s3, s3, v18
	v_mov_b32_e32 v18, v0
	s_delay_alu instid0(VALU_DEP_4)
	v_add_co_ci_u32_e64 v28, s3, s5, v19, s3
	s_mov_b32 s3, -1
	s_mov_b32 s5, exec_lo
	v_cmpx_lt_u32_e32 0xc7f, v1
	s_cbranch_execz .LBB515_247
; %bb.237:
	v_sub_nc_u32_e32 v18, v0, v29
	s_delay_alu instid0(VALU_DEP_1) | instskip(NEXT) | instid1(VALU_DEP_1)
	v_or_b32_e32 v18, 0x7f, v18
	v_cmp_ge_u32_e64 s1, v18, v0
	v_mov_b32_e32 v18, v0
	s_delay_alu instid0(VALU_DEP_2)
	s_and_saveexec_b32 s6, s1
	s_cbranch_execz .LBB515_246
; %bb.238:
	v_lshrrev_b32_e32 v31, 7, v1
	v_or_b32_e32 v1, 0x80, v0
	s_delay_alu instid0(VALU_DEP_2) | instskip(NEXT) | instid1(VALU_DEP_1)
	v_dual_mov_b32 v39, 0 :: v_dual_add_nc_u32 v18, -1, v31
	v_lshrrev_b32_e32 v19, 1, v18
	v_cmp_lt_u32_e64 s1, 13, v18
	s_delay_alu instid0(VALU_DEP_2) | instskip(SKIP_1) | instid1(VALU_DEP_3)
	v_dual_mov_b32 v19, v1 :: v_dual_add_nc_u32 v36, 1, v19
	v_mov_b32_e32 v18, v0
	s_and_saveexec_b32 s3, s1
	s_cbranch_execz .LBB515_242
; %bb.239:
	v_mov_b32_e32 v19, v1
	v_dual_mov_b32 v18, v0 :: v_dual_and_b32 v37, -8, v36
	v_dual_mov_b32 v21, 0 :: v_dual_lshlrev_b32 v38, 1, v0
	s_mov_b32 s7, 0
	s_mov_b32 s12, 0
.LBB515_240:                            ; =>This Inner Loop Header: Depth=1
	s_delay_alu instid0(VALU_DEP_2) | instskip(NEXT) | instid1(VALU_DEP_2)
	v_dual_mov_b32 v20, v18 :: v_dual_add_nc_u32 v47, 0x100, v19
	v_dual_mov_b32 v60, v21 :: v_dual_add_nc_u32 v37, -8, v37
	v_dual_mov_b32 v48, v21 :: v_dual_add_nc_u32 v49, 0x200, v19
	s_delay_alu instid0(VALU_DEP_3) | instskip(SKIP_1) | instid1(VALU_DEP_4)
	v_lshlrev_b64 v[61:62], 1, v[20:21]
	v_dual_mov_b32 v50, v21 :: v_dual_add_nc_u32 v51, 0x300, v19
	v_cmp_eq_u32_e64 s1, 0, v37
	s_delay_alu instid0(VALU_DEP_4)
	v_lshlrev_b64 v[47:48], 1, v[47:48]
	v_dual_mov_b32 v52, v21 :: v_dual_add_nc_u32 v53, 0x400, v19
	s_add_i32 s12, s12, 16
	v_lshlrev_b64 v[49:50], 1, v[49:50]
	s_or_b32 s7, s1, s7
	v_add_co_u32 v61, s1, v27, v61
	v_dual_mov_b32 v54, v21 :: v_dual_add_nc_u32 v55, 0x500, v19
	v_add_co_ci_u32_e64 v62, s1, v28, v62, s1
	v_lshlrev_b64 v[51:52], 1, v[51:52]
	v_add_co_u32 v47, s1, v27, v47
	v_dual_mov_b32 v56, v21 :: v_dual_add_nc_u32 v57, 0x600, v19
	v_add_co_ci_u32_e64 v48, s1, v28, v48, s1
	v_lshlrev_b64 v[53:54], 1, v[53:54]
	v_add_co_u32 v49, s1, v27, v49
	v_dual_mov_b32 v58, v21 :: v_dual_add_nc_u32 v59, 0x700, v19
	v_add_co_ci_u32_e64 v50, s1, v28, v50, s1
	v_lshlrev_b64 v[55:56], 1, v[55:56]
	v_add_co_u32 v51, s1, v27, v51
	v_dual_mov_b32 v20, v19 :: v_dual_add_nc_u32 v19, 0x800, v19
	v_add_co_ci_u32_e64 v52, s1, v28, v52, s1
	v_lshlrev_b64 v[57:58], 1, v[57:58]
	v_add_co_u32 v53, s1, v27, v53
	ds_load_u16 v1, v38
	ds_load_u16 v40, v38 offset:256
	ds_load_u16 v67, v38 offset:512
	;; [unrolled: 1-line block ×7, first 2 shown]
	v_add_co_ci_u32_e64 v54, s1, v28, v54, s1
	v_lshlrev_b64 v[59:60], 1, v[59:60]
	v_add_co_u32 v55, s1, v27, v55
	v_lshlrev_b64 v[63:64], 1, v[20:21]
	v_add_nc_u32_e32 v20, 0x100, v18
	v_add_co_ci_u32_e64 v56, s1, v28, v56, s1
	v_add_co_u32 v57, s1, v27, v57
	s_delay_alu instid0(VALU_DEP_1)
	v_add_co_ci_u32_e64 v58, s1, v28, v58, s1
	v_add_co_u32 v59, s1, v27, v59
	v_lshlrev_b64 v[65:66], 1, v[20:21]
	v_add_nc_u32_e32 v20, 0x200, v18
	v_add_co_ci_u32_e64 v60, s1, v28, v60, s1
	v_add_co_u32 v63, s1, v27, v63
	ds_load_u16 v73, v38 offset:2048
	ds_load_u16 v74, v38 offset:2304
	;; [unrolled: 1-line block ×8, first 2 shown]
	v_add_co_ci_u32_e64 v64, s1, v28, v64, s1
	s_waitcnt lgkmcnt(15)
	global_store_b16 v[61:62], v1, off
	v_lshlrev_b64 v[61:62], 1, v[20:21]
	v_add_nc_u32_e32 v20, 0x300, v18
	v_add_co_u32 v65, s1, v27, v65
	s_delay_alu instid0(VALU_DEP_1)
	v_add_co_ci_u32_e64 v66, s1, v28, v66, s1
	s_waitcnt lgkmcnt(14)
	global_store_b16 v[63:64], v40, off
	v_lshlrev_b64 v[63:64], 1, v[20:21]
	v_add_nc_u32_e32 v20, 0x400, v18
	s_waitcnt lgkmcnt(13)
	global_store_b16 v[65:66], v67, off
	s_waitcnt lgkmcnt(12)
	global_store_b16 v[47:48], v68, off
	v_add_co_u32 v47, s1, v27, v61
	s_delay_alu instid0(VALU_DEP_1) | instskip(SKIP_3) | instid1(VALU_DEP_1)
	v_add_co_ci_u32_e64 v48, s1, v28, v62, s1
	v_lshlrev_b64 v[61:62], 1, v[20:21]
	v_add_nc_u32_e32 v20, 0x500, v18
	v_add_co_u32 v63, s1, v27, v63
	v_add_co_ci_u32_e64 v64, s1, v28, v64, s1
	s_waitcnt lgkmcnt(11)
	global_store_b16 v[47:48], v69, off
	s_waitcnt lgkmcnt(10)
	global_store_b16 v[49:50], v70, off
	v_lshlrev_b64 v[47:48], 1, v[20:21]
	v_add_nc_u32_e32 v20, 0x600, v18
	v_add_co_u32 v49, s1, v27, v61
	s_waitcnt lgkmcnt(9)
	global_store_b16 v[63:64], v71, off
	s_waitcnt lgkmcnt(8)
	global_store_b16 v[51:52], v72, off
	v_add_co_ci_u32_e64 v50, s1, v28, v62, s1
	v_lshlrev_b64 v[51:52], 1, v[20:21]
	v_add_nc_u32_e32 v20, 0x700, v18
	v_add_co_u32 v47, s1, v27, v47
	s_delay_alu instid0(VALU_DEP_1)
	v_add_co_ci_u32_e64 v48, s1, v28, v48, s1
	s_waitcnt lgkmcnt(7)
	global_store_b16 v[49:50], v73, off
	s_waitcnt lgkmcnt(6)
	global_store_b16 v[53:54], v74, off
	v_lshlrev_b64 v[49:50], 1, v[20:21]
	v_dual_mov_b32 v39, s12 :: v_dual_add_nc_u32 v38, 0x1000, v38
	s_waitcnt lgkmcnt(5)
	global_store_b16 v[47:48], v75, off
	v_add_co_u32 v47, s1, v27, v51
	v_add_nc_u32_e32 v18, 0x800, v18
	v_add_co_ci_u32_e64 v48, s1, v28, v52, s1
	v_add_co_u32 v49, s1, v27, v49
	s_delay_alu instid0(VALU_DEP_1)
	v_add_co_ci_u32_e64 v50, s1, v28, v50, s1
	s_waitcnt lgkmcnt(4)
	global_store_b16 v[55:56], v76, off
	s_waitcnt lgkmcnt(3)
	global_store_b16 v[47:48], v77, off
	;; [unrolled: 2-line block ×5, first 2 shown]
	s_and_not1_b32 exec_lo, exec_lo, s7
	s_cbranch_execnz .LBB515_240
; %bb.241:
	s_or_b32 exec_lo, exec_lo, s7
.LBB515_242:
	s_delay_alu instid0(SALU_CYCLE_1) | instskip(SKIP_3) | instid1(VALU_DEP_1)
	s_or_b32 exec_lo, exec_lo, s3
	v_and_b32_e32 v1, 7, v36
	s_mov_b32 s12, 0
	s_mov_b32 s7, exec_lo
	v_cmpx_ne_u32_e32 0, v1
	s_cbranch_execz .LBB515_245
; %bb.243:
	v_dual_mov_b32 v21, 0 :: v_dual_lshlrev_b32 v20, 1, v0
	s_delay_alu instid0(VALU_DEP_1)
	v_lshl_or_b32 v36, v39, 8, v20
	s_set_inst_prefetch_distance 0x1
	.p2align	6
.LBB515_244:                            ; =>This Inner Loop Header: Depth=1
	v_dual_mov_b32 v20, v18 :: v_dual_add_nc_u32 v1, -1, v1
	ds_load_u16 v47, v36
	ds_load_u16 v48, v36 offset:256
	v_add_nc_u32_e32 v18, 0x100, v18
	v_add_nc_u32_e32 v36, 0x200, v36
	v_lshlrev_b64 v[37:38], 1, v[20:21]
	v_dual_mov_b32 v20, v19 :: v_dual_add_nc_u32 v19, 0x100, v19
	v_cmp_eq_u32_e64 s1, 0, v1
	s_delay_alu instid0(VALU_DEP_2) | instskip(NEXT) | instid1(VALU_DEP_4)
	v_lshlrev_b64 v[39:40], 1, v[20:21]
	v_add_co_u32 v37, s3, v27, v37
	s_delay_alu instid0(VALU_DEP_1) | instskip(NEXT) | instid1(VALU_DEP_4)
	v_add_co_ci_u32_e64 v38, s3, v28, v38, s3
	s_or_b32 s12, s1, s12
	s_delay_alu instid0(VALU_DEP_3) | instskip(NEXT) | instid1(VALU_DEP_1)
	v_add_co_u32 v39, s3, v27, v39
	v_add_co_ci_u32_e64 v40, s3, v28, v40, s3
	s_waitcnt lgkmcnt(1)
	global_store_b16 v[37:38], v47, off
	s_waitcnt lgkmcnt(0)
	global_store_b16 v[39:40], v48, off
	s_and_not1_b32 exec_lo, exec_lo, s12
	s_cbranch_execnz .LBB515_244
.LBB515_245:
	s_set_inst_prefetch_distance 0x2
	s_or_b32 exec_lo, exec_lo, s7
	v_add_nc_u32_e32 v1, 1, v31
	s_delay_alu instid0(VALU_DEP_1) | instskip(NEXT) | instid1(VALU_DEP_1)
	v_and_b32_e32 v18, 0x3fffffe, v1
	v_cmp_ne_u32_e64 s1, v1, v18
	v_lshl_or_b32 v18, v18, 7, v0
	s_delay_alu instid0(VALU_DEP_2)
	s_or_not1_b32 s3, s1, exec_lo
.LBB515_246:
	s_or_b32 exec_lo, exec_lo, s6
	s_delay_alu instid0(SALU_CYCLE_1) | instskip(SKIP_1) | instid1(SALU_CYCLE_1)
	s_and_not1_b32 s1, vcc_lo, exec_lo
	s_and_b32 s3, s3, exec_lo
	s_or_b32 vcc_lo, s1, s3
.LBB515_247:
	s_or_b32 exec_lo, exec_lo, s5
	s_delay_alu instid0(SALU_CYCLE_1)
	s_and_b32 exec_lo, exec_lo, vcc_lo
	s_cbranch_execz .LBB515_250
; %bb.248:
	v_lshlrev_b32_e32 v1, 1, v18
	v_mov_b32_e32 v19, 0
	s_mov_b32 s3, 0
	.p2align	6
.LBB515_249:                            ; =>This Inner Loop Header: Depth=1
	ds_load_u16 v31, v1
	v_lshlrev_b64 v[20:21], 1, v[18:19]
	v_add_nc_u32_e32 v18, 0x80, v18
	v_add_nc_u32_e32 v1, 0x100, v1
	s_delay_alu instid0(VALU_DEP_2) | instskip(NEXT) | instid1(VALU_DEP_4)
	v_cmp_ge_u32_e32 vcc_lo, v18, v29
	v_add_co_u32 v20, s1, v27, v20
	s_delay_alu instid0(VALU_DEP_1)
	v_add_co_ci_u32_e64 v21, s1, v28, v21, s1
	s_or_b32 s3, vcc_lo, s3
	s_waitcnt lgkmcnt(0)
	global_store_b16 v[20:21], v31, off
	s_and_not1_b32 exec_lo, exec_lo, s3
	s_cbranch_execnz .LBB515_249
.LBB515_250:
	s_or_b32 exec_lo, exec_lo, s4
.LBB515_251:
	v_lshrrev_b32_e32 v27, 16, v14
	v_lshrrev_b32_e32 v21, 16, v15
	;; [unrolled: 1-line block ×6, first 2 shown]
	s_and_b32 vcc_lo, exec_lo, s0
	s_mov_b32 s0, -1
	s_waitcnt_vscnt null, 0x0
	s_barrier
	buffer_gl0_inv
	s_cbranch_vccnz .LBB515_255
; %bb.252:
	s_and_b32 vcc_lo, exec_lo, s0
	s_cbranch_vccnz .LBB515_292
.LBB515_253:
	s_and_b32 s0, s2, s22
	s_delay_alu instid0(SALU_CYCLE_1)
	s_and_saveexec_b32 s1, s0
	s_cbranch_execnz .LBB515_332
.LBB515_254:
	s_nop 0
	s_sendmsg sendmsg(MSG_DEALLOC_VGPRS)
	s_endpgm
.LBB515_255:
	v_cmp_lt_u32_e32 vcc_lo, v2, v46
	s_lshl_b64 s[0:1], s[10:11], 1
	s_delay_alu instid0(SALU_CYCLE_1) | instskip(SKIP_2) | instid1(SALU_CYCLE_1)
	s_add_u32 s0, s14, s0
	s_addc_u32 s1, s15, s1
	s_or_b32 s4, s23, vcc_lo
	s_and_saveexec_b32 s3, s4
	s_cbranch_execz .LBB515_258
; %bb.256:
	v_cmp_eq_u32_e32 vcc_lo, 1, v22
	s_and_b32 exec_lo, exec_lo, vcc_lo
	s_cbranch_execz .LBB515_258
; %bb.257:
	v_dual_mov_b32 v37, 0 :: v_dual_mov_b32 v36, v2
	s_delay_alu instid0(VALU_DEP_1) | instskip(NEXT) | instid1(VALU_DEP_1)
	v_lshlrev_b64 v[36:37], 1, v[36:37]
	v_add_co_u32 v36, vcc_lo, s0, v36
	s_delay_alu instid0(VALU_DEP_2)
	v_add_co_ci_u32_e32 v37, vcc_lo, s1, v37, vcc_lo
	global_store_b16 v[36:37], v14, off
.LBB515_258:
	s_or_b32 exec_lo, exec_lo, s3
	v_cmp_lt_u32_e32 vcc_lo, v3, v46
	s_or_b32 s4, s23, vcc_lo
	s_delay_alu instid0(SALU_CYCLE_1)
	s_and_saveexec_b32 s3, s4
	s_cbranch_execz .LBB515_261
; %bb.259:
	v_and_b32_e32 v28, 1, v45
	s_delay_alu instid0(VALU_DEP_1)
	v_cmp_eq_u32_e32 vcc_lo, 1, v28
	s_and_b32 exec_lo, exec_lo, vcc_lo
	s_cbranch_execz .LBB515_261
; %bb.260:
	v_dual_mov_b32 v37, 0 :: v_dual_mov_b32 v36, v3
	s_delay_alu instid0(VALU_DEP_1) | instskip(NEXT) | instid1(VALU_DEP_1)
	v_lshlrev_b64 v[36:37], 1, v[36:37]
	v_add_co_u32 v36, vcc_lo, s0, v36
	s_delay_alu instid0(VALU_DEP_2)
	v_add_co_ci_u32_e32 v37, vcc_lo, s1, v37, vcc_lo
	global_store_b16 v[36:37], v27, off
.LBB515_261:
	s_or_b32 exec_lo, exec_lo, s3
	v_cmp_lt_u32_e32 vcc_lo, v4, v46
	s_or_b32 s4, s23, vcc_lo
	s_delay_alu instid0(SALU_CYCLE_1)
	s_and_saveexec_b32 s3, s4
	s_cbranch_execz .LBB515_264
; %bb.262:
	v_and_b32_e32 v28, 1, v44
	s_delay_alu instid0(VALU_DEP_1)
	v_cmp_eq_u32_e32 vcc_lo, 1, v28
	s_and_b32 exec_lo, exec_lo, vcc_lo
	s_cbranch_execz .LBB515_264
; %bb.263:
	v_dual_mov_b32 v37, 0 :: v_dual_mov_b32 v36, v4
	s_delay_alu instid0(VALU_DEP_1) | instskip(NEXT) | instid1(VALU_DEP_1)
	v_lshlrev_b64 v[36:37], 1, v[36:37]
	v_add_co_u32 v36, vcc_lo, s0, v36
	s_delay_alu instid0(VALU_DEP_2)
	v_add_co_ci_u32_e32 v37, vcc_lo, s1, v37, vcc_lo
	global_store_b16 v[36:37], v15, off
.LBB515_264:
	;; [unrolled: 21-line block ×11, first 2 shown]
	s_or_b32 exec_lo, exec_lo, s3
	s_branch .LBB515_253
.LBB515_292:
	s_mov_b32 s0, exec_lo
	v_cmpx_eq_u32_e32 1, v22
	s_cbranch_execz .LBB515_294
; %bb.293:
	v_sub_nc_u32_e32 v2, v2, v30
	s_delay_alu instid0(VALU_DEP_1)
	v_lshlrev_b32_e32 v2, 1, v2
	ds_store_b16 v2, v14
.LBB515_294:
	s_or_b32 exec_lo, exec_lo, s0
	v_and_b32_e32 v2, 1, v45
	s_mov_b32 s0, exec_lo
	s_delay_alu instid0(VALU_DEP_1)
	v_cmpx_eq_u32_e32 1, v2
	s_cbranch_execz .LBB515_296
; %bb.295:
	v_sub_nc_u32_e32 v2, v3, v30
	s_delay_alu instid0(VALU_DEP_1)
	v_lshlrev_b32_e32 v2, 1, v2
	ds_store_b16 v2, v27
.LBB515_296:
	s_or_b32 exec_lo, exec_lo, s0
	v_and_b32_e32 v2, 1, v44
	s_mov_b32 s0, exec_lo
	s_delay_alu instid0(VALU_DEP_1)
	;; [unrolled: 12-line block ×11, first 2 shown]
	v_cmpx_eq_u32_e32 1, v2
	s_cbranch_execz .LBB515_316
; %bb.315:
	v_sub_nc_u32_e32 v2, v13, v30
	s_delay_alu instid0(VALU_DEP_1)
	v_lshlrev_b32_e32 v2, 1, v2
	ds_store_b16 v2, v1
.LBB515_316:
	s_or_b32 exec_lo, exec_lo, s0
	s_delay_alu instid0(SALU_CYCLE_1)
	s_mov_b32 s3, exec_lo
	s_waitcnt lgkmcnt(0)
	s_waitcnt_vscnt null, 0x0
	s_barrier
	buffer_gl0_inv
	v_cmpx_lt_u32_e64 v0, v29
	s_cbranch_execz .LBB515_331
; %bb.317:
	v_mov_b32_e32 v31, 0
	s_lshl_b64 s[0:1], s[10:11], 1
	v_xad_u32 v1, v0, -1, v29
	s_add_u32 s0, s14, s0
	s_addc_u32 s1, s15, s1
	v_lshlrev_b64 v[2:3], 1, v[30:31]
	s_mov_b32 s4, exec_lo
	v_cmp_gt_u32_e32 vcc_lo, 0xc80, v1
	s_delay_alu instid0(VALU_DEP_2) | instskip(NEXT) | instid1(VALU_DEP_1)
	v_add_co_u32 v6, s0, s0, v2
	v_add_co_ci_u32_e64 v7, s0, s1, v3, s0
	s_mov_b32 s1, -1
	v_cmpx_lt_u32_e32 0xc7f, v1
	s_cbranch_execz .LBB515_328
; %bb.318:
	v_sub_nc_u32_e32 v2, v0, v29
	s_mov_b32 s5, exec_lo
	s_delay_alu instid0(VALU_DEP_1) | instskip(NEXT) | instid1(VALU_DEP_1)
	v_or_b32_e32 v2, 0x7f, v2
	v_cmpx_ge_u32_e64 v2, v0
	s_cbranch_execz .LBB515_327
; %bb.319:
	v_lshrrev_b32_e32 v8, 7, v1
	v_or_b32_e32 v1, 0x80, v0
	v_lshlrev_b32_e32 v9, 1, v0
	s_delay_alu instid0(VALU_DEP_3) | instskip(NEXT) | instid1(VALU_DEP_1)
	v_dual_mov_b32 v13, 0 :: v_dual_add_nc_u32 v2, -1, v8
	v_lshrrev_b32_e32 v3, 1, v2
	v_cmp_lt_u32_e64 s0, 13, v2
	s_delay_alu instid0(VALU_DEP_2) | instskip(SKIP_1) | instid1(VALU_DEP_3)
	v_dual_mov_b32 v3, v1 :: v_dual_add_nc_u32 v10, 1, v3
	v_mov_b32_e32 v2, v0
	s_and_saveexec_b32 s1, s0
	s_cbranch_execz .LBB515_323
; %bb.320:
	v_mov_b32_e32 v3, v1
	v_dual_mov_b32 v12, v9 :: v_dual_and_b32 v11, -8, v10
	v_dual_mov_b32 v5, 0 :: v_dual_mov_b32 v2, v0
	s_mov_b32 s6, 0
	s_mov_b32 s7, 0
.LBB515_321:                            ; =>This Inner Loop Header: Depth=1
	s_delay_alu instid0(VALU_DEP_1) | instskip(SKIP_2) | instid1(VALU_DEP_3)
	v_dual_mov_b32 v4, v2 :: v_dual_mov_b32 v15, v5
	v_add_nc_u32_e32 v11, -8, v11
	v_dual_mov_b32 v17, v5 :: v_dual_add_nc_u32 v14, 0x100, v3
	v_lshlrev_b64 v[31:32], 1, v[4:5]
	v_dual_mov_b32 v19, v5 :: v_dual_add_nc_u32 v16, 0x200, v3
	v_mov_b32_e32 v4, v3
	v_cmp_eq_u32_e64 s0, 0, v11
	v_lshlrev_b64 v[14:15], 1, v[14:15]
	v_dual_mov_b32 v21, v5 :: v_dual_add_nc_u32 v18, 0x300, v3
	s_add_i32 s7, s7, 16
	v_lshlrev_b64 v[16:17], 1, v[16:17]
	s_or_b32 s6, s0, s6
	v_add_co_u32 v31, s0, v6, v31
	v_dual_mov_b32 v23, v5 :: v_dual_add_nc_u32 v20, 0x400, v3
	v_add_co_ci_u32_e64 v32, s0, v7, v32, s0
	v_lshlrev_b64 v[18:19], 1, v[18:19]
	v_add_co_u32 v14, s0, v6, v14
	v_dual_mov_b32 v25, v5 :: v_dual_add_nc_u32 v22, 0x500, v3
	v_add_co_ci_u32_e64 v15, s0, v7, v15, s0
	v_lshlrev_b64 v[20:21], 1, v[20:21]
	;; [unrolled: 4-line block ×4, first 2 shown]
	v_add_co_u32 v20, s0, v6, v20
	ds_load_u16 v1, v12
	ds_load_u16 v28, v12 offset:256
	ds_load_u16 v37, v12 offset:512
	;; [unrolled: 1-line block ×7, first 2 shown]
	v_add_co_ci_u32_e64 v21, s0, v7, v21, s0
	v_lshlrev_b64 v[26:27], 1, v[26:27]
	v_add_co_u32 v22, s0, v6, v22
	v_lshlrev_b64 v[33:34], 1, v[4:5]
	v_add_nc_u32_e32 v4, 0x100, v2
	v_add_co_ci_u32_e64 v23, s0, v7, v23, s0
	v_add_co_u32 v24, s0, v6, v24
	s_delay_alu instid0(VALU_DEP_1)
	v_add_co_ci_u32_e64 v25, s0, v7, v25, s0
	v_add_co_u32 v26, s0, v6, v26
	v_lshlrev_b64 v[35:36], 1, v[4:5]
	v_add_nc_u32_e32 v4, 0x200, v2
	v_add_co_ci_u32_e64 v27, s0, v7, v27, s0
	v_add_co_u32 v33, s0, v6, v33
	ds_load_u16 v43, v12 offset:2048
	ds_load_u16 v44, v12 offset:2304
	;; [unrolled: 1-line block ×8, first 2 shown]
	v_add_co_ci_u32_e64 v34, s0, v7, v34, s0
	s_waitcnt lgkmcnt(15)
	global_store_b16 v[31:32], v1, off
	v_lshlrev_b64 v[31:32], 1, v[4:5]
	v_add_nc_u32_e32 v4, 0x300, v2
	v_add_co_u32 v35, s0, v6, v35
	s_delay_alu instid0(VALU_DEP_1)
	v_add_co_ci_u32_e64 v36, s0, v7, v36, s0
	s_waitcnt lgkmcnt(14)
	global_store_b16 v[33:34], v28, off
	v_lshlrev_b64 v[33:34], 1, v[4:5]
	v_add_nc_u32_e32 v4, 0x400, v2
	s_waitcnt lgkmcnt(13)
	global_store_b16 v[35:36], v37, off
	s_waitcnt lgkmcnt(12)
	global_store_b16 v[14:15], v38, off
	v_add_co_u32 v14, s0, v6, v31
	s_delay_alu instid0(VALU_DEP_1) | instskip(SKIP_3) | instid1(VALU_DEP_1)
	v_add_co_ci_u32_e64 v15, s0, v7, v32, s0
	v_lshlrev_b64 v[31:32], 1, v[4:5]
	v_add_nc_u32_e32 v4, 0x500, v2
	v_add_co_u32 v33, s0, v6, v33
	v_add_co_ci_u32_e64 v34, s0, v7, v34, s0
	s_waitcnt lgkmcnt(11)
	global_store_b16 v[14:15], v39, off
	s_waitcnt lgkmcnt(10)
	global_store_b16 v[16:17], v40, off
	v_lshlrev_b64 v[14:15], 1, v[4:5]
	v_add_nc_u32_e32 v4, 0x600, v2
	v_add_co_u32 v16, s0, v6, v31
	s_waitcnt lgkmcnt(9)
	global_store_b16 v[33:34], v41, off
	s_waitcnt lgkmcnt(8)
	global_store_b16 v[18:19], v42, off
	v_add_co_ci_u32_e64 v17, s0, v7, v32, s0
	v_lshlrev_b64 v[18:19], 1, v[4:5]
	v_add_nc_u32_e32 v4, 0x700, v2
	v_add_co_u32 v14, s0, v6, v14
	s_delay_alu instid0(VALU_DEP_1)
	v_add_co_ci_u32_e64 v15, s0, v7, v15, s0
	s_waitcnt lgkmcnt(7)
	global_store_b16 v[16:17], v43, off
	s_waitcnt lgkmcnt(6)
	global_store_b16 v[20:21], v44, off
	v_lshlrev_b64 v[16:17], 1, v[4:5]
	v_add_nc_u32_e32 v12, 0x1000, v12
	s_waitcnt lgkmcnt(5)
	global_store_b16 v[14:15], v45, off
	v_add_co_u32 v14, s0, v6, v18
	v_add_nc_u32_e32 v3, 0x800, v3
	v_add_nc_u32_e32 v2, 0x800, v2
	v_add_co_ci_u32_e64 v15, s0, v7, v19, s0
	v_add_co_u32 v16, s0, v6, v16
	s_delay_alu instid0(VALU_DEP_1)
	v_add_co_ci_u32_e64 v17, s0, v7, v17, s0
	s_waitcnt lgkmcnt(4)
	global_store_b16 v[22:23], v46, off
	s_waitcnt lgkmcnt(3)
	global_store_b16 v[14:15], v47, off
	;; [unrolled: 2-line block ×5, first 2 shown]
	s_and_not1_b32 exec_lo, exec_lo, s6
	s_cbranch_execnz .LBB515_321
; %bb.322:
	s_or_b32 exec_lo, exec_lo, s6
.LBB515_323:
	s_delay_alu instid0(SALU_CYCLE_1) | instskip(SKIP_3) | instid1(VALU_DEP_1)
	s_or_b32 exec_lo, exec_lo, s1
	v_and_b32_e32 v1, 7, v10
	s_mov_b32 s7, 0
	s_mov_b32 s6, exec_lo
	v_cmpx_ne_u32_e32 0, v1
	s_cbranch_execz .LBB515_326
; %bb.324:
	v_lshl_or_b32 v9, v13, 8, v9
	v_mov_b32_e32 v5, 0
	s_set_inst_prefetch_distance 0x1
	.p2align	6
.LBB515_325:                            ; =>This Inner Loop Header: Depth=1
	v_dual_mov_b32 v4, v2 :: v_dual_add_nc_u32 v1, -1, v1
	ds_load_u16 v14, v9
	ds_load_u16 v15, v9 offset:256
	v_add_nc_u32_e32 v2, 0x100, v2
	v_add_nc_u32_e32 v9, 0x200, v9
	v_lshlrev_b64 v[10:11], 1, v[4:5]
	v_mov_b32_e32 v4, v3
	v_cmp_eq_u32_e64 s0, 0, v1
	v_add_nc_u32_e32 v3, 0x100, v3
	s_delay_alu instid0(VALU_DEP_3) | instskip(SKIP_1) | instid1(VALU_DEP_1)
	v_lshlrev_b64 v[12:13], 1, v[4:5]
	v_add_co_u32 v10, s1, v6, v10
	v_add_co_ci_u32_e64 v11, s1, v7, v11, s1
	s_or_b32 s7, s0, s7
	s_delay_alu instid0(VALU_DEP_3) | instskip(NEXT) | instid1(VALU_DEP_1)
	v_add_co_u32 v12, s1, v6, v12
	v_add_co_ci_u32_e64 v13, s1, v7, v13, s1
	s_waitcnt lgkmcnt(1)
	global_store_b16 v[10:11], v14, off
	s_waitcnt lgkmcnt(0)
	global_store_b16 v[12:13], v15, off
	s_and_not1_b32 exec_lo, exec_lo, s7
	s_cbranch_execnz .LBB515_325
.LBB515_326:
	s_set_inst_prefetch_distance 0x2
	s_or_b32 exec_lo, exec_lo, s6
	v_add_nc_u32_e32 v1, 1, v8
	s_delay_alu instid0(VALU_DEP_1) | instskip(NEXT) | instid1(VALU_DEP_1)
	v_and_b32_e32 v2, 0x3fffffe, v1
	v_cmp_ne_u32_e64 s0, v1, v2
	v_lshl_or_b32 v0, v2, 7, v0
	s_delay_alu instid0(VALU_DEP_2)
	s_or_not1_b32 s1, s0, exec_lo
.LBB515_327:
	s_or_b32 exec_lo, exec_lo, s5
	s_delay_alu instid0(SALU_CYCLE_1) | instskip(SKIP_1) | instid1(SALU_CYCLE_1)
	s_and_not1_b32 s0, vcc_lo, exec_lo
	s_and_b32 s1, s1, exec_lo
	s_or_b32 vcc_lo, s0, s1
.LBB515_328:
	s_or_b32 exec_lo, exec_lo, s4
	s_delay_alu instid0(SALU_CYCLE_1)
	s_and_b32 exec_lo, exec_lo, vcc_lo
	s_cbranch_execz .LBB515_331
; %bb.329:
	v_dual_mov_b32 v1, 0 :: v_dual_lshlrev_b32 v2, 1, v0
	s_mov_b32 s1, 0
	.p2align	6
.LBB515_330:                            ; =>This Inner Loop Header: Depth=1
	ds_load_u16 v5, v2
	v_lshlrev_b64 v[3:4], 1, v[0:1]
	v_add_nc_u32_e32 v0, 0x80, v0
	v_add_nc_u32_e32 v2, 0x100, v2
	s_delay_alu instid0(VALU_DEP_2) | instskip(NEXT) | instid1(VALU_DEP_4)
	v_cmp_ge_u32_e32 vcc_lo, v0, v29
	v_add_co_u32 v3, s0, v6, v3
	s_delay_alu instid0(VALU_DEP_1)
	v_add_co_ci_u32_e64 v4, s0, v7, v4, s0
	s_or_b32 s1, vcc_lo, s1
	s_waitcnt lgkmcnt(0)
	global_store_b16 v[3:4], v5, off
	s_and_not1_b32 exec_lo, exec_lo, s1
	s_cbranch_execnz .LBB515_330
.LBB515_331:
	s_or_b32 exec_lo, exec_lo, s3
	s_and_b32 s0, s2, s22
	s_delay_alu instid0(SALU_CYCLE_1)
	s_and_saveexec_b32 s1, s0
	s_cbranch_execz .LBB515_254
.LBB515_332:
	v_add_co_u32 v0, s0, s10, v29
	s_delay_alu instid0(VALU_DEP_1) | instskip(SKIP_1) | instid1(VALU_DEP_3)
	v_add_co_ci_u32_e64 v1, null, s11, 0, s0
	v_mov_b32_e32 v2, 0
	v_add_co_u32 v0, vcc_lo, v0, v30
	s_delay_alu instid0(VALU_DEP_3)
	v_add_co_ci_u32_e32 v1, vcc_lo, 0, v1, vcc_lo
	global_store_b64 v2, v[0:1], s[8:9]
	s_nop 0
	s_sendmsg sendmsg(MSG_DEALLOC_VGPRS)
	s_endpgm
	.section	.rodata,"a",@progbits
	.p2align	6, 0x0
	.amdhsa_kernel _ZN7rocprim17ROCPRIM_400000_NS6detail17trampoline_kernelINS0_14default_configENS1_25partition_config_selectorILNS1_17partition_subalgoE9EssbEEZZNS1_14partition_implILS5_9ELb0ES3_jN6thrust23THRUST_200600_302600_NS6detail15normal_iteratorINS9_10device_ptrIsEEEESE_PNS0_10empty_typeENS0_5tupleIJSE_SF_EEENSH_IJSE_SG_EEENS0_18inequality_wrapperI22is_equal_div_10_uniqueIsEEEPmJSF_EEE10hipError_tPvRmT3_T4_T5_T6_T7_T9_mT8_P12ihipStream_tbDpT10_ENKUlT_T0_E_clISt17integral_constantIbLb1EES18_EEDaS13_S14_EUlS13_E_NS1_11comp_targetILNS1_3genE9ELNS1_11target_archE1100ELNS1_3gpuE3ELNS1_3repE0EEENS1_30default_config_static_selectorELNS0_4arch9wavefront6targetE0EEEvT1_
		.amdhsa_group_segment_fixed_size 3080
		.amdhsa_private_segment_fixed_size 0
		.amdhsa_kernarg_size 128
		.amdhsa_user_sgpr_count 15
		.amdhsa_user_sgpr_dispatch_ptr 0
		.amdhsa_user_sgpr_queue_ptr 0
		.amdhsa_user_sgpr_kernarg_segment_ptr 1
		.amdhsa_user_sgpr_dispatch_id 0
		.amdhsa_user_sgpr_private_segment_size 0
		.amdhsa_wavefront_size32 1
		.amdhsa_uses_dynamic_stack 0
		.amdhsa_enable_private_segment 0
		.amdhsa_system_sgpr_workgroup_id_x 1
		.amdhsa_system_sgpr_workgroup_id_y 0
		.amdhsa_system_sgpr_workgroup_id_z 0
		.amdhsa_system_sgpr_workgroup_info 0
		.amdhsa_system_vgpr_workitem_id 0
		.amdhsa_next_free_vgpr 81
		.amdhsa_next_free_sgpr 31
		.amdhsa_reserve_vcc 1
		.amdhsa_float_round_mode_32 0
		.amdhsa_float_round_mode_16_64 0
		.amdhsa_float_denorm_mode_32 3
		.amdhsa_float_denorm_mode_16_64 3
		.amdhsa_dx10_clamp 1
		.amdhsa_ieee_mode 1
		.amdhsa_fp16_overflow 0
		.amdhsa_workgroup_processor_mode 1
		.amdhsa_memory_ordered 1
		.amdhsa_forward_progress 0
		.amdhsa_shared_vgpr_count 0
		.amdhsa_exception_fp_ieee_invalid_op 0
		.amdhsa_exception_fp_denorm_src 0
		.amdhsa_exception_fp_ieee_div_zero 0
		.amdhsa_exception_fp_ieee_overflow 0
		.amdhsa_exception_fp_ieee_underflow 0
		.amdhsa_exception_fp_ieee_inexact 0
		.amdhsa_exception_int_div_zero 0
	.end_amdhsa_kernel
	.section	.text._ZN7rocprim17ROCPRIM_400000_NS6detail17trampoline_kernelINS0_14default_configENS1_25partition_config_selectorILNS1_17partition_subalgoE9EssbEEZZNS1_14partition_implILS5_9ELb0ES3_jN6thrust23THRUST_200600_302600_NS6detail15normal_iteratorINS9_10device_ptrIsEEEESE_PNS0_10empty_typeENS0_5tupleIJSE_SF_EEENSH_IJSE_SG_EEENS0_18inequality_wrapperI22is_equal_div_10_uniqueIsEEEPmJSF_EEE10hipError_tPvRmT3_T4_T5_T6_T7_T9_mT8_P12ihipStream_tbDpT10_ENKUlT_T0_E_clISt17integral_constantIbLb1EES18_EEDaS13_S14_EUlS13_E_NS1_11comp_targetILNS1_3genE9ELNS1_11target_archE1100ELNS1_3gpuE3ELNS1_3repE0EEENS1_30default_config_static_selectorELNS0_4arch9wavefront6targetE0EEEvT1_,"axG",@progbits,_ZN7rocprim17ROCPRIM_400000_NS6detail17trampoline_kernelINS0_14default_configENS1_25partition_config_selectorILNS1_17partition_subalgoE9EssbEEZZNS1_14partition_implILS5_9ELb0ES3_jN6thrust23THRUST_200600_302600_NS6detail15normal_iteratorINS9_10device_ptrIsEEEESE_PNS0_10empty_typeENS0_5tupleIJSE_SF_EEENSH_IJSE_SG_EEENS0_18inequality_wrapperI22is_equal_div_10_uniqueIsEEEPmJSF_EEE10hipError_tPvRmT3_T4_T5_T6_T7_T9_mT8_P12ihipStream_tbDpT10_ENKUlT_T0_E_clISt17integral_constantIbLb1EES18_EEDaS13_S14_EUlS13_E_NS1_11comp_targetILNS1_3genE9ELNS1_11target_archE1100ELNS1_3gpuE3ELNS1_3repE0EEENS1_30default_config_static_selectorELNS0_4arch9wavefront6targetE0EEEvT1_,comdat
.Lfunc_end515:
	.size	_ZN7rocprim17ROCPRIM_400000_NS6detail17trampoline_kernelINS0_14default_configENS1_25partition_config_selectorILNS1_17partition_subalgoE9EssbEEZZNS1_14partition_implILS5_9ELb0ES3_jN6thrust23THRUST_200600_302600_NS6detail15normal_iteratorINS9_10device_ptrIsEEEESE_PNS0_10empty_typeENS0_5tupleIJSE_SF_EEENSH_IJSE_SG_EEENS0_18inequality_wrapperI22is_equal_div_10_uniqueIsEEEPmJSF_EEE10hipError_tPvRmT3_T4_T5_T6_T7_T9_mT8_P12ihipStream_tbDpT10_ENKUlT_T0_E_clISt17integral_constantIbLb1EES18_EEDaS13_S14_EUlS13_E_NS1_11comp_targetILNS1_3genE9ELNS1_11target_archE1100ELNS1_3gpuE3ELNS1_3repE0EEENS1_30default_config_static_selectorELNS0_4arch9wavefront6targetE0EEEvT1_, .Lfunc_end515-_ZN7rocprim17ROCPRIM_400000_NS6detail17trampoline_kernelINS0_14default_configENS1_25partition_config_selectorILNS1_17partition_subalgoE9EssbEEZZNS1_14partition_implILS5_9ELb0ES3_jN6thrust23THRUST_200600_302600_NS6detail15normal_iteratorINS9_10device_ptrIsEEEESE_PNS0_10empty_typeENS0_5tupleIJSE_SF_EEENSH_IJSE_SG_EEENS0_18inequality_wrapperI22is_equal_div_10_uniqueIsEEEPmJSF_EEE10hipError_tPvRmT3_T4_T5_T6_T7_T9_mT8_P12ihipStream_tbDpT10_ENKUlT_T0_E_clISt17integral_constantIbLb1EES18_EEDaS13_S14_EUlS13_E_NS1_11comp_targetILNS1_3genE9ELNS1_11target_archE1100ELNS1_3gpuE3ELNS1_3repE0EEENS1_30default_config_static_selectorELNS0_4arch9wavefront6targetE0EEEvT1_
                                        ; -- End function
	.section	.AMDGPU.csdata,"",@progbits
; Kernel info:
; codeLenInByte = 16620
; NumSgprs: 33
; NumVgprs: 81
; ScratchSize: 0
; MemoryBound: 0
; FloatMode: 240
; IeeeMode: 1
; LDSByteSize: 3080 bytes/workgroup (compile time only)
; SGPRBlocks: 4
; VGPRBlocks: 10
; NumSGPRsForWavesPerEU: 33
; NumVGPRsForWavesPerEU: 81
; Occupancy: 16
; WaveLimiterHint : 1
; COMPUTE_PGM_RSRC2:SCRATCH_EN: 0
; COMPUTE_PGM_RSRC2:USER_SGPR: 15
; COMPUTE_PGM_RSRC2:TRAP_HANDLER: 0
; COMPUTE_PGM_RSRC2:TGID_X_EN: 1
; COMPUTE_PGM_RSRC2:TGID_Y_EN: 0
; COMPUTE_PGM_RSRC2:TGID_Z_EN: 0
; COMPUTE_PGM_RSRC2:TIDIG_COMP_CNT: 0
	.section	.text._ZN7rocprim17ROCPRIM_400000_NS6detail17trampoline_kernelINS0_14default_configENS1_25partition_config_selectorILNS1_17partition_subalgoE9EssbEEZZNS1_14partition_implILS5_9ELb0ES3_jN6thrust23THRUST_200600_302600_NS6detail15normal_iteratorINS9_10device_ptrIsEEEESE_PNS0_10empty_typeENS0_5tupleIJSE_SF_EEENSH_IJSE_SG_EEENS0_18inequality_wrapperI22is_equal_div_10_uniqueIsEEEPmJSF_EEE10hipError_tPvRmT3_T4_T5_T6_T7_T9_mT8_P12ihipStream_tbDpT10_ENKUlT_T0_E_clISt17integral_constantIbLb1EES18_EEDaS13_S14_EUlS13_E_NS1_11comp_targetILNS1_3genE8ELNS1_11target_archE1030ELNS1_3gpuE2ELNS1_3repE0EEENS1_30default_config_static_selectorELNS0_4arch9wavefront6targetE0EEEvT1_,"axG",@progbits,_ZN7rocprim17ROCPRIM_400000_NS6detail17trampoline_kernelINS0_14default_configENS1_25partition_config_selectorILNS1_17partition_subalgoE9EssbEEZZNS1_14partition_implILS5_9ELb0ES3_jN6thrust23THRUST_200600_302600_NS6detail15normal_iteratorINS9_10device_ptrIsEEEESE_PNS0_10empty_typeENS0_5tupleIJSE_SF_EEENSH_IJSE_SG_EEENS0_18inequality_wrapperI22is_equal_div_10_uniqueIsEEEPmJSF_EEE10hipError_tPvRmT3_T4_T5_T6_T7_T9_mT8_P12ihipStream_tbDpT10_ENKUlT_T0_E_clISt17integral_constantIbLb1EES18_EEDaS13_S14_EUlS13_E_NS1_11comp_targetILNS1_3genE8ELNS1_11target_archE1030ELNS1_3gpuE2ELNS1_3repE0EEENS1_30default_config_static_selectorELNS0_4arch9wavefront6targetE0EEEvT1_,comdat
	.protected	_ZN7rocprim17ROCPRIM_400000_NS6detail17trampoline_kernelINS0_14default_configENS1_25partition_config_selectorILNS1_17partition_subalgoE9EssbEEZZNS1_14partition_implILS5_9ELb0ES3_jN6thrust23THRUST_200600_302600_NS6detail15normal_iteratorINS9_10device_ptrIsEEEESE_PNS0_10empty_typeENS0_5tupleIJSE_SF_EEENSH_IJSE_SG_EEENS0_18inequality_wrapperI22is_equal_div_10_uniqueIsEEEPmJSF_EEE10hipError_tPvRmT3_T4_T5_T6_T7_T9_mT8_P12ihipStream_tbDpT10_ENKUlT_T0_E_clISt17integral_constantIbLb1EES18_EEDaS13_S14_EUlS13_E_NS1_11comp_targetILNS1_3genE8ELNS1_11target_archE1030ELNS1_3gpuE2ELNS1_3repE0EEENS1_30default_config_static_selectorELNS0_4arch9wavefront6targetE0EEEvT1_ ; -- Begin function _ZN7rocprim17ROCPRIM_400000_NS6detail17trampoline_kernelINS0_14default_configENS1_25partition_config_selectorILNS1_17partition_subalgoE9EssbEEZZNS1_14partition_implILS5_9ELb0ES3_jN6thrust23THRUST_200600_302600_NS6detail15normal_iteratorINS9_10device_ptrIsEEEESE_PNS0_10empty_typeENS0_5tupleIJSE_SF_EEENSH_IJSE_SG_EEENS0_18inequality_wrapperI22is_equal_div_10_uniqueIsEEEPmJSF_EEE10hipError_tPvRmT3_T4_T5_T6_T7_T9_mT8_P12ihipStream_tbDpT10_ENKUlT_T0_E_clISt17integral_constantIbLb1EES18_EEDaS13_S14_EUlS13_E_NS1_11comp_targetILNS1_3genE8ELNS1_11target_archE1030ELNS1_3gpuE2ELNS1_3repE0EEENS1_30default_config_static_selectorELNS0_4arch9wavefront6targetE0EEEvT1_
	.globl	_ZN7rocprim17ROCPRIM_400000_NS6detail17trampoline_kernelINS0_14default_configENS1_25partition_config_selectorILNS1_17partition_subalgoE9EssbEEZZNS1_14partition_implILS5_9ELb0ES3_jN6thrust23THRUST_200600_302600_NS6detail15normal_iteratorINS9_10device_ptrIsEEEESE_PNS0_10empty_typeENS0_5tupleIJSE_SF_EEENSH_IJSE_SG_EEENS0_18inequality_wrapperI22is_equal_div_10_uniqueIsEEEPmJSF_EEE10hipError_tPvRmT3_T4_T5_T6_T7_T9_mT8_P12ihipStream_tbDpT10_ENKUlT_T0_E_clISt17integral_constantIbLb1EES18_EEDaS13_S14_EUlS13_E_NS1_11comp_targetILNS1_3genE8ELNS1_11target_archE1030ELNS1_3gpuE2ELNS1_3repE0EEENS1_30default_config_static_selectorELNS0_4arch9wavefront6targetE0EEEvT1_
	.p2align	8
	.type	_ZN7rocprim17ROCPRIM_400000_NS6detail17trampoline_kernelINS0_14default_configENS1_25partition_config_selectorILNS1_17partition_subalgoE9EssbEEZZNS1_14partition_implILS5_9ELb0ES3_jN6thrust23THRUST_200600_302600_NS6detail15normal_iteratorINS9_10device_ptrIsEEEESE_PNS0_10empty_typeENS0_5tupleIJSE_SF_EEENSH_IJSE_SG_EEENS0_18inequality_wrapperI22is_equal_div_10_uniqueIsEEEPmJSF_EEE10hipError_tPvRmT3_T4_T5_T6_T7_T9_mT8_P12ihipStream_tbDpT10_ENKUlT_T0_E_clISt17integral_constantIbLb1EES18_EEDaS13_S14_EUlS13_E_NS1_11comp_targetILNS1_3genE8ELNS1_11target_archE1030ELNS1_3gpuE2ELNS1_3repE0EEENS1_30default_config_static_selectorELNS0_4arch9wavefront6targetE0EEEvT1_,@function
_ZN7rocprim17ROCPRIM_400000_NS6detail17trampoline_kernelINS0_14default_configENS1_25partition_config_selectorILNS1_17partition_subalgoE9EssbEEZZNS1_14partition_implILS5_9ELb0ES3_jN6thrust23THRUST_200600_302600_NS6detail15normal_iteratorINS9_10device_ptrIsEEEESE_PNS0_10empty_typeENS0_5tupleIJSE_SF_EEENSH_IJSE_SG_EEENS0_18inequality_wrapperI22is_equal_div_10_uniqueIsEEEPmJSF_EEE10hipError_tPvRmT3_T4_T5_T6_T7_T9_mT8_P12ihipStream_tbDpT10_ENKUlT_T0_E_clISt17integral_constantIbLb1EES18_EEDaS13_S14_EUlS13_E_NS1_11comp_targetILNS1_3genE8ELNS1_11target_archE1030ELNS1_3gpuE2ELNS1_3repE0EEENS1_30default_config_static_selectorELNS0_4arch9wavefront6targetE0EEEvT1_: ; @_ZN7rocprim17ROCPRIM_400000_NS6detail17trampoline_kernelINS0_14default_configENS1_25partition_config_selectorILNS1_17partition_subalgoE9EssbEEZZNS1_14partition_implILS5_9ELb0ES3_jN6thrust23THRUST_200600_302600_NS6detail15normal_iteratorINS9_10device_ptrIsEEEESE_PNS0_10empty_typeENS0_5tupleIJSE_SF_EEENSH_IJSE_SG_EEENS0_18inequality_wrapperI22is_equal_div_10_uniqueIsEEEPmJSF_EEE10hipError_tPvRmT3_T4_T5_T6_T7_T9_mT8_P12ihipStream_tbDpT10_ENKUlT_T0_E_clISt17integral_constantIbLb1EES18_EEDaS13_S14_EUlS13_E_NS1_11comp_targetILNS1_3genE8ELNS1_11target_archE1030ELNS1_3gpuE2ELNS1_3repE0EEENS1_30default_config_static_selectorELNS0_4arch9wavefront6targetE0EEEvT1_
; %bb.0:
	.section	.rodata,"a",@progbits
	.p2align	6, 0x0
	.amdhsa_kernel _ZN7rocprim17ROCPRIM_400000_NS6detail17trampoline_kernelINS0_14default_configENS1_25partition_config_selectorILNS1_17partition_subalgoE9EssbEEZZNS1_14partition_implILS5_9ELb0ES3_jN6thrust23THRUST_200600_302600_NS6detail15normal_iteratorINS9_10device_ptrIsEEEESE_PNS0_10empty_typeENS0_5tupleIJSE_SF_EEENSH_IJSE_SG_EEENS0_18inequality_wrapperI22is_equal_div_10_uniqueIsEEEPmJSF_EEE10hipError_tPvRmT3_T4_T5_T6_T7_T9_mT8_P12ihipStream_tbDpT10_ENKUlT_T0_E_clISt17integral_constantIbLb1EES18_EEDaS13_S14_EUlS13_E_NS1_11comp_targetILNS1_3genE8ELNS1_11target_archE1030ELNS1_3gpuE2ELNS1_3repE0EEENS1_30default_config_static_selectorELNS0_4arch9wavefront6targetE0EEEvT1_
		.amdhsa_group_segment_fixed_size 0
		.amdhsa_private_segment_fixed_size 0
		.amdhsa_kernarg_size 128
		.amdhsa_user_sgpr_count 15
		.amdhsa_user_sgpr_dispatch_ptr 0
		.amdhsa_user_sgpr_queue_ptr 0
		.amdhsa_user_sgpr_kernarg_segment_ptr 1
		.amdhsa_user_sgpr_dispatch_id 0
		.amdhsa_user_sgpr_private_segment_size 0
		.amdhsa_wavefront_size32 1
		.amdhsa_uses_dynamic_stack 0
		.amdhsa_enable_private_segment 0
		.amdhsa_system_sgpr_workgroup_id_x 1
		.amdhsa_system_sgpr_workgroup_id_y 0
		.amdhsa_system_sgpr_workgroup_id_z 0
		.amdhsa_system_sgpr_workgroup_info 0
		.amdhsa_system_vgpr_workitem_id 0
		.amdhsa_next_free_vgpr 1
		.amdhsa_next_free_sgpr 1
		.amdhsa_reserve_vcc 0
		.amdhsa_float_round_mode_32 0
		.amdhsa_float_round_mode_16_64 0
		.amdhsa_float_denorm_mode_32 3
		.amdhsa_float_denorm_mode_16_64 3
		.amdhsa_dx10_clamp 1
		.amdhsa_ieee_mode 1
		.amdhsa_fp16_overflow 0
		.amdhsa_workgroup_processor_mode 1
		.amdhsa_memory_ordered 1
		.amdhsa_forward_progress 0
		.amdhsa_shared_vgpr_count 0
		.amdhsa_exception_fp_ieee_invalid_op 0
		.amdhsa_exception_fp_denorm_src 0
		.amdhsa_exception_fp_ieee_div_zero 0
		.amdhsa_exception_fp_ieee_overflow 0
		.amdhsa_exception_fp_ieee_underflow 0
		.amdhsa_exception_fp_ieee_inexact 0
		.amdhsa_exception_int_div_zero 0
	.end_amdhsa_kernel
	.section	.text._ZN7rocprim17ROCPRIM_400000_NS6detail17trampoline_kernelINS0_14default_configENS1_25partition_config_selectorILNS1_17partition_subalgoE9EssbEEZZNS1_14partition_implILS5_9ELb0ES3_jN6thrust23THRUST_200600_302600_NS6detail15normal_iteratorINS9_10device_ptrIsEEEESE_PNS0_10empty_typeENS0_5tupleIJSE_SF_EEENSH_IJSE_SG_EEENS0_18inequality_wrapperI22is_equal_div_10_uniqueIsEEEPmJSF_EEE10hipError_tPvRmT3_T4_T5_T6_T7_T9_mT8_P12ihipStream_tbDpT10_ENKUlT_T0_E_clISt17integral_constantIbLb1EES18_EEDaS13_S14_EUlS13_E_NS1_11comp_targetILNS1_3genE8ELNS1_11target_archE1030ELNS1_3gpuE2ELNS1_3repE0EEENS1_30default_config_static_selectorELNS0_4arch9wavefront6targetE0EEEvT1_,"axG",@progbits,_ZN7rocprim17ROCPRIM_400000_NS6detail17trampoline_kernelINS0_14default_configENS1_25partition_config_selectorILNS1_17partition_subalgoE9EssbEEZZNS1_14partition_implILS5_9ELb0ES3_jN6thrust23THRUST_200600_302600_NS6detail15normal_iteratorINS9_10device_ptrIsEEEESE_PNS0_10empty_typeENS0_5tupleIJSE_SF_EEENSH_IJSE_SG_EEENS0_18inequality_wrapperI22is_equal_div_10_uniqueIsEEEPmJSF_EEE10hipError_tPvRmT3_T4_T5_T6_T7_T9_mT8_P12ihipStream_tbDpT10_ENKUlT_T0_E_clISt17integral_constantIbLb1EES18_EEDaS13_S14_EUlS13_E_NS1_11comp_targetILNS1_3genE8ELNS1_11target_archE1030ELNS1_3gpuE2ELNS1_3repE0EEENS1_30default_config_static_selectorELNS0_4arch9wavefront6targetE0EEEvT1_,comdat
.Lfunc_end516:
	.size	_ZN7rocprim17ROCPRIM_400000_NS6detail17trampoline_kernelINS0_14default_configENS1_25partition_config_selectorILNS1_17partition_subalgoE9EssbEEZZNS1_14partition_implILS5_9ELb0ES3_jN6thrust23THRUST_200600_302600_NS6detail15normal_iteratorINS9_10device_ptrIsEEEESE_PNS0_10empty_typeENS0_5tupleIJSE_SF_EEENSH_IJSE_SG_EEENS0_18inequality_wrapperI22is_equal_div_10_uniqueIsEEEPmJSF_EEE10hipError_tPvRmT3_T4_T5_T6_T7_T9_mT8_P12ihipStream_tbDpT10_ENKUlT_T0_E_clISt17integral_constantIbLb1EES18_EEDaS13_S14_EUlS13_E_NS1_11comp_targetILNS1_3genE8ELNS1_11target_archE1030ELNS1_3gpuE2ELNS1_3repE0EEENS1_30default_config_static_selectorELNS0_4arch9wavefront6targetE0EEEvT1_, .Lfunc_end516-_ZN7rocprim17ROCPRIM_400000_NS6detail17trampoline_kernelINS0_14default_configENS1_25partition_config_selectorILNS1_17partition_subalgoE9EssbEEZZNS1_14partition_implILS5_9ELb0ES3_jN6thrust23THRUST_200600_302600_NS6detail15normal_iteratorINS9_10device_ptrIsEEEESE_PNS0_10empty_typeENS0_5tupleIJSE_SF_EEENSH_IJSE_SG_EEENS0_18inequality_wrapperI22is_equal_div_10_uniqueIsEEEPmJSF_EEE10hipError_tPvRmT3_T4_T5_T6_T7_T9_mT8_P12ihipStream_tbDpT10_ENKUlT_T0_E_clISt17integral_constantIbLb1EES18_EEDaS13_S14_EUlS13_E_NS1_11comp_targetILNS1_3genE8ELNS1_11target_archE1030ELNS1_3gpuE2ELNS1_3repE0EEENS1_30default_config_static_selectorELNS0_4arch9wavefront6targetE0EEEvT1_
                                        ; -- End function
	.section	.AMDGPU.csdata,"",@progbits
; Kernel info:
; codeLenInByte = 0
; NumSgprs: 0
; NumVgprs: 0
; ScratchSize: 0
; MemoryBound: 0
; FloatMode: 240
; IeeeMode: 1
; LDSByteSize: 0 bytes/workgroup (compile time only)
; SGPRBlocks: 0
; VGPRBlocks: 0
; NumSGPRsForWavesPerEU: 1
; NumVGPRsForWavesPerEU: 1
; Occupancy: 15
; WaveLimiterHint : 0
; COMPUTE_PGM_RSRC2:SCRATCH_EN: 0
; COMPUTE_PGM_RSRC2:USER_SGPR: 15
; COMPUTE_PGM_RSRC2:TRAP_HANDLER: 0
; COMPUTE_PGM_RSRC2:TGID_X_EN: 1
; COMPUTE_PGM_RSRC2:TGID_Y_EN: 0
; COMPUTE_PGM_RSRC2:TGID_Z_EN: 0
; COMPUTE_PGM_RSRC2:TIDIG_COMP_CNT: 0
	.section	.text._ZN7rocprim17ROCPRIM_400000_NS6detail17trampoline_kernelINS0_14default_configENS1_25partition_config_selectorILNS1_17partition_subalgoE9EssbEEZZNS1_14partition_implILS5_9ELb0ES3_jN6thrust23THRUST_200600_302600_NS6detail15normal_iteratorINS9_10device_ptrIsEEEESE_PNS0_10empty_typeENS0_5tupleIJSE_SF_EEENSH_IJSE_SG_EEENS0_18inequality_wrapperI22is_equal_div_10_uniqueIsEEEPmJSF_EEE10hipError_tPvRmT3_T4_T5_T6_T7_T9_mT8_P12ihipStream_tbDpT10_ENKUlT_T0_E_clISt17integral_constantIbLb1EES17_IbLb0EEEEDaS13_S14_EUlS13_E_NS1_11comp_targetILNS1_3genE0ELNS1_11target_archE4294967295ELNS1_3gpuE0ELNS1_3repE0EEENS1_30default_config_static_selectorELNS0_4arch9wavefront6targetE0EEEvT1_,"axG",@progbits,_ZN7rocprim17ROCPRIM_400000_NS6detail17trampoline_kernelINS0_14default_configENS1_25partition_config_selectorILNS1_17partition_subalgoE9EssbEEZZNS1_14partition_implILS5_9ELb0ES3_jN6thrust23THRUST_200600_302600_NS6detail15normal_iteratorINS9_10device_ptrIsEEEESE_PNS0_10empty_typeENS0_5tupleIJSE_SF_EEENSH_IJSE_SG_EEENS0_18inequality_wrapperI22is_equal_div_10_uniqueIsEEEPmJSF_EEE10hipError_tPvRmT3_T4_T5_T6_T7_T9_mT8_P12ihipStream_tbDpT10_ENKUlT_T0_E_clISt17integral_constantIbLb1EES17_IbLb0EEEEDaS13_S14_EUlS13_E_NS1_11comp_targetILNS1_3genE0ELNS1_11target_archE4294967295ELNS1_3gpuE0ELNS1_3repE0EEENS1_30default_config_static_selectorELNS0_4arch9wavefront6targetE0EEEvT1_,comdat
	.protected	_ZN7rocprim17ROCPRIM_400000_NS6detail17trampoline_kernelINS0_14default_configENS1_25partition_config_selectorILNS1_17partition_subalgoE9EssbEEZZNS1_14partition_implILS5_9ELb0ES3_jN6thrust23THRUST_200600_302600_NS6detail15normal_iteratorINS9_10device_ptrIsEEEESE_PNS0_10empty_typeENS0_5tupleIJSE_SF_EEENSH_IJSE_SG_EEENS0_18inequality_wrapperI22is_equal_div_10_uniqueIsEEEPmJSF_EEE10hipError_tPvRmT3_T4_T5_T6_T7_T9_mT8_P12ihipStream_tbDpT10_ENKUlT_T0_E_clISt17integral_constantIbLb1EES17_IbLb0EEEEDaS13_S14_EUlS13_E_NS1_11comp_targetILNS1_3genE0ELNS1_11target_archE4294967295ELNS1_3gpuE0ELNS1_3repE0EEENS1_30default_config_static_selectorELNS0_4arch9wavefront6targetE0EEEvT1_ ; -- Begin function _ZN7rocprim17ROCPRIM_400000_NS6detail17trampoline_kernelINS0_14default_configENS1_25partition_config_selectorILNS1_17partition_subalgoE9EssbEEZZNS1_14partition_implILS5_9ELb0ES3_jN6thrust23THRUST_200600_302600_NS6detail15normal_iteratorINS9_10device_ptrIsEEEESE_PNS0_10empty_typeENS0_5tupleIJSE_SF_EEENSH_IJSE_SG_EEENS0_18inequality_wrapperI22is_equal_div_10_uniqueIsEEEPmJSF_EEE10hipError_tPvRmT3_T4_T5_T6_T7_T9_mT8_P12ihipStream_tbDpT10_ENKUlT_T0_E_clISt17integral_constantIbLb1EES17_IbLb0EEEEDaS13_S14_EUlS13_E_NS1_11comp_targetILNS1_3genE0ELNS1_11target_archE4294967295ELNS1_3gpuE0ELNS1_3repE0EEENS1_30default_config_static_selectorELNS0_4arch9wavefront6targetE0EEEvT1_
	.globl	_ZN7rocprim17ROCPRIM_400000_NS6detail17trampoline_kernelINS0_14default_configENS1_25partition_config_selectorILNS1_17partition_subalgoE9EssbEEZZNS1_14partition_implILS5_9ELb0ES3_jN6thrust23THRUST_200600_302600_NS6detail15normal_iteratorINS9_10device_ptrIsEEEESE_PNS0_10empty_typeENS0_5tupleIJSE_SF_EEENSH_IJSE_SG_EEENS0_18inequality_wrapperI22is_equal_div_10_uniqueIsEEEPmJSF_EEE10hipError_tPvRmT3_T4_T5_T6_T7_T9_mT8_P12ihipStream_tbDpT10_ENKUlT_T0_E_clISt17integral_constantIbLb1EES17_IbLb0EEEEDaS13_S14_EUlS13_E_NS1_11comp_targetILNS1_3genE0ELNS1_11target_archE4294967295ELNS1_3gpuE0ELNS1_3repE0EEENS1_30default_config_static_selectorELNS0_4arch9wavefront6targetE0EEEvT1_
	.p2align	8
	.type	_ZN7rocprim17ROCPRIM_400000_NS6detail17trampoline_kernelINS0_14default_configENS1_25partition_config_selectorILNS1_17partition_subalgoE9EssbEEZZNS1_14partition_implILS5_9ELb0ES3_jN6thrust23THRUST_200600_302600_NS6detail15normal_iteratorINS9_10device_ptrIsEEEESE_PNS0_10empty_typeENS0_5tupleIJSE_SF_EEENSH_IJSE_SG_EEENS0_18inequality_wrapperI22is_equal_div_10_uniqueIsEEEPmJSF_EEE10hipError_tPvRmT3_T4_T5_T6_T7_T9_mT8_P12ihipStream_tbDpT10_ENKUlT_T0_E_clISt17integral_constantIbLb1EES17_IbLb0EEEEDaS13_S14_EUlS13_E_NS1_11comp_targetILNS1_3genE0ELNS1_11target_archE4294967295ELNS1_3gpuE0ELNS1_3repE0EEENS1_30default_config_static_selectorELNS0_4arch9wavefront6targetE0EEEvT1_,@function
_ZN7rocprim17ROCPRIM_400000_NS6detail17trampoline_kernelINS0_14default_configENS1_25partition_config_selectorILNS1_17partition_subalgoE9EssbEEZZNS1_14partition_implILS5_9ELb0ES3_jN6thrust23THRUST_200600_302600_NS6detail15normal_iteratorINS9_10device_ptrIsEEEESE_PNS0_10empty_typeENS0_5tupleIJSE_SF_EEENSH_IJSE_SG_EEENS0_18inequality_wrapperI22is_equal_div_10_uniqueIsEEEPmJSF_EEE10hipError_tPvRmT3_T4_T5_T6_T7_T9_mT8_P12ihipStream_tbDpT10_ENKUlT_T0_E_clISt17integral_constantIbLb1EES17_IbLb0EEEEDaS13_S14_EUlS13_E_NS1_11comp_targetILNS1_3genE0ELNS1_11target_archE4294967295ELNS1_3gpuE0ELNS1_3repE0EEENS1_30default_config_static_selectorELNS0_4arch9wavefront6targetE0EEEvT1_: ; @_ZN7rocprim17ROCPRIM_400000_NS6detail17trampoline_kernelINS0_14default_configENS1_25partition_config_selectorILNS1_17partition_subalgoE9EssbEEZZNS1_14partition_implILS5_9ELb0ES3_jN6thrust23THRUST_200600_302600_NS6detail15normal_iteratorINS9_10device_ptrIsEEEESE_PNS0_10empty_typeENS0_5tupleIJSE_SF_EEENSH_IJSE_SG_EEENS0_18inequality_wrapperI22is_equal_div_10_uniqueIsEEEPmJSF_EEE10hipError_tPvRmT3_T4_T5_T6_T7_T9_mT8_P12ihipStream_tbDpT10_ENKUlT_T0_E_clISt17integral_constantIbLb1EES17_IbLb0EEEEDaS13_S14_EUlS13_E_NS1_11comp_targetILNS1_3genE0ELNS1_11target_archE4294967295ELNS1_3gpuE0ELNS1_3repE0EEENS1_30default_config_static_selectorELNS0_4arch9wavefront6targetE0EEEvT1_
; %bb.0:
	.section	.rodata,"a",@progbits
	.p2align	6, 0x0
	.amdhsa_kernel _ZN7rocprim17ROCPRIM_400000_NS6detail17trampoline_kernelINS0_14default_configENS1_25partition_config_selectorILNS1_17partition_subalgoE9EssbEEZZNS1_14partition_implILS5_9ELb0ES3_jN6thrust23THRUST_200600_302600_NS6detail15normal_iteratorINS9_10device_ptrIsEEEESE_PNS0_10empty_typeENS0_5tupleIJSE_SF_EEENSH_IJSE_SG_EEENS0_18inequality_wrapperI22is_equal_div_10_uniqueIsEEEPmJSF_EEE10hipError_tPvRmT3_T4_T5_T6_T7_T9_mT8_P12ihipStream_tbDpT10_ENKUlT_T0_E_clISt17integral_constantIbLb1EES17_IbLb0EEEEDaS13_S14_EUlS13_E_NS1_11comp_targetILNS1_3genE0ELNS1_11target_archE4294967295ELNS1_3gpuE0ELNS1_3repE0EEENS1_30default_config_static_selectorELNS0_4arch9wavefront6targetE0EEEvT1_
		.amdhsa_group_segment_fixed_size 0
		.amdhsa_private_segment_fixed_size 0
		.amdhsa_kernarg_size 112
		.amdhsa_user_sgpr_count 15
		.amdhsa_user_sgpr_dispatch_ptr 0
		.amdhsa_user_sgpr_queue_ptr 0
		.amdhsa_user_sgpr_kernarg_segment_ptr 1
		.amdhsa_user_sgpr_dispatch_id 0
		.amdhsa_user_sgpr_private_segment_size 0
		.amdhsa_wavefront_size32 1
		.amdhsa_uses_dynamic_stack 0
		.amdhsa_enable_private_segment 0
		.amdhsa_system_sgpr_workgroup_id_x 1
		.amdhsa_system_sgpr_workgroup_id_y 0
		.amdhsa_system_sgpr_workgroup_id_z 0
		.amdhsa_system_sgpr_workgroup_info 0
		.amdhsa_system_vgpr_workitem_id 0
		.amdhsa_next_free_vgpr 1
		.amdhsa_next_free_sgpr 1
		.amdhsa_reserve_vcc 0
		.amdhsa_float_round_mode_32 0
		.amdhsa_float_round_mode_16_64 0
		.amdhsa_float_denorm_mode_32 3
		.amdhsa_float_denorm_mode_16_64 3
		.amdhsa_dx10_clamp 1
		.amdhsa_ieee_mode 1
		.amdhsa_fp16_overflow 0
		.amdhsa_workgroup_processor_mode 1
		.amdhsa_memory_ordered 1
		.amdhsa_forward_progress 0
		.amdhsa_shared_vgpr_count 0
		.amdhsa_exception_fp_ieee_invalid_op 0
		.amdhsa_exception_fp_denorm_src 0
		.amdhsa_exception_fp_ieee_div_zero 0
		.amdhsa_exception_fp_ieee_overflow 0
		.amdhsa_exception_fp_ieee_underflow 0
		.amdhsa_exception_fp_ieee_inexact 0
		.amdhsa_exception_int_div_zero 0
	.end_amdhsa_kernel
	.section	.text._ZN7rocprim17ROCPRIM_400000_NS6detail17trampoline_kernelINS0_14default_configENS1_25partition_config_selectorILNS1_17partition_subalgoE9EssbEEZZNS1_14partition_implILS5_9ELb0ES3_jN6thrust23THRUST_200600_302600_NS6detail15normal_iteratorINS9_10device_ptrIsEEEESE_PNS0_10empty_typeENS0_5tupleIJSE_SF_EEENSH_IJSE_SG_EEENS0_18inequality_wrapperI22is_equal_div_10_uniqueIsEEEPmJSF_EEE10hipError_tPvRmT3_T4_T5_T6_T7_T9_mT8_P12ihipStream_tbDpT10_ENKUlT_T0_E_clISt17integral_constantIbLb1EES17_IbLb0EEEEDaS13_S14_EUlS13_E_NS1_11comp_targetILNS1_3genE0ELNS1_11target_archE4294967295ELNS1_3gpuE0ELNS1_3repE0EEENS1_30default_config_static_selectorELNS0_4arch9wavefront6targetE0EEEvT1_,"axG",@progbits,_ZN7rocprim17ROCPRIM_400000_NS6detail17trampoline_kernelINS0_14default_configENS1_25partition_config_selectorILNS1_17partition_subalgoE9EssbEEZZNS1_14partition_implILS5_9ELb0ES3_jN6thrust23THRUST_200600_302600_NS6detail15normal_iteratorINS9_10device_ptrIsEEEESE_PNS0_10empty_typeENS0_5tupleIJSE_SF_EEENSH_IJSE_SG_EEENS0_18inequality_wrapperI22is_equal_div_10_uniqueIsEEEPmJSF_EEE10hipError_tPvRmT3_T4_T5_T6_T7_T9_mT8_P12ihipStream_tbDpT10_ENKUlT_T0_E_clISt17integral_constantIbLb1EES17_IbLb0EEEEDaS13_S14_EUlS13_E_NS1_11comp_targetILNS1_3genE0ELNS1_11target_archE4294967295ELNS1_3gpuE0ELNS1_3repE0EEENS1_30default_config_static_selectorELNS0_4arch9wavefront6targetE0EEEvT1_,comdat
.Lfunc_end517:
	.size	_ZN7rocprim17ROCPRIM_400000_NS6detail17trampoline_kernelINS0_14default_configENS1_25partition_config_selectorILNS1_17partition_subalgoE9EssbEEZZNS1_14partition_implILS5_9ELb0ES3_jN6thrust23THRUST_200600_302600_NS6detail15normal_iteratorINS9_10device_ptrIsEEEESE_PNS0_10empty_typeENS0_5tupleIJSE_SF_EEENSH_IJSE_SG_EEENS0_18inequality_wrapperI22is_equal_div_10_uniqueIsEEEPmJSF_EEE10hipError_tPvRmT3_T4_T5_T6_T7_T9_mT8_P12ihipStream_tbDpT10_ENKUlT_T0_E_clISt17integral_constantIbLb1EES17_IbLb0EEEEDaS13_S14_EUlS13_E_NS1_11comp_targetILNS1_3genE0ELNS1_11target_archE4294967295ELNS1_3gpuE0ELNS1_3repE0EEENS1_30default_config_static_selectorELNS0_4arch9wavefront6targetE0EEEvT1_, .Lfunc_end517-_ZN7rocprim17ROCPRIM_400000_NS6detail17trampoline_kernelINS0_14default_configENS1_25partition_config_selectorILNS1_17partition_subalgoE9EssbEEZZNS1_14partition_implILS5_9ELb0ES3_jN6thrust23THRUST_200600_302600_NS6detail15normal_iteratorINS9_10device_ptrIsEEEESE_PNS0_10empty_typeENS0_5tupleIJSE_SF_EEENSH_IJSE_SG_EEENS0_18inequality_wrapperI22is_equal_div_10_uniqueIsEEEPmJSF_EEE10hipError_tPvRmT3_T4_T5_T6_T7_T9_mT8_P12ihipStream_tbDpT10_ENKUlT_T0_E_clISt17integral_constantIbLb1EES17_IbLb0EEEEDaS13_S14_EUlS13_E_NS1_11comp_targetILNS1_3genE0ELNS1_11target_archE4294967295ELNS1_3gpuE0ELNS1_3repE0EEENS1_30default_config_static_selectorELNS0_4arch9wavefront6targetE0EEEvT1_
                                        ; -- End function
	.section	.AMDGPU.csdata,"",@progbits
; Kernel info:
; codeLenInByte = 0
; NumSgprs: 0
; NumVgprs: 0
; ScratchSize: 0
; MemoryBound: 0
; FloatMode: 240
; IeeeMode: 1
; LDSByteSize: 0 bytes/workgroup (compile time only)
; SGPRBlocks: 0
; VGPRBlocks: 0
; NumSGPRsForWavesPerEU: 1
; NumVGPRsForWavesPerEU: 1
; Occupancy: 16
; WaveLimiterHint : 0
; COMPUTE_PGM_RSRC2:SCRATCH_EN: 0
; COMPUTE_PGM_RSRC2:USER_SGPR: 15
; COMPUTE_PGM_RSRC2:TRAP_HANDLER: 0
; COMPUTE_PGM_RSRC2:TGID_X_EN: 1
; COMPUTE_PGM_RSRC2:TGID_Y_EN: 0
; COMPUTE_PGM_RSRC2:TGID_Z_EN: 0
; COMPUTE_PGM_RSRC2:TIDIG_COMP_CNT: 0
	.section	.text._ZN7rocprim17ROCPRIM_400000_NS6detail17trampoline_kernelINS0_14default_configENS1_25partition_config_selectorILNS1_17partition_subalgoE9EssbEEZZNS1_14partition_implILS5_9ELb0ES3_jN6thrust23THRUST_200600_302600_NS6detail15normal_iteratorINS9_10device_ptrIsEEEESE_PNS0_10empty_typeENS0_5tupleIJSE_SF_EEENSH_IJSE_SG_EEENS0_18inequality_wrapperI22is_equal_div_10_uniqueIsEEEPmJSF_EEE10hipError_tPvRmT3_T4_T5_T6_T7_T9_mT8_P12ihipStream_tbDpT10_ENKUlT_T0_E_clISt17integral_constantIbLb1EES17_IbLb0EEEEDaS13_S14_EUlS13_E_NS1_11comp_targetILNS1_3genE5ELNS1_11target_archE942ELNS1_3gpuE9ELNS1_3repE0EEENS1_30default_config_static_selectorELNS0_4arch9wavefront6targetE0EEEvT1_,"axG",@progbits,_ZN7rocprim17ROCPRIM_400000_NS6detail17trampoline_kernelINS0_14default_configENS1_25partition_config_selectorILNS1_17partition_subalgoE9EssbEEZZNS1_14partition_implILS5_9ELb0ES3_jN6thrust23THRUST_200600_302600_NS6detail15normal_iteratorINS9_10device_ptrIsEEEESE_PNS0_10empty_typeENS0_5tupleIJSE_SF_EEENSH_IJSE_SG_EEENS0_18inequality_wrapperI22is_equal_div_10_uniqueIsEEEPmJSF_EEE10hipError_tPvRmT3_T4_T5_T6_T7_T9_mT8_P12ihipStream_tbDpT10_ENKUlT_T0_E_clISt17integral_constantIbLb1EES17_IbLb0EEEEDaS13_S14_EUlS13_E_NS1_11comp_targetILNS1_3genE5ELNS1_11target_archE942ELNS1_3gpuE9ELNS1_3repE0EEENS1_30default_config_static_selectorELNS0_4arch9wavefront6targetE0EEEvT1_,comdat
	.protected	_ZN7rocprim17ROCPRIM_400000_NS6detail17trampoline_kernelINS0_14default_configENS1_25partition_config_selectorILNS1_17partition_subalgoE9EssbEEZZNS1_14partition_implILS5_9ELb0ES3_jN6thrust23THRUST_200600_302600_NS6detail15normal_iteratorINS9_10device_ptrIsEEEESE_PNS0_10empty_typeENS0_5tupleIJSE_SF_EEENSH_IJSE_SG_EEENS0_18inequality_wrapperI22is_equal_div_10_uniqueIsEEEPmJSF_EEE10hipError_tPvRmT3_T4_T5_T6_T7_T9_mT8_P12ihipStream_tbDpT10_ENKUlT_T0_E_clISt17integral_constantIbLb1EES17_IbLb0EEEEDaS13_S14_EUlS13_E_NS1_11comp_targetILNS1_3genE5ELNS1_11target_archE942ELNS1_3gpuE9ELNS1_3repE0EEENS1_30default_config_static_selectorELNS0_4arch9wavefront6targetE0EEEvT1_ ; -- Begin function _ZN7rocprim17ROCPRIM_400000_NS6detail17trampoline_kernelINS0_14default_configENS1_25partition_config_selectorILNS1_17partition_subalgoE9EssbEEZZNS1_14partition_implILS5_9ELb0ES3_jN6thrust23THRUST_200600_302600_NS6detail15normal_iteratorINS9_10device_ptrIsEEEESE_PNS0_10empty_typeENS0_5tupleIJSE_SF_EEENSH_IJSE_SG_EEENS0_18inequality_wrapperI22is_equal_div_10_uniqueIsEEEPmJSF_EEE10hipError_tPvRmT3_T4_T5_T6_T7_T9_mT8_P12ihipStream_tbDpT10_ENKUlT_T0_E_clISt17integral_constantIbLb1EES17_IbLb0EEEEDaS13_S14_EUlS13_E_NS1_11comp_targetILNS1_3genE5ELNS1_11target_archE942ELNS1_3gpuE9ELNS1_3repE0EEENS1_30default_config_static_selectorELNS0_4arch9wavefront6targetE0EEEvT1_
	.globl	_ZN7rocprim17ROCPRIM_400000_NS6detail17trampoline_kernelINS0_14default_configENS1_25partition_config_selectorILNS1_17partition_subalgoE9EssbEEZZNS1_14partition_implILS5_9ELb0ES3_jN6thrust23THRUST_200600_302600_NS6detail15normal_iteratorINS9_10device_ptrIsEEEESE_PNS0_10empty_typeENS0_5tupleIJSE_SF_EEENSH_IJSE_SG_EEENS0_18inequality_wrapperI22is_equal_div_10_uniqueIsEEEPmJSF_EEE10hipError_tPvRmT3_T4_T5_T6_T7_T9_mT8_P12ihipStream_tbDpT10_ENKUlT_T0_E_clISt17integral_constantIbLb1EES17_IbLb0EEEEDaS13_S14_EUlS13_E_NS1_11comp_targetILNS1_3genE5ELNS1_11target_archE942ELNS1_3gpuE9ELNS1_3repE0EEENS1_30default_config_static_selectorELNS0_4arch9wavefront6targetE0EEEvT1_
	.p2align	8
	.type	_ZN7rocprim17ROCPRIM_400000_NS6detail17trampoline_kernelINS0_14default_configENS1_25partition_config_selectorILNS1_17partition_subalgoE9EssbEEZZNS1_14partition_implILS5_9ELb0ES3_jN6thrust23THRUST_200600_302600_NS6detail15normal_iteratorINS9_10device_ptrIsEEEESE_PNS0_10empty_typeENS0_5tupleIJSE_SF_EEENSH_IJSE_SG_EEENS0_18inequality_wrapperI22is_equal_div_10_uniqueIsEEEPmJSF_EEE10hipError_tPvRmT3_T4_T5_T6_T7_T9_mT8_P12ihipStream_tbDpT10_ENKUlT_T0_E_clISt17integral_constantIbLb1EES17_IbLb0EEEEDaS13_S14_EUlS13_E_NS1_11comp_targetILNS1_3genE5ELNS1_11target_archE942ELNS1_3gpuE9ELNS1_3repE0EEENS1_30default_config_static_selectorELNS0_4arch9wavefront6targetE0EEEvT1_,@function
_ZN7rocprim17ROCPRIM_400000_NS6detail17trampoline_kernelINS0_14default_configENS1_25partition_config_selectorILNS1_17partition_subalgoE9EssbEEZZNS1_14partition_implILS5_9ELb0ES3_jN6thrust23THRUST_200600_302600_NS6detail15normal_iteratorINS9_10device_ptrIsEEEESE_PNS0_10empty_typeENS0_5tupleIJSE_SF_EEENSH_IJSE_SG_EEENS0_18inequality_wrapperI22is_equal_div_10_uniqueIsEEEPmJSF_EEE10hipError_tPvRmT3_T4_T5_T6_T7_T9_mT8_P12ihipStream_tbDpT10_ENKUlT_T0_E_clISt17integral_constantIbLb1EES17_IbLb0EEEEDaS13_S14_EUlS13_E_NS1_11comp_targetILNS1_3genE5ELNS1_11target_archE942ELNS1_3gpuE9ELNS1_3repE0EEENS1_30default_config_static_selectorELNS0_4arch9wavefront6targetE0EEEvT1_: ; @_ZN7rocprim17ROCPRIM_400000_NS6detail17trampoline_kernelINS0_14default_configENS1_25partition_config_selectorILNS1_17partition_subalgoE9EssbEEZZNS1_14partition_implILS5_9ELb0ES3_jN6thrust23THRUST_200600_302600_NS6detail15normal_iteratorINS9_10device_ptrIsEEEESE_PNS0_10empty_typeENS0_5tupleIJSE_SF_EEENSH_IJSE_SG_EEENS0_18inequality_wrapperI22is_equal_div_10_uniqueIsEEEPmJSF_EEE10hipError_tPvRmT3_T4_T5_T6_T7_T9_mT8_P12ihipStream_tbDpT10_ENKUlT_T0_E_clISt17integral_constantIbLb1EES17_IbLb0EEEEDaS13_S14_EUlS13_E_NS1_11comp_targetILNS1_3genE5ELNS1_11target_archE942ELNS1_3gpuE9ELNS1_3repE0EEENS1_30default_config_static_selectorELNS0_4arch9wavefront6targetE0EEEvT1_
; %bb.0:
	.section	.rodata,"a",@progbits
	.p2align	6, 0x0
	.amdhsa_kernel _ZN7rocprim17ROCPRIM_400000_NS6detail17trampoline_kernelINS0_14default_configENS1_25partition_config_selectorILNS1_17partition_subalgoE9EssbEEZZNS1_14partition_implILS5_9ELb0ES3_jN6thrust23THRUST_200600_302600_NS6detail15normal_iteratorINS9_10device_ptrIsEEEESE_PNS0_10empty_typeENS0_5tupleIJSE_SF_EEENSH_IJSE_SG_EEENS0_18inequality_wrapperI22is_equal_div_10_uniqueIsEEEPmJSF_EEE10hipError_tPvRmT3_T4_T5_T6_T7_T9_mT8_P12ihipStream_tbDpT10_ENKUlT_T0_E_clISt17integral_constantIbLb1EES17_IbLb0EEEEDaS13_S14_EUlS13_E_NS1_11comp_targetILNS1_3genE5ELNS1_11target_archE942ELNS1_3gpuE9ELNS1_3repE0EEENS1_30default_config_static_selectorELNS0_4arch9wavefront6targetE0EEEvT1_
		.amdhsa_group_segment_fixed_size 0
		.amdhsa_private_segment_fixed_size 0
		.amdhsa_kernarg_size 112
		.amdhsa_user_sgpr_count 15
		.amdhsa_user_sgpr_dispatch_ptr 0
		.amdhsa_user_sgpr_queue_ptr 0
		.amdhsa_user_sgpr_kernarg_segment_ptr 1
		.amdhsa_user_sgpr_dispatch_id 0
		.amdhsa_user_sgpr_private_segment_size 0
		.amdhsa_wavefront_size32 1
		.amdhsa_uses_dynamic_stack 0
		.amdhsa_enable_private_segment 0
		.amdhsa_system_sgpr_workgroup_id_x 1
		.amdhsa_system_sgpr_workgroup_id_y 0
		.amdhsa_system_sgpr_workgroup_id_z 0
		.amdhsa_system_sgpr_workgroup_info 0
		.amdhsa_system_vgpr_workitem_id 0
		.amdhsa_next_free_vgpr 1
		.amdhsa_next_free_sgpr 1
		.amdhsa_reserve_vcc 0
		.amdhsa_float_round_mode_32 0
		.amdhsa_float_round_mode_16_64 0
		.amdhsa_float_denorm_mode_32 3
		.amdhsa_float_denorm_mode_16_64 3
		.amdhsa_dx10_clamp 1
		.amdhsa_ieee_mode 1
		.amdhsa_fp16_overflow 0
		.amdhsa_workgroup_processor_mode 1
		.amdhsa_memory_ordered 1
		.amdhsa_forward_progress 0
		.amdhsa_shared_vgpr_count 0
		.amdhsa_exception_fp_ieee_invalid_op 0
		.amdhsa_exception_fp_denorm_src 0
		.amdhsa_exception_fp_ieee_div_zero 0
		.amdhsa_exception_fp_ieee_overflow 0
		.amdhsa_exception_fp_ieee_underflow 0
		.amdhsa_exception_fp_ieee_inexact 0
		.amdhsa_exception_int_div_zero 0
	.end_amdhsa_kernel
	.section	.text._ZN7rocprim17ROCPRIM_400000_NS6detail17trampoline_kernelINS0_14default_configENS1_25partition_config_selectorILNS1_17partition_subalgoE9EssbEEZZNS1_14partition_implILS5_9ELb0ES3_jN6thrust23THRUST_200600_302600_NS6detail15normal_iteratorINS9_10device_ptrIsEEEESE_PNS0_10empty_typeENS0_5tupleIJSE_SF_EEENSH_IJSE_SG_EEENS0_18inequality_wrapperI22is_equal_div_10_uniqueIsEEEPmJSF_EEE10hipError_tPvRmT3_T4_T5_T6_T7_T9_mT8_P12ihipStream_tbDpT10_ENKUlT_T0_E_clISt17integral_constantIbLb1EES17_IbLb0EEEEDaS13_S14_EUlS13_E_NS1_11comp_targetILNS1_3genE5ELNS1_11target_archE942ELNS1_3gpuE9ELNS1_3repE0EEENS1_30default_config_static_selectorELNS0_4arch9wavefront6targetE0EEEvT1_,"axG",@progbits,_ZN7rocprim17ROCPRIM_400000_NS6detail17trampoline_kernelINS0_14default_configENS1_25partition_config_selectorILNS1_17partition_subalgoE9EssbEEZZNS1_14partition_implILS5_9ELb0ES3_jN6thrust23THRUST_200600_302600_NS6detail15normal_iteratorINS9_10device_ptrIsEEEESE_PNS0_10empty_typeENS0_5tupleIJSE_SF_EEENSH_IJSE_SG_EEENS0_18inequality_wrapperI22is_equal_div_10_uniqueIsEEEPmJSF_EEE10hipError_tPvRmT3_T4_T5_T6_T7_T9_mT8_P12ihipStream_tbDpT10_ENKUlT_T0_E_clISt17integral_constantIbLb1EES17_IbLb0EEEEDaS13_S14_EUlS13_E_NS1_11comp_targetILNS1_3genE5ELNS1_11target_archE942ELNS1_3gpuE9ELNS1_3repE0EEENS1_30default_config_static_selectorELNS0_4arch9wavefront6targetE0EEEvT1_,comdat
.Lfunc_end518:
	.size	_ZN7rocprim17ROCPRIM_400000_NS6detail17trampoline_kernelINS0_14default_configENS1_25partition_config_selectorILNS1_17partition_subalgoE9EssbEEZZNS1_14partition_implILS5_9ELb0ES3_jN6thrust23THRUST_200600_302600_NS6detail15normal_iteratorINS9_10device_ptrIsEEEESE_PNS0_10empty_typeENS0_5tupleIJSE_SF_EEENSH_IJSE_SG_EEENS0_18inequality_wrapperI22is_equal_div_10_uniqueIsEEEPmJSF_EEE10hipError_tPvRmT3_T4_T5_T6_T7_T9_mT8_P12ihipStream_tbDpT10_ENKUlT_T0_E_clISt17integral_constantIbLb1EES17_IbLb0EEEEDaS13_S14_EUlS13_E_NS1_11comp_targetILNS1_3genE5ELNS1_11target_archE942ELNS1_3gpuE9ELNS1_3repE0EEENS1_30default_config_static_selectorELNS0_4arch9wavefront6targetE0EEEvT1_, .Lfunc_end518-_ZN7rocprim17ROCPRIM_400000_NS6detail17trampoline_kernelINS0_14default_configENS1_25partition_config_selectorILNS1_17partition_subalgoE9EssbEEZZNS1_14partition_implILS5_9ELb0ES3_jN6thrust23THRUST_200600_302600_NS6detail15normal_iteratorINS9_10device_ptrIsEEEESE_PNS0_10empty_typeENS0_5tupleIJSE_SF_EEENSH_IJSE_SG_EEENS0_18inequality_wrapperI22is_equal_div_10_uniqueIsEEEPmJSF_EEE10hipError_tPvRmT3_T4_T5_T6_T7_T9_mT8_P12ihipStream_tbDpT10_ENKUlT_T0_E_clISt17integral_constantIbLb1EES17_IbLb0EEEEDaS13_S14_EUlS13_E_NS1_11comp_targetILNS1_3genE5ELNS1_11target_archE942ELNS1_3gpuE9ELNS1_3repE0EEENS1_30default_config_static_selectorELNS0_4arch9wavefront6targetE0EEEvT1_
                                        ; -- End function
	.section	.AMDGPU.csdata,"",@progbits
; Kernel info:
; codeLenInByte = 0
; NumSgprs: 0
; NumVgprs: 0
; ScratchSize: 0
; MemoryBound: 0
; FloatMode: 240
; IeeeMode: 1
; LDSByteSize: 0 bytes/workgroup (compile time only)
; SGPRBlocks: 0
; VGPRBlocks: 0
; NumSGPRsForWavesPerEU: 1
; NumVGPRsForWavesPerEU: 1
; Occupancy: 16
; WaveLimiterHint : 0
; COMPUTE_PGM_RSRC2:SCRATCH_EN: 0
; COMPUTE_PGM_RSRC2:USER_SGPR: 15
; COMPUTE_PGM_RSRC2:TRAP_HANDLER: 0
; COMPUTE_PGM_RSRC2:TGID_X_EN: 1
; COMPUTE_PGM_RSRC2:TGID_Y_EN: 0
; COMPUTE_PGM_RSRC2:TGID_Z_EN: 0
; COMPUTE_PGM_RSRC2:TIDIG_COMP_CNT: 0
	.section	.text._ZN7rocprim17ROCPRIM_400000_NS6detail17trampoline_kernelINS0_14default_configENS1_25partition_config_selectorILNS1_17partition_subalgoE9EssbEEZZNS1_14partition_implILS5_9ELb0ES3_jN6thrust23THRUST_200600_302600_NS6detail15normal_iteratorINS9_10device_ptrIsEEEESE_PNS0_10empty_typeENS0_5tupleIJSE_SF_EEENSH_IJSE_SG_EEENS0_18inequality_wrapperI22is_equal_div_10_uniqueIsEEEPmJSF_EEE10hipError_tPvRmT3_T4_T5_T6_T7_T9_mT8_P12ihipStream_tbDpT10_ENKUlT_T0_E_clISt17integral_constantIbLb1EES17_IbLb0EEEEDaS13_S14_EUlS13_E_NS1_11comp_targetILNS1_3genE4ELNS1_11target_archE910ELNS1_3gpuE8ELNS1_3repE0EEENS1_30default_config_static_selectorELNS0_4arch9wavefront6targetE0EEEvT1_,"axG",@progbits,_ZN7rocprim17ROCPRIM_400000_NS6detail17trampoline_kernelINS0_14default_configENS1_25partition_config_selectorILNS1_17partition_subalgoE9EssbEEZZNS1_14partition_implILS5_9ELb0ES3_jN6thrust23THRUST_200600_302600_NS6detail15normal_iteratorINS9_10device_ptrIsEEEESE_PNS0_10empty_typeENS0_5tupleIJSE_SF_EEENSH_IJSE_SG_EEENS0_18inequality_wrapperI22is_equal_div_10_uniqueIsEEEPmJSF_EEE10hipError_tPvRmT3_T4_T5_T6_T7_T9_mT8_P12ihipStream_tbDpT10_ENKUlT_T0_E_clISt17integral_constantIbLb1EES17_IbLb0EEEEDaS13_S14_EUlS13_E_NS1_11comp_targetILNS1_3genE4ELNS1_11target_archE910ELNS1_3gpuE8ELNS1_3repE0EEENS1_30default_config_static_selectorELNS0_4arch9wavefront6targetE0EEEvT1_,comdat
	.protected	_ZN7rocprim17ROCPRIM_400000_NS6detail17trampoline_kernelINS0_14default_configENS1_25partition_config_selectorILNS1_17partition_subalgoE9EssbEEZZNS1_14partition_implILS5_9ELb0ES3_jN6thrust23THRUST_200600_302600_NS6detail15normal_iteratorINS9_10device_ptrIsEEEESE_PNS0_10empty_typeENS0_5tupleIJSE_SF_EEENSH_IJSE_SG_EEENS0_18inequality_wrapperI22is_equal_div_10_uniqueIsEEEPmJSF_EEE10hipError_tPvRmT3_T4_T5_T6_T7_T9_mT8_P12ihipStream_tbDpT10_ENKUlT_T0_E_clISt17integral_constantIbLb1EES17_IbLb0EEEEDaS13_S14_EUlS13_E_NS1_11comp_targetILNS1_3genE4ELNS1_11target_archE910ELNS1_3gpuE8ELNS1_3repE0EEENS1_30default_config_static_selectorELNS0_4arch9wavefront6targetE0EEEvT1_ ; -- Begin function _ZN7rocprim17ROCPRIM_400000_NS6detail17trampoline_kernelINS0_14default_configENS1_25partition_config_selectorILNS1_17partition_subalgoE9EssbEEZZNS1_14partition_implILS5_9ELb0ES3_jN6thrust23THRUST_200600_302600_NS6detail15normal_iteratorINS9_10device_ptrIsEEEESE_PNS0_10empty_typeENS0_5tupleIJSE_SF_EEENSH_IJSE_SG_EEENS0_18inequality_wrapperI22is_equal_div_10_uniqueIsEEEPmJSF_EEE10hipError_tPvRmT3_T4_T5_T6_T7_T9_mT8_P12ihipStream_tbDpT10_ENKUlT_T0_E_clISt17integral_constantIbLb1EES17_IbLb0EEEEDaS13_S14_EUlS13_E_NS1_11comp_targetILNS1_3genE4ELNS1_11target_archE910ELNS1_3gpuE8ELNS1_3repE0EEENS1_30default_config_static_selectorELNS0_4arch9wavefront6targetE0EEEvT1_
	.globl	_ZN7rocprim17ROCPRIM_400000_NS6detail17trampoline_kernelINS0_14default_configENS1_25partition_config_selectorILNS1_17partition_subalgoE9EssbEEZZNS1_14partition_implILS5_9ELb0ES3_jN6thrust23THRUST_200600_302600_NS6detail15normal_iteratorINS9_10device_ptrIsEEEESE_PNS0_10empty_typeENS0_5tupleIJSE_SF_EEENSH_IJSE_SG_EEENS0_18inequality_wrapperI22is_equal_div_10_uniqueIsEEEPmJSF_EEE10hipError_tPvRmT3_T4_T5_T6_T7_T9_mT8_P12ihipStream_tbDpT10_ENKUlT_T0_E_clISt17integral_constantIbLb1EES17_IbLb0EEEEDaS13_S14_EUlS13_E_NS1_11comp_targetILNS1_3genE4ELNS1_11target_archE910ELNS1_3gpuE8ELNS1_3repE0EEENS1_30default_config_static_selectorELNS0_4arch9wavefront6targetE0EEEvT1_
	.p2align	8
	.type	_ZN7rocprim17ROCPRIM_400000_NS6detail17trampoline_kernelINS0_14default_configENS1_25partition_config_selectorILNS1_17partition_subalgoE9EssbEEZZNS1_14partition_implILS5_9ELb0ES3_jN6thrust23THRUST_200600_302600_NS6detail15normal_iteratorINS9_10device_ptrIsEEEESE_PNS0_10empty_typeENS0_5tupleIJSE_SF_EEENSH_IJSE_SG_EEENS0_18inequality_wrapperI22is_equal_div_10_uniqueIsEEEPmJSF_EEE10hipError_tPvRmT3_T4_T5_T6_T7_T9_mT8_P12ihipStream_tbDpT10_ENKUlT_T0_E_clISt17integral_constantIbLb1EES17_IbLb0EEEEDaS13_S14_EUlS13_E_NS1_11comp_targetILNS1_3genE4ELNS1_11target_archE910ELNS1_3gpuE8ELNS1_3repE0EEENS1_30default_config_static_selectorELNS0_4arch9wavefront6targetE0EEEvT1_,@function
_ZN7rocprim17ROCPRIM_400000_NS6detail17trampoline_kernelINS0_14default_configENS1_25partition_config_selectorILNS1_17partition_subalgoE9EssbEEZZNS1_14partition_implILS5_9ELb0ES3_jN6thrust23THRUST_200600_302600_NS6detail15normal_iteratorINS9_10device_ptrIsEEEESE_PNS0_10empty_typeENS0_5tupleIJSE_SF_EEENSH_IJSE_SG_EEENS0_18inequality_wrapperI22is_equal_div_10_uniqueIsEEEPmJSF_EEE10hipError_tPvRmT3_T4_T5_T6_T7_T9_mT8_P12ihipStream_tbDpT10_ENKUlT_T0_E_clISt17integral_constantIbLb1EES17_IbLb0EEEEDaS13_S14_EUlS13_E_NS1_11comp_targetILNS1_3genE4ELNS1_11target_archE910ELNS1_3gpuE8ELNS1_3repE0EEENS1_30default_config_static_selectorELNS0_4arch9wavefront6targetE0EEEvT1_: ; @_ZN7rocprim17ROCPRIM_400000_NS6detail17trampoline_kernelINS0_14default_configENS1_25partition_config_selectorILNS1_17partition_subalgoE9EssbEEZZNS1_14partition_implILS5_9ELb0ES3_jN6thrust23THRUST_200600_302600_NS6detail15normal_iteratorINS9_10device_ptrIsEEEESE_PNS0_10empty_typeENS0_5tupleIJSE_SF_EEENSH_IJSE_SG_EEENS0_18inequality_wrapperI22is_equal_div_10_uniqueIsEEEPmJSF_EEE10hipError_tPvRmT3_T4_T5_T6_T7_T9_mT8_P12ihipStream_tbDpT10_ENKUlT_T0_E_clISt17integral_constantIbLb1EES17_IbLb0EEEEDaS13_S14_EUlS13_E_NS1_11comp_targetILNS1_3genE4ELNS1_11target_archE910ELNS1_3gpuE8ELNS1_3repE0EEENS1_30default_config_static_selectorELNS0_4arch9wavefront6targetE0EEEvT1_
; %bb.0:
	.section	.rodata,"a",@progbits
	.p2align	6, 0x0
	.amdhsa_kernel _ZN7rocprim17ROCPRIM_400000_NS6detail17trampoline_kernelINS0_14default_configENS1_25partition_config_selectorILNS1_17partition_subalgoE9EssbEEZZNS1_14partition_implILS5_9ELb0ES3_jN6thrust23THRUST_200600_302600_NS6detail15normal_iteratorINS9_10device_ptrIsEEEESE_PNS0_10empty_typeENS0_5tupleIJSE_SF_EEENSH_IJSE_SG_EEENS0_18inequality_wrapperI22is_equal_div_10_uniqueIsEEEPmJSF_EEE10hipError_tPvRmT3_T4_T5_T6_T7_T9_mT8_P12ihipStream_tbDpT10_ENKUlT_T0_E_clISt17integral_constantIbLb1EES17_IbLb0EEEEDaS13_S14_EUlS13_E_NS1_11comp_targetILNS1_3genE4ELNS1_11target_archE910ELNS1_3gpuE8ELNS1_3repE0EEENS1_30default_config_static_selectorELNS0_4arch9wavefront6targetE0EEEvT1_
		.amdhsa_group_segment_fixed_size 0
		.amdhsa_private_segment_fixed_size 0
		.amdhsa_kernarg_size 112
		.amdhsa_user_sgpr_count 15
		.amdhsa_user_sgpr_dispatch_ptr 0
		.amdhsa_user_sgpr_queue_ptr 0
		.amdhsa_user_sgpr_kernarg_segment_ptr 1
		.amdhsa_user_sgpr_dispatch_id 0
		.amdhsa_user_sgpr_private_segment_size 0
		.amdhsa_wavefront_size32 1
		.amdhsa_uses_dynamic_stack 0
		.amdhsa_enable_private_segment 0
		.amdhsa_system_sgpr_workgroup_id_x 1
		.amdhsa_system_sgpr_workgroup_id_y 0
		.amdhsa_system_sgpr_workgroup_id_z 0
		.amdhsa_system_sgpr_workgroup_info 0
		.amdhsa_system_vgpr_workitem_id 0
		.amdhsa_next_free_vgpr 1
		.amdhsa_next_free_sgpr 1
		.amdhsa_reserve_vcc 0
		.amdhsa_float_round_mode_32 0
		.amdhsa_float_round_mode_16_64 0
		.amdhsa_float_denorm_mode_32 3
		.amdhsa_float_denorm_mode_16_64 3
		.amdhsa_dx10_clamp 1
		.amdhsa_ieee_mode 1
		.amdhsa_fp16_overflow 0
		.amdhsa_workgroup_processor_mode 1
		.amdhsa_memory_ordered 1
		.amdhsa_forward_progress 0
		.amdhsa_shared_vgpr_count 0
		.amdhsa_exception_fp_ieee_invalid_op 0
		.amdhsa_exception_fp_denorm_src 0
		.amdhsa_exception_fp_ieee_div_zero 0
		.amdhsa_exception_fp_ieee_overflow 0
		.amdhsa_exception_fp_ieee_underflow 0
		.amdhsa_exception_fp_ieee_inexact 0
		.amdhsa_exception_int_div_zero 0
	.end_amdhsa_kernel
	.section	.text._ZN7rocprim17ROCPRIM_400000_NS6detail17trampoline_kernelINS0_14default_configENS1_25partition_config_selectorILNS1_17partition_subalgoE9EssbEEZZNS1_14partition_implILS5_9ELb0ES3_jN6thrust23THRUST_200600_302600_NS6detail15normal_iteratorINS9_10device_ptrIsEEEESE_PNS0_10empty_typeENS0_5tupleIJSE_SF_EEENSH_IJSE_SG_EEENS0_18inequality_wrapperI22is_equal_div_10_uniqueIsEEEPmJSF_EEE10hipError_tPvRmT3_T4_T5_T6_T7_T9_mT8_P12ihipStream_tbDpT10_ENKUlT_T0_E_clISt17integral_constantIbLb1EES17_IbLb0EEEEDaS13_S14_EUlS13_E_NS1_11comp_targetILNS1_3genE4ELNS1_11target_archE910ELNS1_3gpuE8ELNS1_3repE0EEENS1_30default_config_static_selectorELNS0_4arch9wavefront6targetE0EEEvT1_,"axG",@progbits,_ZN7rocprim17ROCPRIM_400000_NS6detail17trampoline_kernelINS0_14default_configENS1_25partition_config_selectorILNS1_17partition_subalgoE9EssbEEZZNS1_14partition_implILS5_9ELb0ES3_jN6thrust23THRUST_200600_302600_NS6detail15normal_iteratorINS9_10device_ptrIsEEEESE_PNS0_10empty_typeENS0_5tupleIJSE_SF_EEENSH_IJSE_SG_EEENS0_18inequality_wrapperI22is_equal_div_10_uniqueIsEEEPmJSF_EEE10hipError_tPvRmT3_T4_T5_T6_T7_T9_mT8_P12ihipStream_tbDpT10_ENKUlT_T0_E_clISt17integral_constantIbLb1EES17_IbLb0EEEEDaS13_S14_EUlS13_E_NS1_11comp_targetILNS1_3genE4ELNS1_11target_archE910ELNS1_3gpuE8ELNS1_3repE0EEENS1_30default_config_static_selectorELNS0_4arch9wavefront6targetE0EEEvT1_,comdat
.Lfunc_end519:
	.size	_ZN7rocprim17ROCPRIM_400000_NS6detail17trampoline_kernelINS0_14default_configENS1_25partition_config_selectorILNS1_17partition_subalgoE9EssbEEZZNS1_14partition_implILS5_9ELb0ES3_jN6thrust23THRUST_200600_302600_NS6detail15normal_iteratorINS9_10device_ptrIsEEEESE_PNS0_10empty_typeENS0_5tupleIJSE_SF_EEENSH_IJSE_SG_EEENS0_18inequality_wrapperI22is_equal_div_10_uniqueIsEEEPmJSF_EEE10hipError_tPvRmT3_T4_T5_T6_T7_T9_mT8_P12ihipStream_tbDpT10_ENKUlT_T0_E_clISt17integral_constantIbLb1EES17_IbLb0EEEEDaS13_S14_EUlS13_E_NS1_11comp_targetILNS1_3genE4ELNS1_11target_archE910ELNS1_3gpuE8ELNS1_3repE0EEENS1_30default_config_static_selectorELNS0_4arch9wavefront6targetE0EEEvT1_, .Lfunc_end519-_ZN7rocprim17ROCPRIM_400000_NS6detail17trampoline_kernelINS0_14default_configENS1_25partition_config_selectorILNS1_17partition_subalgoE9EssbEEZZNS1_14partition_implILS5_9ELb0ES3_jN6thrust23THRUST_200600_302600_NS6detail15normal_iteratorINS9_10device_ptrIsEEEESE_PNS0_10empty_typeENS0_5tupleIJSE_SF_EEENSH_IJSE_SG_EEENS0_18inequality_wrapperI22is_equal_div_10_uniqueIsEEEPmJSF_EEE10hipError_tPvRmT3_T4_T5_T6_T7_T9_mT8_P12ihipStream_tbDpT10_ENKUlT_T0_E_clISt17integral_constantIbLb1EES17_IbLb0EEEEDaS13_S14_EUlS13_E_NS1_11comp_targetILNS1_3genE4ELNS1_11target_archE910ELNS1_3gpuE8ELNS1_3repE0EEENS1_30default_config_static_selectorELNS0_4arch9wavefront6targetE0EEEvT1_
                                        ; -- End function
	.section	.AMDGPU.csdata,"",@progbits
; Kernel info:
; codeLenInByte = 0
; NumSgprs: 0
; NumVgprs: 0
; ScratchSize: 0
; MemoryBound: 0
; FloatMode: 240
; IeeeMode: 1
; LDSByteSize: 0 bytes/workgroup (compile time only)
; SGPRBlocks: 0
; VGPRBlocks: 0
; NumSGPRsForWavesPerEU: 1
; NumVGPRsForWavesPerEU: 1
; Occupancy: 16
; WaveLimiterHint : 0
; COMPUTE_PGM_RSRC2:SCRATCH_EN: 0
; COMPUTE_PGM_RSRC2:USER_SGPR: 15
; COMPUTE_PGM_RSRC2:TRAP_HANDLER: 0
; COMPUTE_PGM_RSRC2:TGID_X_EN: 1
; COMPUTE_PGM_RSRC2:TGID_Y_EN: 0
; COMPUTE_PGM_RSRC2:TGID_Z_EN: 0
; COMPUTE_PGM_RSRC2:TIDIG_COMP_CNT: 0
	.section	.text._ZN7rocprim17ROCPRIM_400000_NS6detail17trampoline_kernelINS0_14default_configENS1_25partition_config_selectorILNS1_17partition_subalgoE9EssbEEZZNS1_14partition_implILS5_9ELb0ES3_jN6thrust23THRUST_200600_302600_NS6detail15normal_iteratorINS9_10device_ptrIsEEEESE_PNS0_10empty_typeENS0_5tupleIJSE_SF_EEENSH_IJSE_SG_EEENS0_18inequality_wrapperI22is_equal_div_10_uniqueIsEEEPmJSF_EEE10hipError_tPvRmT3_T4_T5_T6_T7_T9_mT8_P12ihipStream_tbDpT10_ENKUlT_T0_E_clISt17integral_constantIbLb1EES17_IbLb0EEEEDaS13_S14_EUlS13_E_NS1_11comp_targetILNS1_3genE3ELNS1_11target_archE908ELNS1_3gpuE7ELNS1_3repE0EEENS1_30default_config_static_selectorELNS0_4arch9wavefront6targetE0EEEvT1_,"axG",@progbits,_ZN7rocprim17ROCPRIM_400000_NS6detail17trampoline_kernelINS0_14default_configENS1_25partition_config_selectorILNS1_17partition_subalgoE9EssbEEZZNS1_14partition_implILS5_9ELb0ES3_jN6thrust23THRUST_200600_302600_NS6detail15normal_iteratorINS9_10device_ptrIsEEEESE_PNS0_10empty_typeENS0_5tupleIJSE_SF_EEENSH_IJSE_SG_EEENS0_18inequality_wrapperI22is_equal_div_10_uniqueIsEEEPmJSF_EEE10hipError_tPvRmT3_T4_T5_T6_T7_T9_mT8_P12ihipStream_tbDpT10_ENKUlT_T0_E_clISt17integral_constantIbLb1EES17_IbLb0EEEEDaS13_S14_EUlS13_E_NS1_11comp_targetILNS1_3genE3ELNS1_11target_archE908ELNS1_3gpuE7ELNS1_3repE0EEENS1_30default_config_static_selectorELNS0_4arch9wavefront6targetE0EEEvT1_,comdat
	.protected	_ZN7rocprim17ROCPRIM_400000_NS6detail17trampoline_kernelINS0_14default_configENS1_25partition_config_selectorILNS1_17partition_subalgoE9EssbEEZZNS1_14partition_implILS5_9ELb0ES3_jN6thrust23THRUST_200600_302600_NS6detail15normal_iteratorINS9_10device_ptrIsEEEESE_PNS0_10empty_typeENS0_5tupleIJSE_SF_EEENSH_IJSE_SG_EEENS0_18inequality_wrapperI22is_equal_div_10_uniqueIsEEEPmJSF_EEE10hipError_tPvRmT3_T4_T5_T6_T7_T9_mT8_P12ihipStream_tbDpT10_ENKUlT_T0_E_clISt17integral_constantIbLb1EES17_IbLb0EEEEDaS13_S14_EUlS13_E_NS1_11comp_targetILNS1_3genE3ELNS1_11target_archE908ELNS1_3gpuE7ELNS1_3repE0EEENS1_30default_config_static_selectorELNS0_4arch9wavefront6targetE0EEEvT1_ ; -- Begin function _ZN7rocprim17ROCPRIM_400000_NS6detail17trampoline_kernelINS0_14default_configENS1_25partition_config_selectorILNS1_17partition_subalgoE9EssbEEZZNS1_14partition_implILS5_9ELb0ES3_jN6thrust23THRUST_200600_302600_NS6detail15normal_iteratorINS9_10device_ptrIsEEEESE_PNS0_10empty_typeENS0_5tupleIJSE_SF_EEENSH_IJSE_SG_EEENS0_18inequality_wrapperI22is_equal_div_10_uniqueIsEEEPmJSF_EEE10hipError_tPvRmT3_T4_T5_T6_T7_T9_mT8_P12ihipStream_tbDpT10_ENKUlT_T0_E_clISt17integral_constantIbLb1EES17_IbLb0EEEEDaS13_S14_EUlS13_E_NS1_11comp_targetILNS1_3genE3ELNS1_11target_archE908ELNS1_3gpuE7ELNS1_3repE0EEENS1_30default_config_static_selectorELNS0_4arch9wavefront6targetE0EEEvT1_
	.globl	_ZN7rocprim17ROCPRIM_400000_NS6detail17trampoline_kernelINS0_14default_configENS1_25partition_config_selectorILNS1_17partition_subalgoE9EssbEEZZNS1_14partition_implILS5_9ELb0ES3_jN6thrust23THRUST_200600_302600_NS6detail15normal_iteratorINS9_10device_ptrIsEEEESE_PNS0_10empty_typeENS0_5tupleIJSE_SF_EEENSH_IJSE_SG_EEENS0_18inequality_wrapperI22is_equal_div_10_uniqueIsEEEPmJSF_EEE10hipError_tPvRmT3_T4_T5_T6_T7_T9_mT8_P12ihipStream_tbDpT10_ENKUlT_T0_E_clISt17integral_constantIbLb1EES17_IbLb0EEEEDaS13_S14_EUlS13_E_NS1_11comp_targetILNS1_3genE3ELNS1_11target_archE908ELNS1_3gpuE7ELNS1_3repE0EEENS1_30default_config_static_selectorELNS0_4arch9wavefront6targetE0EEEvT1_
	.p2align	8
	.type	_ZN7rocprim17ROCPRIM_400000_NS6detail17trampoline_kernelINS0_14default_configENS1_25partition_config_selectorILNS1_17partition_subalgoE9EssbEEZZNS1_14partition_implILS5_9ELb0ES3_jN6thrust23THRUST_200600_302600_NS6detail15normal_iteratorINS9_10device_ptrIsEEEESE_PNS0_10empty_typeENS0_5tupleIJSE_SF_EEENSH_IJSE_SG_EEENS0_18inequality_wrapperI22is_equal_div_10_uniqueIsEEEPmJSF_EEE10hipError_tPvRmT3_T4_T5_T6_T7_T9_mT8_P12ihipStream_tbDpT10_ENKUlT_T0_E_clISt17integral_constantIbLb1EES17_IbLb0EEEEDaS13_S14_EUlS13_E_NS1_11comp_targetILNS1_3genE3ELNS1_11target_archE908ELNS1_3gpuE7ELNS1_3repE0EEENS1_30default_config_static_selectorELNS0_4arch9wavefront6targetE0EEEvT1_,@function
_ZN7rocprim17ROCPRIM_400000_NS6detail17trampoline_kernelINS0_14default_configENS1_25partition_config_selectorILNS1_17partition_subalgoE9EssbEEZZNS1_14partition_implILS5_9ELb0ES3_jN6thrust23THRUST_200600_302600_NS6detail15normal_iteratorINS9_10device_ptrIsEEEESE_PNS0_10empty_typeENS0_5tupleIJSE_SF_EEENSH_IJSE_SG_EEENS0_18inequality_wrapperI22is_equal_div_10_uniqueIsEEEPmJSF_EEE10hipError_tPvRmT3_T4_T5_T6_T7_T9_mT8_P12ihipStream_tbDpT10_ENKUlT_T0_E_clISt17integral_constantIbLb1EES17_IbLb0EEEEDaS13_S14_EUlS13_E_NS1_11comp_targetILNS1_3genE3ELNS1_11target_archE908ELNS1_3gpuE7ELNS1_3repE0EEENS1_30default_config_static_selectorELNS0_4arch9wavefront6targetE0EEEvT1_: ; @_ZN7rocprim17ROCPRIM_400000_NS6detail17trampoline_kernelINS0_14default_configENS1_25partition_config_selectorILNS1_17partition_subalgoE9EssbEEZZNS1_14partition_implILS5_9ELb0ES3_jN6thrust23THRUST_200600_302600_NS6detail15normal_iteratorINS9_10device_ptrIsEEEESE_PNS0_10empty_typeENS0_5tupleIJSE_SF_EEENSH_IJSE_SG_EEENS0_18inequality_wrapperI22is_equal_div_10_uniqueIsEEEPmJSF_EEE10hipError_tPvRmT3_T4_T5_T6_T7_T9_mT8_P12ihipStream_tbDpT10_ENKUlT_T0_E_clISt17integral_constantIbLb1EES17_IbLb0EEEEDaS13_S14_EUlS13_E_NS1_11comp_targetILNS1_3genE3ELNS1_11target_archE908ELNS1_3gpuE7ELNS1_3repE0EEENS1_30default_config_static_selectorELNS0_4arch9wavefront6targetE0EEEvT1_
; %bb.0:
	.section	.rodata,"a",@progbits
	.p2align	6, 0x0
	.amdhsa_kernel _ZN7rocprim17ROCPRIM_400000_NS6detail17trampoline_kernelINS0_14default_configENS1_25partition_config_selectorILNS1_17partition_subalgoE9EssbEEZZNS1_14partition_implILS5_9ELb0ES3_jN6thrust23THRUST_200600_302600_NS6detail15normal_iteratorINS9_10device_ptrIsEEEESE_PNS0_10empty_typeENS0_5tupleIJSE_SF_EEENSH_IJSE_SG_EEENS0_18inequality_wrapperI22is_equal_div_10_uniqueIsEEEPmJSF_EEE10hipError_tPvRmT3_T4_T5_T6_T7_T9_mT8_P12ihipStream_tbDpT10_ENKUlT_T0_E_clISt17integral_constantIbLb1EES17_IbLb0EEEEDaS13_S14_EUlS13_E_NS1_11comp_targetILNS1_3genE3ELNS1_11target_archE908ELNS1_3gpuE7ELNS1_3repE0EEENS1_30default_config_static_selectorELNS0_4arch9wavefront6targetE0EEEvT1_
		.amdhsa_group_segment_fixed_size 0
		.amdhsa_private_segment_fixed_size 0
		.amdhsa_kernarg_size 112
		.amdhsa_user_sgpr_count 15
		.amdhsa_user_sgpr_dispatch_ptr 0
		.amdhsa_user_sgpr_queue_ptr 0
		.amdhsa_user_sgpr_kernarg_segment_ptr 1
		.amdhsa_user_sgpr_dispatch_id 0
		.amdhsa_user_sgpr_private_segment_size 0
		.amdhsa_wavefront_size32 1
		.amdhsa_uses_dynamic_stack 0
		.amdhsa_enable_private_segment 0
		.amdhsa_system_sgpr_workgroup_id_x 1
		.amdhsa_system_sgpr_workgroup_id_y 0
		.amdhsa_system_sgpr_workgroup_id_z 0
		.amdhsa_system_sgpr_workgroup_info 0
		.amdhsa_system_vgpr_workitem_id 0
		.amdhsa_next_free_vgpr 1
		.amdhsa_next_free_sgpr 1
		.amdhsa_reserve_vcc 0
		.amdhsa_float_round_mode_32 0
		.amdhsa_float_round_mode_16_64 0
		.amdhsa_float_denorm_mode_32 3
		.amdhsa_float_denorm_mode_16_64 3
		.amdhsa_dx10_clamp 1
		.amdhsa_ieee_mode 1
		.amdhsa_fp16_overflow 0
		.amdhsa_workgroup_processor_mode 1
		.amdhsa_memory_ordered 1
		.amdhsa_forward_progress 0
		.amdhsa_shared_vgpr_count 0
		.amdhsa_exception_fp_ieee_invalid_op 0
		.amdhsa_exception_fp_denorm_src 0
		.amdhsa_exception_fp_ieee_div_zero 0
		.amdhsa_exception_fp_ieee_overflow 0
		.amdhsa_exception_fp_ieee_underflow 0
		.amdhsa_exception_fp_ieee_inexact 0
		.amdhsa_exception_int_div_zero 0
	.end_amdhsa_kernel
	.section	.text._ZN7rocprim17ROCPRIM_400000_NS6detail17trampoline_kernelINS0_14default_configENS1_25partition_config_selectorILNS1_17partition_subalgoE9EssbEEZZNS1_14partition_implILS5_9ELb0ES3_jN6thrust23THRUST_200600_302600_NS6detail15normal_iteratorINS9_10device_ptrIsEEEESE_PNS0_10empty_typeENS0_5tupleIJSE_SF_EEENSH_IJSE_SG_EEENS0_18inequality_wrapperI22is_equal_div_10_uniqueIsEEEPmJSF_EEE10hipError_tPvRmT3_T4_T5_T6_T7_T9_mT8_P12ihipStream_tbDpT10_ENKUlT_T0_E_clISt17integral_constantIbLb1EES17_IbLb0EEEEDaS13_S14_EUlS13_E_NS1_11comp_targetILNS1_3genE3ELNS1_11target_archE908ELNS1_3gpuE7ELNS1_3repE0EEENS1_30default_config_static_selectorELNS0_4arch9wavefront6targetE0EEEvT1_,"axG",@progbits,_ZN7rocprim17ROCPRIM_400000_NS6detail17trampoline_kernelINS0_14default_configENS1_25partition_config_selectorILNS1_17partition_subalgoE9EssbEEZZNS1_14partition_implILS5_9ELb0ES3_jN6thrust23THRUST_200600_302600_NS6detail15normal_iteratorINS9_10device_ptrIsEEEESE_PNS0_10empty_typeENS0_5tupleIJSE_SF_EEENSH_IJSE_SG_EEENS0_18inequality_wrapperI22is_equal_div_10_uniqueIsEEEPmJSF_EEE10hipError_tPvRmT3_T4_T5_T6_T7_T9_mT8_P12ihipStream_tbDpT10_ENKUlT_T0_E_clISt17integral_constantIbLb1EES17_IbLb0EEEEDaS13_S14_EUlS13_E_NS1_11comp_targetILNS1_3genE3ELNS1_11target_archE908ELNS1_3gpuE7ELNS1_3repE0EEENS1_30default_config_static_selectorELNS0_4arch9wavefront6targetE0EEEvT1_,comdat
.Lfunc_end520:
	.size	_ZN7rocprim17ROCPRIM_400000_NS6detail17trampoline_kernelINS0_14default_configENS1_25partition_config_selectorILNS1_17partition_subalgoE9EssbEEZZNS1_14partition_implILS5_9ELb0ES3_jN6thrust23THRUST_200600_302600_NS6detail15normal_iteratorINS9_10device_ptrIsEEEESE_PNS0_10empty_typeENS0_5tupleIJSE_SF_EEENSH_IJSE_SG_EEENS0_18inequality_wrapperI22is_equal_div_10_uniqueIsEEEPmJSF_EEE10hipError_tPvRmT3_T4_T5_T6_T7_T9_mT8_P12ihipStream_tbDpT10_ENKUlT_T0_E_clISt17integral_constantIbLb1EES17_IbLb0EEEEDaS13_S14_EUlS13_E_NS1_11comp_targetILNS1_3genE3ELNS1_11target_archE908ELNS1_3gpuE7ELNS1_3repE0EEENS1_30default_config_static_selectorELNS0_4arch9wavefront6targetE0EEEvT1_, .Lfunc_end520-_ZN7rocprim17ROCPRIM_400000_NS6detail17trampoline_kernelINS0_14default_configENS1_25partition_config_selectorILNS1_17partition_subalgoE9EssbEEZZNS1_14partition_implILS5_9ELb0ES3_jN6thrust23THRUST_200600_302600_NS6detail15normal_iteratorINS9_10device_ptrIsEEEESE_PNS0_10empty_typeENS0_5tupleIJSE_SF_EEENSH_IJSE_SG_EEENS0_18inequality_wrapperI22is_equal_div_10_uniqueIsEEEPmJSF_EEE10hipError_tPvRmT3_T4_T5_T6_T7_T9_mT8_P12ihipStream_tbDpT10_ENKUlT_T0_E_clISt17integral_constantIbLb1EES17_IbLb0EEEEDaS13_S14_EUlS13_E_NS1_11comp_targetILNS1_3genE3ELNS1_11target_archE908ELNS1_3gpuE7ELNS1_3repE0EEENS1_30default_config_static_selectorELNS0_4arch9wavefront6targetE0EEEvT1_
                                        ; -- End function
	.section	.AMDGPU.csdata,"",@progbits
; Kernel info:
; codeLenInByte = 0
; NumSgprs: 0
; NumVgprs: 0
; ScratchSize: 0
; MemoryBound: 0
; FloatMode: 240
; IeeeMode: 1
; LDSByteSize: 0 bytes/workgroup (compile time only)
; SGPRBlocks: 0
; VGPRBlocks: 0
; NumSGPRsForWavesPerEU: 1
; NumVGPRsForWavesPerEU: 1
; Occupancy: 16
; WaveLimiterHint : 0
; COMPUTE_PGM_RSRC2:SCRATCH_EN: 0
; COMPUTE_PGM_RSRC2:USER_SGPR: 15
; COMPUTE_PGM_RSRC2:TRAP_HANDLER: 0
; COMPUTE_PGM_RSRC2:TGID_X_EN: 1
; COMPUTE_PGM_RSRC2:TGID_Y_EN: 0
; COMPUTE_PGM_RSRC2:TGID_Z_EN: 0
; COMPUTE_PGM_RSRC2:TIDIG_COMP_CNT: 0
	.section	.text._ZN7rocprim17ROCPRIM_400000_NS6detail17trampoline_kernelINS0_14default_configENS1_25partition_config_selectorILNS1_17partition_subalgoE9EssbEEZZNS1_14partition_implILS5_9ELb0ES3_jN6thrust23THRUST_200600_302600_NS6detail15normal_iteratorINS9_10device_ptrIsEEEESE_PNS0_10empty_typeENS0_5tupleIJSE_SF_EEENSH_IJSE_SG_EEENS0_18inequality_wrapperI22is_equal_div_10_uniqueIsEEEPmJSF_EEE10hipError_tPvRmT3_T4_T5_T6_T7_T9_mT8_P12ihipStream_tbDpT10_ENKUlT_T0_E_clISt17integral_constantIbLb1EES17_IbLb0EEEEDaS13_S14_EUlS13_E_NS1_11comp_targetILNS1_3genE2ELNS1_11target_archE906ELNS1_3gpuE6ELNS1_3repE0EEENS1_30default_config_static_selectorELNS0_4arch9wavefront6targetE0EEEvT1_,"axG",@progbits,_ZN7rocprim17ROCPRIM_400000_NS6detail17trampoline_kernelINS0_14default_configENS1_25partition_config_selectorILNS1_17partition_subalgoE9EssbEEZZNS1_14partition_implILS5_9ELb0ES3_jN6thrust23THRUST_200600_302600_NS6detail15normal_iteratorINS9_10device_ptrIsEEEESE_PNS0_10empty_typeENS0_5tupleIJSE_SF_EEENSH_IJSE_SG_EEENS0_18inequality_wrapperI22is_equal_div_10_uniqueIsEEEPmJSF_EEE10hipError_tPvRmT3_T4_T5_T6_T7_T9_mT8_P12ihipStream_tbDpT10_ENKUlT_T0_E_clISt17integral_constantIbLb1EES17_IbLb0EEEEDaS13_S14_EUlS13_E_NS1_11comp_targetILNS1_3genE2ELNS1_11target_archE906ELNS1_3gpuE6ELNS1_3repE0EEENS1_30default_config_static_selectorELNS0_4arch9wavefront6targetE0EEEvT1_,comdat
	.protected	_ZN7rocprim17ROCPRIM_400000_NS6detail17trampoline_kernelINS0_14default_configENS1_25partition_config_selectorILNS1_17partition_subalgoE9EssbEEZZNS1_14partition_implILS5_9ELb0ES3_jN6thrust23THRUST_200600_302600_NS6detail15normal_iteratorINS9_10device_ptrIsEEEESE_PNS0_10empty_typeENS0_5tupleIJSE_SF_EEENSH_IJSE_SG_EEENS0_18inequality_wrapperI22is_equal_div_10_uniqueIsEEEPmJSF_EEE10hipError_tPvRmT3_T4_T5_T6_T7_T9_mT8_P12ihipStream_tbDpT10_ENKUlT_T0_E_clISt17integral_constantIbLb1EES17_IbLb0EEEEDaS13_S14_EUlS13_E_NS1_11comp_targetILNS1_3genE2ELNS1_11target_archE906ELNS1_3gpuE6ELNS1_3repE0EEENS1_30default_config_static_selectorELNS0_4arch9wavefront6targetE0EEEvT1_ ; -- Begin function _ZN7rocprim17ROCPRIM_400000_NS6detail17trampoline_kernelINS0_14default_configENS1_25partition_config_selectorILNS1_17partition_subalgoE9EssbEEZZNS1_14partition_implILS5_9ELb0ES3_jN6thrust23THRUST_200600_302600_NS6detail15normal_iteratorINS9_10device_ptrIsEEEESE_PNS0_10empty_typeENS0_5tupleIJSE_SF_EEENSH_IJSE_SG_EEENS0_18inequality_wrapperI22is_equal_div_10_uniqueIsEEEPmJSF_EEE10hipError_tPvRmT3_T4_T5_T6_T7_T9_mT8_P12ihipStream_tbDpT10_ENKUlT_T0_E_clISt17integral_constantIbLb1EES17_IbLb0EEEEDaS13_S14_EUlS13_E_NS1_11comp_targetILNS1_3genE2ELNS1_11target_archE906ELNS1_3gpuE6ELNS1_3repE0EEENS1_30default_config_static_selectorELNS0_4arch9wavefront6targetE0EEEvT1_
	.globl	_ZN7rocprim17ROCPRIM_400000_NS6detail17trampoline_kernelINS0_14default_configENS1_25partition_config_selectorILNS1_17partition_subalgoE9EssbEEZZNS1_14partition_implILS5_9ELb0ES3_jN6thrust23THRUST_200600_302600_NS6detail15normal_iteratorINS9_10device_ptrIsEEEESE_PNS0_10empty_typeENS0_5tupleIJSE_SF_EEENSH_IJSE_SG_EEENS0_18inequality_wrapperI22is_equal_div_10_uniqueIsEEEPmJSF_EEE10hipError_tPvRmT3_T4_T5_T6_T7_T9_mT8_P12ihipStream_tbDpT10_ENKUlT_T0_E_clISt17integral_constantIbLb1EES17_IbLb0EEEEDaS13_S14_EUlS13_E_NS1_11comp_targetILNS1_3genE2ELNS1_11target_archE906ELNS1_3gpuE6ELNS1_3repE0EEENS1_30default_config_static_selectorELNS0_4arch9wavefront6targetE0EEEvT1_
	.p2align	8
	.type	_ZN7rocprim17ROCPRIM_400000_NS6detail17trampoline_kernelINS0_14default_configENS1_25partition_config_selectorILNS1_17partition_subalgoE9EssbEEZZNS1_14partition_implILS5_9ELb0ES3_jN6thrust23THRUST_200600_302600_NS6detail15normal_iteratorINS9_10device_ptrIsEEEESE_PNS0_10empty_typeENS0_5tupleIJSE_SF_EEENSH_IJSE_SG_EEENS0_18inequality_wrapperI22is_equal_div_10_uniqueIsEEEPmJSF_EEE10hipError_tPvRmT3_T4_T5_T6_T7_T9_mT8_P12ihipStream_tbDpT10_ENKUlT_T0_E_clISt17integral_constantIbLb1EES17_IbLb0EEEEDaS13_S14_EUlS13_E_NS1_11comp_targetILNS1_3genE2ELNS1_11target_archE906ELNS1_3gpuE6ELNS1_3repE0EEENS1_30default_config_static_selectorELNS0_4arch9wavefront6targetE0EEEvT1_,@function
_ZN7rocprim17ROCPRIM_400000_NS6detail17trampoline_kernelINS0_14default_configENS1_25partition_config_selectorILNS1_17partition_subalgoE9EssbEEZZNS1_14partition_implILS5_9ELb0ES3_jN6thrust23THRUST_200600_302600_NS6detail15normal_iteratorINS9_10device_ptrIsEEEESE_PNS0_10empty_typeENS0_5tupleIJSE_SF_EEENSH_IJSE_SG_EEENS0_18inequality_wrapperI22is_equal_div_10_uniqueIsEEEPmJSF_EEE10hipError_tPvRmT3_T4_T5_T6_T7_T9_mT8_P12ihipStream_tbDpT10_ENKUlT_T0_E_clISt17integral_constantIbLb1EES17_IbLb0EEEEDaS13_S14_EUlS13_E_NS1_11comp_targetILNS1_3genE2ELNS1_11target_archE906ELNS1_3gpuE6ELNS1_3repE0EEENS1_30default_config_static_selectorELNS0_4arch9wavefront6targetE0EEEvT1_: ; @_ZN7rocprim17ROCPRIM_400000_NS6detail17trampoline_kernelINS0_14default_configENS1_25partition_config_selectorILNS1_17partition_subalgoE9EssbEEZZNS1_14partition_implILS5_9ELb0ES3_jN6thrust23THRUST_200600_302600_NS6detail15normal_iteratorINS9_10device_ptrIsEEEESE_PNS0_10empty_typeENS0_5tupleIJSE_SF_EEENSH_IJSE_SG_EEENS0_18inequality_wrapperI22is_equal_div_10_uniqueIsEEEPmJSF_EEE10hipError_tPvRmT3_T4_T5_T6_T7_T9_mT8_P12ihipStream_tbDpT10_ENKUlT_T0_E_clISt17integral_constantIbLb1EES17_IbLb0EEEEDaS13_S14_EUlS13_E_NS1_11comp_targetILNS1_3genE2ELNS1_11target_archE906ELNS1_3gpuE6ELNS1_3repE0EEENS1_30default_config_static_selectorELNS0_4arch9wavefront6targetE0EEEvT1_
; %bb.0:
	.section	.rodata,"a",@progbits
	.p2align	6, 0x0
	.amdhsa_kernel _ZN7rocprim17ROCPRIM_400000_NS6detail17trampoline_kernelINS0_14default_configENS1_25partition_config_selectorILNS1_17partition_subalgoE9EssbEEZZNS1_14partition_implILS5_9ELb0ES3_jN6thrust23THRUST_200600_302600_NS6detail15normal_iteratorINS9_10device_ptrIsEEEESE_PNS0_10empty_typeENS0_5tupleIJSE_SF_EEENSH_IJSE_SG_EEENS0_18inequality_wrapperI22is_equal_div_10_uniqueIsEEEPmJSF_EEE10hipError_tPvRmT3_T4_T5_T6_T7_T9_mT8_P12ihipStream_tbDpT10_ENKUlT_T0_E_clISt17integral_constantIbLb1EES17_IbLb0EEEEDaS13_S14_EUlS13_E_NS1_11comp_targetILNS1_3genE2ELNS1_11target_archE906ELNS1_3gpuE6ELNS1_3repE0EEENS1_30default_config_static_selectorELNS0_4arch9wavefront6targetE0EEEvT1_
		.amdhsa_group_segment_fixed_size 0
		.amdhsa_private_segment_fixed_size 0
		.amdhsa_kernarg_size 112
		.amdhsa_user_sgpr_count 15
		.amdhsa_user_sgpr_dispatch_ptr 0
		.amdhsa_user_sgpr_queue_ptr 0
		.amdhsa_user_sgpr_kernarg_segment_ptr 1
		.amdhsa_user_sgpr_dispatch_id 0
		.amdhsa_user_sgpr_private_segment_size 0
		.amdhsa_wavefront_size32 1
		.amdhsa_uses_dynamic_stack 0
		.amdhsa_enable_private_segment 0
		.amdhsa_system_sgpr_workgroup_id_x 1
		.amdhsa_system_sgpr_workgroup_id_y 0
		.amdhsa_system_sgpr_workgroup_id_z 0
		.amdhsa_system_sgpr_workgroup_info 0
		.amdhsa_system_vgpr_workitem_id 0
		.amdhsa_next_free_vgpr 1
		.amdhsa_next_free_sgpr 1
		.amdhsa_reserve_vcc 0
		.amdhsa_float_round_mode_32 0
		.amdhsa_float_round_mode_16_64 0
		.amdhsa_float_denorm_mode_32 3
		.amdhsa_float_denorm_mode_16_64 3
		.amdhsa_dx10_clamp 1
		.amdhsa_ieee_mode 1
		.amdhsa_fp16_overflow 0
		.amdhsa_workgroup_processor_mode 1
		.amdhsa_memory_ordered 1
		.amdhsa_forward_progress 0
		.amdhsa_shared_vgpr_count 0
		.amdhsa_exception_fp_ieee_invalid_op 0
		.amdhsa_exception_fp_denorm_src 0
		.amdhsa_exception_fp_ieee_div_zero 0
		.amdhsa_exception_fp_ieee_overflow 0
		.amdhsa_exception_fp_ieee_underflow 0
		.amdhsa_exception_fp_ieee_inexact 0
		.amdhsa_exception_int_div_zero 0
	.end_amdhsa_kernel
	.section	.text._ZN7rocprim17ROCPRIM_400000_NS6detail17trampoline_kernelINS0_14default_configENS1_25partition_config_selectorILNS1_17partition_subalgoE9EssbEEZZNS1_14partition_implILS5_9ELb0ES3_jN6thrust23THRUST_200600_302600_NS6detail15normal_iteratorINS9_10device_ptrIsEEEESE_PNS0_10empty_typeENS0_5tupleIJSE_SF_EEENSH_IJSE_SG_EEENS0_18inequality_wrapperI22is_equal_div_10_uniqueIsEEEPmJSF_EEE10hipError_tPvRmT3_T4_T5_T6_T7_T9_mT8_P12ihipStream_tbDpT10_ENKUlT_T0_E_clISt17integral_constantIbLb1EES17_IbLb0EEEEDaS13_S14_EUlS13_E_NS1_11comp_targetILNS1_3genE2ELNS1_11target_archE906ELNS1_3gpuE6ELNS1_3repE0EEENS1_30default_config_static_selectorELNS0_4arch9wavefront6targetE0EEEvT1_,"axG",@progbits,_ZN7rocprim17ROCPRIM_400000_NS6detail17trampoline_kernelINS0_14default_configENS1_25partition_config_selectorILNS1_17partition_subalgoE9EssbEEZZNS1_14partition_implILS5_9ELb0ES3_jN6thrust23THRUST_200600_302600_NS6detail15normal_iteratorINS9_10device_ptrIsEEEESE_PNS0_10empty_typeENS0_5tupleIJSE_SF_EEENSH_IJSE_SG_EEENS0_18inequality_wrapperI22is_equal_div_10_uniqueIsEEEPmJSF_EEE10hipError_tPvRmT3_T4_T5_T6_T7_T9_mT8_P12ihipStream_tbDpT10_ENKUlT_T0_E_clISt17integral_constantIbLb1EES17_IbLb0EEEEDaS13_S14_EUlS13_E_NS1_11comp_targetILNS1_3genE2ELNS1_11target_archE906ELNS1_3gpuE6ELNS1_3repE0EEENS1_30default_config_static_selectorELNS0_4arch9wavefront6targetE0EEEvT1_,comdat
.Lfunc_end521:
	.size	_ZN7rocprim17ROCPRIM_400000_NS6detail17trampoline_kernelINS0_14default_configENS1_25partition_config_selectorILNS1_17partition_subalgoE9EssbEEZZNS1_14partition_implILS5_9ELb0ES3_jN6thrust23THRUST_200600_302600_NS6detail15normal_iteratorINS9_10device_ptrIsEEEESE_PNS0_10empty_typeENS0_5tupleIJSE_SF_EEENSH_IJSE_SG_EEENS0_18inequality_wrapperI22is_equal_div_10_uniqueIsEEEPmJSF_EEE10hipError_tPvRmT3_T4_T5_T6_T7_T9_mT8_P12ihipStream_tbDpT10_ENKUlT_T0_E_clISt17integral_constantIbLb1EES17_IbLb0EEEEDaS13_S14_EUlS13_E_NS1_11comp_targetILNS1_3genE2ELNS1_11target_archE906ELNS1_3gpuE6ELNS1_3repE0EEENS1_30default_config_static_selectorELNS0_4arch9wavefront6targetE0EEEvT1_, .Lfunc_end521-_ZN7rocprim17ROCPRIM_400000_NS6detail17trampoline_kernelINS0_14default_configENS1_25partition_config_selectorILNS1_17partition_subalgoE9EssbEEZZNS1_14partition_implILS5_9ELb0ES3_jN6thrust23THRUST_200600_302600_NS6detail15normal_iteratorINS9_10device_ptrIsEEEESE_PNS0_10empty_typeENS0_5tupleIJSE_SF_EEENSH_IJSE_SG_EEENS0_18inequality_wrapperI22is_equal_div_10_uniqueIsEEEPmJSF_EEE10hipError_tPvRmT3_T4_T5_T6_T7_T9_mT8_P12ihipStream_tbDpT10_ENKUlT_T0_E_clISt17integral_constantIbLb1EES17_IbLb0EEEEDaS13_S14_EUlS13_E_NS1_11comp_targetILNS1_3genE2ELNS1_11target_archE906ELNS1_3gpuE6ELNS1_3repE0EEENS1_30default_config_static_selectorELNS0_4arch9wavefront6targetE0EEEvT1_
                                        ; -- End function
	.section	.AMDGPU.csdata,"",@progbits
; Kernel info:
; codeLenInByte = 0
; NumSgprs: 0
; NumVgprs: 0
; ScratchSize: 0
; MemoryBound: 0
; FloatMode: 240
; IeeeMode: 1
; LDSByteSize: 0 bytes/workgroup (compile time only)
; SGPRBlocks: 0
; VGPRBlocks: 0
; NumSGPRsForWavesPerEU: 1
; NumVGPRsForWavesPerEU: 1
; Occupancy: 16
; WaveLimiterHint : 0
; COMPUTE_PGM_RSRC2:SCRATCH_EN: 0
; COMPUTE_PGM_RSRC2:USER_SGPR: 15
; COMPUTE_PGM_RSRC2:TRAP_HANDLER: 0
; COMPUTE_PGM_RSRC2:TGID_X_EN: 1
; COMPUTE_PGM_RSRC2:TGID_Y_EN: 0
; COMPUTE_PGM_RSRC2:TGID_Z_EN: 0
; COMPUTE_PGM_RSRC2:TIDIG_COMP_CNT: 0
	.section	.text._ZN7rocprim17ROCPRIM_400000_NS6detail17trampoline_kernelINS0_14default_configENS1_25partition_config_selectorILNS1_17partition_subalgoE9EssbEEZZNS1_14partition_implILS5_9ELb0ES3_jN6thrust23THRUST_200600_302600_NS6detail15normal_iteratorINS9_10device_ptrIsEEEESE_PNS0_10empty_typeENS0_5tupleIJSE_SF_EEENSH_IJSE_SG_EEENS0_18inequality_wrapperI22is_equal_div_10_uniqueIsEEEPmJSF_EEE10hipError_tPvRmT3_T4_T5_T6_T7_T9_mT8_P12ihipStream_tbDpT10_ENKUlT_T0_E_clISt17integral_constantIbLb1EES17_IbLb0EEEEDaS13_S14_EUlS13_E_NS1_11comp_targetILNS1_3genE10ELNS1_11target_archE1200ELNS1_3gpuE4ELNS1_3repE0EEENS1_30default_config_static_selectorELNS0_4arch9wavefront6targetE0EEEvT1_,"axG",@progbits,_ZN7rocprim17ROCPRIM_400000_NS6detail17trampoline_kernelINS0_14default_configENS1_25partition_config_selectorILNS1_17partition_subalgoE9EssbEEZZNS1_14partition_implILS5_9ELb0ES3_jN6thrust23THRUST_200600_302600_NS6detail15normal_iteratorINS9_10device_ptrIsEEEESE_PNS0_10empty_typeENS0_5tupleIJSE_SF_EEENSH_IJSE_SG_EEENS0_18inequality_wrapperI22is_equal_div_10_uniqueIsEEEPmJSF_EEE10hipError_tPvRmT3_T4_T5_T6_T7_T9_mT8_P12ihipStream_tbDpT10_ENKUlT_T0_E_clISt17integral_constantIbLb1EES17_IbLb0EEEEDaS13_S14_EUlS13_E_NS1_11comp_targetILNS1_3genE10ELNS1_11target_archE1200ELNS1_3gpuE4ELNS1_3repE0EEENS1_30default_config_static_selectorELNS0_4arch9wavefront6targetE0EEEvT1_,comdat
	.protected	_ZN7rocprim17ROCPRIM_400000_NS6detail17trampoline_kernelINS0_14default_configENS1_25partition_config_selectorILNS1_17partition_subalgoE9EssbEEZZNS1_14partition_implILS5_9ELb0ES3_jN6thrust23THRUST_200600_302600_NS6detail15normal_iteratorINS9_10device_ptrIsEEEESE_PNS0_10empty_typeENS0_5tupleIJSE_SF_EEENSH_IJSE_SG_EEENS0_18inequality_wrapperI22is_equal_div_10_uniqueIsEEEPmJSF_EEE10hipError_tPvRmT3_T4_T5_T6_T7_T9_mT8_P12ihipStream_tbDpT10_ENKUlT_T0_E_clISt17integral_constantIbLb1EES17_IbLb0EEEEDaS13_S14_EUlS13_E_NS1_11comp_targetILNS1_3genE10ELNS1_11target_archE1200ELNS1_3gpuE4ELNS1_3repE0EEENS1_30default_config_static_selectorELNS0_4arch9wavefront6targetE0EEEvT1_ ; -- Begin function _ZN7rocprim17ROCPRIM_400000_NS6detail17trampoline_kernelINS0_14default_configENS1_25partition_config_selectorILNS1_17partition_subalgoE9EssbEEZZNS1_14partition_implILS5_9ELb0ES3_jN6thrust23THRUST_200600_302600_NS6detail15normal_iteratorINS9_10device_ptrIsEEEESE_PNS0_10empty_typeENS0_5tupleIJSE_SF_EEENSH_IJSE_SG_EEENS0_18inequality_wrapperI22is_equal_div_10_uniqueIsEEEPmJSF_EEE10hipError_tPvRmT3_T4_T5_T6_T7_T9_mT8_P12ihipStream_tbDpT10_ENKUlT_T0_E_clISt17integral_constantIbLb1EES17_IbLb0EEEEDaS13_S14_EUlS13_E_NS1_11comp_targetILNS1_3genE10ELNS1_11target_archE1200ELNS1_3gpuE4ELNS1_3repE0EEENS1_30default_config_static_selectorELNS0_4arch9wavefront6targetE0EEEvT1_
	.globl	_ZN7rocprim17ROCPRIM_400000_NS6detail17trampoline_kernelINS0_14default_configENS1_25partition_config_selectorILNS1_17partition_subalgoE9EssbEEZZNS1_14partition_implILS5_9ELb0ES3_jN6thrust23THRUST_200600_302600_NS6detail15normal_iteratorINS9_10device_ptrIsEEEESE_PNS0_10empty_typeENS0_5tupleIJSE_SF_EEENSH_IJSE_SG_EEENS0_18inequality_wrapperI22is_equal_div_10_uniqueIsEEEPmJSF_EEE10hipError_tPvRmT3_T4_T5_T6_T7_T9_mT8_P12ihipStream_tbDpT10_ENKUlT_T0_E_clISt17integral_constantIbLb1EES17_IbLb0EEEEDaS13_S14_EUlS13_E_NS1_11comp_targetILNS1_3genE10ELNS1_11target_archE1200ELNS1_3gpuE4ELNS1_3repE0EEENS1_30default_config_static_selectorELNS0_4arch9wavefront6targetE0EEEvT1_
	.p2align	8
	.type	_ZN7rocprim17ROCPRIM_400000_NS6detail17trampoline_kernelINS0_14default_configENS1_25partition_config_selectorILNS1_17partition_subalgoE9EssbEEZZNS1_14partition_implILS5_9ELb0ES3_jN6thrust23THRUST_200600_302600_NS6detail15normal_iteratorINS9_10device_ptrIsEEEESE_PNS0_10empty_typeENS0_5tupleIJSE_SF_EEENSH_IJSE_SG_EEENS0_18inequality_wrapperI22is_equal_div_10_uniqueIsEEEPmJSF_EEE10hipError_tPvRmT3_T4_T5_T6_T7_T9_mT8_P12ihipStream_tbDpT10_ENKUlT_T0_E_clISt17integral_constantIbLb1EES17_IbLb0EEEEDaS13_S14_EUlS13_E_NS1_11comp_targetILNS1_3genE10ELNS1_11target_archE1200ELNS1_3gpuE4ELNS1_3repE0EEENS1_30default_config_static_selectorELNS0_4arch9wavefront6targetE0EEEvT1_,@function
_ZN7rocprim17ROCPRIM_400000_NS6detail17trampoline_kernelINS0_14default_configENS1_25partition_config_selectorILNS1_17partition_subalgoE9EssbEEZZNS1_14partition_implILS5_9ELb0ES3_jN6thrust23THRUST_200600_302600_NS6detail15normal_iteratorINS9_10device_ptrIsEEEESE_PNS0_10empty_typeENS0_5tupleIJSE_SF_EEENSH_IJSE_SG_EEENS0_18inequality_wrapperI22is_equal_div_10_uniqueIsEEEPmJSF_EEE10hipError_tPvRmT3_T4_T5_T6_T7_T9_mT8_P12ihipStream_tbDpT10_ENKUlT_T0_E_clISt17integral_constantIbLb1EES17_IbLb0EEEEDaS13_S14_EUlS13_E_NS1_11comp_targetILNS1_3genE10ELNS1_11target_archE1200ELNS1_3gpuE4ELNS1_3repE0EEENS1_30default_config_static_selectorELNS0_4arch9wavefront6targetE0EEEvT1_: ; @_ZN7rocprim17ROCPRIM_400000_NS6detail17trampoline_kernelINS0_14default_configENS1_25partition_config_selectorILNS1_17partition_subalgoE9EssbEEZZNS1_14partition_implILS5_9ELb0ES3_jN6thrust23THRUST_200600_302600_NS6detail15normal_iteratorINS9_10device_ptrIsEEEESE_PNS0_10empty_typeENS0_5tupleIJSE_SF_EEENSH_IJSE_SG_EEENS0_18inequality_wrapperI22is_equal_div_10_uniqueIsEEEPmJSF_EEE10hipError_tPvRmT3_T4_T5_T6_T7_T9_mT8_P12ihipStream_tbDpT10_ENKUlT_T0_E_clISt17integral_constantIbLb1EES17_IbLb0EEEEDaS13_S14_EUlS13_E_NS1_11comp_targetILNS1_3genE10ELNS1_11target_archE1200ELNS1_3gpuE4ELNS1_3repE0EEENS1_30default_config_static_selectorELNS0_4arch9wavefront6targetE0EEEvT1_
; %bb.0:
	.section	.rodata,"a",@progbits
	.p2align	6, 0x0
	.amdhsa_kernel _ZN7rocprim17ROCPRIM_400000_NS6detail17trampoline_kernelINS0_14default_configENS1_25partition_config_selectorILNS1_17partition_subalgoE9EssbEEZZNS1_14partition_implILS5_9ELb0ES3_jN6thrust23THRUST_200600_302600_NS6detail15normal_iteratorINS9_10device_ptrIsEEEESE_PNS0_10empty_typeENS0_5tupleIJSE_SF_EEENSH_IJSE_SG_EEENS0_18inequality_wrapperI22is_equal_div_10_uniqueIsEEEPmJSF_EEE10hipError_tPvRmT3_T4_T5_T6_T7_T9_mT8_P12ihipStream_tbDpT10_ENKUlT_T0_E_clISt17integral_constantIbLb1EES17_IbLb0EEEEDaS13_S14_EUlS13_E_NS1_11comp_targetILNS1_3genE10ELNS1_11target_archE1200ELNS1_3gpuE4ELNS1_3repE0EEENS1_30default_config_static_selectorELNS0_4arch9wavefront6targetE0EEEvT1_
		.amdhsa_group_segment_fixed_size 0
		.amdhsa_private_segment_fixed_size 0
		.amdhsa_kernarg_size 112
		.amdhsa_user_sgpr_count 15
		.amdhsa_user_sgpr_dispatch_ptr 0
		.amdhsa_user_sgpr_queue_ptr 0
		.amdhsa_user_sgpr_kernarg_segment_ptr 1
		.amdhsa_user_sgpr_dispatch_id 0
		.amdhsa_user_sgpr_private_segment_size 0
		.amdhsa_wavefront_size32 1
		.amdhsa_uses_dynamic_stack 0
		.amdhsa_enable_private_segment 0
		.amdhsa_system_sgpr_workgroup_id_x 1
		.amdhsa_system_sgpr_workgroup_id_y 0
		.amdhsa_system_sgpr_workgroup_id_z 0
		.amdhsa_system_sgpr_workgroup_info 0
		.amdhsa_system_vgpr_workitem_id 0
		.amdhsa_next_free_vgpr 1
		.amdhsa_next_free_sgpr 1
		.amdhsa_reserve_vcc 0
		.amdhsa_float_round_mode_32 0
		.amdhsa_float_round_mode_16_64 0
		.amdhsa_float_denorm_mode_32 3
		.amdhsa_float_denorm_mode_16_64 3
		.amdhsa_dx10_clamp 1
		.amdhsa_ieee_mode 1
		.amdhsa_fp16_overflow 0
		.amdhsa_workgroup_processor_mode 1
		.amdhsa_memory_ordered 1
		.amdhsa_forward_progress 0
		.amdhsa_shared_vgpr_count 0
		.amdhsa_exception_fp_ieee_invalid_op 0
		.amdhsa_exception_fp_denorm_src 0
		.amdhsa_exception_fp_ieee_div_zero 0
		.amdhsa_exception_fp_ieee_overflow 0
		.amdhsa_exception_fp_ieee_underflow 0
		.amdhsa_exception_fp_ieee_inexact 0
		.amdhsa_exception_int_div_zero 0
	.end_amdhsa_kernel
	.section	.text._ZN7rocprim17ROCPRIM_400000_NS6detail17trampoline_kernelINS0_14default_configENS1_25partition_config_selectorILNS1_17partition_subalgoE9EssbEEZZNS1_14partition_implILS5_9ELb0ES3_jN6thrust23THRUST_200600_302600_NS6detail15normal_iteratorINS9_10device_ptrIsEEEESE_PNS0_10empty_typeENS0_5tupleIJSE_SF_EEENSH_IJSE_SG_EEENS0_18inequality_wrapperI22is_equal_div_10_uniqueIsEEEPmJSF_EEE10hipError_tPvRmT3_T4_T5_T6_T7_T9_mT8_P12ihipStream_tbDpT10_ENKUlT_T0_E_clISt17integral_constantIbLb1EES17_IbLb0EEEEDaS13_S14_EUlS13_E_NS1_11comp_targetILNS1_3genE10ELNS1_11target_archE1200ELNS1_3gpuE4ELNS1_3repE0EEENS1_30default_config_static_selectorELNS0_4arch9wavefront6targetE0EEEvT1_,"axG",@progbits,_ZN7rocprim17ROCPRIM_400000_NS6detail17trampoline_kernelINS0_14default_configENS1_25partition_config_selectorILNS1_17partition_subalgoE9EssbEEZZNS1_14partition_implILS5_9ELb0ES3_jN6thrust23THRUST_200600_302600_NS6detail15normal_iteratorINS9_10device_ptrIsEEEESE_PNS0_10empty_typeENS0_5tupleIJSE_SF_EEENSH_IJSE_SG_EEENS0_18inequality_wrapperI22is_equal_div_10_uniqueIsEEEPmJSF_EEE10hipError_tPvRmT3_T4_T5_T6_T7_T9_mT8_P12ihipStream_tbDpT10_ENKUlT_T0_E_clISt17integral_constantIbLb1EES17_IbLb0EEEEDaS13_S14_EUlS13_E_NS1_11comp_targetILNS1_3genE10ELNS1_11target_archE1200ELNS1_3gpuE4ELNS1_3repE0EEENS1_30default_config_static_selectorELNS0_4arch9wavefront6targetE0EEEvT1_,comdat
.Lfunc_end522:
	.size	_ZN7rocprim17ROCPRIM_400000_NS6detail17trampoline_kernelINS0_14default_configENS1_25partition_config_selectorILNS1_17partition_subalgoE9EssbEEZZNS1_14partition_implILS5_9ELb0ES3_jN6thrust23THRUST_200600_302600_NS6detail15normal_iteratorINS9_10device_ptrIsEEEESE_PNS0_10empty_typeENS0_5tupleIJSE_SF_EEENSH_IJSE_SG_EEENS0_18inequality_wrapperI22is_equal_div_10_uniqueIsEEEPmJSF_EEE10hipError_tPvRmT3_T4_T5_T6_T7_T9_mT8_P12ihipStream_tbDpT10_ENKUlT_T0_E_clISt17integral_constantIbLb1EES17_IbLb0EEEEDaS13_S14_EUlS13_E_NS1_11comp_targetILNS1_3genE10ELNS1_11target_archE1200ELNS1_3gpuE4ELNS1_3repE0EEENS1_30default_config_static_selectorELNS0_4arch9wavefront6targetE0EEEvT1_, .Lfunc_end522-_ZN7rocprim17ROCPRIM_400000_NS6detail17trampoline_kernelINS0_14default_configENS1_25partition_config_selectorILNS1_17partition_subalgoE9EssbEEZZNS1_14partition_implILS5_9ELb0ES3_jN6thrust23THRUST_200600_302600_NS6detail15normal_iteratorINS9_10device_ptrIsEEEESE_PNS0_10empty_typeENS0_5tupleIJSE_SF_EEENSH_IJSE_SG_EEENS0_18inequality_wrapperI22is_equal_div_10_uniqueIsEEEPmJSF_EEE10hipError_tPvRmT3_T4_T5_T6_T7_T9_mT8_P12ihipStream_tbDpT10_ENKUlT_T0_E_clISt17integral_constantIbLb1EES17_IbLb0EEEEDaS13_S14_EUlS13_E_NS1_11comp_targetILNS1_3genE10ELNS1_11target_archE1200ELNS1_3gpuE4ELNS1_3repE0EEENS1_30default_config_static_selectorELNS0_4arch9wavefront6targetE0EEEvT1_
                                        ; -- End function
	.section	.AMDGPU.csdata,"",@progbits
; Kernel info:
; codeLenInByte = 0
; NumSgprs: 0
; NumVgprs: 0
; ScratchSize: 0
; MemoryBound: 0
; FloatMode: 240
; IeeeMode: 1
; LDSByteSize: 0 bytes/workgroup (compile time only)
; SGPRBlocks: 0
; VGPRBlocks: 0
; NumSGPRsForWavesPerEU: 1
; NumVGPRsForWavesPerEU: 1
; Occupancy: 16
; WaveLimiterHint : 0
; COMPUTE_PGM_RSRC2:SCRATCH_EN: 0
; COMPUTE_PGM_RSRC2:USER_SGPR: 15
; COMPUTE_PGM_RSRC2:TRAP_HANDLER: 0
; COMPUTE_PGM_RSRC2:TGID_X_EN: 1
; COMPUTE_PGM_RSRC2:TGID_Y_EN: 0
; COMPUTE_PGM_RSRC2:TGID_Z_EN: 0
; COMPUTE_PGM_RSRC2:TIDIG_COMP_CNT: 0
	.section	.text._ZN7rocprim17ROCPRIM_400000_NS6detail17trampoline_kernelINS0_14default_configENS1_25partition_config_selectorILNS1_17partition_subalgoE9EssbEEZZNS1_14partition_implILS5_9ELb0ES3_jN6thrust23THRUST_200600_302600_NS6detail15normal_iteratorINS9_10device_ptrIsEEEESE_PNS0_10empty_typeENS0_5tupleIJSE_SF_EEENSH_IJSE_SG_EEENS0_18inequality_wrapperI22is_equal_div_10_uniqueIsEEEPmJSF_EEE10hipError_tPvRmT3_T4_T5_T6_T7_T9_mT8_P12ihipStream_tbDpT10_ENKUlT_T0_E_clISt17integral_constantIbLb1EES17_IbLb0EEEEDaS13_S14_EUlS13_E_NS1_11comp_targetILNS1_3genE9ELNS1_11target_archE1100ELNS1_3gpuE3ELNS1_3repE0EEENS1_30default_config_static_selectorELNS0_4arch9wavefront6targetE0EEEvT1_,"axG",@progbits,_ZN7rocprim17ROCPRIM_400000_NS6detail17trampoline_kernelINS0_14default_configENS1_25partition_config_selectorILNS1_17partition_subalgoE9EssbEEZZNS1_14partition_implILS5_9ELb0ES3_jN6thrust23THRUST_200600_302600_NS6detail15normal_iteratorINS9_10device_ptrIsEEEESE_PNS0_10empty_typeENS0_5tupleIJSE_SF_EEENSH_IJSE_SG_EEENS0_18inequality_wrapperI22is_equal_div_10_uniqueIsEEEPmJSF_EEE10hipError_tPvRmT3_T4_T5_T6_T7_T9_mT8_P12ihipStream_tbDpT10_ENKUlT_T0_E_clISt17integral_constantIbLb1EES17_IbLb0EEEEDaS13_S14_EUlS13_E_NS1_11comp_targetILNS1_3genE9ELNS1_11target_archE1100ELNS1_3gpuE3ELNS1_3repE0EEENS1_30default_config_static_selectorELNS0_4arch9wavefront6targetE0EEEvT1_,comdat
	.protected	_ZN7rocprim17ROCPRIM_400000_NS6detail17trampoline_kernelINS0_14default_configENS1_25partition_config_selectorILNS1_17partition_subalgoE9EssbEEZZNS1_14partition_implILS5_9ELb0ES3_jN6thrust23THRUST_200600_302600_NS6detail15normal_iteratorINS9_10device_ptrIsEEEESE_PNS0_10empty_typeENS0_5tupleIJSE_SF_EEENSH_IJSE_SG_EEENS0_18inequality_wrapperI22is_equal_div_10_uniqueIsEEEPmJSF_EEE10hipError_tPvRmT3_T4_T5_T6_T7_T9_mT8_P12ihipStream_tbDpT10_ENKUlT_T0_E_clISt17integral_constantIbLb1EES17_IbLb0EEEEDaS13_S14_EUlS13_E_NS1_11comp_targetILNS1_3genE9ELNS1_11target_archE1100ELNS1_3gpuE3ELNS1_3repE0EEENS1_30default_config_static_selectorELNS0_4arch9wavefront6targetE0EEEvT1_ ; -- Begin function _ZN7rocprim17ROCPRIM_400000_NS6detail17trampoline_kernelINS0_14default_configENS1_25partition_config_selectorILNS1_17partition_subalgoE9EssbEEZZNS1_14partition_implILS5_9ELb0ES3_jN6thrust23THRUST_200600_302600_NS6detail15normal_iteratorINS9_10device_ptrIsEEEESE_PNS0_10empty_typeENS0_5tupleIJSE_SF_EEENSH_IJSE_SG_EEENS0_18inequality_wrapperI22is_equal_div_10_uniqueIsEEEPmJSF_EEE10hipError_tPvRmT3_T4_T5_T6_T7_T9_mT8_P12ihipStream_tbDpT10_ENKUlT_T0_E_clISt17integral_constantIbLb1EES17_IbLb0EEEEDaS13_S14_EUlS13_E_NS1_11comp_targetILNS1_3genE9ELNS1_11target_archE1100ELNS1_3gpuE3ELNS1_3repE0EEENS1_30default_config_static_selectorELNS0_4arch9wavefront6targetE0EEEvT1_
	.globl	_ZN7rocprim17ROCPRIM_400000_NS6detail17trampoline_kernelINS0_14default_configENS1_25partition_config_selectorILNS1_17partition_subalgoE9EssbEEZZNS1_14partition_implILS5_9ELb0ES3_jN6thrust23THRUST_200600_302600_NS6detail15normal_iteratorINS9_10device_ptrIsEEEESE_PNS0_10empty_typeENS0_5tupleIJSE_SF_EEENSH_IJSE_SG_EEENS0_18inequality_wrapperI22is_equal_div_10_uniqueIsEEEPmJSF_EEE10hipError_tPvRmT3_T4_T5_T6_T7_T9_mT8_P12ihipStream_tbDpT10_ENKUlT_T0_E_clISt17integral_constantIbLb1EES17_IbLb0EEEEDaS13_S14_EUlS13_E_NS1_11comp_targetILNS1_3genE9ELNS1_11target_archE1100ELNS1_3gpuE3ELNS1_3repE0EEENS1_30default_config_static_selectorELNS0_4arch9wavefront6targetE0EEEvT1_
	.p2align	8
	.type	_ZN7rocprim17ROCPRIM_400000_NS6detail17trampoline_kernelINS0_14default_configENS1_25partition_config_selectorILNS1_17partition_subalgoE9EssbEEZZNS1_14partition_implILS5_9ELb0ES3_jN6thrust23THRUST_200600_302600_NS6detail15normal_iteratorINS9_10device_ptrIsEEEESE_PNS0_10empty_typeENS0_5tupleIJSE_SF_EEENSH_IJSE_SG_EEENS0_18inequality_wrapperI22is_equal_div_10_uniqueIsEEEPmJSF_EEE10hipError_tPvRmT3_T4_T5_T6_T7_T9_mT8_P12ihipStream_tbDpT10_ENKUlT_T0_E_clISt17integral_constantIbLb1EES17_IbLb0EEEEDaS13_S14_EUlS13_E_NS1_11comp_targetILNS1_3genE9ELNS1_11target_archE1100ELNS1_3gpuE3ELNS1_3repE0EEENS1_30default_config_static_selectorELNS0_4arch9wavefront6targetE0EEEvT1_,@function
_ZN7rocprim17ROCPRIM_400000_NS6detail17trampoline_kernelINS0_14default_configENS1_25partition_config_selectorILNS1_17partition_subalgoE9EssbEEZZNS1_14partition_implILS5_9ELb0ES3_jN6thrust23THRUST_200600_302600_NS6detail15normal_iteratorINS9_10device_ptrIsEEEESE_PNS0_10empty_typeENS0_5tupleIJSE_SF_EEENSH_IJSE_SG_EEENS0_18inequality_wrapperI22is_equal_div_10_uniqueIsEEEPmJSF_EEE10hipError_tPvRmT3_T4_T5_T6_T7_T9_mT8_P12ihipStream_tbDpT10_ENKUlT_T0_E_clISt17integral_constantIbLb1EES17_IbLb0EEEEDaS13_S14_EUlS13_E_NS1_11comp_targetILNS1_3genE9ELNS1_11target_archE1100ELNS1_3gpuE3ELNS1_3repE0EEENS1_30default_config_static_selectorELNS0_4arch9wavefront6targetE0EEEvT1_: ; @_ZN7rocprim17ROCPRIM_400000_NS6detail17trampoline_kernelINS0_14default_configENS1_25partition_config_selectorILNS1_17partition_subalgoE9EssbEEZZNS1_14partition_implILS5_9ELb0ES3_jN6thrust23THRUST_200600_302600_NS6detail15normal_iteratorINS9_10device_ptrIsEEEESE_PNS0_10empty_typeENS0_5tupleIJSE_SF_EEENSH_IJSE_SG_EEENS0_18inequality_wrapperI22is_equal_div_10_uniqueIsEEEPmJSF_EEE10hipError_tPvRmT3_T4_T5_T6_T7_T9_mT8_P12ihipStream_tbDpT10_ENKUlT_T0_E_clISt17integral_constantIbLb1EES17_IbLb0EEEEDaS13_S14_EUlS13_E_NS1_11comp_targetILNS1_3genE9ELNS1_11target_archE1100ELNS1_3gpuE3ELNS1_3repE0EEENS1_30default_config_static_selectorELNS0_4arch9wavefront6targetE0EEEvT1_
; %bb.0:
	s_clause 0x4
	s_load_b128 s[4:7], s[0:1], 0x8
	s_load_b32 s14, s[0:1], 0x68
	s_load_b128 s[16:19], s[0:1], 0x40
	s_load_b64 s[2:3], s[0:1], 0x50
	s_load_b64 s[8:9], s[0:1], 0x18
	s_waitcnt lgkmcnt(0)
	s_lshl_b64 s[12:13], s[6:7], 1
	s_mul_i32 s20, s14, 0x600
	s_add_u32 s21, s4, s12
	s_addc_u32 s22, s5, s13
	s_add_i32 s4, s20, s6
	s_load_b64 s[10:11], s[18:19], 0x0
	s_sub_i32 s19, s2, s4
	s_add_i32 s14, s14, -1
	s_addk_i32 s19, 0x600
	s_add_u32 s4, s6, s20
	s_addc_u32 s5, s7, 0
	s_cmp_eq_u32 s15, s14
	v_cmp_ge_u64_e64 s2, s[4:5], s[2:3]
	s_cselect_b32 s14, -1, 0
	s_mov_b32 s5, 0
	s_mul_i32 s4, s15, 0x600
	s_delay_alu instid0(SALU_CYCLE_1) | instskip(NEXT) | instid1(VALU_DEP_1)
	s_lshl_b64 s[4:5], s[4:5], 1
	s_and_b32 s3, s14, s2
	s_delay_alu instid0(SALU_CYCLE_1)
	s_xor_b32 s18, s3, -1
	s_add_u32 s21, s21, s4
	s_addc_u32 s20, s22, s5
	s_and_b32 vcc_lo, exec_lo, s18
	s_mov_b32 s22, -1
	s_cbranch_vccz .LBB523_2
; %bb.1:
	v_lshlrev_b32_e32 v3, 1, v0
	s_mov_b32 s22, 0
	s_delay_alu instid0(VALU_DEP_1) | instskip(NEXT) | instid1(VALU_DEP_1)
	v_add_co_u32 v1, s2, s21, v3
	v_add_co_ci_u32_e64 v2, null, s20, 0, s2
	s_clause 0xb
	flat_load_u16 v4, v[1:2]
	flat_load_u16 v5, v[1:2] offset:256
	flat_load_u16 v6, v[1:2] offset:512
	;; [unrolled: 1-line block ×11, first 2 shown]
	s_waitcnt vmcnt(11) lgkmcnt(0)
	ds_store_b16 v3, v4
	s_waitcnt vmcnt(10)
	ds_store_b16 v3, v5 offset:256
	s_waitcnt vmcnt(9)
	ds_store_b16 v3, v6 offset:512
	;; [unrolled: 2-line block ×11, first 2 shown]
	s_waitcnt lgkmcnt(0)
	s_barrier
.LBB523_2:
	v_cmp_gt_u32_e64 s2, s19, v0
	s_and_not1_b32 vcc_lo, exec_lo, s22
	s_cbranch_vccnz .LBB523_28
; %bb.3:
                                        ; implicit-def: $vgpr1_vgpr2_vgpr3_vgpr4_vgpr5_vgpr6_vgpr7_vgpr8
	s_delay_alu instid0(VALU_DEP_1)
	s_and_saveexec_b32 s22, s2
	s_cbranch_execz .LBB523_5
; %bb.4:
	v_lshlrev_b32_e32 v1, 1, v0
	s_delay_alu instid0(VALU_DEP_1) | instskip(NEXT) | instid1(VALU_DEP_1)
	v_add_co_u32 v1, s2, s21, v1
	v_add_co_ci_u32_e64 v2, null, s20, 0, s2
	flat_load_d16_b16 v1, v[1:2]
.LBB523_5:
	s_or_b32 exec_lo, exec_lo, s22
	v_or_b32_e32 v7, 0x80, v0
	s_mov_b32 s2, exec_lo
	s_delay_alu instid0(VALU_DEP_1)
	v_cmpx_gt_u32_e64 s19, v7
	s_cbranch_execz .LBB523_7
; %bb.6:
	v_lshlrev_b32_e32 v7, 1, v0
	s_delay_alu instid0(VALU_DEP_1) | instskip(NEXT) | instid1(VALU_DEP_1)
	v_add_co_u32 v7, s22, s21, v7
	v_add_co_ci_u32_e64 v8, null, s20, 0, s22
	s_waitcnt vmcnt(0) lgkmcnt(0)
	flat_load_d16_hi_b16 v1, v[7:8] offset:256
.LBB523_7:
	s_or_b32 exec_lo, exec_lo, s2
	v_or_b32_e32 v7, 0x100, v0
	s_mov_b32 s2, exec_lo
	s_delay_alu instid0(VALU_DEP_1)
	v_cmpx_gt_u32_e64 s19, v7
	s_cbranch_execz .LBB523_9
; %bb.8:
	v_lshlrev_b32_e32 v7, 1, v0
	s_delay_alu instid0(VALU_DEP_1) | instskip(NEXT) | instid1(VALU_DEP_1)
	v_add_co_u32 v7, s22, s21, v7
	v_add_co_ci_u32_e64 v8, null, s20, 0, s22
	flat_load_d16_b16 v2, v[7:8] offset:512
.LBB523_9:
	s_or_b32 exec_lo, exec_lo, s2
	v_or_b32_e32 v7, 0x180, v0
	s_mov_b32 s2, exec_lo
	s_delay_alu instid0(VALU_DEP_1)
	v_cmpx_gt_u32_e64 s19, v7
	s_cbranch_execz .LBB523_11
; %bb.10:
	v_lshlrev_b32_e32 v7, 1, v0
	s_delay_alu instid0(VALU_DEP_1) | instskip(NEXT) | instid1(VALU_DEP_1)
	v_add_co_u32 v7, s22, s21, v7
	v_add_co_ci_u32_e64 v8, null, s20, 0, s22
	s_waitcnt vmcnt(0) lgkmcnt(0)
	flat_load_d16_hi_b16 v2, v[7:8] offset:768
.LBB523_11:
	s_or_b32 exec_lo, exec_lo, s2
	v_or_b32_e32 v7, 0x200, v0
	s_mov_b32 s2, exec_lo
	s_delay_alu instid0(VALU_DEP_1)
	v_cmpx_gt_u32_e64 s19, v7
	s_cbranch_execz .LBB523_13
; %bb.12:
	v_lshlrev_b32_e32 v7, 1, v0
	s_delay_alu instid0(VALU_DEP_1) | instskip(NEXT) | instid1(VALU_DEP_1)
	v_add_co_u32 v7, s22, s21, v7
	v_add_co_ci_u32_e64 v8, null, s20, 0, s22
	flat_load_d16_b16 v3, v[7:8] offset:1024
.LBB523_13:
	;; [unrolled: 27-line block ×5, first 2 shown]
	s_or_b32 exec_lo, exec_lo, s2
	v_or_b32_e32 v7, 0x580, v0
	s_mov_b32 s2, exec_lo
	s_delay_alu instid0(VALU_DEP_1)
	v_cmpx_gt_u32_e64 s19, v7
	s_cbranch_execz .LBB523_27
; %bb.26:
	v_lshlrev_b32_e32 v7, 1, v0
	s_delay_alu instid0(VALU_DEP_1) | instskip(NEXT) | instid1(VALU_DEP_1)
	v_add_co_u32 v7, s22, s21, v7
	v_add_co_ci_u32_e64 v8, null, s20, 0, s22
	s_waitcnt vmcnt(0) lgkmcnt(0)
	flat_load_d16_hi_b16 v6, v[7:8] offset:2816
.LBB523_27:
	s_or_b32 exec_lo, exec_lo, s2
	v_lshlrev_b32_e32 v7, 1, v0
	s_waitcnt vmcnt(0) lgkmcnt(0)
	ds_store_b16 v7, v1
	ds_store_b16_d16_hi v7, v1 offset:256
	ds_store_b16 v7, v2 offset:512
	ds_store_b16_d16_hi v7, v2 offset:768
	ds_store_b16 v7, v3 offset:1024
	;; [unrolled: 2-line block ×5, first 2 shown]
	ds_store_b16_d16_hi v7, v6 offset:2816
	s_waitcnt lgkmcnt(0)
	s_barrier
.LBB523_28:
	v_mul_u32_u24_e32 v1, 12, v0
	s_waitcnt lgkmcnt(0)
	buffer_gl0_inv
	s_add_u32 s2, s8, s12
	s_addc_u32 s8, s9, s13
	s_add_u32 s2, s2, s4
	v_lshlrev_b32_e32 v8, 1, v1
	s_addc_u32 s4, s8, s5
	s_and_b32 vcc_lo, exec_lo, s18
	s_mov_b32 s5, -1
	ds_load_2addr_b64 v[18:21], v8 offset1:1
	ds_load_b64 v[27:28], v8 offset:16
	s_waitcnt lgkmcnt(0)
	s_barrier
	buffer_gl0_inv
	s_cbranch_vccz .LBB523_30
; %bb.29:
	v_lshlrev_b32_e32 v4, 1, v0
	s_delay_alu instid0(VALU_DEP_1) | instskip(NEXT) | instid1(VALU_DEP_1)
	v_add_co_u32 v2, s5, s2, v4
	v_add_co_ci_u32_e64 v3, null, s4, 0, s5
	s_mov_b32 s5, 0
	s_clause 0xb
	flat_load_u16 v5, v[2:3]
	flat_load_u16 v6, v[2:3] offset:256
	flat_load_u16 v7, v[2:3] offset:512
	;; [unrolled: 1-line block ×11, first 2 shown]
	s_waitcnt vmcnt(11) lgkmcnt(11)
	ds_store_b16 v4, v5
	s_waitcnt vmcnt(10) lgkmcnt(11)
	ds_store_b16 v4, v6 offset:256
	s_waitcnt vmcnt(9) lgkmcnt(11)
	ds_store_b16 v4, v7 offset:512
	;; [unrolled: 2-line block ×11, first 2 shown]
	s_waitcnt lgkmcnt(0)
	s_barrier
.LBB523_30:
	s_and_not1_b32 vcc_lo, exec_lo, s5
	s_cbranch_vccnz .LBB523_56
; %bb.31:
	s_mov_b32 s5, exec_lo
                                        ; implicit-def: $vgpr2
	v_cmpx_gt_u32_e64 s19, v0
	s_cbranch_execz .LBB523_33
; %bb.32:
	v_lshlrev_b32_e32 v2, 1, v0
	s_delay_alu instid0(VALU_DEP_1) | instskip(NEXT) | instid1(VALU_DEP_1)
	v_add_co_u32 v2, s8, s2, v2
	v_add_co_ci_u32_e64 v3, null, s4, 0, s8
	flat_load_u16 v2, v[2:3]
.LBB523_33:
	s_or_b32 exec_lo, exec_lo, s5
	v_or_b32_e32 v3, 0x80, v0
	s_delay_alu instid0(VALU_DEP_1)
	v_cmp_gt_u32_e32 vcc_lo, s19, v3
                                        ; implicit-def: $vgpr3
	s_and_saveexec_b32 s5, vcc_lo
	s_cbranch_execz .LBB523_35
; %bb.34:
	v_lshlrev_b32_e32 v3, 1, v0
	s_delay_alu instid0(VALU_DEP_1) | instskip(NEXT) | instid1(VALU_DEP_1)
	v_add_co_u32 v3, s8, s2, v3
	v_add_co_ci_u32_e64 v4, null, s4, 0, s8
	flat_load_u16 v3, v[3:4] offset:256
.LBB523_35:
	s_or_b32 exec_lo, exec_lo, s5
	v_or_b32_e32 v4, 0x100, v0
	s_delay_alu instid0(VALU_DEP_1)
	v_cmp_gt_u32_e32 vcc_lo, s19, v4
                                        ; implicit-def: $vgpr4
	s_and_saveexec_b32 s5, vcc_lo
	s_cbranch_execz .LBB523_37
; %bb.36:
	v_lshlrev_b32_e32 v4, 1, v0
	s_delay_alu instid0(VALU_DEP_1) | instskip(NEXT) | instid1(VALU_DEP_1)
	v_add_co_u32 v4, s8, s2, v4
	v_add_co_ci_u32_e64 v5, null, s4, 0, s8
	flat_load_u16 v4, v[4:5] offset:512
.LBB523_37:
	s_or_b32 exec_lo, exec_lo, s5
	v_or_b32_e32 v5, 0x180, v0
	s_delay_alu instid0(VALU_DEP_1)
	v_cmp_gt_u32_e32 vcc_lo, s19, v5
                                        ; implicit-def: $vgpr5
	s_and_saveexec_b32 s5, vcc_lo
	s_cbranch_execz .LBB523_39
; %bb.38:
	v_lshlrev_b32_e32 v5, 1, v0
	s_delay_alu instid0(VALU_DEP_1) | instskip(NEXT) | instid1(VALU_DEP_1)
	v_add_co_u32 v5, s8, s2, v5
	v_add_co_ci_u32_e64 v6, null, s4, 0, s8
	flat_load_u16 v5, v[5:6] offset:768
.LBB523_39:
	s_or_b32 exec_lo, exec_lo, s5
	v_or_b32_e32 v6, 0x200, v0
	s_delay_alu instid0(VALU_DEP_1)
	v_cmp_gt_u32_e32 vcc_lo, s19, v6
                                        ; implicit-def: $vgpr6
	s_and_saveexec_b32 s5, vcc_lo
	s_cbranch_execz .LBB523_41
; %bb.40:
	v_lshlrev_b32_e32 v6, 1, v0
	s_delay_alu instid0(VALU_DEP_1) | instskip(NEXT) | instid1(VALU_DEP_1)
	v_add_co_u32 v6, s8, s2, v6
	v_add_co_ci_u32_e64 v7, null, s4, 0, s8
	flat_load_u16 v6, v[6:7] offset:1024
.LBB523_41:
	s_or_b32 exec_lo, exec_lo, s5
	v_or_b32_e32 v7, 0x280, v0
	s_delay_alu instid0(VALU_DEP_1)
	v_cmp_gt_u32_e32 vcc_lo, s19, v7
                                        ; implicit-def: $vgpr7
	s_and_saveexec_b32 s5, vcc_lo
	s_cbranch_execz .LBB523_43
; %bb.42:
	v_lshlrev_b32_e32 v7, 1, v0
	s_delay_alu instid0(VALU_DEP_1) | instskip(NEXT) | instid1(VALU_DEP_1)
	v_add_co_u32 v9, s8, s2, v7
	v_add_co_ci_u32_e64 v10, null, s4, 0, s8
	flat_load_u16 v7, v[9:10] offset:1280
.LBB523_43:
	s_or_b32 exec_lo, exec_lo, s5
	v_or_b32_e32 v9, 0x300, v0
	s_delay_alu instid0(VALU_DEP_1)
	v_cmp_gt_u32_e32 vcc_lo, s19, v9
                                        ; implicit-def: $vgpr9
	s_and_saveexec_b32 s5, vcc_lo
	s_cbranch_execz .LBB523_45
; %bb.44:
	v_lshlrev_b32_e32 v9, 1, v0
	s_delay_alu instid0(VALU_DEP_1) | instskip(NEXT) | instid1(VALU_DEP_1)
	v_add_co_u32 v9, s8, s2, v9
	v_add_co_ci_u32_e64 v10, null, s4, 0, s8
	flat_load_u16 v9, v[9:10] offset:1536
.LBB523_45:
	s_or_b32 exec_lo, exec_lo, s5
	v_or_b32_e32 v10, 0x380, v0
	s_delay_alu instid0(VALU_DEP_1)
	v_cmp_gt_u32_e32 vcc_lo, s19, v10
                                        ; implicit-def: $vgpr10
	s_and_saveexec_b32 s5, vcc_lo
	s_cbranch_execz .LBB523_47
; %bb.46:
	v_lshlrev_b32_e32 v10, 1, v0
	s_delay_alu instid0(VALU_DEP_1) | instskip(NEXT) | instid1(VALU_DEP_1)
	v_add_co_u32 v10, s8, s2, v10
	v_add_co_ci_u32_e64 v11, null, s4, 0, s8
	flat_load_u16 v10, v[10:11] offset:1792
.LBB523_47:
	s_or_b32 exec_lo, exec_lo, s5
	v_or_b32_e32 v11, 0x400, v0
	s_delay_alu instid0(VALU_DEP_1)
	v_cmp_gt_u32_e32 vcc_lo, s19, v11
                                        ; implicit-def: $vgpr11
	s_and_saveexec_b32 s5, vcc_lo
	s_cbranch_execz .LBB523_49
; %bb.48:
	v_lshlrev_b32_e32 v11, 1, v0
	s_delay_alu instid0(VALU_DEP_1) | instskip(NEXT) | instid1(VALU_DEP_1)
	v_add_co_u32 v11, s8, s2, v11
	v_add_co_ci_u32_e64 v12, null, s4, 0, s8
	flat_load_u16 v11, v[11:12] offset:2048
.LBB523_49:
	s_or_b32 exec_lo, exec_lo, s5
	v_or_b32_e32 v12, 0x480, v0
	s_delay_alu instid0(VALU_DEP_1)
	v_cmp_gt_u32_e32 vcc_lo, s19, v12
                                        ; implicit-def: $vgpr12
	s_and_saveexec_b32 s5, vcc_lo
	s_cbranch_execz .LBB523_51
; %bb.50:
	v_lshlrev_b32_e32 v12, 1, v0
	s_delay_alu instid0(VALU_DEP_1) | instskip(NEXT) | instid1(VALU_DEP_1)
	v_add_co_u32 v12, s8, s2, v12
	v_add_co_ci_u32_e64 v13, null, s4, 0, s8
	flat_load_u16 v12, v[12:13] offset:2304
.LBB523_51:
	s_or_b32 exec_lo, exec_lo, s5
	v_or_b32_e32 v13, 0x500, v0
	s_delay_alu instid0(VALU_DEP_1)
	v_cmp_gt_u32_e32 vcc_lo, s19, v13
                                        ; implicit-def: $vgpr13
	s_and_saveexec_b32 s5, vcc_lo
	s_cbranch_execz .LBB523_53
; %bb.52:
	v_lshlrev_b32_e32 v13, 1, v0
	s_delay_alu instid0(VALU_DEP_1) | instskip(NEXT) | instid1(VALU_DEP_1)
	v_add_co_u32 v13, s8, s2, v13
	v_add_co_ci_u32_e64 v14, null, s4, 0, s8
	flat_load_u16 v13, v[13:14] offset:2560
.LBB523_53:
	s_or_b32 exec_lo, exec_lo, s5
	v_or_b32_e32 v14, 0x580, v0
	s_delay_alu instid0(VALU_DEP_1)
	v_cmp_gt_u32_e32 vcc_lo, s19, v14
                                        ; implicit-def: $vgpr14
	s_and_saveexec_b32 s5, vcc_lo
	s_cbranch_execz .LBB523_55
; %bb.54:
	v_lshlrev_b32_e32 v14, 1, v0
	s_delay_alu instid0(VALU_DEP_1) | instskip(NEXT) | instid1(VALU_DEP_1)
	v_add_co_u32 v14, s2, s2, v14
	v_add_co_ci_u32_e64 v15, null, s4, 0, s2
	flat_load_u16 v14, v[14:15] offset:2816
.LBB523_55:
	s_or_b32 exec_lo, exec_lo, s5
	v_mad_i32_i24 v15, 0xffffffea, v0, v8
	s_waitcnt vmcnt(0) lgkmcnt(0)
	ds_store_b16 v15, v2
	ds_store_b16 v15, v3 offset:256
	ds_store_b16 v15, v4 offset:512
	;; [unrolled: 1-line block ×11, first 2 shown]
	s_waitcnt lgkmcnt(0)
	s_barrier
.LBB523_56:
	buffer_gl0_inv
	ds_load_2addr_b64 v[14:17], v8 offset1:1
	ds_load_b64 v[25:26], v8 offset:16
	s_cmp_lg_u32 s15, 0
	v_lshrrev_b32_e32 v40, 16, v18
	s_cselect_b32 s8, -1, 0
	s_cmp_lg_u64 s[6:7], 0
	v_lshrrev_b32_e32 v39, 16, v19
	s_cselect_b32 s2, -1, 0
	v_lshrrev_b32_e32 v38, 16, v20
	v_lshrrev_b32_e32 v37, 16, v21
	v_or_b32_e32 v12, 1, v1
	v_or_b32_e32 v6, 2, v1
	;; [unrolled: 1-line block ×3, first 2 shown]
	v_add_nc_u32_e32 v7, 4, v1
	v_add_nc_u32_e32 v5, 5, v1
	;; [unrolled: 1-line block ×5, first 2 shown]
	v_lshrrev_b32_e32 v36, 16, v27
	v_lshrrev_b32_e32 v31, 16, v28
	v_add_nc_u32_e32 v10, 9, v1
	v_add_nc_u32_e32 v8, 10, v1
	;; [unrolled: 1-line block ×3, first 2 shown]
	s_or_b32 s2, s8, s2
	s_waitcnt lgkmcnt(0)
	s_and_b32 vcc_lo, exec_lo, s2
	s_mov_b32 s2, 0
	s_barrier
	buffer_gl0_inv
	s_cbranch_vccz .LBB523_61
; %bb.57:
	v_add_co_u32 v22, s2, -2, s21
	s_delay_alu instid0(VALU_DEP_1)
	v_add_co_ci_u32_e64 v23, null, -1, s20, s2
	v_lshlrev_b32_e32 v29, 1, v0
	s_mov_b32 s2, -1
	s_and_b32 vcc_lo, exec_lo, s18
	flat_load_u16 v13, v[22:23]
	ds_store_b16 v29, v31
	s_cbranch_vccz .LBB523_62
; %bb.58:
	s_waitcnt vmcnt(0) lgkmcnt(1)
	v_mov_b32_e32 v22, v13
	s_mov_b32 s2, 0
	s_mov_b32 s4, exec_lo
	s_waitcnt lgkmcnt(0)
	s_barrier
	buffer_gl0_inv
	v_cmpx_ne_u32_e32 0, v0
	s_cbranch_execz .LBB523_60
; %bb.59:
	v_add_nc_u32_e32 v22, -2, v29
	ds_load_u16 v22, v22
.LBB523_60:
	s_or_b32 exec_lo, exec_lo, s4
	v_bfe_i32 v23, v28, 0, 16
	v_bfe_i32 v24, v31, 0, 16
	;; [unrolled: 1-line block ×5, first 2 shown]
	v_mul_i32_i24_e32 v23, 0x6667, v23
	v_mul_i32_i24_e32 v24, 0x6667, v24
	;; [unrolled: 1-line block ×4, first 2 shown]
	v_bfe_i32 v42, v38, 0, 16
	v_lshrrev_b32_e32 v33, 31, v23
	v_ashrrev_i32_e32 v23, 18, v23
	v_lshrrev_b32_e32 v34, 31, v24
	v_ashrrev_i32_e32 v24, 18, v24
	;; [unrolled: 2-line block ×3, first 2 shown]
	v_add_nc_u16 v23, v23, v33
	v_mul_i32_i24_e32 v33, 0x6667, v35
	v_add_nc_u16 v24, v24, v34
	v_bfe_i32 v34, v21, 0, 16
	v_add_nc_u16 v30, v30, v41
	v_lshrrev_b32_e32 v35, 31, v32
	v_ashrrev_i32_e32 v32, 18, v32
	v_cmp_ne_u16_e32 vcc_lo, v23, v24
	v_lshrrev_b32_e32 v41, 31, v33
	v_ashrrev_i32_e32 v33, 18, v33
	v_mul_i32_i24_e32 v34, 0x6667, v34
	v_add_nc_u16 v32, v32, v35
	v_cndmask_b32_e64 v24, 0, 1, vcc_lo
	v_cmp_ne_u16_e32 vcc_lo, v30, v23
	v_add_nc_u16 v33, v33, v41
	v_lshrrev_b32_e32 v35, 31, v34
	v_ashrrev_i32_e32 v34, 18, v34
	v_mul_i32_i24_e32 v41, 0x6667, v42
	v_cndmask_b32_e64 v23, 0, 1, vcc_lo
	v_cmp_ne_u16_e32 vcc_lo, v32, v30
	v_bfe_i32 v42, v39, 0, 16
	v_add_nc_u16 v34, v34, v35
	v_lshrrev_b32_e32 v35, 31, v41
	v_ashrrev_i32_e32 v41, 18, v41
	v_bfe_i32 v44, v19, 0, 16
	v_cndmask_b32_e64 v30, 0, 1, vcc_lo
	v_cmp_ne_u16_e32 vcc_lo, v33, v32
	v_mul_i32_i24_e32 v42, 0x6667, v42
	v_add_nc_u16 v35, v41, v35
	v_mul_i32_i24_e32 v41, 0x6667, v44
	v_bfe_i32 v44, v40, 0, 16
	v_cndmask_b32_e64 v32, 0, 1, vcc_lo
	v_bfe_i32 v43, v20, 0, 16
	v_cmp_ne_u16_e32 vcc_lo, v34, v33
	v_lshrrev_b32_e32 v45, 31, v42
	v_ashrrev_i32_e32 v42, 18, v42
	v_lshrrev_b32_e32 v46, 31, v41
	v_ashrrev_i32_e32 v41, 18, v41
	v_mul_i32_i24_e32 v44, 0x6667, v44
	v_cndmask_b32_e64 v33, 0, 1, vcc_lo
	v_mul_i32_i24_e32 v43, 0x6667, v43
	v_add_nc_u16 v42, v42, v45
	v_add_nc_u16 v41, v41, v46
	v_lshrrev_b32_e32 v45, 31, v44
	v_ashrrev_i32_e32 v44, 18, v44
	v_cmp_ne_u16_e32 vcc_lo, v35, v34
	v_lshrrev_b32_e32 v47, 31, v43
	v_ashrrev_i32_e32 v43, 18, v43
	v_bfe_i32 v46, v18, 0, 16
	v_add_nc_u16 v44, v44, v45
	v_cndmask_b32_e64 v34, 0, 1, vcc_lo
	v_cmp_ne_u16_e32 vcc_lo, v41, v42
	v_add_nc_u16 v43, v43, v47
	v_mul_i32_i24_e32 v45, 0x6667, v46
	s_waitcnt lgkmcnt(0)
	v_bfe_i32 v22, v22, 0, 16
	v_lshlrev_b16 v33, 8, v33
	v_cndmask_b32_e64 v46, 0, 1, vcc_lo
	v_cmp_ne_u16_e32 vcc_lo, v44, v41
	v_lshrrev_b32_e32 v47, 31, v45
	v_ashrrev_i32_e32 v45, 18, v45
	v_mul_i32_i24_e32 v22, 0x6667, v22
	v_lshlrev_b16 v46, 8, v46
	v_cndmask_b32_e64 v41, 0, 1, vcc_lo
	v_cmp_ne_u16_e32 vcc_lo, v43, v35
	v_add_nc_u16 v45, v45, v47
	v_lshlrev_b16 v30, 8, v30
	v_lshlrev_b16 v24, 8, v24
	v_lshrrev_b32_e32 v47, 31, v22
	v_cndmask_b32_e64 v35, 0, 1, vcc_lo
	v_cmp_ne_u16_e32 vcc_lo, v42, v43
	v_ashrrev_i32_e32 v22, 18, v22
	v_or_b32_e32 v41, v41, v46
	v_or_b32_e32 v33, v34, v33
	v_lshlrev_b16 v35, 8, v35
	v_cndmask_b32_e64 v42, 0, 1, vcc_lo
	v_cmp_ne_u16_e32 vcc_lo, v45, v44
	v_or_b32_e32 v30, v32, v30
	v_or_b32_e32 v23, v23, v24
	v_add_nc_u16 v22, v22, v47
	v_or_b32_e32 v35, v42, v35
	v_cndmask_b32_e64 v43, 0, 1, vcc_lo
	v_lshlrev_b32_e32 v41, 16, v41
	v_lshlrev_b32_e32 v33, 16, v33
	v_and_b32_e32 v30, 0xffff, v30
	v_and_b32_e32 v32, 0xffff, v35
	v_lshlrev_b16 v43, 8, v43
	v_lshlrev_b32_e32 v34, 16, v23
	v_cmp_ne_u16_e64 s4, v22, v45
	s_delay_alu instid0(VALU_DEP_4) | instskip(NEXT) | instid1(VALU_DEP_4)
	v_or_b32_e32 v23, v32, v33
	v_and_b32_e32 v24, 0xffff, v43
	s_delay_alu instid0(VALU_DEP_1)
	v_or_b32_e32 v22, v24, v41
	v_or_b32_e32 v41, v30, v34
	s_and_b32 vcc_lo, exec_lo, s2
	s_cbranch_vccnz .LBB523_63
	s_branch .LBB523_90
.LBB523_61:
                                        ; implicit-def: $sgpr4
                                        ; implicit-def: $vgpr41
                                        ; implicit-def: $vgpr22_vgpr23_vgpr24
	s_branch .LBB523_91
.LBB523_62:
                                        ; implicit-def: $sgpr4
                                        ; implicit-def: $vgpr41
                                        ; implicit-def: $vgpr22_vgpr23_vgpr24
	s_and_b32 vcc_lo, exec_lo, s2
	s_cbranch_vccz .LBB523_90
.LBB523_63:
	s_mov_b32 s4, 0
	s_mov_b32 s2, 0
	s_mov_b32 s5, exec_lo
	v_cmpx_gt_u32_e64 s19, v9
	s_cbranch_execz .LBB523_65
; %bb.64:
	v_bfe_i32 v22, v28, 0, 16
	v_bfe_i32 v23, v31, 0, 16
	s_delay_alu instid0(VALU_DEP_2) | instskip(NEXT) | instid1(VALU_DEP_2)
	v_mul_i32_i24_e32 v22, 0x6667, v22
	v_mul_i32_i24_e32 v23, 0x6667, v23
	s_delay_alu instid0(VALU_DEP_2) | instskip(SKIP_1) | instid1(VALU_DEP_3)
	v_lshrrev_b32_e32 v24, 31, v22
	v_ashrrev_i32_e32 v22, 18, v22
	v_lshrrev_b32_e32 v30, 31, v23
	v_ashrrev_i32_e32 v23, 18, v23
	s_delay_alu instid0(VALU_DEP_3) | instskip(NEXT) | instid1(VALU_DEP_2)
	v_add_nc_u16 v22, v22, v24
	v_add_nc_u16 v23, v23, v30
	s_delay_alu instid0(VALU_DEP_1)
	v_cmp_ne_u16_e32 vcc_lo, v22, v23
	s_and_b32 s2, vcc_lo, exec_lo
.LBB523_65:
	s_or_b32 exec_lo, exec_lo, s5
	s_delay_alu instid0(SALU_CYCLE_1)
	s_mov_b32 s5, exec_lo
	v_cmpx_gt_u32_e64 s19, v8
	s_cbranch_execz .LBB523_67
; %bb.66:
	v_bfe_i32 v22, v36, 0, 16
	v_bfe_i32 v23, v28, 0, 16
	s_delay_alu instid0(VALU_DEP_2) | instskip(NEXT) | instid1(VALU_DEP_2)
	v_mul_i32_i24_e32 v22, 0x6667, v22
	v_mul_i32_i24_e32 v23, 0x6667, v23
	s_delay_alu instid0(VALU_DEP_2) | instskip(SKIP_1) | instid1(VALU_DEP_3)
	v_lshrrev_b32_e32 v24, 31, v22
	v_ashrrev_i32_e32 v22, 18, v22
	v_lshrrev_b32_e32 v30, 31, v23
	v_ashrrev_i32_e32 v23, 18, v23
	s_delay_alu instid0(VALU_DEP_3) | instskip(NEXT) | instid1(VALU_DEP_2)
	v_add_nc_u16 v22, v22, v24
	v_add_nc_u16 v23, v23, v30
	s_delay_alu instid0(VALU_DEP_1)
	v_cmp_ne_u16_e32 vcc_lo, v22, v23
	s_and_b32 s4, vcc_lo, exec_lo
.LBB523_67:
	s_or_b32 exec_lo, exec_lo, s5
	s_mov_b32 s6, 0
	s_mov_b32 s5, 0
	s_mov_b32 s7, exec_lo
	v_cmpx_gt_u32_e64 s19, v10
	s_cbranch_execz .LBB523_69
; %bb.68:
	v_bfe_i32 v22, v27, 0, 16
	v_bfe_i32 v23, v36, 0, 16
	s_delay_alu instid0(VALU_DEP_2) | instskip(NEXT) | instid1(VALU_DEP_2)
	v_mul_i32_i24_e32 v22, 0x6667, v22
	v_mul_i32_i24_e32 v23, 0x6667, v23
	s_delay_alu instid0(VALU_DEP_2) | instskip(SKIP_1) | instid1(VALU_DEP_3)
	v_lshrrev_b32_e32 v24, 31, v22
	v_ashrrev_i32_e32 v22, 18, v22
	v_lshrrev_b32_e32 v30, 31, v23
	v_ashrrev_i32_e32 v23, 18, v23
	s_delay_alu instid0(VALU_DEP_3) | instskip(NEXT) | instid1(VALU_DEP_2)
	v_add_nc_u16 v22, v22, v24
	v_add_nc_u16 v23, v23, v30
	s_delay_alu instid0(VALU_DEP_1)
	v_cmp_ne_u16_e32 vcc_lo, v22, v23
	s_and_b32 s5, vcc_lo, exec_lo
.LBB523_69:
	s_or_b32 exec_lo, exec_lo, s7
	s_delay_alu instid0(SALU_CYCLE_1)
	s_mov_b32 s7, exec_lo
	v_cmpx_gt_u32_e64 s19, v11
	s_cbranch_execz .LBB523_71
; %bb.70:
	v_bfe_i32 v22, v37, 0, 16
	v_bfe_i32 v23, v27, 0, 16
	s_delay_alu instid0(VALU_DEP_2) | instskip(NEXT) | instid1(VALU_DEP_2)
	v_mul_i32_i24_e32 v22, 0x6667, v22
	v_mul_i32_i24_e32 v23, 0x6667, v23
	s_delay_alu instid0(VALU_DEP_2) | instskip(SKIP_1) | instid1(VALU_DEP_3)
	v_lshrrev_b32_e32 v24, 31, v22
	v_ashrrev_i32_e32 v22, 18, v22
	v_lshrrev_b32_e32 v30, 31, v23
	v_ashrrev_i32_e32 v23, 18, v23
	s_delay_alu instid0(VALU_DEP_3) | instskip(NEXT) | instid1(VALU_DEP_2)
	v_add_nc_u16 v22, v22, v24
	v_add_nc_u16 v23, v23, v30
	s_delay_alu instid0(VALU_DEP_1)
	v_cmp_ne_u16_e32 vcc_lo, v22, v23
	s_and_b32 s6, vcc_lo, exec_lo
.LBB523_71:
	s_or_b32 exec_lo, exec_lo, s7
	;; [unrolled: 47-line block ×5, first 2 shown]
	s_mov_b32 s22, 0
	s_mov_b32 s23, exec_lo
	v_cmpx_gt_u32_e64 s19, v12
	s_cbranch_execz .LBB523_85
; %bb.84:
	v_bfe_i32 v22, v18, 0, 16
	v_bfe_i32 v23, v40, 0, 16
	s_delay_alu instid0(VALU_DEP_2) | instskip(NEXT) | instid1(VALU_DEP_2)
	v_mul_i32_i24_e32 v22, 0x6667, v22
	v_mul_i32_i24_e32 v23, 0x6667, v23
	s_delay_alu instid0(VALU_DEP_2) | instskip(SKIP_1) | instid1(VALU_DEP_3)
	v_lshrrev_b32_e32 v24, 31, v22
	v_ashrrev_i32_e32 v22, 18, v22
	v_lshrrev_b32_e32 v30, 31, v23
	v_ashrrev_i32_e32 v23, 18, v23
	s_delay_alu instid0(VALU_DEP_3) | instskip(NEXT) | instid1(VALU_DEP_2)
	v_add_nc_u16 v22, v22, v24
	v_add_nc_u16 v23, v23, v30
	s_delay_alu instid0(VALU_DEP_1)
	v_cmp_ne_u16_e32 vcc_lo, v22, v23
	s_and_b32 s22, vcc_lo, exec_lo
.LBB523_85:
	s_or_b32 exec_lo, exec_lo, s23
	s_delay_alu instid0(SALU_CYCLE_1)
	s_mov_b32 s23, exec_lo
	s_waitcnt vmcnt(0) lgkmcnt(0)
	s_barrier
	buffer_gl0_inv
	v_cmpx_ne_u32_e32 0, v0
	s_cbranch_execz .LBB523_87
; %bb.86:
	v_add_nc_u32_e32 v13, -2, v29
	ds_load_u16 v13, v13
.LBB523_87:
	s_or_b32 exec_lo, exec_lo, s23
	v_cndmask_b32_e64 v24, 0, 1, s20
	v_cndmask_b32_e64 v30, 0, 1, s12
	;; [unrolled: 1-line block ×11, first 2 shown]
	v_lshlrev_b16 v24, 8, v24
	v_lshlrev_b16 v30, 8, v30
	;; [unrolled: 1-line block ×6, first 2 shown]
	v_or_b32_e32 v23, v23, v24
	v_or_b32_e32 v24, v29, v30
	;; [unrolled: 1-line block ×5, first 2 shown]
	v_and_b32_e32 v22, 0xffff, v22
	v_lshlrev_b32_e32 v23, 16, v23
	v_and_b32_e32 v24, 0xffff, v24
	v_lshlrev_b32_e32 v29, 16, v29
	;; [unrolled: 2-line block ×3, first 2 shown]
	s_mov_b32 s4, 0
	s_mov_b32 s2, exec_lo
	v_cmpx_gt_u32_e64 s19, v1
	s_cbranch_execz .LBB523_89
; %bb.88:
	s_waitcnt lgkmcnt(0)
	v_bfe_i32 v13, v13, 0, 16
	v_bfe_i32 v33, v18, 0, 16
	s_delay_alu instid0(VALU_DEP_2) | instskip(NEXT) | instid1(VALU_DEP_2)
	v_mul_i32_i24_e32 v13, 0x6667, v13
	v_mul_i32_i24_e32 v33, 0x6667, v33
	s_delay_alu instid0(VALU_DEP_2) | instskip(SKIP_1) | instid1(VALU_DEP_3)
	v_lshrrev_b32_e32 v34, 31, v13
	v_ashrrev_i32_e32 v13, 18, v13
	v_lshrrev_b32_e32 v35, 31, v33
	v_ashrrev_i32_e32 v33, 18, v33
	s_delay_alu instid0(VALU_DEP_3) | instskip(NEXT) | instid1(VALU_DEP_2)
	v_add_nc_u16 v13, v13, v34
	v_add_nc_u16 v33, v33, v35
	s_delay_alu instid0(VALU_DEP_1)
	v_cmp_ne_u16_e32 vcc_lo, v13, v33
	s_and_b32 s4, vcc_lo, exec_lo
.LBB523_89:
	s_or_b32 exec_lo, exec_lo, s2
	v_or_b32_e32 v22, v22, v23
	v_or_b32_e32 v23, v24, v29
	;; [unrolled: 1-line block ×3, first 2 shown]
.LBB523_90:
	s_mov_b32 s2, -1
	s_cbranch_execnz .LBB523_123
.LBB523_91:
	v_bfe_i32 v22, v28, 0, 16
	v_bfe_i32 v23, v36, 0, 16
	;; [unrolled: 1-line block ×10, first 2 shown]
	s_waitcnt vmcnt(0) lgkmcnt(0)
	v_lshlrev_b32_e32 v13, 1, v0
	v_mul_i32_i24_e32 v45, 0x6667, v22
	v_mul_i32_i24_e32 v44, 0x6667, v23
	;; [unrolled: 1-line block ×10, first 2 shown]
	s_and_b32 vcc_lo, exec_lo, s18
	ds_store_b16 v13, v31
	s_cbranch_vccz .LBB523_95
; %bb.92:
	v_bfe_i32 v22, v31, 0, 16
	v_lshrrev_b32_e32 v23, 31, v45
	v_ashrrev_i32_e32 v24, 18, v45
	v_lshrrev_b32_e32 v41, 31, v44
	v_ashrrev_i32_e32 v46, 18, v44
	v_mul_i32_i24_e32 v22, 0x6667, v22
	v_lshrrev_b32_e32 v47, 31, v43
	v_add_nc_u16 v23, v24, v23
	v_ashrrev_i32_e32 v48, 18, v43
	v_add_nc_u16 v24, v46, v41
	v_lshrrev_b32_e32 v50, 31, v22
	v_ashrrev_i32_e32 v22, 18, v22
	v_lshrrev_b32_e32 v49, 31, v42
	v_ashrrev_i32_e32 v51, 18, v42
	v_cmp_ne_u16_e32 vcc_lo, v24, v23
	v_add_nc_u16 v41, v48, v47
	v_add_nc_u16 v22, v22, v50
	v_ashrrev_i32_e32 v48, 18, v35
	v_add_nc_u16 v46, v51, v49
	v_cndmask_b32_e64 v47, 0, 1, vcc_lo
	v_lshrrev_b32_e32 v49, 31, v34
	v_cmp_ne_u16_e32 vcc_lo, v23, v22
	v_lshrrev_b32_e32 v23, 31, v35
	v_ashrrev_i32_e32 v50, 18, v34
	v_ashrrev_i32_e32 v51, 18, v32
	v_bfe_i32 v52, v18, 0, 16
	v_cndmask_b32_e64 v22, 0, 1, vcc_lo
	v_cmp_ne_u16_e32 vcc_lo, v41, v24
	v_add_nc_u16 v23, v48, v23
	v_add_nc_u16 v48, v50, v49
	v_lshrrev_b32_e32 v49, 31, v33
	v_ashrrev_i32_e32 v50, 18, v33
	v_cndmask_b32_e64 v24, 0, 1, vcc_lo
	v_cmp_ne_u16_e32 vcc_lo, v46, v41
	v_lshrrev_b32_e32 v53, 31, v30
	v_ashrrev_i32_e32 v54, 18, v30
	v_add_nc_u16 v49, v50, v49
	v_lshrrev_b32_e32 v50, 31, v32
	v_cndmask_b32_e64 v41, 0, 1, vcc_lo
	v_cmp_ne_u16_e32 vcc_lo, v23, v46
	v_mul_i32_i24_e32 v52, 0x6667, v52
	v_lshlrev_b16 v56, 8, v24
	v_add_nc_u16 v50, v51, v50
	v_add_nc_u16 v51, v54, v53
	v_cndmask_b32_e64 v46, 0, 1, vcc_lo
	v_cmp_ne_u16_e32 vcc_lo, v48, v23
	v_lshrrev_b32_e32 v53, 31, v29
	v_ashrrev_i32_e32 v54, 18, v29
	v_lshrrev_b32_e32 v55, 31, v52
	v_ashrrev_i32_e32 v52, 18, v52
	v_cndmask_b32_e64 v23, 0, 1, vcc_lo
	v_cmp_ne_u16_e32 vcc_lo, v49, v48
	v_add_nc_u16 v53, v54, v53
	v_lshlrev_b16 v22, 8, v22
	v_add_nc_u16 v24, v52, v55
	v_lshlrev_b16 v46, 8, v46
	v_cndmask_b32_e64 v48, 0, 1, vcc_lo
	v_cmp_ne_u16_e32 vcc_lo, v50, v49
	v_or_b32_e32 v41, v41, v56
	v_or_b32_e32 v22, v47, v22
	;; [unrolled: 1-line block ×3, first 2 shown]
	v_lshlrev_b16 v48, 8, v48
	v_cndmask_b32_e64 v49, 0, 1, vcc_lo
	v_cmp_ne_u16_e32 vcc_lo, v51, v50
	v_and_b32_e32 v41, 0xffff, v41
	v_lshlrev_b32_e32 v22, 16, v22
	v_lshlrev_b32_e32 v23, 16, v23
	v_or_b32_e32 v47, v49, v48
	v_cndmask_b32_e64 v50, 0, 1, vcc_lo
	v_cmp_ne_u16_e32 vcc_lo, v53, v51
	v_or_b32_e32 v41, v41, v22
	s_mov_b32 s5, 0
	v_and_b32_e32 v47, 0xffff, v47
	v_lshlrev_b16 v50, 8, v50
	v_cndmask_b32_e64 v51, 0, 1, vcc_lo
	v_cmp_ne_u16_e32 vcc_lo, v24, v53
	s_mov_b32 s6, exec_lo
	v_or_b32_e32 v23, v47, v23
	s_waitcnt lgkmcnt(0)
	v_or_b32_e32 v46, v51, v50
	v_cndmask_b32_e64 v52, 0, 1, vcc_lo
	s_barrier
	buffer_gl0_inv
                                        ; implicit-def: $sgpr4
	v_lshlrev_b32_e32 v46, 16, v46
	v_lshlrev_b16 v52, 8, v52
	s_delay_alu instid0(VALU_DEP_1) | instskip(NEXT) | instid1(VALU_DEP_1)
	v_or_b32_e32 v48, 1, v52
	v_and_b32_e32 v48, 0xffff, v48
	s_delay_alu instid0(VALU_DEP_1)
	v_or_b32_e32 v22, v48, v46
	v_cmpx_ne_u32_e32 0, v0
	s_xor_b32 s6, exec_lo, s6
	s_cbranch_execz .LBB523_94
; %bb.93:
	v_add_nc_u32_e32 v46, -2, v13
	s_or_b32 s2, s2, exec_lo
	ds_load_i16 v46, v46
	s_waitcnt lgkmcnt(0)
	v_mul_i32_i24_e32 v46, 0x6667, v46
	s_delay_alu instid0(VALU_DEP_1) | instskip(SKIP_1) | instid1(VALU_DEP_1)
	v_lshrrev_b32_e32 v47, 31, v46
	v_ashrrev_i32_e32 v46, 18, v46
	v_add_nc_u16 v46, v46, v47
	s_delay_alu instid0(VALU_DEP_1)
	v_cmp_ne_u16_e32 vcc_lo, v46, v24
	s_and_b32 s4, vcc_lo, exec_lo
.LBB523_94:
	s_or_b32 exec_lo, exec_lo, s6
	s_delay_alu instid0(SALU_CYCLE_1)
	s_and_b32 vcc_lo, exec_lo, s5
	s_cbranch_vccnz .LBB523_96
	s_branch .LBB523_123
.LBB523_95:
                                        ; implicit-def: $sgpr4
                                        ; implicit-def: $vgpr41
                                        ; implicit-def: $vgpr22_vgpr23_vgpr24
	s_cbranch_execz .LBB523_123
.LBB523_96:
	s_mov_b32 s4, 0
	s_mov_b32 s5, 0
	s_mov_b32 s6, exec_lo
	v_cmpx_gt_u32_e64 s19, v9
; %bb.97:
	v_bfe_i32 v22, v31, 0, 16
	v_lshrrev_b32_e32 v23, 31, v45
	v_ashrrev_i32_e32 v24, 18, v45
	s_delay_alu instid0(VALU_DEP_3) | instskip(NEXT) | instid1(VALU_DEP_2)
	v_mul_i32_i24_e32 v22, 0x6667, v22
	v_add_nc_u16 v23, v24, v23
	s_delay_alu instid0(VALU_DEP_2) | instskip(SKIP_1) | instid1(VALU_DEP_1)
	v_lshrrev_b32_e32 v41, 31, v22
	v_ashrrev_i32_e32 v22, 18, v22
	v_add_nc_u16 v22, v22, v41
	s_delay_alu instid0(VALU_DEP_1)
	v_cmp_ne_u16_e32 vcc_lo, v23, v22
	s_and_b32 s5, vcc_lo, exec_lo
; %bb.98:
	s_or_b32 exec_lo, exec_lo, s6
	s_delay_alu instid0(SALU_CYCLE_1)
	s_mov_b32 s6, exec_lo
	v_cmpx_gt_u32_e64 s19, v8
; %bb.99:
	v_lshrrev_b32_e32 v22, 31, v44
	v_ashrrev_i32_e32 v23, 18, v44
	v_lshrrev_b32_e32 v24, 31, v45
	v_ashrrev_i32_e32 v41, 18, v45
	s_delay_alu instid0(VALU_DEP_3) | instskip(NEXT) | instid1(VALU_DEP_2)
	v_add_nc_u16 v22, v23, v22
	v_add_nc_u16 v23, v41, v24
	s_delay_alu instid0(VALU_DEP_1)
	v_cmp_ne_u16_e32 vcc_lo, v22, v23
	s_and_b32 s4, vcc_lo, exec_lo
; %bb.100:
	s_or_b32 exec_lo, exec_lo, s6
	s_mov_b32 s6, 0
	s_mov_b32 s7, 0
	s_mov_b32 s9, exec_lo
	v_cmpx_gt_u32_e64 s19, v10
; %bb.101:
	v_lshrrev_b32_e32 v22, 31, v43
	v_ashrrev_i32_e32 v23, 18, v43
	v_lshrrev_b32_e32 v24, 31, v44
	v_ashrrev_i32_e32 v41, 18, v44
	s_delay_alu instid0(VALU_DEP_3) | instskip(NEXT) | instid1(VALU_DEP_2)
	v_add_nc_u16 v22, v23, v22
	v_add_nc_u16 v23, v41, v24
	s_delay_alu instid0(VALU_DEP_1)
	v_cmp_ne_u16_e32 vcc_lo, v22, v23
	s_and_b32 s7, vcc_lo, exec_lo
; %bb.102:
	s_or_b32 exec_lo, exec_lo, s9
	s_delay_alu instid0(SALU_CYCLE_1)
	s_mov_b32 s9, exec_lo
	v_cmpx_gt_u32_e64 s19, v11
; %bb.103:
	v_lshrrev_b32_e32 v22, 31, v42
	v_ashrrev_i32_e32 v23, 18, v42
	v_lshrrev_b32_e32 v24, 31, v43
	v_ashrrev_i32_e32 v41, 18, v43
	s_delay_alu instid0(VALU_DEP_3) | instskip(NEXT) | instid1(VALU_DEP_2)
	v_add_nc_u16 v22, v23, v22
	v_add_nc_u16 v23, v41, v24
	s_delay_alu instid0(VALU_DEP_1)
	v_cmp_ne_u16_e32 vcc_lo, v22, v23
	s_and_b32 s6, vcc_lo, exec_lo
; %bb.104:
	s_or_b32 exec_lo, exec_lo, s9
	s_mov_b32 s12, 0
	s_mov_b32 s9, 0
	s_mov_b32 s13, exec_lo
	v_cmpx_gt_u32_e64 s19, v2
; %bb.105:
	v_lshrrev_b32_e32 v22, 31, v35
	v_ashrrev_i32_e32 v23, 18, v35
	v_lshrrev_b32_e32 v24, 31, v42
	v_ashrrev_i32_e32 v41, 18, v42
	s_delay_alu instid0(VALU_DEP_3) | instskip(NEXT) | instid1(VALU_DEP_2)
	v_add_nc_u16 v22, v23, v22
	;; [unrolled: 33-line block ×4, first 2 shown]
	v_add_nc_u16 v23, v32, v24
	s_delay_alu instid0(VALU_DEP_1)
	v_cmp_ne_u16_e32 vcc_lo, v22, v23
	s_and_b32 s21, vcc_lo, exec_lo
; %bb.114:
	s_or_b32 exec_lo, exec_lo, s23
	s_delay_alu instid0(SALU_CYCLE_1)
	s_mov_b32 s23, exec_lo
	v_cmpx_gt_u32_e64 s19, v6
; %bb.115:
	v_lshrrev_b32_e32 v22, 31, v29
	v_ashrrev_i32_e32 v23, 18, v29
	v_lshrrev_b32_e32 v24, 31, v30
	v_ashrrev_i32_e32 v30, 18, v30
	s_delay_alu instid0(VALU_DEP_3) | instskip(NEXT) | instid1(VALU_DEP_2)
	v_add_nc_u16 v22, v23, v22
	v_add_nc_u16 v23, v30, v24
	s_delay_alu instid0(VALU_DEP_1)
	v_cmp_ne_u16_e32 vcc_lo, v22, v23
	s_and_b32 s22, vcc_lo, exec_lo
; %bb.116:
	s_or_b32 exec_lo, exec_lo, s23
	s_mov_b32 s23, 0
	s_mov_b32 s24, exec_lo
	v_cmpx_gt_u32_e64 s19, v12
; %bb.117:
	v_bfe_i32 v22, v18, 0, 16
	v_lshrrev_b32_e32 v23, 31, v29
	v_ashrrev_i32_e32 v29, 18, v29
	s_delay_alu instid0(VALU_DEP_3) | instskip(NEXT) | instid1(VALU_DEP_2)
	v_mul_i32_i24_e32 v22, 0x6667, v22
	v_add_nc_u16 v23, v29, v23
	s_delay_alu instid0(VALU_DEP_2) | instskip(SKIP_1) | instid1(VALU_DEP_1)
	v_lshrrev_b32_e32 v24, 31, v22
	v_ashrrev_i32_e32 v22, 18, v22
	v_add_nc_u16 v22, v22, v24
	s_delay_alu instid0(VALU_DEP_1)
	v_cmp_ne_u16_e32 vcc_lo, v22, v23
	s_and_b32 s23, vcc_lo, exec_lo
; %bb.118:
	s_or_b32 exec_lo, exec_lo, s24
	v_cndmask_b32_e64 v22, 0, 1, s7
	v_cndmask_b32_e64 v24, 0, 1, s21
	;; [unrolled: 1-line block ×5, first 2 shown]
	v_lshlrev_b16 v22, 8, v22
	v_cndmask_b32_e64 v35, 0, 1, s9
	v_cndmask_b32_e64 v41, 0, 1, s23
	;; [unrolled: 1-line block ×5, first 2 shown]
	v_or_b32_e32 v22, v30, v22
	v_cndmask_b32_e64 v30, 0, 1, s4
	v_lshlrev_b16 v34, 8, v34
	v_lshlrev_b16 v32, 8, v32
	;; [unrolled: 1-line block ×5, first 2 shown]
	v_or_b32_e32 v30, v30, v34
	v_or_b32_e32 v29, v29, v32
	;; [unrolled: 1-line block ×5, first 2 shown]
	v_and_b32_e32 v22, 0xffff, v22
	v_lshlrev_b32_e32 v24, 16, v30
	v_and_b32_e32 v29, 0xffff, v29
	v_lshlrev_b32_e32 v30, 16, v32
	v_and_b32_e32 v32, 0xffff, v33
	v_lshlrev_b32_e32 v33, 16, v23
	v_or_b32_e32 v41, v22, v24
	s_mov_b32 s5, exec_lo
	v_or_b32_e32 v23, v29, v30
	s_waitcnt lgkmcnt(0)
	v_or_b32_e32 v22, v32, v33
	s_barrier
	buffer_gl0_inv
                                        ; implicit-def: $sgpr4
	v_cmpx_ne_u32_e32 0, v0
	s_cbranch_execz .LBB523_122
; %bb.119:
	s_mov_b32 s6, 0
	s_mov_b32 s4, exec_lo
	v_cmpx_gt_u32_e64 s19, v1
	s_cbranch_execz .LBB523_121
; %bb.120:
	v_add_nc_u32_e32 v13, -2, v13
	v_bfe_i32 v24, v18, 0, 16
	ds_load_i16 v13, v13
	v_mul_i32_i24_e32 v24, 0x6667, v24
	s_delay_alu instid0(VALU_DEP_1) | instskip(SKIP_1) | instid1(VALU_DEP_1)
	v_lshrrev_b32_e32 v29, 31, v24
	v_ashrrev_i32_e32 v24, 18, v24
	v_add_nc_u16 v24, v24, v29
	s_waitcnt lgkmcnt(0)
	v_mul_i32_i24_e32 v13, 0x6667, v13
	s_delay_alu instid0(VALU_DEP_1) | instskip(SKIP_1) | instid1(VALU_DEP_1)
	v_lshrrev_b32_e32 v30, 31, v13
	v_ashrrev_i32_e32 v13, 18, v13
	v_add_nc_u16 v13, v13, v30
	s_delay_alu instid0(VALU_DEP_1)
	v_cmp_ne_u16_e32 vcc_lo, v13, v24
	s_and_b32 s6, vcc_lo, exec_lo
.LBB523_121:
	s_or_b32 exec_lo, exec_lo, s4
	s_delay_alu instid0(SALU_CYCLE_1)
	s_and_b32 s4, s6, exec_lo
	s_or_b32 s2, s2, exec_lo
.LBB523_122:
	s_or_b32 exec_lo, exec_lo, s5
.LBB523_123:
	s_and_saveexec_b32 s5, s2
	s_cbranch_execz .LBB523_125
; %bb.124:
	s_waitcnt vmcnt(0) lgkmcnt(0)
	v_and_b32_e32 v13, 0xffffff00, v22
	v_cndmask_b32_e64 v24, 0, 1, s4
	s_delay_alu instid0(VALU_DEP_1) | instskip(NEXT) | instid1(VALU_DEP_1)
	v_or_b32_e32 v13, v24, v13
	v_and_b32_e32 v13, 0xffff, v13
	s_delay_alu instid0(VALU_DEP_1)
	v_and_or_b32 v22, 0xffff0000, v22, v13
.LBB523_125:
	s_or_b32 exec_lo, exec_lo, s5
	s_load_b64 s[12:13], s[0:1], 0x60
	s_and_not1_b32 vcc_lo, exec_lo, s3
	s_cbranch_vccnz .LBB523_127
; %bb.126:
	v_cmp_gt_u32_e32 vcc_lo, s19, v1
	v_cmp_gt_u32_e64 s3, s19, v6
	v_cmp_gt_u32_e64 s5, s19, v4
	;; [unrolled: 1-line block ×4, first 2 shown]
	v_cndmask_b32_e32 v1, 0, v22, vcc_lo
	v_cmp_gt_u32_e32 vcc_lo, s19, v12
	v_and_b32_e32 v12, 0xffffff00, v23
	v_cmp_gt_u32_e64 s6, s19, v3
	s_delay_alu instid0(VALU_DEP_4) | instskip(NEXT) | instid1(VALU_DEP_3)
	v_and_b32_e32 v1, 0xff, v1
	v_cndmask_b32_e64 v7, v12, v23, s2
	s_delay_alu instid0(VALU_DEP_2) | instskip(SKIP_1) | instid1(VALU_DEP_3)
	v_cndmask_b32_e32 v1, v1, v22, vcc_lo
	v_cmp_gt_u32_e32 vcc_lo, s19, v11
	v_and_b32_e32 v7, 0xffff00ff, v7
	s_delay_alu instid0(VALU_DEP_3) | instskip(SKIP_1) | instid1(VALU_DEP_3)
	v_and_b32_e32 v1, 0xffff, v1
	v_cndmask_b32_e32 v11, 0, v41, vcc_lo
	v_cndmask_b32_e64 v5, v7, v23, s4
	s_delay_alu instid0(VALU_DEP_3) | instskip(SKIP_1) | instid1(VALU_DEP_3)
	v_cndmask_b32_e64 v1, v1, v22, s3
	v_cmp_gt_u32_e64 s3, s19, v10
	v_and_b32_e32 v5, 0xff00ffff, v5
	s_delay_alu instid0(VALU_DEP_3) | instskip(NEXT) | instid1(VALU_DEP_2)
	v_and_b32_e32 v1, 0xffffff, v1
	v_cndmask_b32_e64 v3, v5, v23, s6
	s_delay_alu instid0(VALU_DEP_2) | instskip(SKIP_1) | instid1(VALU_DEP_2)
	v_cndmask_b32_e64 v1, v1, v22, s5
	v_cmp_gt_u32_e64 s5, s19, v8
	v_cndmask_b32_e64 v1, v1, v22, s2
	v_cmp_gt_u32_e64 s2, s19, v9
	s_delay_alu instid0(VALU_DEP_2) | instskip(SKIP_2) | instid1(VALU_DEP_3)
	v_cndmask_b32_e64 v1, v1, v22, s4
	v_cmp_gt_u32_e64 s4, s19, v2
	v_and_b32_e32 v2, 0xffffff, v3
	v_cndmask_b32_e64 v1, v1, v22, s6
	v_and_b32_e32 v11, 0xff, v11
	s_delay_alu instid0(VALU_DEP_1) | instskip(NEXT) | instid1(VALU_DEP_1)
	v_cndmask_b32_e64 v6, v11, v41, s3
	v_and_b32_e32 v6, 0xffff, v6
	s_delay_alu instid0(VALU_DEP_1) | instskip(NEXT) | instid1(VALU_DEP_1)
	v_cndmask_b32_e64 v4, v6, v41, s5
	v_and_b32_e32 v4, 0xffffff, v4
	s_delay_alu instid0(VALU_DEP_1) | instskip(SKIP_1) | instid1(SALU_CYCLE_1)
	v_cndmask_b32_e64 v41, v4, v41, s2
	s_or_b32 s2, s2, s5
	s_or_b32 s2, s2, s3
	s_delay_alu instid0(SALU_CYCLE_1) | instskip(NEXT) | instid1(SALU_CYCLE_1)
	s_or_b32 s2, s2, vcc_lo
	s_or_b32 vcc_lo, s2, s4
	v_dual_cndmask_b32 v22, v1, v22 :: v_dual_cndmask_b32 v23, v2, v23
.LBB523_127:
	s_delay_alu instid0(VALU_DEP_1) | instskip(NEXT) | instid1(VALU_DEP_2)
	v_and_b32_e32 v42, 0xff, v22
	v_alignbit_b32 v1, v23, v22, 24
	v_bfe_u32 v43, v22, 8, 8
	v_bfe_u32 v44, v22, 16, 8
	v_and_b32_e32 v46, 0xff, v23
	v_bfe_u32 v47, v23, 8, 8
	v_and_b32_e32 v45, 0xff, v1
	v_dual_mov_b32 v1, v41 :: v_dual_add_nc_u32 v2, v43, v42
	v_bfe_u32 v48, v23, 16, 8
	v_lshrrev_b32_e32 v24, 24, v23
	v_and_b32_e32 v49, 0xff, v41
	v_mbcnt_lo_u32_b32 v52, -1, 0
	v_add3_u32 v2, v2, v44, v45
	v_bfe_u32 v50, v41, 8, 8
	v_alignbit_b32 v3, s0, v41, 24
	v_bfe_u32 v51, v41, 16, 8
	v_and_b32_e32 v4, 15, v52
	v_add3_u32 v2, v2, v46, v47
	v_or_b32_e32 v5, 31, v0
	v_and_b32_e32 v3, 0xff, v3
	v_and_b32_e32 v6, 16, v52
	v_cmp_eq_u32_e64 s7, 0, v4
	v_add3_u32 v2, v2, v48, v24
	v_cmp_lt_u32_e64 s6, 1, v4
	v_cmp_lt_u32_e64 s5, 3, v4
	;; [unrolled: 1-line block ×3, first 2 shown]
	v_cmp_eq_u32_e64 s3, 0, v6
	v_add3_u32 v2, v2, v49, v50
	v_lshrrev_b32_e32 v53, 5, v0
	v_cmp_eq_u32_e64 s2, v5, v0
	s_and_b32 vcc_lo, exec_lo, s8
	s_mov_b32 s8, -1
	v_add3_u32 v54, v2, v51, v3
	s_waitcnt vmcnt(0) lgkmcnt(0)
	s_barrier
	buffer_gl0_inv
	s_cbranch_vccz .LBB523_158
; %bb.128:
	v_mov_b32_dpp v2, v54 row_shr:1 row_mask:0xf bank_mask:0xf
	s_delay_alu instid0(VALU_DEP_1) | instskip(NEXT) | instid1(VALU_DEP_1)
	v_cndmask_b32_e64 v2, v2, 0, s7
	v_add_nc_u32_e32 v2, v2, v54
	s_delay_alu instid0(VALU_DEP_1) | instskip(NEXT) | instid1(VALU_DEP_1)
	v_mov_b32_dpp v3, v2 row_shr:2 row_mask:0xf bank_mask:0xf
	v_cndmask_b32_e64 v3, 0, v3, s6
	s_delay_alu instid0(VALU_DEP_1) | instskip(NEXT) | instid1(VALU_DEP_1)
	v_add_nc_u32_e32 v2, v2, v3
	v_mov_b32_dpp v3, v2 row_shr:4 row_mask:0xf bank_mask:0xf
	s_delay_alu instid0(VALU_DEP_1) | instskip(NEXT) | instid1(VALU_DEP_1)
	v_cndmask_b32_e64 v3, 0, v3, s5
	v_add_nc_u32_e32 v2, v2, v3
	s_delay_alu instid0(VALU_DEP_1) | instskip(NEXT) | instid1(VALU_DEP_1)
	v_mov_b32_dpp v3, v2 row_shr:8 row_mask:0xf bank_mask:0xf
	v_cndmask_b32_e64 v3, 0, v3, s4
	s_delay_alu instid0(VALU_DEP_1) | instskip(SKIP_3) | instid1(VALU_DEP_1)
	v_add_nc_u32_e32 v2, v2, v3
	ds_swizzle_b32 v3, v2 offset:swizzle(BROADCAST,32,15)
	s_waitcnt lgkmcnt(0)
	v_cndmask_b32_e64 v3, v3, 0, s3
	v_add_nc_u32_e32 v2, v2, v3
	s_and_saveexec_b32 s8, s2
	s_cbranch_execz .LBB523_130
; %bb.129:
	v_lshlrev_b32_e32 v3, 2, v53
	ds_store_b32 v3, v2
.LBB523_130:
	s_or_b32 exec_lo, exec_lo, s8
	s_delay_alu instid0(SALU_CYCLE_1)
	s_mov_b32 s8, exec_lo
	s_waitcnt lgkmcnt(0)
	s_barrier
	buffer_gl0_inv
	v_cmpx_gt_u32_e32 4, v0
	s_cbranch_execz .LBB523_132
; %bb.131:
	v_and_b32_e32 v5, 3, v52
	s_delay_alu instid0(VALU_DEP_1) | instskip(SKIP_4) | instid1(VALU_DEP_1)
	v_cmp_ne_u32_e32 vcc_lo, 0, v5
	v_lshlrev_b32_e32 v3, 2, v0
	ds_load_b32 v4, v3
	s_waitcnt lgkmcnt(0)
	v_mov_b32_dpp v6, v4 row_shr:1 row_mask:0xf bank_mask:0xf
	v_cndmask_b32_e32 v6, 0, v6, vcc_lo
	v_cmp_lt_u32_e32 vcc_lo, 1, v5
	s_delay_alu instid0(VALU_DEP_2) | instskip(NEXT) | instid1(VALU_DEP_1)
	v_add_nc_u32_e32 v4, v6, v4
	v_mov_b32_dpp v6, v4 row_shr:2 row_mask:0xf bank_mask:0xf
	s_delay_alu instid0(VALU_DEP_1) | instskip(NEXT) | instid1(VALU_DEP_1)
	v_cndmask_b32_e32 v5, 0, v6, vcc_lo
	v_add_nc_u32_e32 v4, v4, v5
	ds_store_b32 v3, v4
.LBB523_132:
	s_or_b32 exec_lo, exec_lo, s8
	v_cmp_gt_u32_e32 vcc_lo, 32, v0
	s_mov_b32 s9, exec_lo
	s_waitcnt lgkmcnt(0)
	s_barrier
	buffer_gl0_inv
                                        ; implicit-def: $vgpr10
	v_cmpx_lt_u32_e32 31, v0
	s_cbranch_execz .LBB523_134
; %bb.133:
	v_lshl_add_u32 v3, v53, 2, -4
	ds_load_b32 v10, v3
	s_waitcnt lgkmcnt(0)
	v_add_nc_u32_e32 v2, v10, v2
.LBB523_134:
	s_or_b32 exec_lo, exec_lo, s9
	v_add_nc_u32_e32 v3, -1, v52
	s_delay_alu instid0(VALU_DEP_1) | instskip(NEXT) | instid1(VALU_DEP_1)
	v_cmp_gt_i32_e64 s8, 0, v3
	v_cndmask_b32_e64 v3, v3, v52, s8
	v_cmp_eq_u32_e64 s8, 0, v52
	s_delay_alu instid0(VALU_DEP_2)
	v_lshlrev_b32_e32 v3, 2, v3
	ds_bpermute_b32 v11, v3, v2
	s_and_saveexec_b32 s9, vcc_lo
	s_cbranch_execz .LBB523_157
; %bb.135:
	v_mov_b32_e32 v6, 0
	ds_load_b32 v2, v6 offset:12
	s_and_saveexec_b32 s19, s8
	s_cbranch_execz .LBB523_137
; %bb.136:
	s_add_i32 s20, s15, 32
	s_mov_b32 s21, 0
	v_mov_b32_e32 v3, 1
	s_lshl_b64 s[20:21], s[20:21], 3
	s_delay_alu instid0(SALU_CYCLE_1)
	s_add_u32 s20, s12, s20
	s_addc_u32 s21, s13, s21
	s_waitcnt lgkmcnt(0)
	global_store_b64 v6, v[2:3], s[20:21]
.LBB523_137:
	s_or_b32 exec_lo, exec_lo, s19
	v_xad_u32 v4, v52, -1, s15
	s_mov_b32 s20, 0
	s_mov_b32 s19, exec_lo
	s_delay_alu instid0(VALU_DEP_1) | instskip(NEXT) | instid1(VALU_DEP_1)
	v_add_nc_u32_e32 v5, 32, v4
	v_lshlrev_b64 v[5:6], 3, v[5:6]
	s_delay_alu instid0(VALU_DEP_1) | instskip(NEXT) | instid1(VALU_DEP_2)
	v_add_co_u32 v8, vcc_lo, s12, v5
	v_add_co_ci_u32_e32 v9, vcc_lo, s13, v6, vcc_lo
	global_load_b64 v[6:7], v[8:9], off glc
	s_waitcnt vmcnt(0)
	v_and_b32_e32 v3, 0xff, v7
	s_delay_alu instid0(VALU_DEP_1)
	v_cmpx_eq_u16_e32 0, v3
	s_cbranch_execz .LBB523_143
; %bb.138:
	s_mov_b32 s21, 1
	.p2align	6
.LBB523_139:                            ; =>This Loop Header: Depth=1
                                        ;     Child Loop BB523_140 Depth 2
	s_delay_alu instid0(SALU_CYCLE_1)
	s_max_u32 s22, s21, 1
.LBB523_140:                            ;   Parent Loop BB523_139 Depth=1
                                        ; =>  This Inner Loop Header: Depth=2
	s_delay_alu instid0(SALU_CYCLE_1)
	s_add_i32 s22, s22, -1
	s_sleep 1
	s_cmp_eq_u32 s22, 0
	s_cbranch_scc0 .LBB523_140
; %bb.141:                              ;   in Loop: Header=BB523_139 Depth=1
	global_load_b64 v[6:7], v[8:9], off glc
	s_cmp_lt_u32 s21, 32
	s_cselect_b32 s22, -1, 0
	s_delay_alu instid0(SALU_CYCLE_1) | instskip(SKIP_3) | instid1(VALU_DEP_1)
	s_cmp_lg_u32 s22, 0
	s_addc_u32 s21, s21, 0
	s_waitcnt vmcnt(0)
	v_and_b32_e32 v3, 0xff, v7
	v_cmp_ne_u16_e32 vcc_lo, 0, v3
	s_or_b32 s20, vcc_lo, s20
	s_delay_alu instid0(SALU_CYCLE_1)
	s_and_not1_b32 exec_lo, exec_lo, s20
	s_cbranch_execnz .LBB523_139
; %bb.142:
	s_or_b32 exec_lo, exec_lo, s20
.LBB523_143:
	s_delay_alu instid0(SALU_CYCLE_1)
	s_or_b32 exec_lo, exec_lo, s19
	v_cmp_ne_u32_e32 vcc_lo, 31, v52
	v_lshlrev_b32_e64 v13, v52, -1
	v_add_nc_u32_e32 v30, 2, v52
	v_add_nc_u32_e32 v56, 16, v52
	v_add_co_ci_u32_e32 v3, vcc_lo, 0, v52, vcc_lo
	s_delay_alu instid0(VALU_DEP_1)
	v_lshlrev_b32_e32 v12, 2, v3
	v_and_b32_e32 v3, 0xff, v7
	ds_bpermute_b32 v5, v12, v6
	v_cmp_eq_u16_e32 vcc_lo, 2, v3
	v_and_or_b32 v3, vcc_lo, v13, 0x80000000
	v_cmp_gt_u32_e32 vcc_lo, 30, v52
	s_delay_alu instid0(VALU_DEP_2) | instskip(SKIP_1) | instid1(VALU_DEP_2)
	v_ctz_i32_b32_e32 v3, v3
	v_cndmask_b32_e64 v8, 0, 1, vcc_lo
	v_cmp_lt_u32_e32 vcc_lo, v52, v3
	s_waitcnt lgkmcnt(0)
	s_delay_alu instid0(VALU_DEP_2) | instskip(NEXT) | instid1(VALU_DEP_1)
	v_dual_cndmask_b32 v5, 0, v5 :: v_dual_lshlrev_b32 v8, 1, v8
	v_add_lshl_u32 v29, v8, v52, 2
	v_cmp_gt_u32_e32 vcc_lo, 28, v52
	s_delay_alu instid0(VALU_DEP_3) | instskip(SKIP_4) | instid1(VALU_DEP_1)
	v_add_nc_u32_e32 v5, v5, v6
	v_cndmask_b32_e64 v8, 0, 1, vcc_lo
	v_cmp_le_u32_e32 vcc_lo, v30, v3
	ds_bpermute_b32 v6, v29, v5
	v_lshlrev_b32_e32 v8, 2, v8
	v_add_lshl_u32 v32, v8, v52, 2
	s_waitcnt lgkmcnt(0)
	v_cndmask_b32_e32 v6, 0, v6, vcc_lo
	v_cmp_gt_u32_e32 vcc_lo, 24, v52
	s_delay_alu instid0(VALU_DEP_2) | instskip(SKIP_4) | instid1(VALU_DEP_2)
	v_add_nc_u32_e32 v5, v5, v6
	v_cndmask_b32_e64 v8, 0, 1, vcc_lo
	ds_bpermute_b32 v6, v32, v5
	v_add_nc_u32_e32 v33, 4, v52
	v_lshlrev_b32_e32 v8, 3, v8
	v_cmp_le_u32_e32 vcc_lo, v33, v3
	s_delay_alu instid0(VALU_DEP_2) | instskip(SKIP_3) | instid1(VALU_DEP_2)
	v_add_lshl_u32 v34, v8, v52, 2
	s_waitcnt lgkmcnt(0)
	v_cndmask_b32_e32 v6, 0, v6, vcc_lo
	v_cmp_gt_u32_e32 vcc_lo, 16, v52
	v_add_nc_u32_e32 v5, v5, v6
	v_cndmask_b32_e64 v8, 0, 1, vcc_lo
	ds_bpermute_b32 v6, v34, v5
	v_add_nc_u32_e32 v35, 8, v52
	v_lshlrev_b32_e32 v8, 4, v8
	s_delay_alu instid0(VALU_DEP_2) | instskip(NEXT) | instid1(VALU_DEP_2)
	v_cmp_le_u32_e32 vcc_lo, v35, v3
	v_add_lshl_u32 v55, v8, v52, 2
	s_waitcnt lgkmcnt(0)
	v_cndmask_b32_e32 v6, 0, v6, vcc_lo
	v_cmp_le_u32_e32 vcc_lo, v56, v3
	s_delay_alu instid0(VALU_DEP_2) | instskip(SKIP_3) | instid1(VALU_DEP_1)
	v_add_nc_u32_e32 v5, v5, v6
	ds_bpermute_b32 v6, v55, v5
	s_waitcnt lgkmcnt(0)
	v_cndmask_b32_e32 v3, 0, v6, vcc_lo
	v_dual_mov_b32 v5, 0 :: v_dual_add_nc_u32 v6, v5, v3
	s_branch .LBB523_145
.LBB523_144:                            ;   in Loop: Header=BB523_145 Depth=1
	s_or_b32 exec_lo, exec_lo, s19
	ds_bpermute_b32 v9, v12, v6
	v_and_b32_e32 v8, 0xff, v7
	v_subrev_nc_u32_e32 v4, 32, v4
	s_delay_alu instid0(VALU_DEP_2) | instskip(SKIP_1) | instid1(VALU_DEP_1)
	v_cmp_eq_u16_e32 vcc_lo, 2, v8
	v_and_or_b32 v8, vcc_lo, v13, 0x80000000
	v_ctz_i32_b32_e32 v8, v8
	s_delay_alu instid0(VALU_DEP_1) | instskip(SKIP_3) | instid1(VALU_DEP_2)
	v_cmp_lt_u32_e32 vcc_lo, v52, v8
	s_waitcnt lgkmcnt(0)
	v_cndmask_b32_e32 v9, 0, v9, vcc_lo
	v_cmp_le_u32_e32 vcc_lo, v30, v8
	v_add_nc_u32_e32 v6, v9, v6
	ds_bpermute_b32 v9, v29, v6
	s_waitcnt lgkmcnt(0)
	v_cndmask_b32_e32 v9, 0, v9, vcc_lo
	v_cmp_le_u32_e32 vcc_lo, v33, v8
	s_delay_alu instid0(VALU_DEP_2) | instskip(SKIP_4) | instid1(VALU_DEP_2)
	v_add_nc_u32_e32 v6, v6, v9
	ds_bpermute_b32 v9, v32, v6
	s_waitcnt lgkmcnt(0)
	v_cndmask_b32_e32 v9, 0, v9, vcc_lo
	v_cmp_le_u32_e32 vcc_lo, v35, v8
	v_add_nc_u32_e32 v6, v6, v9
	ds_bpermute_b32 v9, v34, v6
	s_waitcnt lgkmcnt(0)
	v_cndmask_b32_e32 v9, 0, v9, vcc_lo
	v_cmp_le_u32_e32 vcc_lo, v56, v8
	s_delay_alu instid0(VALU_DEP_2) | instskip(SKIP_3) | instid1(VALU_DEP_1)
	v_add_nc_u32_e32 v6, v6, v9
	ds_bpermute_b32 v9, v55, v6
	s_waitcnt lgkmcnt(0)
	v_cndmask_b32_e32 v8, 0, v9, vcc_lo
	v_add3_u32 v6, v8, v3, v6
.LBB523_145:                            ; =>This Loop Header: Depth=1
                                        ;     Child Loop BB523_148 Depth 2
                                        ;       Child Loop BB523_149 Depth 3
	v_and_b32_e32 v3, 0xff, v7
	s_delay_alu instid0(VALU_DEP_1) | instskip(SKIP_2) | instid1(VALU_DEP_1)
	v_cmp_ne_u16_e32 vcc_lo, 2, v3
	v_cndmask_b32_e64 v3, 0, 1, vcc_lo
	;;#ASMSTART
	;;#ASMEND
	v_cmp_ne_u32_e32 vcc_lo, 0, v3
	v_mov_b32_e32 v3, v6
	s_cmp_lg_u32 vcc_lo, exec_lo
	s_cbranch_scc1 .LBB523_152
; %bb.146:                              ;   in Loop: Header=BB523_145 Depth=1
	v_lshlrev_b64 v[6:7], 3, v[4:5]
	s_mov_b32 s19, exec_lo
	s_delay_alu instid0(VALU_DEP_1) | instskip(NEXT) | instid1(VALU_DEP_2)
	v_add_co_u32 v8, vcc_lo, s12, v6
	v_add_co_ci_u32_e32 v9, vcc_lo, s13, v7, vcc_lo
	global_load_b64 v[6:7], v[8:9], off glc
	s_waitcnt vmcnt(0)
	v_and_b32_e32 v57, 0xff, v7
	s_delay_alu instid0(VALU_DEP_1)
	v_cmpx_eq_u16_e32 0, v57
	s_cbranch_execz .LBB523_144
; %bb.147:                              ;   in Loop: Header=BB523_145 Depth=1
	s_mov_b32 s21, 1
	s_mov_b32 s20, 0
	.p2align	6
.LBB523_148:                            ;   Parent Loop BB523_145 Depth=1
                                        ; =>  This Loop Header: Depth=2
                                        ;       Child Loop BB523_149 Depth 3
	s_max_u32 s22, s21, 1
.LBB523_149:                            ;   Parent Loop BB523_145 Depth=1
                                        ;     Parent Loop BB523_148 Depth=2
                                        ; =>    This Inner Loop Header: Depth=3
	s_delay_alu instid0(SALU_CYCLE_1)
	s_add_i32 s22, s22, -1
	s_sleep 1
	s_cmp_eq_u32 s22, 0
	s_cbranch_scc0 .LBB523_149
; %bb.150:                              ;   in Loop: Header=BB523_148 Depth=2
	global_load_b64 v[6:7], v[8:9], off glc
	s_cmp_lt_u32 s21, 32
	s_cselect_b32 s22, -1, 0
	s_delay_alu instid0(SALU_CYCLE_1) | instskip(SKIP_3) | instid1(VALU_DEP_1)
	s_cmp_lg_u32 s22, 0
	s_addc_u32 s21, s21, 0
	s_waitcnt vmcnt(0)
	v_and_b32_e32 v57, 0xff, v7
	v_cmp_ne_u16_e32 vcc_lo, 0, v57
	s_or_b32 s20, vcc_lo, s20
	s_delay_alu instid0(SALU_CYCLE_1)
	s_and_not1_b32 exec_lo, exec_lo, s20
	s_cbranch_execnz .LBB523_148
; %bb.151:                              ;   in Loop: Header=BB523_145 Depth=1
	s_or_b32 exec_lo, exec_lo, s20
	s_branch .LBB523_144
.LBB523_152:                            ;   in Loop: Header=BB523_145 Depth=1
                                        ; implicit-def: $vgpr6
                                        ; implicit-def: $vgpr7
	s_cbranch_execz .LBB523_145
; %bb.153:
	s_and_saveexec_b32 s19, s8
	s_cbranch_execz .LBB523_155
; %bb.154:
	s_add_i32 s20, s15, 32
	s_mov_b32 s21, 0
	v_dual_mov_b32 v5, 2 :: v_dual_add_nc_u32 v4, v3, v2
	s_lshl_b64 s[20:21], s[20:21], 3
	v_mov_b32_e32 v6, 0
	s_add_u32 s20, s12, s20
	s_addc_u32 s21, s13, s21
	global_store_b64 v6, v[4:5], s[20:21]
	ds_store_b64 v6, v[2:3] offset:3072
.LBB523_155:
	s_or_b32 exec_lo, exec_lo, s19
	v_cmp_eq_u32_e32 vcc_lo, 0, v0
	s_and_b32 exec_lo, exec_lo, vcc_lo
	s_cbranch_execz .LBB523_157
; %bb.156:
	v_mov_b32_e32 v2, 0
	ds_store_b32 v2, v3 offset:12
.LBB523_157:
	s_or_b32 exec_lo, exec_lo, s9
	s_waitcnt lgkmcnt(0)
	v_cndmask_b32_e64 v3, v11, v10, s8
	v_cmp_ne_u32_e32 vcc_lo, 0, v0
	v_mov_b32_e32 v12, 0
	s_waitcnt_vscnt null, 0x0
	s_barrier
	buffer_gl0_inv
	v_cndmask_b32_e32 v3, 0, v3, vcc_lo
	ds_load_b32 v2, v12 offset:12
	s_waitcnt lgkmcnt(0)
	s_barrier
	buffer_gl0_inv
	ds_load_b64 v[29:30], v12 offset:3072
	v_add_nc_u32_e32 v2, v2, v3
	s_delay_alu instid0(VALU_DEP_1) | instskip(NEXT) | instid1(VALU_DEP_1)
	v_add_nc_u32_e32 v3, v2, v42
	v_add_nc_u32_e32 v4, v3, v43
	s_delay_alu instid0(VALU_DEP_1) | instskip(NEXT) | instid1(VALU_DEP_1)
	v_add_nc_u32_e32 v5, v4, v44
	;; [unrolled: 3-line block ×5, first 2 shown]
	v_add_nc_u32_e32 v12, v11, v50
	s_delay_alu instid0(VALU_DEP_1)
	v_add_nc_u32_e32 v13, v12, v51
	v_lshrrev_b64 v[34:35], 24, v[22:23]
	v_lshrrev_b64 v[32:33], 24, v[1:2]
	s_branch .LBB523_168
.LBB523_158:
                                        ; implicit-def: $vgpr30
                                        ; implicit-def: $vgpr2_vgpr3_vgpr4_vgpr5_vgpr6_vgpr7_vgpr8_vgpr9_vgpr10_vgpr11_vgpr12_vgpr13
                                        ; implicit-def: $vgpr29
	v_lshrrev_b64 v[34:35], 24, v[22:23]
	v_lshrrev_b64 v[32:33], 24, v[1:2]
	s_and_b32 vcc_lo, exec_lo, s8
	s_cbranch_vccz .LBB523_168
; %bb.159:
	v_mov_b32_dpp v1, v54 row_shr:1 row_mask:0xf bank_mask:0xf
	s_delay_alu instid0(VALU_DEP_1) | instskip(NEXT) | instid1(VALU_DEP_1)
	v_cndmask_b32_e64 v1, v1, 0, s7
	v_add_nc_u32_e32 v1, v1, v54
	s_delay_alu instid0(VALU_DEP_1) | instskip(NEXT) | instid1(VALU_DEP_1)
	v_mov_b32_dpp v2, v1 row_shr:2 row_mask:0xf bank_mask:0xf
	v_cndmask_b32_e64 v2, 0, v2, s6
	s_delay_alu instid0(VALU_DEP_1) | instskip(NEXT) | instid1(VALU_DEP_1)
	v_add_nc_u32_e32 v1, v1, v2
	v_mov_b32_dpp v2, v1 row_shr:4 row_mask:0xf bank_mask:0xf
	s_delay_alu instid0(VALU_DEP_1) | instskip(NEXT) | instid1(VALU_DEP_1)
	v_cndmask_b32_e64 v2, 0, v2, s5
	v_add_nc_u32_e32 v1, v1, v2
	s_delay_alu instid0(VALU_DEP_1) | instskip(NEXT) | instid1(VALU_DEP_1)
	v_mov_b32_dpp v2, v1 row_shr:8 row_mask:0xf bank_mask:0xf
	v_cndmask_b32_e64 v2, 0, v2, s4
	s_delay_alu instid0(VALU_DEP_1) | instskip(SKIP_3) | instid1(VALU_DEP_1)
	v_add_nc_u32_e32 v1, v1, v2
	ds_swizzle_b32 v2, v1 offset:swizzle(BROADCAST,32,15)
	s_waitcnt lgkmcnt(0)
	v_cndmask_b32_e64 v2, v2, 0, s3
	v_add_nc_u32_e32 v1, v1, v2
	s_and_saveexec_b32 s3, s2
	s_cbranch_execz .LBB523_161
; %bb.160:
	v_lshlrev_b32_e32 v2, 2, v53
	ds_store_b32 v2, v1
.LBB523_161:
	s_or_b32 exec_lo, exec_lo, s3
	s_delay_alu instid0(SALU_CYCLE_1)
	s_mov_b32 s2, exec_lo
	s_waitcnt lgkmcnt(0)
	s_barrier
	buffer_gl0_inv
	v_cmpx_gt_u32_e32 4, v0
	s_cbranch_execz .LBB523_163
; %bb.162:
	v_and_b32_e32 v4, 3, v52
	s_delay_alu instid0(VALU_DEP_1) | instskip(SKIP_4) | instid1(VALU_DEP_1)
	v_cmp_ne_u32_e32 vcc_lo, 0, v4
	v_lshlrev_b32_e32 v2, 2, v0
	ds_load_b32 v3, v2
	s_waitcnt lgkmcnt(0)
	v_mov_b32_dpp v5, v3 row_shr:1 row_mask:0xf bank_mask:0xf
	v_cndmask_b32_e32 v5, 0, v5, vcc_lo
	v_cmp_lt_u32_e32 vcc_lo, 1, v4
	s_delay_alu instid0(VALU_DEP_2) | instskip(NEXT) | instid1(VALU_DEP_1)
	v_add_nc_u32_e32 v3, v5, v3
	v_mov_b32_dpp v5, v3 row_shr:2 row_mask:0xf bank_mask:0xf
	s_delay_alu instid0(VALU_DEP_1) | instskip(NEXT) | instid1(VALU_DEP_1)
	v_cndmask_b32_e32 v4, 0, v5, vcc_lo
	v_add_nc_u32_e32 v3, v3, v4
	ds_store_b32 v2, v3
.LBB523_163:
	s_or_b32 exec_lo, exec_lo, s2
	v_dual_mov_b32 v3, 0 :: v_dual_mov_b32 v2, 0
	s_mov_b32 s2, exec_lo
	s_waitcnt lgkmcnt(0)
	s_barrier
	buffer_gl0_inv
	v_cmpx_lt_u32_e32 31, v0
	s_cbranch_execz .LBB523_165
; %bb.164:
	v_lshl_add_u32 v2, v53, 2, -4
	ds_load_b32 v2, v2
.LBB523_165:
	s_or_b32 exec_lo, exec_lo, s2
	v_add_nc_u32_e32 v4, -1, v52
	ds_load_b32 v29, v3 offset:12
	s_waitcnt lgkmcnt(1)
	v_add_nc_u32_e32 v1, v2, v1
	v_cmp_gt_i32_e32 vcc_lo, 0, v4
	v_cndmask_b32_e32 v4, v4, v52, vcc_lo
	v_cmp_eq_u32_e32 vcc_lo, 0, v0
	s_delay_alu instid0(VALU_DEP_2)
	v_lshlrev_b32_e32 v4, 2, v4
	ds_bpermute_b32 v1, v4, v1
	s_and_saveexec_b32 s2, vcc_lo
	s_cbranch_execz .LBB523_167
; %bb.166:
	v_dual_mov_b32 v3, 0 :: v_dual_mov_b32 v30, 2
	s_waitcnt lgkmcnt(1)
	global_store_b64 v3, v[29:30], s[12:13] offset:256
.LBB523_167:
	s_or_b32 exec_lo, exec_lo, s2
	v_cmp_eq_u32_e64 s2, 0, v52
	s_waitcnt lgkmcnt(0)
	s_waitcnt_vscnt null, 0x0
	s_barrier
	buffer_gl0_inv
	v_mov_b32_e32 v30, 0
	v_cndmask_b32_e64 v1, v1, v2, s2
	s_delay_alu instid0(VALU_DEP_1) | instskip(NEXT) | instid1(VALU_DEP_1)
	v_cndmask_b32_e64 v2, v1, 0, vcc_lo
	v_add_nc_u32_e32 v3, v2, v42
	s_delay_alu instid0(VALU_DEP_1) | instskip(NEXT) | instid1(VALU_DEP_1)
	v_add_nc_u32_e32 v4, v3, v43
	v_add_nc_u32_e32 v5, v4, v44
	s_delay_alu instid0(VALU_DEP_1) | instskip(NEXT) | instid1(VALU_DEP_1)
	v_add_nc_u32_e32 v6, v5, v45
	;; [unrolled: 3-line block ×5, first 2 shown]
	v_add_nc_u32_e32 v13, v12, v51
.LBB523_168:
	s_load_b128 s[4:7], s[0:1], 0x28
	s_waitcnt lgkmcnt(0)
	v_add_nc_u32_e32 v46, v30, v29
	v_cmp_gt_u32_e64 s0, 0x81, v29
	v_lshrrev_b32_e32 v33, 16, v41
	v_lshrrev_b32_e32 v44, 16, v22
	;; [unrolled: 1-line block ×6, first 2 shown]
	v_cmp_lt_u32_e64 s1, v2, v46
	s_and_b32 vcc_lo, exec_lo, s0
	s_mov_b32 s2, -1
	s_cbranch_vccz .LBB523_206
; %bb.169:
	s_lshl_b64 s[2:3], s[10:11], 1
	s_delay_alu instid0(SALU_CYCLE_1) | instskip(SKIP_2) | instid1(SALU_CYCLE_1)
	s_add_u32 s2, s4, s2
	s_addc_u32 s3, s5, s3
	s_or_b32 s8, s18, s1
	s_and_saveexec_b32 s1, s8
	s_cbranch_execz .LBB523_172
; %bb.170:
	v_and_b32_e32 v1, 1, v22
	s_delay_alu instid0(VALU_DEP_1)
	v_cmp_eq_u32_e32 vcc_lo, 1, v1
	s_and_b32 exec_lo, exec_lo, vcc_lo
	s_cbranch_execz .LBB523_172
; %bb.171:
	v_dual_mov_b32 v48, 0 :: v_dual_mov_b32 v47, v2
	s_delay_alu instid0(VALU_DEP_1) | instskip(NEXT) | instid1(VALU_DEP_1)
	v_lshlrev_b64 v[47:48], 1, v[47:48]
	v_add_co_u32 v47, vcc_lo, s2, v47
	s_delay_alu instid0(VALU_DEP_2)
	v_add_co_ci_u32_e32 v48, vcc_lo, s3, v48, vcc_lo
	global_store_b16 v[47:48], v18, off
.LBB523_172:
	s_or_b32 exec_lo, exec_lo, s1
	v_cmp_lt_u32_e32 vcc_lo, v3, v46
	s_or_b32 s8, s18, vcc_lo
	s_delay_alu instid0(SALU_CYCLE_1)
	s_and_saveexec_b32 s1, s8
	s_cbranch_execz .LBB523_175
; %bb.173:
	v_and_b32_e32 v1, 1, v45
	s_delay_alu instid0(VALU_DEP_1)
	v_cmp_eq_u32_e32 vcc_lo, 1, v1
	s_and_b32 exec_lo, exec_lo, vcc_lo
	s_cbranch_execz .LBB523_175
; %bb.174:
	v_dual_mov_b32 v48, 0 :: v_dual_mov_b32 v47, v3
	s_delay_alu instid0(VALU_DEP_1) | instskip(NEXT) | instid1(VALU_DEP_1)
	v_lshlrev_b64 v[47:48], 1, v[47:48]
	v_add_co_u32 v47, vcc_lo, s2, v47
	s_delay_alu instid0(VALU_DEP_2)
	v_add_co_ci_u32_e32 v48, vcc_lo, s3, v48, vcc_lo
	global_store_b16 v[47:48], v40, off
.LBB523_175:
	s_or_b32 exec_lo, exec_lo, s1
	v_cmp_lt_u32_e32 vcc_lo, v4, v46
	s_or_b32 s8, s18, vcc_lo
	s_delay_alu instid0(SALU_CYCLE_1)
	;; [unrolled: 21-line block ×11, first 2 shown]
	s_and_saveexec_b32 s1, s8
	s_cbranch_execz .LBB523_205
; %bb.203:
	v_and_b32_e32 v1, 1, v32
	s_delay_alu instid0(VALU_DEP_1)
	v_cmp_eq_u32_e32 vcc_lo, 1, v1
	s_and_b32 exec_lo, exec_lo, vcc_lo
	s_cbranch_execz .LBB523_205
; %bb.204:
	v_dual_mov_b32 v48, 0 :: v_dual_mov_b32 v47, v13
	s_delay_alu instid0(VALU_DEP_1) | instskip(NEXT) | instid1(VALU_DEP_1)
	v_lshlrev_b64 v[47:48], 1, v[47:48]
	v_add_co_u32 v47, vcc_lo, s2, v47
	s_delay_alu instid0(VALU_DEP_2)
	v_add_co_ci_u32_e32 v48, vcc_lo, s3, v48, vcc_lo
	global_store_b16 v[47:48], v31, off
.LBB523_205:
	s_or_b32 exec_lo, exec_lo, s1
	s_mov_b32 s2, 0
.LBB523_206:
	v_and_b32_e32 v22, 1, v22
	s_and_b32 vcc_lo, exec_lo, s2
	s_delay_alu instid0(VALU_DEP_1)
	v_cmp_eq_u32_e64 s1, 1, v22
	s_cbranch_vccz .LBB523_247
; %bb.207:
	s_delay_alu instid0(VALU_DEP_1)
	s_and_saveexec_b32 s2, s1
	s_cbranch_execz .LBB523_209
; %bb.208:
	v_sub_nc_u32_e32 v1, v2, v30
	s_delay_alu instid0(VALU_DEP_1)
	v_lshlrev_b32_e32 v1, 1, v1
	ds_store_b16 v1, v18
.LBB523_209:
	s_or_b32 exec_lo, exec_lo, s2
	v_and_b32_e32 v1, 1, v45
	s_mov_b32 s1, exec_lo
	s_delay_alu instid0(VALU_DEP_1)
	v_cmpx_eq_u32_e32 1, v1
	s_cbranch_execz .LBB523_211
; %bb.210:
	v_sub_nc_u32_e32 v1, v3, v30
	s_delay_alu instid0(VALU_DEP_1)
	v_lshlrev_b32_e32 v1, 1, v1
	ds_store_b16 v1, v40
.LBB523_211:
	s_or_b32 exec_lo, exec_lo, s1
	v_and_b32_e32 v1, 1, v44
	s_mov_b32 s1, exec_lo
	s_delay_alu instid0(VALU_DEP_1)
	v_cmpx_eq_u32_e32 1, v1
	;; [unrolled: 12-line block ×11, first 2 shown]
	s_cbranch_execz .LBB523_231
; %bb.230:
	v_sub_nc_u32_e32 v1, v13, v30
	s_delay_alu instid0(VALU_DEP_1)
	v_lshlrev_b32_e32 v1, 1, v1
	ds_store_b16 v1, v31
.LBB523_231:
	s_or_b32 exec_lo, exec_lo, s1
	s_delay_alu instid0(SALU_CYCLE_1)
	s_mov_b32 s3, exec_lo
	s_waitcnt lgkmcnt(0)
	s_waitcnt_vscnt null, 0x0
	s_barrier
	buffer_gl0_inv
	v_cmpx_lt_u32_e64 v0, v29
	s_cbranch_execz .LBB523_246
; %bb.232:
	v_mov_b32_e32 v31, 0
	s_lshl_b64 s[8:9], s[10:11], 1
	v_xad_u32 v1, v0, -1, v29
	s_add_u32 s2, s4, s8
	s_addc_u32 s4, s5, s9
	v_lshlrev_b64 v[18:19], 1, v[30:31]
	s_delay_alu instid0(VALU_DEP_2) | instskip(NEXT) | instid1(VALU_DEP_2)
	v_cmp_gt_u32_e32 vcc_lo, 0xc80, v1
	v_add_co_u32 v27, s2, s2, v18
	v_mov_b32_e32 v18, v0
	s_delay_alu instid0(VALU_DEP_4)
	v_add_co_ci_u32_e64 v28, s2, s4, v19, s2
	s_mov_b32 s2, -1
	s_mov_b32 s4, exec_lo
	v_cmpx_lt_u32_e32 0xc7f, v1
	s_cbranch_execz .LBB523_243
; %bb.233:
	v_sub_nc_u32_e32 v18, v0, v29
	s_delay_alu instid0(VALU_DEP_1) | instskip(NEXT) | instid1(VALU_DEP_1)
	v_or_b32_e32 v18, 0x7f, v18
	v_cmp_ge_u32_e64 s1, v18, v0
	v_mov_b32_e32 v18, v0
	s_delay_alu instid0(VALU_DEP_2)
	s_and_saveexec_b32 s5, s1
	s_cbranch_execz .LBB523_242
; %bb.234:
	v_lshrrev_b32_e32 v31, 7, v1
	v_or_b32_e32 v1, 0x80, v0
	s_delay_alu instid0(VALU_DEP_2) | instskip(NEXT) | instid1(VALU_DEP_1)
	v_dual_mov_b32 v39, 0 :: v_dual_add_nc_u32 v18, -1, v31
	v_lshrrev_b32_e32 v19, 1, v18
	v_cmp_lt_u32_e64 s1, 13, v18
	s_delay_alu instid0(VALU_DEP_2) | instskip(SKIP_1) | instid1(VALU_DEP_3)
	v_dual_mov_b32 v19, v1 :: v_dual_add_nc_u32 v36, 1, v19
	v_mov_b32_e32 v18, v0
	s_and_saveexec_b32 s2, s1
	s_cbranch_execz .LBB523_238
; %bb.235:
	v_mov_b32_e32 v19, v1
	v_dual_mov_b32 v18, v0 :: v_dual_and_b32 v37, -8, v36
	v_dual_mov_b32 v21, 0 :: v_dual_lshlrev_b32 v38, 1, v0
	s_mov_b32 s8, 0
	s_mov_b32 s9, 0
.LBB523_236:                            ; =>This Inner Loop Header: Depth=1
	s_delay_alu instid0(VALU_DEP_2) | instskip(NEXT) | instid1(VALU_DEP_2)
	v_dual_mov_b32 v20, v18 :: v_dual_add_nc_u32 v47, 0x100, v19
	v_dual_mov_b32 v60, v21 :: v_dual_add_nc_u32 v37, -8, v37
	v_dual_mov_b32 v48, v21 :: v_dual_add_nc_u32 v49, 0x200, v19
	s_delay_alu instid0(VALU_DEP_3) | instskip(SKIP_1) | instid1(VALU_DEP_4)
	v_lshlrev_b64 v[61:62], 1, v[20:21]
	v_dual_mov_b32 v50, v21 :: v_dual_add_nc_u32 v51, 0x300, v19
	v_cmp_eq_u32_e64 s1, 0, v37
	s_delay_alu instid0(VALU_DEP_4)
	v_lshlrev_b64 v[47:48], 1, v[47:48]
	v_dual_mov_b32 v52, v21 :: v_dual_add_nc_u32 v53, 0x400, v19
	s_add_i32 s9, s9, 16
	v_lshlrev_b64 v[49:50], 1, v[49:50]
	s_or_b32 s8, s1, s8
	v_add_co_u32 v61, s1, v27, v61
	v_dual_mov_b32 v54, v21 :: v_dual_add_nc_u32 v55, 0x500, v19
	v_add_co_ci_u32_e64 v62, s1, v28, v62, s1
	v_lshlrev_b64 v[51:52], 1, v[51:52]
	v_add_co_u32 v47, s1, v27, v47
	v_dual_mov_b32 v56, v21 :: v_dual_add_nc_u32 v57, 0x600, v19
	v_add_co_ci_u32_e64 v48, s1, v28, v48, s1
	v_lshlrev_b64 v[53:54], 1, v[53:54]
	;; [unrolled: 4-line block ×4, first 2 shown]
	v_add_co_u32 v53, s1, v27, v53
	ds_load_u16 v1, v38
	ds_load_u16 v40, v38 offset:256
	ds_load_u16 v67, v38 offset:512
	;; [unrolled: 1-line block ×7, first 2 shown]
	v_add_co_ci_u32_e64 v54, s1, v28, v54, s1
	v_lshlrev_b64 v[59:60], 1, v[59:60]
	v_add_co_u32 v55, s1, v27, v55
	v_lshlrev_b64 v[63:64], 1, v[20:21]
	v_add_nc_u32_e32 v20, 0x100, v18
	v_add_co_ci_u32_e64 v56, s1, v28, v56, s1
	v_add_co_u32 v57, s1, v27, v57
	s_delay_alu instid0(VALU_DEP_1)
	v_add_co_ci_u32_e64 v58, s1, v28, v58, s1
	v_add_co_u32 v59, s1, v27, v59
	v_lshlrev_b64 v[65:66], 1, v[20:21]
	v_add_nc_u32_e32 v20, 0x200, v18
	v_add_co_ci_u32_e64 v60, s1, v28, v60, s1
	v_add_co_u32 v63, s1, v27, v63
	ds_load_u16 v73, v38 offset:2048
	ds_load_u16 v74, v38 offset:2304
	;; [unrolled: 1-line block ×8, first 2 shown]
	v_add_co_ci_u32_e64 v64, s1, v28, v64, s1
	s_waitcnt lgkmcnt(15)
	global_store_b16 v[61:62], v1, off
	v_lshlrev_b64 v[61:62], 1, v[20:21]
	v_add_nc_u32_e32 v20, 0x300, v18
	v_add_co_u32 v65, s1, v27, v65
	s_delay_alu instid0(VALU_DEP_1)
	v_add_co_ci_u32_e64 v66, s1, v28, v66, s1
	s_waitcnt lgkmcnt(14)
	global_store_b16 v[63:64], v40, off
	v_lshlrev_b64 v[63:64], 1, v[20:21]
	v_add_nc_u32_e32 v20, 0x400, v18
	s_waitcnt lgkmcnt(13)
	global_store_b16 v[65:66], v67, off
	s_waitcnt lgkmcnt(12)
	global_store_b16 v[47:48], v68, off
	v_add_co_u32 v47, s1, v27, v61
	s_delay_alu instid0(VALU_DEP_1) | instskip(SKIP_3) | instid1(VALU_DEP_1)
	v_add_co_ci_u32_e64 v48, s1, v28, v62, s1
	v_lshlrev_b64 v[61:62], 1, v[20:21]
	v_add_nc_u32_e32 v20, 0x500, v18
	v_add_co_u32 v63, s1, v27, v63
	v_add_co_ci_u32_e64 v64, s1, v28, v64, s1
	s_waitcnt lgkmcnt(11)
	global_store_b16 v[47:48], v69, off
	s_waitcnt lgkmcnt(10)
	global_store_b16 v[49:50], v70, off
	v_lshlrev_b64 v[47:48], 1, v[20:21]
	v_add_nc_u32_e32 v20, 0x600, v18
	v_add_co_u32 v49, s1, v27, v61
	s_waitcnt lgkmcnt(9)
	global_store_b16 v[63:64], v71, off
	s_waitcnt lgkmcnt(8)
	global_store_b16 v[51:52], v72, off
	v_add_co_ci_u32_e64 v50, s1, v28, v62, s1
	v_lshlrev_b64 v[51:52], 1, v[20:21]
	v_add_nc_u32_e32 v20, 0x700, v18
	v_add_co_u32 v47, s1, v27, v47
	s_delay_alu instid0(VALU_DEP_1)
	v_add_co_ci_u32_e64 v48, s1, v28, v48, s1
	s_waitcnt lgkmcnt(7)
	global_store_b16 v[49:50], v73, off
	s_waitcnt lgkmcnt(6)
	global_store_b16 v[53:54], v74, off
	v_lshlrev_b64 v[49:50], 1, v[20:21]
	v_dual_mov_b32 v39, s9 :: v_dual_add_nc_u32 v38, 0x1000, v38
	s_waitcnt lgkmcnt(5)
	global_store_b16 v[47:48], v75, off
	v_add_co_u32 v47, s1, v27, v51
	v_add_nc_u32_e32 v18, 0x800, v18
	v_add_co_ci_u32_e64 v48, s1, v28, v52, s1
	v_add_co_u32 v49, s1, v27, v49
	s_delay_alu instid0(VALU_DEP_1)
	v_add_co_ci_u32_e64 v50, s1, v28, v50, s1
	s_waitcnt lgkmcnt(4)
	global_store_b16 v[55:56], v76, off
	s_waitcnt lgkmcnt(3)
	global_store_b16 v[47:48], v77, off
	;; [unrolled: 2-line block ×5, first 2 shown]
	s_and_not1_b32 exec_lo, exec_lo, s8
	s_cbranch_execnz .LBB523_236
; %bb.237:
	s_or_b32 exec_lo, exec_lo, s8
.LBB523_238:
	s_delay_alu instid0(SALU_CYCLE_1) | instskip(SKIP_3) | instid1(VALU_DEP_1)
	s_or_b32 exec_lo, exec_lo, s2
	v_and_b32_e32 v1, 7, v36
	s_mov_b32 s9, 0
	s_mov_b32 s8, exec_lo
	v_cmpx_ne_u32_e32 0, v1
	s_cbranch_execz .LBB523_241
; %bb.239:
	v_dual_mov_b32 v21, 0 :: v_dual_lshlrev_b32 v20, 1, v0
	s_delay_alu instid0(VALU_DEP_1)
	v_lshl_or_b32 v36, v39, 8, v20
	s_set_inst_prefetch_distance 0x1
	.p2align	6
.LBB523_240:                            ; =>This Inner Loop Header: Depth=1
	v_dual_mov_b32 v20, v18 :: v_dual_add_nc_u32 v1, -1, v1
	ds_load_u16 v47, v36
	ds_load_u16 v48, v36 offset:256
	v_add_nc_u32_e32 v18, 0x100, v18
	v_add_nc_u32_e32 v36, 0x200, v36
	v_lshlrev_b64 v[37:38], 1, v[20:21]
	v_dual_mov_b32 v20, v19 :: v_dual_add_nc_u32 v19, 0x100, v19
	v_cmp_eq_u32_e64 s1, 0, v1
	s_delay_alu instid0(VALU_DEP_2) | instskip(NEXT) | instid1(VALU_DEP_4)
	v_lshlrev_b64 v[39:40], 1, v[20:21]
	v_add_co_u32 v37, s2, v27, v37
	s_delay_alu instid0(VALU_DEP_1) | instskip(NEXT) | instid1(VALU_DEP_4)
	v_add_co_ci_u32_e64 v38, s2, v28, v38, s2
	s_or_b32 s9, s1, s9
	s_delay_alu instid0(VALU_DEP_3) | instskip(NEXT) | instid1(VALU_DEP_1)
	v_add_co_u32 v39, s2, v27, v39
	v_add_co_ci_u32_e64 v40, s2, v28, v40, s2
	s_waitcnt lgkmcnt(1)
	global_store_b16 v[37:38], v47, off
	s_waitcnt lgkmcnt(0)
	global_store_b16 v[39:40], v48, off
	s_and_not1_b32 exec_lo, exec_lo, s9
	s_cbranch_execnz .LBB523_240
.LBB523_241:
	s_set_inst_prefetch_distance 0x2
	s_or_b32 exec_lo, exec_lo, s8
	v_add_nc_u32_e32 v1, 1, v31
	s_delay_alu instid0(VALU_DEP_1) | instskip(NEXT) | instid1(VALU_DEP_1)
	v_and_b32_e32 v18, 0x3fffffe, v1
	v_cmp_ne_u32_e64 s1, v1, v18
	v_lshl_or_b32 v18, v18, 7, v0
	s_delay_alu instid0(VALU_DEP_2)
	s_or_not1_b32 s2, s1, exec_lo
.LBB523_242:
	s_or_b32 exec_lo, exec_lo, s5
	s_delay_alu instid0(SALU_CYCLE_1) | instskip(SKIP_1) | instid1(SALU_CYCLE_1)
	s_and_not1_b32 s1, vcc_lo, exec_lo
	s_and_b32 s2, s2, exec_lo
	s_or_b32 vcc_lo, s1, s2
.LBB523_243:
	s_or_b32 exec_lo, exec_lo, s4
	s_delay_alu instid0(SALU_CYCLE_1)
	s_and_b32 exec_lo, exec_lo, vcc_lo
	s_cbranch_execz .LBB523_246
; %bb.244:
	v_lshlrev_b32_e32 v1, 1, v18
	v_mov_b32_e32 v19, 0
	s_mov_b32 s2, 0
	.p2align	6
.LBB523_245:                            ; =>This Inner Loop Header: Depth=1
	ds_load_u16 v31, v1
	v_lshlrev_b64 v[20:21], 1, v[18:19]
	v_add_nc_u32_e32 v18, 0x80, v18
	v_add_nc_u32_e32 v1, 0x100, v1
	s_delay_alu instid0(VALU_DEP_2) | instskip(NEXT) | instid1(VALU_DEP_4)
	v_cmp_ge_u32_e32 vcc_lo, v18, v29
	v_add_co_u32 v20, s1, v27, v20
	s_delay_alu instid0(VALU_DEP_1)
	v_add_co_ci_u32_e64 v21, s1, v28, v21, s1
	s_or_b32 s2, vcc_lo, s2
	s_waitcnt lgkmcnt(0)
	global_store_b16 v[20:21], v31, off
	s_and_not1_b32 exec_lo, exec_lo, s2
	s_cbranch_execnz .LBB523_245
.LBB523_246:
	s_or_b32 exec_lo, exec_lo, s3
.LBB523_247:
	v_lshrrev_b32_e32 v27, 16, v14
	v_lshrrev_b32_e32 v21, 16, v15
	;; [unrolled: 1-line block ×6, first 2 shown]
	s_and_b32 vcc_lo, exec_lo, s0
	s_mov_b32 s0, -1
	s_waitcnt_vscnt null, 0x0
	s_barrier
	buffer_gl0_inv
	s_cbranch_vccnz .LBB523_251
; %bb.248:
	s_and_b32 vcc_lo, exec_lo, s0
	s_cbranch_vccnz .LBB523_288
.LBB523_249:
	v_cmp_eq_u32_e32 vcc_lo, 0, v0
	s_and_b32 s0, vcc_lo, s14
	s_delay_alu instid0(SALU_CYCLE_1)
	s_and_saveexec_b32 s1, s0
	s_cbranch_execnz .LBB523_328
.LBB523_250:
	s_nop 0
	s_sendmsg sendmsg(MSG_DEALLOC_VGPRS)
	s_endpgm
.LBB523_251:
	v_cmp_lt_u32_e32 vcc_lo, v2, v46
	s_lshl_b64 s[0:1], s[10:11], 1
	s_delay_alu instid0(SALU_CYCLE_1) | instskip(SKIP_2) | instid1(SALU_CYCLE_1)
	s_add_u32 s0, s6, s0
	s_addc_u32 s1, s7, s1
	s_or_b32 s3, s18, vcc_lo
	s_and_saveexec_b32 s2, s3
	s_cbranch_execz .LBB523_254
; %bb.252:
	v_cmp_eq_u32_e32 vcc_lo, 1, v22
	s_and_b32 exec_lo, exec_lo, vcc_lo
	s_cbranch_execz .LBB523_254
; %bb.253:
	v_dual_mov_b32 v37, 0 :: v_dual_mov_b32 v36, v2
	s_delay_alu instid0(VALU_DEP_1) | instskip(NEXT) | instid1(VALU_DEP_1)
	v_lshlrev_b64 v[36:37], 1, v[36:37]
	v_add_co_u32 v36, vcc_lo, s0, v36
	s_delay_alu instid0(VALU_DEP_2)
	v_add_co_ci_u32_e32 v37, vcc_lo, s1, v37, vcc_lo
	global_store_b16 v[36:37], v14, off
.LBB523_254:
	s_or_b32 exec_lo, exec_lo, s2
	v_cmp_lt_u32_e32 vcc_lo, v3, v46
	s_or_b32 s3, s18, vcc_lo
	s_delay_alu instid0(SALU_CYCLE_1)
	s_and_saveexec_b32 s2, s3
	s_cbranch_execz .LBB523_257
; %bb.255:
	v_and_b32_e32 v28, 1, v45
	s_delay_alu instid0(VALU_DEP_1)
	v_cmp_eq_u32_e32 vcc_lo, 1, v28
	s_and_b32 exec_lo, exec_lo, vcc_lo
	s_cbranch_execz .LBB523_257
; %bb.256:
	v_dual_mov_b32 v37, 0 :: v_dual_mov_b32 v36, v3
	s_delay_alu instid0(VALU_DEP_1) | instskip(NEXT) | instid1(VALU_DEP_1)
	v_lshlrev_b64 v[36:37], 1, v[36:37]
	v_add_co_u32 v36, vcc_lo, s0, v36
	s_delay_alu instid0(VALU_DEP_2)
	v_add_co_ci_u32_e32 v37, vcc_lo, s1, v37, vcc_lo
	global_store_b16 v[36:37], v27, off
.LBB523_257:
	s_or_b32 exec_lo, exec_lo, s2
	v_cmp_lt_u32_e32 vcc_lo, v4, v46
	s_or_b32 s3, s18, vcc_lo
	s_delay_alu instid0(SALU_CYCLE_1)
	s_and_saveexec_b32 s2, s3
	s_cbranch_execz .LBB523_260
; %bb.258:
	v_and_b32_e32 v28, 1, v44
	s_delay_alu instid0(VALU_DEP_1)
	v_cmp_eq_u32_e32 vcc_lo, 1, v28
	s_and_b32 exec_lo, exec_lo, vcc_lo
	s_cbranch_execz .LBB523_260
; %bb.259:
	v_dual_mov_b32 v37, 0 :: v_dual_mov_b32 v36, v4
	s_delay_alu instid0(VALU_DEP_1) | instskip(NEXT) | instid1(VALU_DEP_1)
	v_lshlrev_b64 v[36:37], 1, v[36:37]
	v_add_co_u32 v36, vcc_lo, s0, v36
	s_delay_alu instid0(VALU_DEP_2)
	v_add_co_ci_u32_e32 v37, vcc_lo, s1, v37, vcc_lo
	global_store_b16 v[36:37], v15, off
.LBB523_260:
	;; [unrolled: 21-line block ×11, first 2 shown]
	s_or_b32 exec_lo, exec_lo, s2
	s_branch .LBB523_249
.LBB523_288:
	s_mov_b32 s0, exec_lo
	v_cmpx_eq_u32_e32 1, v22
	s_cbranch_execz .LBB523_290
; %bb.289:
	v_sub_nc_u32_e32 v2, v2, v30
	s_delay_alu instid0(VALU_DEP_1)
	v_lshlrev_b32_e32 v2, 1, v2
	ds_store_b16 v2, v14
.LBB523_290:
	s_or_b32 exec_lo, exec_lo, s0
	v_and_b32_e32 v2, 1, v45
	s_mov_b32 s0, exec_lo
	s_delay_alu instid0(VALU_DEP_1)
	v_cmpx_eq_u32_e32 1, v2
	s_cbranch_execz .LBB523_292
; %bb.291:
	v_sub_nc_u32_e32 v2, v3, v30
	s_delay_alu instid0(VALU_DEP_1)
	v_lshlrev_b32_e32 v2, 1, v2
	ds_store_b16 v2, v27
.LBB523_292:
	s_or_b32 exec_lo, exec_lo, s0
	v_and_b32_e32 v2, 1, v44
	s_mov_b32 s0, exec_lo
	s_delay_alu instid0(VALU_DEP_1)
	v_cmpx_eq_u32_e32 1, v2
	s_cbranch_execz .LBB523_294
; %bb.293:
	v_sub_nc_u32_e32 v2, v4, v30
	s_delay_alu instid0(VALU_DEP_1)
	v_lshlrev_b32_e32 v2, 1, v2
	ds_store_b16 v2, v15
.LBB523_294:
	s_or_b32 exec_lo, exec_lo, s0
	v_and_b32_e32 v2, 1, v34
	s_mov_b32 s0, exec_lo
	s_delay_alu instid0(VALU_DEP_1)
	v_cmpx_eq_u32_e32 1, v2
	s_cbranch_execz .LBB523_296
; %bb.295:
	v_sub_nc_u32_e32 v2, v5, v30
	s_delay_alu instid0(VALU_DEP_1)
	v_lshlrev_b32_e32 v2, 1, v2
	ds_store_b16 v2, v21
.LBB523_296:
	s_or_b32 exec_lo, exec_lo, s0
	v_and_b32_e32 v2, 1, v23
	s_mov_b32 s0, exec_lo
	s_delay_alu instid0(VALU_DEP_1)
	v_cmpx_eq_u32_e32 1, v2
	s_cbranch_execz .LBB523_298
; %bb.297:
	v_sub_nc_u32_e32 v2, v6, v30
	s_delay_alu instid0(VALU_DEP_1)
	v_lshlrev_b32_e32 v2, 1, v2
	ds_store_b16 v2, v16
.LBB523_298:
	s_or_b32 exec_lo, exec_lo, s0
	v_and_b32_e32 v2, 1, v43
	s_mov_b32 s0, exec_lo
	s_delay_alu instid0(VALU_DEP_1)
	v_cmpx_eq_u32_e32 1, v2
	s_cbranch_execz .LBB523_300
; %bb.299:
	v_sub_nc_u32_e32 v2, v7, v30
	s_delay_alu instid0(VALU_DEP_1)
	v_lshlrev_b32_e32 v2, 1, v2
	ds_store_b16 v2, v20
.LBB523_300:
	s_or_b32 exec_lo, exec_lo, s0
	v_and_b32_e32 v2, 1, v42
	s_mov_b32 s0, exec_lo
	s_delay_alu instid0(VALU_DEP_1)
	v_cmpx_eq_u32_e32 1, v2
	s_cbranch_execz .LBB523_302
; %bb.301:
	v_sub_nc_u32_e32 v2, v8, v30
	s_delay_alu instid0(VALU_DEP_1)
	v_lshlrev_b32_e32 v2, 1, v2
	ds_store_b16 v2, v17
.LBB523_302:
	s_or_b32 exec_lo, exec_lo, s0
	v_and_b32_e32 v2, 1, v24
	s_mov_b32 s0, exec_lo
	s_delay_alu instid0(VALU_DEP_1)
	v_cmpx_eq_u32_e32 1, v2
	s_cbranch_execz .LBB523_304
; %bb.303:
	v_sub_nc_u32_e32 v2, v9, v30
	s_delay_alu instid0(VALU_DEP_1)
	v_lshlrev_b32_e32 v2, 1, v2
	ds_store_b16 v2, v19
.LBB523_304:
	s_or_b32 exec_lo, exec_lo, s0
	v_and_b32_e32 v2, 1, v41
	s_mov_b32 s0, exec_lo
	s_delay_alu instid0(VALU_DEP_1)
	v_cmpx_eq_u32_e32 1, v2
	s_cbranch_execz .LBB523_306
; %bb.305:
	v_sub_nc_u32_e32 v2, v10, v30
	s_delay_alu instid0(VALU_DEP_1)
	v_lshlrev_b32_e32 v2, 1, v2
	ds_store_b16 v2, v25
.LBB523_306:
	s_or_b32 exec_lo, exec_lo, s0
	v_and_b32_e32 v2, 1, v35
	s_mov_b32 s0, exec_lo
	s_delay_alu instid0(VALU_DEP_1)
	v_cmpx_eq_u32_e32 1, v2
	s_cbranch_execz .LBB523_308
; %bb.307:
	v_sub_nc_u32_e32 v2, v11, v30
	s_delay_alu instid0(VALU_DEP_1)
	v_lshlrev_b32_e32 v2, 1, v2
	ds_store_b16 v2, v18
.LBB523_308:
	s_or_b32 exec_lo, exec_lo, s0
	v_and_b32_e32 v2, 1, v33
	s_mov_b32 s0, exec_lo
	s_delay_alu instid0(VALU_DEP_1)
	v_cmpx_eq_u32_e32 1, v2
	s_cbranch_execz .LBB523_310
; %bb.309:
	v_sub_nc_u32_e32 v2, v12, v30
	s_delay_alu instid0(VALU_DEP_1)
	v_lshlrev_b32_e32 v2, 1, v2
	ds_store_b16 v2, v26
.LBB523_310:
	s_or_b32 exec_lo, exec_lo, s0
	v_and_b32_e32 v2, 1, v32
	s_mov_b32 s0, exec_lo
	s_delay_alu instid0(VALU_DEP_1)
	v_cmpx_eq_u32_e32 1, v2
	s_cbranch_execz .LBB523_312
; %bb.311:
	v_sub_nc_u32_e32 v2, v13, v30
	s_delay_alu instid0(VALU_DEP_1)
	v_lshlrev_b32_e32 v2, 1, v2
	ds_store_b16 v2, v1
.LBB523_312:
	s_or_b32 exec_lo, exec_lo, s0
	s_delay_alu instid0(SALU_CYCLE_1)
	s_mov_b32 s2, exec_lo
	s_waitcnt lgkmcnt(0)
	s_waitcnt_vscnt null, 0x0
	s_barrier
	buffer_gl0_inv
	v_cmpx_lt_u32_e64 v0, v29
	s_cbranch_execz .LBB523_327
; %bb.313:
	v_mov_b32_e32 v31, 0
	s_lshl_b64 s[0:1], s[10:11], 1
	v_xad_u32 v2, v0, -1, v29
	s_add_u32 s3, s6, s0
	s_addc_u32 s4, s7, s1
	v_lshlrev_b64 v[3:4], 1, v[30:31]
	v_mov_b32_e32 v1, v0
	v_cmp_gt_u32_e32 vcc_lo, 0xc80, v2
	s_delay_alu instid0(VALU_DEP_3) | instskip(NEXT) | instid1(VALU_DEP_1)
	v_add_co_u32 v6, s1, s3, v3
	v_add_co_ci_u32_e64 v7, s1, s4, v4, s1
	s_mov_b32 s1, -1
	s_mov_b32 s3, exec_lo
	v_cmpx_lt_u32_e32 0xc7f, v2
	s_cbranch_execz .LBB523_324
; %bb.314:
	v_sub_nc_u32_e32 v1, v0, v29
	s_delay_alu instid0(VALU_DEP_1) | instskip(NEXT) | instid1(VALU_DEP_1)
	v_or_b32_e32 v1, 0x7f, v1
	v_cmp_ge_u32_e64 s0, v1, v0
	v_mov_b32_e32 v1, v0
	s_delay_alu instid0(VALU_DEP_2)
	s_and_saveexec_b32 s4, s0
	s_cbranch_execz .LBB523_323
; %bb.315:
	v_lshrrev_b32_e32 v8, 7, v2
	v_or_b32_e32 v1, 0x80, v0
	v_lshlrev_b32_e32 v9, 1, v0
	s_delay_alu instid0(VALU_DEP_3) | instskip(NEXT) | instid1(VALU_DEP_1)
	v_dual_mov_b32 v13, 0 :: v_dual_add_nc_u32 v2, -1, v8
	v_lshrrev_b32_e32 v3, 1, v2
	v_cmp_lt_u32_e64 s0, 13, v2
	s_delay_alu instid0(VALU_DEP_2) | instskip(SKIP_1) | instid1(VALU_DEP_3)
	v_dual_mov_b32 v3, v1 :: v_dual_add_nc_u32 v10, 1, v3
	v_mov_b32_e32 v2, v0
	s_and_saveexec_b32 s1, s0
	s_cbranch_execz .LBB523_319
; %bb.316:
	v_mov_b32_e32 v3, v1
	v_dual_mov_b32 v12, v9 :: v_dual_and_b32 v11, -8, v10
	v_dual_mov_b32 v5, 0 :: v_dual_mov_b32 v2, v0
	s_mov_b32 s5, 0
	s_mov_b32 s6, 0
.LBB523_317:                            ; =>This Inner Loop Header: Depth=1
	s_delay_alu instid0(VALU_DEP_1) | instskip(SKIP_2) | instid1(VALU_DEP_3)
	v_dual_mov_b32 v4, v2 :: v_dual_mov_b32 v15, v5
	v_add_nc_u32_e32 v11, -8, v11
	v_dual_mov_b32 v17, v5 :: v_dual_add_nc_u32 v14, 0x100, v3
	v_lshlrev_b64 v[31:32], 1, v[4:5]
	v_dual_mov_b32 v19, v5 :: v_dual_add_nc_u32 v16, 0x200, v3
	v_mov_b32_e32 v4, v3
	v_cmp_eq_u32_e64 s0, 0, v11
	v_lshlrev_b64 v[14:15], 1, v[14:15]
	v_dual_mov_b32 v21, v5 :: v_dual_add_nc_u32 v18, 0x300, v3
	s_add_i32 s6, s6, 16
	v_lshlrev_b64 v[16:17], 1, v[16:17]
	s_or_b32 s5, s0, s5
	v_add_co_u32 v31, s0, v6, v31
	v_dual_mov_b32 v23, v5 :: v_dual_add_nc_u32 v20, 0x400, v3
	v_add_co_ci_u32_e64 v32, s0, v7, v32, s0
	v_lshlrev_b64 v[18:19], 1, v[18:19]
	v_add_co_u32 v14, s0, v6, v14
	v_dual_mov_b32 v25, v5 :: v_dual_add_nc_u32 v22, 0x500, v3
	v_add_co_ci_u32_e64 v15, s0, v7, v15, s0
	v_lshlrev_b64 v[20:21], 1, v[20:21]
	;; [unrolled: 4-line block ×4, first 2 shown]
	v_add_co_u32 v20, s0, v6, v20
	ds_load_u16 v1, v12
	ds_load_u16 v28, v12 offset:256
	ds_load_u16 v37, v12 offset:512
	;; [unrolled: 1-line block ×7, first 2 shown]
	v_add_co_ci_u32_e64 v21, s0, v7, v21, s0
	v_lshlrev_b64 v[26:27], 1, v[26:27]
	v_add_co_u32 v22, s0, v6, v22
	v_lshlrev_b64 v[33:34], 1, v[4:5]
	v_add_nc_u32_e32 v4, 0x100, v2
	v_add_co_ci_u32_e64 v23, s0, v7, v23, s0
	v_add_co_u32 v24, s0, v6, v24
	s_delay_alu instid0(VALU_DEP_1)
	v_add_co_ci_u32_e64 v25, s0, v7, v25, s0
	v_add_co_u32 v26, s0, v6, v26
	v_lshlrev_b64 v[35:36], 1, v[4:5]
	v_add_nc_u32_e32 v4, 0x200, v2
	v_add_co_ci_u32_e64 v27, s0, v7, v27, s0
	v_add_co_u32 v33, s0, v6, v33
	ds_load_u16 v43, v12 offset:2048
	ds_load_u16 v44, v12 offset:2304
	ds_load_u16 v45, v12 offset:2560
	ds_load_u16 v46, v12 offset:2816
	ds_load_u16 v47, v12 offset:3072
	ds_load_u16 v48, v12 offset:3328
	ds_load_u16 v49, v12 offset:3584
	ds_load_u16 v50, v12 offset:3840
	v_add_co_ci_u32_e64 v34, s0, v7, v34, s0
	s_waitcnt lgkmcnt(15)
	global_store_b16 v[31:32], v1, off
	v_lshlrev_b64 v[31:32], 1, v[4:5]
	v_add_nc_u32_e32 v4, 0x300, v2
	v_add_co_u32 v35, s0, v6, v35
	s_delay_alu instid0(VALU_DEP_1)
	v_add_co_ci_u32_e64 v36, s0, v7, v36, s0
	s_waitcnt lgkmcnt(14)
	global_store_b16 v[33:34], v28, off
	v_lshlrev_b64 v[33:34], 1, v[4:5]
	v_add_nc_u32_e32 v4, 0x400, v2
	s_waitcnt lgkmcnt(13)
	global_store_b16 v[35:36], v37, off
	s_waitcnt lgkmcnt(12)
	global_store_b16 v[14:15], v38, off
	v_add_co_u32 v14, s0, v6, v31
	s_delay_alu instid0(VALU_DEP_1) | instskip(SKIP_3) | instid1(VALU_DEP_1)
	v_add_co_ci_u32_e64 v15, s0, v7, v32, s0
	v_lshlrev_b64 v[31:32], 1, v[4:5]
	v_add_nc_u32_e32 v4, 0x500, v2
	v_add_co_u32 v33, s0, v6, v33
	v_add_co_ci_u32_e64 v34, s0, v7, v34, s0
	s_waitcnt lgkmcnt(11)
	global_store_b16 v[14:15], v39, off
	s_waitcnt lgkmcnt(10)
	global_store_b16 v[16:17], v40, off
	v_lshlrev_b64 v[14:15], 1, v[4:5]
	v_add_nc_u32_e32 v4, 0x600, v2
	v_add_co_u32 v16, s0, v6, v31
	s_waitcnt lgkmcnt(9)
	global_store_b16 v[33:34], v41, off
	s_waitcnt lgkmcnt(8)
	global_store_b16 v[18:19], v42, off
	v_add_co_ci_u32_e64 v17, s0, v7, v32, s0
	v_lshlrev_b64 v[18:19], 1, v[4:5]
	v_add_nc_u32_e32 v4, 0x700, v2
	v_add_co_u32 v14, s0, v6, v14
	s_delay_alu instid0(VALU_DEP_1)
	v_add_co_ci_u32_e64 v15, s0, v7, v15, s0
	s_waitcnt lgkmcnt(7)
	global_store_b16 v[16:17], v43, off
	s_waitcnt lgkmcnt(6)
	global_store_b16 v[20:21], v44, off
	v_lshlrev_b64 v[16:17], 1, v[4:5]
	v_add_nc_u32_e32 v12, 0x1000, v12
	s_waitcnt lgkmcnt(5)
	global_store_b16 v[14:15], v45, off
	v_add_co_u32 v14, s0, v6, v18
	v_add_nc_u32_e32 v3, 0x800, v3
	v_add_nc_u32_e32 v2, 0x800, v2
	v_add_co_ci_u32_e64 v15, s0, v7, v19, s0
	v_add_co_u32 v16, s0, v6, v16
	s_delay_alu instid0(VALU_DEP_1)
	v_add_co_ci_u32_e64 v17, s0, v7, v17, s0
	s_waitcnt lgkmcnt(4)
	global_store_b16 v[22:23], v46, off
	s_waitcnt lgkmcnt(3)
	global_store_b16 v[14:15], v47, off
	;; [unrolled: 2-line block ×5, first 2 shown]
	s_and_not1_b32 exec_lo, exec_lo, s5
	s_cbranch_execnz .LBB523_317
; %bb.318:
	s_or_b32 exec_lo, exec_lo, s5
.LBB523_319:
	s_delay_alu instid0(SALU_CYCLE_1) | instskip(SKIP_3) | instid1(VALU_DEP_1)
	s_or_b32 exec_lo, exec_lo, s1
	v_and_b32_e32 v1, 7, v10
	s_mov_b32 s6, 0
	s_mov_b32 s5, exec_lo
	v_cmpx_ne_u32_e32 0, v1
	s_cbranch_execz .LBB523_322
; %bb.320:
	v_lshl_or_b32 v9, v13, 8, v9
	v_mov_b32_e32 v5, 0
	s_set_inst_prefetch_distance 0x1
	.p2align	6
.LBB523_321:                            ; =>This Inner Loop Header: Depth=1
	v_dual_mov_b32 v4, v2 :: v_dual_add_nc_u32 v1, -1, v1
	ds_load_u16 v14, v9
	ds_load_u16 v15, v9 offset:256
	v_add_nc_u32_e32 v2, 0x100, v2
	v_add_nc_u32_e32 v9, 0x200, v9
	v_lshlrev_b64 v[10:11], 1, v[4:5]
	v_mov_b32_e32 v4, v3
	v_cmp_eq_u32_e64 s0, 0, v1
	v_add_nc_u32_e32 v3, 0x100, v3
	s_delay_alu instid0(VALU_DEP_3) | instskip(SKIP_1) | instid1(VALU_DEP_1)
	v_lshlrev_b64 v[12:13], 1, v[4:5]
	v_add_co_u32 v10, s1, v6, v10
	v_add_co_ci_u32_e64 v11, s1, v7, v11, s1
	s_or_b32 s6, s0, s6
	s_delay_alu instid0(VALU_DEP_3) | instskip(NEXT) | instid1(VALU_DEP_1)
	v_add_co_u32 v12, s1, v6, v12
	v_add_co_ci_u32_e64 v13, s1, v7, v13, s1
	s_waitcnt lgkmcnt(1)
	global_store_b16 v[10:11], v14, off
	s_waitcnt lgkmcnt(0)
	global_store_b16 v[12:13], v15, off
	s_and_not1_b32 exec_lo, exec_lo, s6
	s_cbranch_execnz .LBB523_321
.LBB523_322:
	s_set_inst_prefetch_distance 0x2
	s_or_b32 exec_lo, exec_lo, s5
	v_add_nc_u32_e32 v1, 1, v8
	s_delay_alu instid0(VALU_DEP_1) | instskip(NEXT) | instid1(VALU_DEP_1)
	v_and_b32_e32 v2, 0x3fffffe, v1
	v_cmp_ne_u32_e64 s0, v1, v2
	v_lshl_or_b32 v1, v2, 7, v0
	s_delay_alu instid0(VALU_DEP_2)
	s_or_not1_b32 s1, s0, exec_lo
.LBB523_323:
	s_or_b32 exec_lo, exec_lo, s4
	s_delay_alu instid0(SALU_CYCLE_1) | instskip(SKIP_1) | instid1(SALU_CYCLE_1)
	s_and_not1_b32 s0, vcc_lo, exec_lo
	s_and_b32 s1, s1, exec_lo
	s_or_b32 vcc_lo, s0, s1
.LBB523_324:
	s_or_b32 exec_lo, exec_lo, s3
	s_delay_alu instid0(SALU_CYCLE_1)
	s_and_b32 exec_lo, exec_lo, vcc_lo
	s_cbranch_execz .LBB523_327
; %bb.325:
	v_dual_mov_b32 v2, 0 :: v_dual_lshlrev_b32 v3, 1, v1
	s_mov_b32 s1, 0
	.p2align	6
.LBB523_326:                            ; =>This Inner Loop Header: Depth=1
	ds_load_u16 v8, v3
	v_lshlrev_b64 v[4:5], 1, v[1:2]
	v_add_nc_u32_e32 v1, 0x80, v1
	v_add_nc_u32_e32 v3, 0x100, v3
	s_delay_alu instid0(VALU_DEP_2) | instskip(NEXT) | instid1(VALU_DEP_4)
	v_cmp_ge_u32_e32 vcc_lo, v1, v29
	v_add_co_u32 v4, s0, v6, v4
	s_delay_alu instid0(VALU_DEP_1)
	v_add_co_ci_u32_e64 v5, s0, v7, v5, s0
	s_or_b32 s1, vcc_lo, s1
	s_waitcnt lgkmcnt(0)
	global_store_b16 v[4:5], v8, off
	s_and_not1_b32 exec_lo, exec_lo, s1
	s_cbranch_execnz .LBB523_326
.LBB523_327:
	s_or_b32 exec_lo, exec_lo, s2
	v_cmp_eq_u32_e32 vcc_lo, 0, v0
	s_and_b32 s0, vcc_lo, s14
	s_delay_alu instid0(SALU_CYCLE_1)
	s_and_saveexec_b32 s1, s0
	s_cbranch_execz .LBB523_250
.LBB523_328:
	v_add_co_u32 v0, s0, s10, v29
	s_delay_alu instid0(VALU_DEP_1) | instskip(SKIP_1) | instid1(VALU_DEP_3)
	v_add_co_ci_u32_e64 v1, null, s11, 0, s0
	v_mov_b32_e32 v2, 0
	v_add_co_u32 v0, vcc_lo, v0, v30
	s_delay_alu instid0(VALU_DEP_3)
	v_add_co_ci_u32_e32 v1, vcc_lo, 0, v1, vcc_lo
	global_store_b64 v2, v[0:1], s[16:17]
	s_nop 0
	s_sendmsg sendmsg(MSG_DEALLOC_VGPRS)
	s_endpgm
	.section	.rodata,"a",@progbits
	.p2align	6, 0x0
	.amdhsa_kernel _ZN7rocprim17ROCPRIM_400000_NS6detail17trampoline_kernelINS0_14default_configENS1_25partition_config_selectorILNS1_17partition_subalgoE9EssbEEZZNS1_14partition_implILS5_9ELb0ES3_jN6thrust23THRUST_200600_302600_NS6detail15normal_iteratorINS9_10device_ptrIsEEEESE_PNS0_10empty_typeENS0_5tupleIJSE_SF_EEENSH_IJSE_SG_EEENS0_18inequality_wrapperI22is_equal_div_10_uniqueIsEEEPmJSF_EEE10hipError_tPvRmT3_T4_T5_T6_T7_T9_mT8_P12ihipStream_tbDpT10_ENKUlT_T0_E_clISt17integral_constantIbLb1EES17_IbLb0EEEEDaS13_S14_EUlS13_E_NS1_11comp_targetILNS1_3genE9ELNS1_11target_archE1100ELNS1_3gpuE3ELNS1_3repE0EEENS1_30default_config_static_selectorELNS0_4arch9wavefront6targetE0EEEvT1_
		.amdhsa_group_segment_fixed_size 3080
		.amdhsa_private_segment_fixed_size 0
		.amdhsa_kernarg_size 112
		.amdhsa_user_sgpr_count 15
		.amdhsa_user_sgpr_dispatch_ptr 0
		.amdhsa_user_sgpr_queue_ptr 0
		.amdhsa_user_sgpr_kernarg_segment_ptr 1
		.amdhsa_user_sgpr_dispatch_id 0
		.amdhsa_user_sgpr_private_segment_size 0
		.amdhsa_wavefront_size32 1
		.amdhsa_uses_dynamic_stack 0
		.amdhsa_enable_private_segment 0
		.amdhsa_system_sgpr_workgroup_id_x 1
		.amdhsa_system_sgpr_workgroup_id_y 0
		.amdhsa_system_sgpr_workgroup_id_z 0
		.amdhsa_system_sgpr_workgroup_info 0
		.amdhsa_system_vgpr_workitem_id 0
		.amdhsa_next_free_vgpr 81
		.amdhsa_next_free_sgpr 25
		.amdhsa_reserve_vcc 1
		.amdhsa_float_round_mode_32 0
		.amdhsa_float_round_mode_16_64 0
		.amdhsa_float_denorm_mode_32 3
		.amdhsa_float_denorm_mode_16_64 3
		.amdhsa_dx10_clamp 1
		.amdhsa_ieee_mode 1
		.amdhsa_fp16_overflow 0
		.amdhsa_workgroup_processor_mode 1
		.amdhsa_memory_ordered 1
		.amdhsa_forward_progress 0
		.amdhsa_shared_vgpr_count 0
		.amdhsa_exception_fp_ieee_invalid_op 0
		.amdhsa_exception_fp_denorm_src 0
		.amdhsa_exception_fp_ieee_div_zero 0
		.amdhsa_exception_fp_ieee_overflow 0
		.amdhsa_exception_fp_ieee_underflow 0
		.amdhsa_exception_fp_ieee_inexact 0
		.amdhsa_exception_int_div_zero 0
	.end_amdhsa_kernel
	.section	.text._ZN7rocprim17ROCPRIM_400000_NS6detail17trampoline_kernelINS0_14default_configENS1_25partition_config_selectorILNS1_17partition_subalgoE9EssbEEZZNS1_14partition_implILS5_9ELb0ES3_jN6thrust23THRUST_200600_302600_NS6detail15normal_iteratorINS9_10device_ptrIsEEEESE_PNS0_10empty_typeENS0_5tupleIJSE_SF_EEENSH_IJSE_SG_EEENS0_18inequality_wrapperI22is_equal_div_10_uniqueIsEEEPmJSF_EEE10hipError_tPvRmT3_T4_T5_T6_T7_T9_mT8_P12ihipStream_tbDpT10_ENKUlT_T0_E_clISt17integral_constantIbLb1EES17_IbLb0EEEEDaS13_S14_EUlS13_E_NS1_11comp_targetILNS1_3genE9ELNS1_11target_archE1100ELNS1_3gpuE3ELNS1_3repE0EEENS1_30default_config_static_selectorELNS0_4arch9wavefront6targetE0EEEvT1_,"axG",@progbits,_ZN7rocprim17ROCPRIM_400000_NS6detail17trampoline_kernelINS0_14default_configENS1_25partition_config_selectorILNS1_17partition_subalgoE9EssbEEZZNS1_14partition_implILS5_9ELb0ES3_jN6thrust23THRUST_200600_302600_NS6detail15normal_iteratorINS9_10device_ptrIsEEEESE_PNS0_10empty_typeENS0_5tupleIJSE_SF_EEENSH_IJSE_SG_EEENS0_18inequality_wrapperI22is_equal_div_10_uniqueIsEEEPmJSF_EEE10hipError_tPvRmT3_T4_T5_T6_T7_T9_mT8_P12ihipStream_tbDpT10_ENKUlT_T0_E_clISt17integral_constantIbLb1EES17_IbLb0EEEEDaS13_S14_EUlS13_E_NS1_11comp_targetILNS1_3genE9ELNS1_11target_archE1100ELNS1_3gpuE3ELNS1_3repE0EEENS1_30default_config_static_selectorELNS0_4arch9wavefront6targetE0EEEvT1_,comdat
.Lfunc_end523:
	.size	_ZN7rocprim17ROCPRIM_400000_NS6detail17trampoline_kernelINS0_14default_configENS1_25partition_config_selectorILNS1_17partition_subalgoE9EssbEEZZNS1_14partition_implILS5_9ELb0ES3_jN6thrust23THRUST_200600_302600_NS6detail15normal_iteratorINS9_10device_ptrIsEEEESE_PNS0_10empty_typeENS0_5tupleIJSE_SF_EEENSH_IJSE_SG_EEENS0_18inequality_wrapperI22is_equal_div_10_uniqueIsEEEPmJSF_EEE10hipError_tPvRmT3_T4_T5_T6_T7_T9_mT8_P12ihipStream_tbDpT10_ENKUlT_T0_E_clISt17integral_constantIbLb1EES17_IbLb0EEEEDaS13_S14_EUlS13_E_NS1_11comp_targetILNS1_3genE9ELNS1_11target_archE1100ELNS1_3gpuE3ELNS1_3repE0EEENS1_30default_config_static_selectorELNS0_4arch9wavefront6targetE0EEEvT1_, .Lfunc_end523-_ZN7rocprim17ROCPRIM_400000_NS6detail17trampoline_kernelINS0_14default_configENS1_25partition_config_selectorILNS1_17partition_subalgoE9EssbEEZZNS1_14partition_implILS5_9ELb0ES3_jN6thrust23THRUST_200600_302600_NS6detail15normal_iteratorINS9_10device_ptrIsEEEESE_PNS0_10empty_typeENS0_5tupleIJSE_SF_EEENSH_IJSE_SG_EEENS0_18inequality_wrapperI22is_equal_div_10_uniqueIsEEEPmJSF_EEE10hipError_tPvRmT3_T4_T5_T6_T7_T9_mT8_P12ihipStream_tbDpT10_ENKUlT_T0_E_clISt17integral_constantIbLb1EES17_IbLb0EEEEDaS13_S14_EUlS13_E_NS1_11comp_targetILNS1_3genE9ELNS1_11target_archE1100ELNS1_3gpuE3ELNS1_3repE0EEENS1_30default_config_static_selectorELNS0_4arch9wavefront6targetE0EEEvT1_
                                        ; -- End function
	.section	.AMDGPU.csdata,"",@progbits
; Kernel info:
; codeLenInByte = 16504
; NumSgprs: 27
; NumVgprs: 81
; ScratchSize: 0
; MemoryBound: 0
; FloatMode: 240
; IeeeMode: 1
; LDSByteSize: 3080 bytes/workgroup (compile time only)
; SGPRBlocks: 3
; VGPRBlocks: 10
; NumSGPRsForWavesPerEU: 27
; NumVGPRsForWavesPerEU: 81
; Occupancy: 16
; WaveLimiterHint : 1
; COMPUTE_PGM_RSRC2:SCRATCH_EN: 0
; COMPUTE_PGM_RSRC2:USER_SGPR: 15
; COMPUTE_PGM_RSRC2:TRAP_HANDLER: 0
; COMPUTE_PGM_RSRC2:TGID_X_EN: 1
; COMPUTE_PGM_RSRC2:TGID_Y_EN: 0
; COMPUTE_PGM_RSRC2:TGID_Z_EN: 0
; COMPUTE_PGM_RSRC2:TIDIG_COMP_CNT: 0
	.section	.text._ZN7rocprim17ROCPRIM_400000_NS6detail17trampoline_kernelINS0_14default_configENS1_25partition_config_selectorILNS1_17partition_subalgoE9EssbEEZZNS1_14partition_implILS5_9ELb0ES3_jN6thrust23THRUST_200600_302600_NS6detail15normal_iteratorINS9_10device_ptrIsEEEESE_PNS0_10empty_typeENS0_5tupleIJSE_SF_EEENSH_IJSE_SG_EEENS0_18inequality_wrapperI22is_equal_div_10_uniqueIsEEEPmJSF_EEE10hipError_tPvRmT3_T4_T5_T6_T7_T9_mT8_P12ihipStream_tbDpT10_ENKUlT_T0_E_clISt17integral_constantIbLb1EES17_IbLb0EEEEDaS13_S14_EUlS13_E_NS1_11comp_targetILNS1_3genE8ELNS1_11target_archE1030ELNS1_3gpuE2ELNS1_3repE0EEENS1_30default_config_static_selectorELNS0_4arch9wavefront6targetE0EEEvT1_,"axG",@progbits,_ZN7rocprim17ROCPRIM_400000_NS6detail17trampoline_kernelINS0_14default_configENS1_25partition_config_selectorILNS1_17partition_subalgoE9EssbEEZZNS1_14partition_implILS5_9ELb0ES3_jN6thrust23THRUST_200600_302600_NS6detail15normal_iteratorINS9_10device_ptrIsEEEESE_PNS0_10empty_typeENS0_5tupleIJSE_SF_EEENSH_IJSE_SG_EEENS0_18inequality_wrapperI22is_equal_div_10_uniqueIsEEEPmJSF_EEE10hipError_tPvRmT3_T4_T5_T6_T7_T9_mT8_P12ihipStream_tbDpT10_ENKUlT_T0_E_clISt17integral_constantIbLb1EES17_IbLb0EEEEDaS13_S14_EUlS13_E_NS1_11comp_targetILNS1_3genE8ELNS1_11target_archE1030ELNS1_3gpuE2ELNS1_3repE0EEENS1_30default_config_static_selectorELNS0_4arch9wavefront6targetE0EEEvT1_,comdat
	.protected	_ZN7rocprim17ROCPRIM_400000_NS6detail17trampoline_kernelINS0_14default_configENS1_25partition_config_selectorILNS1_17partition_subalgoE9EssbEEZZNS1_14partition_implILS5_9ELb0ES3_jN6thrust23THRUST_200600_302600_NS6detail15normal_iteratorINS9_10device_ptrIsEEEESE_PNS0_10empty_typeENS0_5tupleIJSE_SF_EEENSH_IJSE_SG_EEENS0_18inequality_wrapperI22is_equal_div_10_uniqueIsEEEPmJSF_EEE10hipError_tPvRmT3_T4_T5_T6_T7_T9_mT8_P12ihipStream_tbDpT10_ENKUlT_T0_E_clISt17integral_constantIbLb1EES17_IbLb0EEEEDaS13_S14_EUlS13_E_NS1_11comp_targetILNS1_3genE8ELNS1_11target_archE1030ELNS1_3gpuE2ELNS1_3repE0EEENS1_30default_config_static_selectorELNS0_4arch9wavefront6targetE0EEEvT1_ ; -- Begin function _ZN7rocprim17ROCPRIM_400000_NS6detail17trampoline_kernelINS0_14default_configENS1_25partition_config_selectorILNS1_17partition_subalgoE9EssbEEZZNS1_14partition_implILS5_9ELb0ES3_jN6thrust23THRUST_200600_302600_NS6detail15normal_iteratorINS9_10device_ptrIsEEEESE_PNS0_10empty_typeENS0_5tupleIJSE_SF_EEENSH_IJSE_SG_EEENS0_18inequality_wrapperI22is_equal_div_10_uniqueIsEEEPmJSF_EEE10hipError_tPvRmT3_T4_T5_T6_T7_T9_mT8_P12ihipStream_tbDpT10_ENKUlT_T0_E_clISt17integral_constantIbLb1EES17_IbLb0EEEEDaS13_S14_EUlS13_E_NS1_11comp_targetILNS1_3genE8ELNS1_11target_archE1030ELNS1_3gpuE2ELNS1_3repE0EEENS1_30default_config_static_selectorELNS0_4arch9wavefront6targetE0EEEvT1_
	.globl	_ZN7rocprim17ROCPRIM_400000_NS6detail17trampoline_kernelINS0_14default_configENS1_25partition_config_selectorILNS1_17partition_subalgoE9EssbEEZZNS1_14partition_implILS5_9ELb0ES3_jN6thrust23THRUST_200600_302600_NS6detail15normal_iteratorINS9_10device_ptrIsEEEESE_PNS0_10empty_typeENS0_5tupleIJSE_SF_EEENSH_IJSE_SG_EEENS0_18inequality_wrapperI22is_equal_div_10_uniqueIsEEEPmJSF_EEE10hipError_tPvRmT3_T4_T5_T6_T7_T9_mT8_P12ihipStream_tbDpT10_ENKUlT_T0_E_clISt17integral_constantIbLb1EES17_IbLb0EEEEDaS13_S14_EUlS13_E_NS1_11comp_targetILNS1_3genE8ELNS1_11target_archE1030ELNS1_3gpuE2ELNS1_3repE0EEENS1_30default_config_static_selectorELNS0_4arch9wavefront6targetE0EEEvT1_
	.p2align	8
	.type	_ZN7rocprim17ROCPRIM_400000_NS6detail17trampoline_kernelINS0_14default_configENS1_25partition_config_selectorILNS1_17partition_subalgoE9EssbEEZZNS1_14partition_implILS5_9ELb0ES3_jN6thrust23THRUST_200600_302600_NS6detail15normal_iteratorINS9_10device_ptrIsEEEESE_PNS0_10empty_typeENS0_5tupleIJSE_SF_EEENSH_IJSE_SG_EEENS0_18inequality_wrapperI22is_equal_div_10_uniqueIsEEEPmJSF_EEE10hipError_tPvRmT3_T4_T5_T6_T7_T9_mT8_P12ihipStream_tbDpT10_ENKUlT_T0_E_clISt17integral_constantIbLb1EES17_IbLb0EEEEDaS13_S14_EUlS13_E_NS1_11comp_targetILNS1_3genE8ELNS1_11target_archE1030ELNS1_3gpuE2ELNS1_3repE0EEENS1_30default_config_static_selectorELNS0_4arch9wavefront6targetE0EEEvT1_,@function
_ZN7rocprim17ROCPRIM_400000_NS6detail17trampoline_kernelINS0_14default_configENS1_25partition_config_selectorILNS1_17partition_subalgoE9EssbEEZZNS1_14partition_implILS5_9ELb0ES3_jN6thrust23THRUST_200600_302600_NS6detail15normal_iteratorINS9_10device_ptrIsEEEESE_PNS0_10empty_typeENS0_5tupleIJSE_SF_EEENSH_IJSE_SG_EEENS0_18inequality_wrapperI22is_equal_div_10_uniqueIsEEEPmJSF_EEE10hipError_tPvRmT3_T4_T5_T6_T7_T9_mT8_P12ihipStream_tbDpT10_ENKUlT_T0_E_clISt17integral_constantIbLb1EES17_IbLb0EEEEDaS13_S14_EUlS13_E_NS1_11comp_targetILNS1_3genE8ELNS1_11target_archE1030ELNS1_3gpuE2ELNS1_3repE0EEENS1_30default_config_static_selectorELNS0_4arch9wavefront6targetE0EEEvT1_: ; @_ZN7rocprim17ROCPRIM_400000_NS6detail17trampoline_kernelINS0_14default_configENS1_25partition_config_selectorILNS1_17partition_subalgoE9EssbEEZZNS1_14partition_implILS5_9ELb0ES3_jN6thrust23THRUST_200600_302600_NS6detail15normal_iteratorINS9_10device_ptrIsEEEESE_PNS0_10empty_typeENS0_5tupleIJSE_SF_EEENSH_IJSE_SG_EEENS0_18inequality_wrapperI22is_equal_div_10_uniqueIsEEEPmJSF_EEE10hipError_tPvRmT3_T4_T5_T6_T7_T9_mT8_P12ihipStream_tbDpT10_ENKUlT_T0_E_clISt17integral_constantIbLb1EES17_IbLb0EEEEDaS13_S14_EUlS13_E_NS1_11comp_targetILNS1_3genE8ELNS1_11target_archE1030ELNS1_3gpuE2ELNS1_3repE0EEENS1_30default_config_static_selectorELNS0_4arch9wavefront6targetE0EEEvT1_
; %bb.0:
	.section	.rodata,"a",@progbits
	.p2align	6, 0x0
	.amdhsa_kernel _ZN7rocprim17ROCPRIM_400000_NS6detail17trampoline_kernelINS0_14default_configENS1_25partition_config_selectorILNS1_17partition_subalgoE9EssbEEZZNS1_14partition_implILS5_9ELb0ES3_jN6thrust23THRUST_200600_302600_NS6detail15normal_iteratorINS9_10device_ptrIsEEEESE_PNS0_10empty_typeENS0_5tupleIJSE_SF_EEENSH_IJSE_SG_EEENS0_18inequality_wrapperI22is_equal_div_10_uniqueIsEEEPmJSF_EEE10hipError_tPvRmT3_T4_T5_T6_T7_T9_mT8_P12ihipStream_tbDpT10_ENKUlT_T0_E_clISt17integral_constantIbLb1EES17_IbLb0EEEEDaS13_S14_EUlS13_E_NS1_11comp_targetILNS1_3genE8ELNS1_11target_archE1030ELNS1_3gpuE2ELNS1_3repE0EEENS1_30default_config_static_selectorELNS0_4arch9wavefront6targetE0EEEvT1_
		.amdhsa_group_segment_fixed_size 0
		.amdhsa_private_segment_fixed_size 0
		.amdhsa_kernarg_size 112
		.amdhsa_user_sgpr_count 15
		.amdhsa_user_sgpr_dispatch_ptr 0
		.amdhsa_user_sgpr_queue_ptr 0
		.amdhsa_user_sgpr_kernarg_segment_ptr 1
		.amdhsa_user_sgpr_dispatch_id 0
		.amdhsa_user_sgpr_private_segment_size 0
		.amdhsa_wavefront_size32 1
		.amdhsa_uses_dynamic_stack 0
		.amdhsa_enable_private_segment 0
		.amdhsa_system_sgpr_workgroup_id_x 1
		.amdhsa_system_sgpr_workgroup_id_y 0
		.amdhsa_system_sgpr_workgroup_id_z 0
		.amdhsa_system_sgpr_workgroup_info 0
		.amdhsa_system_vgpr_workitem_id 0
		.amdhsa_next_free_vgpr 1
		.amdhsa_next_free_sgpr 1
		.amdhsa_reserve_vcc 0
		.amdhsa_float_round_mode_32 0
		.amdhsa_float_round_mode_16_64 0
		.amdhsa_float_denorm_mode_32 3
		.amdhsa_float_denorm_mode_16_64 3
		.amdhsa_dx10_clamp 1
		.amdhsa_ieee_mode 1
		.amdhsa_fp16_overflow 0
		.amdhsa_workgroup_processor_mode 1
		.amdhsa_memory_ordered 1
		.amdhsa_forward_progress 0
		.amdhsa_shared_vgpr_count 0
		.amdhsa_exception_fp_ieee_invalid_op 0
		.amdhsa_exception_fp_denorm_src 0
		.amdhsa_exception_fp_ieee_div_zero 0
		.amdhsa_exception_fp_ieee_overflow 0
		.amdhsa_exception_fp_ieee_underflow 0
		.amdhsa_exception_fp_ieee_inexact 0
		.amdhsa_exception_int_div_zero 0
	.end_amdhsa_kernel
	.section	.text._ZN7rocprim17ROCPRIM_400000_NS6detail17trampoline_kernelINS0_14default_configENS1_25partition_config_selectorILNS1_17partition_subalgoE9EssbEEZZNS1_14partition_implILS5_9ELb0ES3_jN6thrust23THRUST_200600_302600_NS6detail15normal_iteratorINS9_10device_ptrIsEEEESE_PNS0_10empty_typeENS0_5tupleIJSE_SF_EEENSH_IJSE_SG_EEENS0_18inequality_wrapperI22is_equal_div_10_uniqueIsEEEPmJSF_EEE10hipError_tPvRmT3_T4_T5_T6_T7_T9_mT8_P12ihipStream_tbDpT10_ENKUlT_T0_E_clISt17integral_constantIbLb1EES17_IbLb0EEEEDaS13_S14_EUlS13_E_NS1_11comp_targetILNS1_3genE8ELNS1_11target_archE1030ELNS1_3gpuE2ELNS1_3repE0EEENS1_30default_config_static_selectorELNS0_4arch9wavefront6targetE0EEEvT1_,"axG",@progbits,_ZN7rocprim17ROCPRIM_400000_NS6detail17trampoline_kernelINS0_14default_configENS1_25partition_config_selectorILNS1_17partition_subalgoE9EssbEEZZNS1_14partition_implILS5_9ELb0ES3_jN6thrust23THRUST_200600_302600_NS6detail15normal_iteratorINS9_10device_ptrIsEEEESE_PNS0_10empty_typeENS0_5tupleIJSE_SF_EEENSH_IJSE_SG_EEENS0_18inequality_wrapperI22is_equal_div_10_uniqueIsEEEPmJSF_EEE10hipError_tPvRmT3_T4_T5_T6_T7_T9_mT8_P12ihipStream_tbDpT10_ENKUlT_T0_E_clISt17integral_constantIbLb1EES17_IbLb0EEEEDaS13_S14_EUlS13_E_NS1_11comp_targetILNS1_3genE8ELNS1_11target_archE1030ELNS1_3gpuE2ELNS1_3repE0EEENS1_30default_config_static_selectorELNS0_4arch9wavefront6targetE0EEEvT1_,comdat
.Lfunc_end524:
	.size	_ZN7rocprim17ROCPRIM_400000_NS6detail17trampoline_kernelINS0_14default_configENS1_25partition_config_selectorILNS1_17partition_subalgoE9EssbEEZZNS1_14partition_implILS5_9ELb0ES3_jN6thrust23THRUST_200600_302600_NS6detail15normal_iteratorINS9_10device_ptrIsEEEESE_PNS0_10empty_typeENS0_5tupleIJSE_SF_EEENSH_IJSE_SG_EEENS0_18inequality_wrapperI22is_equal_div_10_uniqueIsEEEPmJSF_EEE10hipError_tPvRmT3_T4_T5_T6_T7_T9_mT8_P12ihipStream_tbDpT10_ENKUlT_T0_E_clISt17integral_constantIbLb1EES17_IbLb0EEEEDaS13_S14_EUlS13_E_NS1_11comp_targetILNS1_3genE8ELNS1_11target_archE1030ELNS1_3gpuE2ELNS1_3repE0EEENS1_30default_config_static_selectorELNS0_4arch9wavefront6targetE0EEEvT1_, .Lfunc_end524-_ZN7rocprim17ROCPRIM_400000_NS6detail17trampoline_kernelINS0_14default_configENS1_25partition_config_selectorILNS1_17partition_subalgoE9EssbEEZZNS1_14partition_implILS5_9ELb0ES3_jN6thrust23THRUST_200600_302600_NS6detail15normal_iteratorINS9_10device_ptrIsEEEESE_PNS0_10empty_typeENS0_5tupleIJSE_SF_EEENSH_IJSE_SG_EEENS0_18inequality_wrapperI22is_equal_div_10_uniqueIsEEEPmJSF_EEE10hipError_tPvRmT3_T4_T5_T6_T7_T9_mT8_P12ihipStream_tbDpT10_ENKUlT_T0_E_clISt17integral_constantIbLb1EES17_IbLb0EEEEDaS13_S14_EUlS13_E_NS1_11comp_targetILNS1_3genE8ELNS1_11target_archE1030ELNS1_3gpuE2ELNS1_3repE0EEENS1_30default_config_static_selectorELNS0_4arch9wavefront6targetE0EEEvT1_
                                        ; -- End function
	.section	.AMDGPU.csdata,"",@progbits
; Kernel info:
; codeLenInByte = 0
; NumSgprs: 0
; NumVgprs: 0
; ScratchSize: 0
; MemoryBound: 0
; FloatMode: 240
; IeeeMode: 1
; LDSByteSize: 0 bytes/workgroup (compile time only)
; SGPRBlocks: 0
; VGPRBlocks: 0
; NumSGPRsForWavesPerEU: 1
; NumVGPRsForWavesPerEU: 1
; Occupancy: 15
; WaveLimiterHint : 0
; COMPUTE_PGM_RSRC2:SCRATCH_EN: 0
; COMPUTE_PGM_RSRC2:USER_SGPR: 15
; COMPUTE_PGM_RSRC2:TRAP_HANDLER: 0
; COMPUTE_PGM_RSRC2:TGID_X_EN: 1
; COMPUTE_PGM_RSRC2:TGID_Y_EN: 0
; COMPUTE_PGM_RSRC2:TGID_Z_EN: 0
; COMPUTE_PGM_RSRC2:TIDIG_COMP_CNT: 0
	.section	.text._ZN7rocprim17ROCPRIM_400000_NS6detail17trampoline_kernelINS0_14default_configENS1_25partition_config_selectorILNS1_17partition_subalgoE9EssbEEZZNS1_14partition_implILS5_9ELb0ES3_jN6thrust23THRUST_200600_302600_NS6detail15normal_iteratorINS9_10device_ptrIsEEEESE_PNS0_10empty_typeENS0_5tupleIJSE_SF_EEENSH_IJSE_SG_EEENS0_18inequality_wrapperI22is_equal_div_10_uniqueIsEEEPmJSF_EEE10hipError_tPvRmT3_T4_T5_T6_T7_T9_mT8_P12ihipStream_tbDpT10_ENKUlT_T0_E_clISt17integral_constantIbLb0EES17_IbLb1EEEEDaS13_S14_EUlS13_E_NS1_11comp_targetILNS1_3genE0ELNS1_11target_archE4294967295ELNS1_3gpuE0ELNS1_3repE0EEENS1_30default_config_static_selectorELNS0_4arch9wavefront6targetE0EEEvT1_,"axG",@progbits,_ZN7rocprim17ROCPRIM_400000_NS6detail17trampoline_kernelINS0_14default_configENS1_25partition_config_selectorILNS1_17partition_subalgoE9EssbEEZZNS1_14partition_implILS5_9ELb0ES3_jN6thrust23THRUST_200600_302600_NS6detail15normal_iteratorINS9_10device_ptrIsEEEESE_PNS0_10empty_typeENS0_5tupleIJSE_SF_EEENSH_IJSE_SG_EEENS0_18inequality_wrapperI22is_equal_div_10_uniqueIsEEEPmJSF_EEE10hipError_tPvRmT3_T4_T5_T6_T7_T9_mT8_P12ihipStream_tbDpT10_ENKUlT_T0_E_clISt17integral_constantIbLb0EES17_IbLb1EEEEDaS13_S14_EUlS13_E_NS1_11comp_targetILNS1_3genE0ELNS1_11target_archE4294967295ELNS1_3gpuE0ELNS1_3repE0EEENS1_30default_config_static_selectorELNS0_4arch9wavefront6targetE0EEEvT1_,comdat
	.protected	_ZN7rocprim17ROCPRIM_400000_NS6detail17trampoline_kernelINS0_14default_configENS1_25partition_config_selectorILNS1_17partition_subalgoE9EssbEEZZNS1_14partition_implILS5_9ELb0ES3_jN6thrust23THRUST_200600_302600_NS6detail15normal_iteratorINS9_10device_ptrIsEEEESE_PNS0_10empty_typeENS0_5tupleIJSE_SF_EEENSH_IJSE_SG_EEENS0_18inequality_wrapperI22is_equal_div_10_uniqueIsEEEPmJSF_EEE10hipError_tPvRmT3_T4_T5_T6_T7_T9_mT8_P12ihipStream_tbDpT10_ENKUlT_T0_E_clISt17integral_constantIbLb0EES17_IbLb1EEEEDaS13_S14_EUlS13_E_NS1_11comp_targetILNS1_3genE0ELNS1_11target_archE4294967295ELNS1_3gpuE0ELNS1_3repE0EEENS1_30default_config_static_selectorELNS0_4arch9wavefront6targetE0EEEvT1_ ; -- Begin function _ZN7rocprim17ROCPRIM_400000_NS6detail17trampoline_kernelINS0_14default_configENS1_25partition_config_selectorILNS1_17partition_subalgoE9EssbEEZZNS1_14partition_implILS5_9ELb0ES3_jN6thrust23THRUST_200600_302600_NS6detail15normal_iteratorINS9_10device_ptrIsEEEESE_PNS0_10empty_typeENS0_5tupleIJSE_SF_EEENSH_IJSE_SG_EEENS0_18inequality_wrapperI22is_equal_div_10_uniqueIsEEEPmJSF_EEE10hipError_tPvRmT3_T4_T5_T6_T7_T9_mT8_P12ihipStream_tbDpT10_ENKUlT_T0_E_clISt17integral_constantIbLb0EES17_IbLb1EEEEDaS13_S14_EUlS13_E_NS1_11comp_targetILNS1_3genE0ELNS1_11target_archE4294967295ELNS1_3gpuE0ELNS1_3repE0EEENS1_30default_config_static_selectorELNS0_4arch9wavefront6targetE0EEEvT1_
	.globl	_ZN7rocprim17ROCPRIM_400000_NS6detail17trampoline_kernelINS0_14default_configENS1_25partition_config_selectorILNS1_17partition_subalgoE9EssbEEZZNS1_14partition_implILS5_9ELb0ES3_jN6thrust23THRUST_200600_302600_NS6detail15normal_iteratorINS9_10device_ptrIsEEEESE_PNS0_10empty_typeENS0_5tupleIJSE_SF_EEENSH_IJSE_SG_EEENS0_18inequality_wrapperI22is_equal_div_10_uniqueIsEEEPmJSF_EEE10hipError_tPvRmT3_T4_T5_T6_T7_T9_mT8_P12ihipStream_tbDpT10_ENKUlT_T0_E_clISt17integral_constantIbLb0EES17_IbLb1EEEEDaS13_S14_EUlS13_E_NS1_11comp_targetILNS1_3genE0ELNS1_11target_archE4294967295ELNS1_3gpuE0ELNS1_3repE0EEENS1_30default_config_static_selectorELNS0_4arch9wavefront6targetE0EEEvT1_
	.p2align	8
	.type	_ZN7rocprim17ROCPRIM_400000_NS6detail17trampoline_kernelINS0_14default_configENS1_25partition_config_selectorILNS1_17partition_subalgoE9EssbEEZZNS1_14partition_implILS5_9ELb0ES3_jN6thrust23THRUST_200600_302600_NS6detail15normal_iteratorINS9_10device_ptrIsEEEESE_PNS0_10empty_typeENS0_5tupleIJSE_SF_EEENSH_IJSE_SG_EEENS0_18inequality_wrapperI22is_equal_div_10_uniqueIsEEEPmJSF_EEE10hipError_tPvRmT3_T4_T5_T6_T7_T9_mT8_P12ihipStream_tbDpT10_ENKUlT_T0_E_clISt17integral_constantIbLb0EES17_IbLb1EEEEDaS13_S14_EUlS13_E_NS1_11comp_targetILNS1_3genE0ELNS1_11target_archE4294967295ELNS1_3gpuE0ELNS1_3repE0EEENS1_30default_config_static_selectorELNS0_4arch9wavefront6targetE0EEEvT1_,@function
_ZN7rocprim17ROCPRIM_400000_NS6detail17trampoline_kernelINS0_14default_configENS1_25partition_config_selectorILNS1_17partition_subalgoE9EssbEEZZNS1_14partition_implILS5_9ELb0ES3_jN6thrust23THRUST_200600_302600_NS6detail15normal_iteratorINS9_10device_ptrIsEEEESE_PNS0_10empty_typeENS0_5tupleIJSE_SF_EEENSH_IJSE_SG_EEENS0_18inequality_wrapperI22is_equal_div_10_uniqueIsEEEPmJSF_EEE10hipError_tPvRmT3_T4_T5_T6_T7_T9_mT8_P12ihipStream_tbDpT10_ENKUlT_T0_E_clISt17integral_constantIbLb0EES17_IbLb1EEEEDaS13_S14_EUlS13_E_NS1_11comp_targetILNS1_3genE0ELNS1_11target_archE4294967295ELNS1_3gpuE0ELNS1_3repE0EEENS1_30default_config_static_selectorELNS0_4arch9wavefront6targetE0EEEvT1_: ; @_ZN7rocprim17ROCPRIM_400000_NS6detail17trampoline_kernelINS0_14default_configENS1_25partition_config_selectorILNS1_17partition_subalgoE9EssbEEZZNS1_14partition_implILS5_9ELb0ES3_jN6thrust23THRUST_200600_302600_NS6detail15normal_iteratorINS9_10device_ptrIsEEEESE_PNS0_10empty_typeENS0_5tupleIJSE_SF_EEENSH_IJSE_SG_EEENS0_18inequality_wrapperI22is_equal_div_10_uniqueIsEEEPmJSF_EEE10hipError_tPvRmT3_T4_T5_T6_T7_T9_mT8_P12ihipStream_tbDpT10_ENKUlT_T0_E_clISt17integral_constantIbLb0EES17_IbLb1EEEEDaS13_S14_EUlS13_E_NS1_11comp_targetILNS1_3genE0ELNS1_11target_archE4294967295ELNS1_3gpuE0ELNS1_3repE0EEENS1_30default_config_static_selectorELNS0_4arch9wavefront6targetE0EEEvT1_
; %bb.0:
	.section	.rodata,"a",@progbits
	.p2align	6, 0x0
	.amdhsa_kernel _ZN7rocprim17ROCPRIM_400000_NS6detail17trampoline_kernelINS0_14default_configENS1_25partition_config_selectorILNS1_17partition_subalgoE9EssbEEZZNS1_14partition_implILS5_9ELb0ES3_jN6thrust23THRUST_200600_302600_NS6detail15normal_iteratorINS9_10device_ptrIsEEEESE_PNS0_10empty_typeENS0_5tupleIJSE_SF_EEENSH_IJSE_SG_EEENS0_18inequality_wrapperI22is_equal_div_10_uniqueIsEEEPmJSF_EEE10hipError_tPvRmT3_T4_T5_T6_T7_T9_mT8_P12ihipStream_tbDpT10_ENKUlT_T0_E_clISt17integral_constantIbLb0EES17_IbLb1EEEEDaS13_S14_EUlS13_E_NS1_11comp_targetILNS1_3genE0ELNS1_11target_archE4294967295ELNS1_3gpuE0ELNS1_3repE0EEENS1_30default_config_static_selectorELNS0_4arch9wavefront6targetE0EEEvT1_
		.amdhsa_group_segment_fixed_size 0
		.amdhsa_private_segment_fixed_size 0
		.amdhsa_kernarg_size 128
		.amdhsa_user_sgpr_count 15
		.amdhsa_user_sgpr_dispatch_ptr 0
		.amdhsa_user_sgpr_queue_ptr 0
		.amdhsa_user_sgpr_kernarg_segment_ptr 1
		.amdhsa_user_sgpr_dispatch_id 0
		.amdhsa_user_sgpr_private_segment_size 0
		.amdhsa_wavefront_size32 1
		.amdhsa_uses_dynamic_stack 0
		.amdhsa_enable_private_segment 0
		.amdhsa_system_sgpr_workgroup_id_x 1
		.amdhsa_system_sgpr_workgroup_id_y 0
		.amdhsa_system_sgpr_workgroup_id_z 0
		.amdhsa_system_sgpr_workgroup_info 0
		.amdhsa_system_vgpr_workitem_id 0
		.amdhsa_next_free_vgpr 1
		.amdhsa_next_free_sgpr 1
		.amdhsa_reserve_vcc 0
		.amdhsa_float_round_mode_32 0
		.amdhsa_float_round_mode_16_64 0
		.amdhsa_float_denorm_mode_32 3
		.amdhsa_float_denorm_mode_16_64 3
		.amdhsa_dx10_clamp 1
		.amdhsa_ieee_mode 1
		.amdhsa_fp16_overflow 0
		.amdhsa_workgroup_processor_mode 1
		.amdhsa_memory_ordered 1
		.amdhsa_forward_progress 0
		.amdhsa_shared_vgpr_count 0
		.amdhsa_exception_fp_ieee_invalid_op 0
		.amdhsa_exception_fp_denorm_src 0
		.amdhsa_exception_fp_ieee_div_zero 0
		.amdhsa_exception_fp_ieee_overflow 0
		.amdhsa_exception_fp_ieee_underflow 0
		.amdhsa_exception_fp_ieee_inexact 0
		.amdhsa_exception_int_div_zero 0
	.end_amdhsa_kernel
	.section	.text._ZN7rocprim17ROCPRIM_400000_NS6detail17trampoline_kernelINS0_14default_configENS1_25partition_config_selectorILNS1_17partition_subalgoE9EssbEEZZNS1_14partition_implILS5_9ELb0ES3_jN6thrust23THRUST_200600_302600_NS6detail15normal_iteratorINS9_10device_ptrIsEEEESE_PNS0_10empty_typeENS0_5tupleIJSE_SF_EEENSH_IJSE_SG_EEENS0_18inequality_wrapperI22is_equal_div_10_uniqueIsEEEPmJSF_EEE10hipError_tPvRmT3_T4_T5_T6_T7_T9_mT8_P12ihipStream_tbDpT10_ENKUlT_T0_E_clISt17integral_constantIbLb0EES17_IbLb1EEEEDaS13_S14_EUlS13_E_NS1_11comp_targetILNS1_3genE0ELNS1_11target_archE4294967295ELNS1_3gpuE0ELNS1_3repE0EEENS1_30default_config_static_selectorELNS0_4arch9wavefront6targetE0EEEvT1_,"axG",@progbits,_ZN7rocprim17ROCPRIM_400000_NS6detail17trampoline_kernelINS0_14default_configENS1_25partition_config_selectorILNS1_17partition_subalgoE9EssbEEZZNS1_14partition_implILS5_9ELb0ES3_jN6thrust23THRUST_200600_302600_NS6detail15normal_iteratorINS9_10device_ptrIsEEEESE_PNS0_10empty_typeENS0_5tupleIJSE_SF_EEENSH_IJSE_SG_EEENS0_18inequality_wrapperI22is_equal_div_10_uniqueIsEEEPmJSF_EEE10hipError_tPvRmT3_T4_T5_T6_T7_T9_mT8_P12ihipStream_tbDpT10_ENKUlT_T0_E_clISt17integral_constantIbLb0EES17_IbLb1EEEEDaS13_S14_EUlS13_E_NS1_11comp_targetILNS1_3genE0ELNS1_11target_archE4294967295ELNS1_3gpuE0ELNS1_3repE0EEENS1_30default_config_static_selectorELNS0_4arch9wavefront6targetE0EEEvT1_,comdat
.Lfunc_end525:
	.size	_ZN7rocprim17ROCPRIM_400000_NS6detail17trampoline_kernelINS0_14default_configENS1_25partition_config_selectorILNS1_17partition_subalgoE9EssbEEZZNS1_14partition_implILS5_9ELb0ES3_jN6thrust23THRUST_200600_302600_NS6detail15normal_iteratorINS9_10device_ptrIsEEEESE_PNS0_10empty_typeENS0_5tupleIJSE_SF_EEENSH_IJSE_SG_EEENS0_18inequality_wrapperI22is_equal_div_10_uniqueIsEEEPmJSF_EEE10hipError_tPvRmT3_T4_T5_T6_T7_T9_mT8_P12ihipStream_tbDpT10_ENKUlT_T0_E_clISt17integral_constantIbLb0EES17_IbLb1EEEEDaS13_S14_EUlS13_E_NS1_11comp_targetILNS1_3genE0ELNS1_11target_archE4294967295ELNS1_3gpuE0ELNS1_3repE0EEENS1_30default_config_static_selectorELNS0_4arch9wavefront6targetE0EEEvT1_, .Lfunc_end525-_ZN7rocprim17ROCPRIM_400000_NS6detail17trampoline_kernelINS0_14default_configENS1_25partition_config_selectorILNS1_17partition_subalgoE9EssbEEZZNS1_14partition_implILS5_9ELb0ES3_jN6thrust23THRUST_200600_302600_NS6detail15normal_iteratorINS9_10device_ptrIsEEEESE_PNS0_10empty_typeENS0_5tupleIJSE_SF_EEENSH_IJSE_SG_EEENS0_18inequality_wrapperI22is_equal_div_10_uniqueIsEEEPmJSF_EEE10hipError_tPvRmT3_T4_T5_T6_T7_T9_mT8_P12ihipStream_tbDpT10_ENKUlT_T0_E_clISt17integral_constantIbLb0EES17_IbLb1EEEEDaS13_S14_EUlS13_E_NS1_11comp_targetILNS1_3genE0ELNS1_11target_archE4294967295ELNS1_3gpuE0ELNS1_3repE0EEENS1_30default_config_static_selectorELNS0_4arch9wavefront6targetE0EEEvT1_
                                        ; -- End function
	.section	.AMDGPU.csdata,"",@progbits
; Kernel info:
; codeLenInByte = 0
; NumSgprs: 0
; NumVgprs: 0
; ScratchSize: 0
; MemoryBound: 0
; FloatMode: 240
; IeeeMode: 1
; LDSByteSize: 0 bytes/workgroup (compile time only)
; SGPRBlocks: 0
; VGPRBlocks: 0
; NumSGPRsForWavesPerEU: 1
; NumVGPRsForWavesPerEU: 1
; Occupancy: 16
; WaveLimiterHint : 0
; COMPUTE_PGM_RSRC2:SCRATCH_EN: 0
; COMPUTE_PGM_RSRC2:USER_SGPR: 15
; COMPUTE_PGM_RSRC2:TRAP_HANDLER: 0
; COMPUTE_PGM_RSRC2:TGID_X_EN: 1
; COMPUTE_PGM_RSRC2:TGID_Y_EN: 0
; COMPUTE_PGM_RSRC2:TGID_Z_EN: 0
; COMPUTE_PGM_RSRC2:TIDIG_COMP_CNT: 0
	.section	.text._ZN7rocprim17ROCPRIM_400000_NS6detail17trampoline_kernelINS0_14default_configENS1_25partition_config_selectorILNS1_17partition_subalgoE9EssbEEZZNS1_14partition_implILS5_9ELb0ES3_jN6thrust23THRUST_200600_302600_NS6detail15normal_iteratorINS9_10device_ptrIsEEEESE_PNS0_10empty_typeENS0_5tupleIJSE_SF_EEENSH_IJSE_SG_EEENS0_18inequality_wrapperI22is_equal_div_10_uniqueIsEEEPmJSF_EEE10hipError_tPvRmT3_T4_T5_T6_T7_T9_mT8_P12ihipStream_tbDpT10_ENKUlT_T0_E_clISt17integral_constantIbLb0EES17_IbLb1EEEEDaS13_S14_EUlS13_E_NS1_11comp_targetILNS1_3genE5ELNS1_11target_archE942ELNS1_3gpuE9ELNS1_3repE0EEENS1_30default_config_static_selectorELNS0_4arch9wavefront6targetE0EEEvT1_,"axG",@progbits,_ZN7rocprim17ROCPRIM_400000_NS6detail17trampoline_kernelINS0_14default_configENS1_25partition_config_selectorILNS1_17partition_subalgoE9EssbEEZZNS1_14partition_implILS5_9ELb0ES3_jN6thrust23THRUST_200600_302600_NS6detail15normal_iteratorINS9_10device_ptrIsEEEESE_PNS0_10empty_typeENS0_5tupleIJSE_SF_EEENSH_IJSE_SG_EEENS0_18inequality_wrapperI22is_equal_div_10_uniqueIsEEEPmJSF_EEE10hipError_tPvRmT3_T4_T5_T6_T7_T9_mT8_P12ihipStream_tbDpT10_ENKUlT_T0_E_clISt17integral_constantIbLb0EES17_IbLb1EEEEDaS13_S14_EUlS13_E_NS1_11comp_targetILNS1_3genE5ELNS1_11target_archE942ELNS1_3gpuE9ELNS1_3repE0EEENS1_30default_config_static_selectorELNS0_4arch9wavefront6targetE0EEEvT1_,comdat
	.protected	_ZN7rocprim17ROCPRIM_400000_NS6detail17trampoline_kernelINS0_14default_configENS1_25partition_config_selectorILNS1_17partition_subalgoE9EssbEEZZNS1_14partition_implILS5_9ELb0ES3_jN6thrust23THRUST_200600_302600_NS6detail15normal_iteratorINS9_10device_ptrIsEEEESE_PNS0_10empty_typeENS0_5tupleIJSE_SF_EEENSH_IJSE_SG_EEENS0_18inequality_wrapperI22is_equal_div_10_uniqueIsEEEPmJSF_EEE10hipError_tPvRmT3_T4_T5_T6_T7_T9_mT8_P12ihipStream_tbDpT10_ENKUlT_T0_E_clISt17integral_constantIbLb0EES17_IbLb1EEEEDaS13_S14_EUlS13_E_NS1_11comp_targetILNS1_3genE5ELNS1_11target_archE942ELNS1_3gpuE9ELNS1_3repE0EEENS1_30default_config_static_selectorELNS0_4arch9wavefront6targetE0EEEvT1_ ; -- Begin function _ZN7rocprim17ROCPRIM_400000_NS6detail17trampoline_kernelINS0_14default_configENS1_25partition_config_selectorILNS1_17partition_subalgoE9EssbEEZZNS1_14partition_implILS5_9ELb0ES3_jN6thrust23THRUST_200600_302600_NS6detail15normal_iteratorINS9_10device_ptrIsEEEESE_PNS0_10empty_typeENS0_5tupleIJSE_SF_EEENSH_IJSE_SG_EEENS0_18inequality_wrapperI22is_equal_div_10_uniqueIsEEEPmJSF_EEE10hipError_tPvRmT3_T4_T5_T6_T7_T9_mT8_P12ihipStream_tbDpT10_ENKUlT_T0_E_clISt17integral_constantIbLb0EES17_IbLb1EEEEDaS13_S14_EUlS13_E_NS1_11comp_targetILNS1_3genE5ELNS1_11target_archE942ELNS1_3gpuE9ELNS1_3repE0EEENS1_30default_config_static_selectorELNS0_4arch9wavefront6targetE0EEEvT1_
	.globl	_ZN7rocprim17ROCPRIM_400000_NS6detail17trampoline_kernelINS0_14default_configENS1_25partition_config_selectorILNS1_17partition_subalgoE9EssbEEZZNS1_14partition_implILS5_9ELb0ES3_jN6thrust23THRUST_200600_302600_NS6detail15normal_iteratorINS9_10device_ptrIsEEEESE_PNS0_10empty_typeENS0_5tupleIJSE_SF_EEENSH_IJSE_SG_EEENS0_18inequality_wrapperI22is_equal_div_10_uniqueIsEEEPmJSF_EEE10hipError_tPvRmT3_T4_T5_T6_T7_T9_mT8_P12ihipStream_tbDpT10_ENKUlT_T0_E_clISt17integral_constantIbLb0EES17_IbLb1EEEEDaS13_S14_EUlS13_E_NS1_11comp_targetILNS1_3genE5ELNS1_11target_archE942ELNS1_3gpuE9ELNS1_3repE0EEENS1_30default_config_static_selectorELNS0_4arch9wavefront6targetE0EEEvT1_
	.p2align	8
	.type	_ZN7rocprim17ROCPRIM_400000_NS6detail17trampoline_kernelINS0_14default_configENS1_25partition_config_selectorILNS1_17partition_subalgoE9EssbEEZZNS1_14partition_implILS5_9ELb0ES3_jN6thrust23THRUST_200600_302600_NS6detail15normal_iteratorINS9_10device_ptrIsEEEESE_PNS0_10empty_typeENS0_5tupleIJSE_SF_EEENSH_IJSE_SG_EEENS0_18inequality_wrapperI22is_equal_div_10_uniqueIsEEEPmJSF_EEE10hipError_tPvRmT3_T4_T5_T6_T7_T9_mT8_P12ihipStream_tbDpT10_ENKUlT_T0_E_clISt17integral_constantIbLb0EES17_IbLb1EEEEDaS13_S14_EUlS13_E_NS1_11comp_targetILNS1_3genE5ELNS1_11target_archE942ELNS1_3gpuE9ELNS1_3repE0EEENS1_30default_config_static_selectorELNS0_4arch9wavefront6targetE0EEEvT1_,@function
_ZN7rocprim17ROCPRIM_400000_NS6detail17trampoline_kernelINS0_14default_configENS1_25partition_config_selectorILNS1_17partition_subalgoE9EssbEEZZNS1_14partition_implILS5_9ELb0ES3_jN6thrust23THRUST_200600_302600_NS6detail15normal_iteratorINS9_10device_ptrIsEEEESE_PNS0_10empty_typeENS0_5tupleIJSE_SF_EEENSH_IJSE_SG_EEENS0_18inequality_wrapperI22is_equal_div_10_uniqueIsEEEPmJSF_EEE10hipError_tPvRmT3_T4_T5_T6_T7_T9_mT8_P12ihipStream_tbDpT10_ENKUlT_T0_E_clISt17integral_constantIbLb0EES17_IbLb1EEEEDaS13_S14_EUlS13_E_NS1_11comp_targetILNS1_3genE5ELNS1_11target_archE942ELNS1_3gpuE9ELNS1_3repE0EEENS1_30default_config_static_selectorELNS0_4arch9wavefront6targetE0EEEvT1_: ; @_ZN7rocprim17ROCPRIM_400000_NS6detail17trampoline_kernelINS0_14default_configENS1_25partition_config_selectorILNS1_17partition_subalgoE9EssbEEZZNS1_14partition_implILS5_9ELb0ES3_jN6thrust23THRUST_200600_302600_NS6detail15normal_iteratorINS9_10device_ptrIsEEEESE_PNS0_10empty_typeENS0_5tupleIJSE_SF_EEENSH_IJSE_SG_EEENS0_18inequality_wrapperI22is_equal_div_10_uniqueIsEEEPmJSF_EEE10hipError_tPvRmT3_T4_T5_T6_T7_T9_mT8_P12ihipStream_tbDpT10_ENKUlT_T0_E_clISt17integral_constantIbLb0EES17_IbLb1EEEEDaS13_S14_EUlS13_E_NS1_11comp_targetILNS1_3genE5ELNS1_11target_archE942ELNS1_3gpuE9ELNS1_3repE0EEENS1_30default_config_static_selectorELNS0_4arch9wavefront6targetE0EEEvT1_
; %bb.0:
	.section	.rodata,"a",@progbits
	.p2align	6, 0x0
	.amdhsa_kernel _ZN7rocprim17ROCPRIM_400000_NS6detail17trampoline_kernelINS0_14default_configENS1_25partition_config_selectorILNS1_17partition_subalgoE9EssbEEZZNS1_14partition_implILS5_9ELb0ES3_jN6thrust23THRUST_200600_302600_NS6detail15normal_iteratorINS9_10device_ptrIsEEEESE_PNS0_10empty_typeENS0_5tupleIJSE_SF_EEENSH_IJSE_SG_EEENS0_18inequality_wrapperI22is_equal_div_10_uniqueIsEEEPmJSF_EEE10hipError_tPvRmT3_T4_T5_T6_T7_T9_mT8_P12ihipStream_tbDpT10_ENKUlT_T0_E_clISt17integral_constantIbLb0EES17_IbLb1EEEEDaS13_S14_EUlS13_E_NS1_11comp_targetILNS1_3genE5ELNS1_11target_archE942ELNS1_3gpuE9ELNS1_3repE0EEENS1_30default_config_static_selectorELNS0_4arch9wavefront6targetE0EEEvT1_
		.amdhsa_group_segment_fixed_size 0
		.amdhsa_private_segment_fixed_size 0
		.amdhsa_kernarg_size 128
		.amdhsa_user_sgpr_count 15
		.amdhsa_user_sgpr_dispatch_ptr 0
		.amdhsa_user_sgpr_queue_ptr 0
		.amdhsa_user_sgpr_kernarg_segment_ptr 1
		.amdhsa_user_sgpr_dispatch_id 0
		.amdhsa_user_sgpr_private_segment_size 0
		.amdhsa_wavefront_size32 1
		.amdhsa_uses_dynamic_stack 0
		.amdhsa_enable_private_segment 0
		.amdhsa_system_sgpr_workgroup_id_x 1
		.amdhsa_system_sgpr_workgroup_id_y 0
		.amdhsa_system_sgpr_workgroup_id_z 0
		.amdhsa_system_sgpr_workgroup_info 0
		.amdhsa_system_vgpr_workitem_id 0
		.amdhsa_next_free_vgpr 1
		.amdhsa_next_free_sgpr 1
		.amdhsa_reserve_vcc 0
		.amdhsa_float_round_mode_32 0
		.amdhsa_float_round_mode_16_64 0
		.amdhsa_float_denorm_mode_32 3
		.amdhsa_float_denorm_mode_16_64 3
		.amdhsa_dx10_clamp 1
		.amdhsa_ieee_mode 1
		.amdhsa_fp16_overflow 0
		.amdhsa_workgroup_processor_mode 1
		.amdhsa_memory_ordered 1
		.amdhsa_forward_progress 0
		.amdhsa_shared_vgpr_count 0
		.amdhsa_exception_fp_ieee_invalid_op 0
		.amdhsa_exception_fp_denorm_src 0
		.amdhsa_exception_fp_ieee_div_zero 0
		.amdhsa_exception_fp_ieee_overflow 0
		.amdhsa_exception_fp_ieee_underflow 0
		.amdhsa_exception_fp_ieee_inexact 0
		.amdhsa_exception_int_div_zero 0
	.end_amdhsa_kernel
	.section	.text._ZN7rocprim17ROCPRIM_400000_NS6detail17trampoline_kernelINS0_14default_configENS1_25partition_config_selectorILNS1_17partition_subalgoE9EssbEEZZNS1_14partition_implILS5_9ELb0ES3_jN6thrust23THRUST_200600_302600_NS6detail15normal_iteratorINS9_10device_ptrIsEEEESE_PNS0_10empty_typeENS0_5tupleIJSE_SF_EEENSH_IJSE_SG_EEENS0_18inequality_wrapperI22is_equal_div_10_uniqueIsEEEPmJSF_EEE10hipError_tPvRmT3_T4_T5_T6_T7_T9_mT8_P12ihipStream_tbDpT10_ENKUlT_T0_E_clISt17integral_constantIbLb0EES17_IbLb1EEEEDaS13_S14_EUlS13_E_NS1_11comp_targetILNS1_3genE5ELNS1_11target_archE942ELNS1_3gpuE9ELNS1_3repE0EEENS1_30default_config_static_selectorELNS0_4arch9wavefront6targetE0EEEvT1_,"axG",@progbits,_ZN7rocprim17ROCPRIM_400000_NS6detail17trampoline_kernelINS0_14default_configENS1_25partition_config_selectorILNS1_17partition_subalgoE9EssbEEZZNS1_14partition_implILS5_9ELb0ES3_jN6thrust23THRUST_200600_302600_NS6detail15normal_iteratorINS9_10device_ptrIsEEEESE_PNS0_10empty_typeENS0_5tupleIJSE_SF_EEENSH_IJSE_SG_EEENS0_18inequality_wrapperI22is_equal_div_10_uniqueIsEEEPmJSF_EEE10hipError_tPvRmT3_T4_T5_T6_T7_T9_mT8_P12ihipStream_tbDpT10_ENKUlT_T0_E_clISt17integral_constantIbLb0EES17_IbLb1EEEEDaS13_S14_EUlS13_E_NS1_11comp_targetILNS1_3genE5ELNS1_11target_archE942ELNS1_3gpuE9ELNS1_3repE0EEENS1_30default_config_static_selectorELNS0_4arch9wavefront6targetE0EEEvT1_,comdat
.Lfunc_end526:
	.size	_ZN7rocprim17ROCPRIM_400000_NS6detail17trampoline_kernelINS0_14default_configENS1_25partition_config_selectorILNS1_17partition_subalgoE9EssbEEZZNS1_14partition_implILS5_9ELb0ES3_jN6thrust23THRUST_200600_302600_NS6detail15normal_iteratorINS9_10device_ptrIsEEEESE_PNS0_10empty_typeENS0_5tupleIJSE_SF_EEENSH_IJSE_SG_EEENS0_18inequality_wrapperI22is_equal_div_10_uniqueIsEEEPmJSF_EEE10hipError_tPvRmT3_T4_T5_T6_T7_T9_mT8_P12ihipStream_tbDpT10_ENKUlT_T0_E_clISt17integral_constantIbLb0EES17_IbLb1EEEEDaS13_S14_EUlS13_E_NS1_11comp_targetILNS1_3genE5ELNS1_11target_archE942ELNS1_3gpuE9ELNS1_3repE0EEENS1_30default_config_static_selectorELNS0_4arch9wavefront6targetE0EEEvT1_, .Lfunc_end526-_ZN7rocprim17ROCPRIM_400000_NS6detail17trampoline_kernelINS0_14default_configENS1_25partition_config_selectorILNS1_17partition_subalgoE9EssbEEZZNS1_14partition_implILS5_9ELb0ES3_jN6thrust23THRUST_200600_302600_NS6detail15normal_iteratorINS9_10device_ptrIsEEEESE_PNS0_10empty_typeENS0_5tupleIJSE_SF_EEENSH_IJSE_SG_EEENS0_18inequality_wrapperI22is_equal_div_10_uniqueIsEEEPmJSF_EEE10hipError_tPvRmT3_T4_T5_T6_T7_T9_mT8_P12ihipStream_tbDpT10_ENKUlT_T0_E_clISt17integral_constantIbLb0EES17_IbLb1EEEEDaS13_S14_EUlS13_E_NS1_11comp_targetILNS1_3genE5ELNS1_11target_archE942ELNS1_3gpuE9ELNS1_3repE0EEENS1_30default_config_static_selectorELNS0_4arch9wavefront6targetE0EEEvT1_
                                        ; -- End function
	.section	.AMDGPU.csdata,"",@progbits
; Kernel info:
; codeLenInByte = 0
; NumSgprs: 0
; NumVgprs: 0
; ScratchSize: 0
; MemoryBound: 0
; FloatMode: 240
; IeeeMode: 1
; LDSByteSize: 0 bytes/workgroup (compile time only)
; SGPRBlocks: 0
; VGPRBlocks: 0
; NumSGPRsForWavesPerEU: 1
; NumVGPRsForWavesPerEU: 1
; Occupancy: 16
; WaveLimiterHint : 0
; COMPUTE_PGM_RSRC2:SCRATCH_EN: 0
; COMPUTE_PGM_RSRC2:USER_SGPR: 15
; COMPUTE_PGM_RSRC2:TRAP_HANDLER: 0
; COMPUTE_PGM_RSRC2:TGID_X_EN: 1
; COMPUTE_PGM_RSRC2:TGID_Y_EN: 0
; COMPUTE_PGM_RSRC2:TGID_Z_EN: 0
; COMPUTE_PGM_RSRC2:TIDIG_COMP_CNT: 0
	.section	.text._ZN7rocprim17ROCPRIM_400000_NS6detail17trampoline_kernelINS0_14default_configENS1_25partition_config_selectorILNS1_17partition_subalgoE9EssbEEZZNS1_14partition_implILS5_9ELb0ES3_jN6thrust23THRUST_200600_302600_NS6detail15normal_iteratorINS9_10device_ptrIsEEEESE_PNS0_10empty_typeENS0_5tupleIJSE_SF_EEENSH_IJSE_SG_EEENS0_18inequality_wrapperI22is_equal_div_10_uniqueIsEEEPmJSF_EEE10hipError_tPvRmT3_T4_T5_T6_T7_T9_mT8_P12ihipStream_tbDpT10_ENKUlT_T0_E_clISt17integral_constantIbLb0EES17_IbLb1EEEEDaS13_S14_EUlS13_E_NS1_11comp_targetILNS1_3genE4ELNS1_11target_archE910ELNS1_3gpuE8ELNS1_3repE0EEENS1_30default_config_static_selectorELNS0_4arch9wavefront6targetE0EEEvT1_,"axG",@progbits,_ZN7rocprim17ROCPRIM_400000_NS6detail17trampoline_kernelINS0_14default_configENS1_25partition_config_selectorILNS1_17partition_subalgoE9EssbEEZZNS1_14partition_implILS5_9ELb0ES3_jN6thrust23THRUST_200600_302600_NS6detail15normal_iteratorINS9_10device_ptrIsEEEESE_PNS0_10empty_typeENS0_5tupleIJSE_SF_EEENSH_IJSE_SG_EEENS0_18inequality_wrapperI22is_equal_div_10_uniqueIsEEEPmJSF_EEE10hipError_tPvRmT3_T4_T5_T6_T7_T9_mT8_P12ihipStream_tbDpT10_ENKUlT_T0_E_clISt17integral_constantIbLb0EES17_IbLb1EEEEDaS13_S14_EUlS13_E_NS1_11comp_targetILNS1_3genE4ELNS1_11target_archE910ELNS1_3gpuE8ELNS1_3repE0EEENS1_30default_config_static_selectorELNS0_4arch9wavefront6targetE0EEEvT1_,comdat
	.protected	_ZN7rocprim17ROCPRIM_400000_NS6detail17trampoline_kernelINS0_14default_configENS1_25partition_config_selectorILNS1_17partition_subalgoE9EssbEEZZNS1_14partition_implILS5_9ELb0ES3_jN6thrust23THRUST_200600_302600_NS6detail15normal_iteratorINS9_10device_ptrIsEEEESE_PNS0_10empty_typeENS0_5tupleIJSE_SF_EEENSH_IJSE_SG_EEENS0_18inequality_wrapperI22is_equal_div_10_uniqueIsEEEPmJSF_EEE10hipError_tPvRmT3_T4_T5_T6_T7_T9_mT8_P12ihipStream_tbDpT10_ENKUlT_T0_E_clISt17integral_constantIbLb0EES17_IbLb1EEEEDaS13_S14_EUlS13_E_NS1_11comp_targetILNS1_3genE4ELNS1_11target_archE910ELNS1_3gpuE8ELNS1_3repE0EEENS1_30default_config_static_selectorELNS0_4arch9wavefront6targetE0EEEvT1_ ; -- Begin function _ZN7rocprim17ROCPRIM_400000_NS6detail17trampoline_kernelINS0_14default_configENS1_25partition_config_selectorILNS1_17partition_subalgoE9EssbEEZZNS1_14partition_implILS5_9ELb0ES3_jN6thrust23THRUST_200600_302600_NS6detail15normal_iteratorINS9_10device_ptrIsEEEESE_PNS0_10empty_typeENS0_5tupleIJSE_SF_EEENSH_IJSE_SG_EEENS0_18inequality_wrapperI22is_equal_div_10_uniqueIsEEEPmJSF_EEE10hipError_tPvRmT3_T4_T5_T6_T7_T9_mT8_P12ihipStream_tbDpT10_ENKUlT_T0_E_clISt17integral_constantIbLb0EES17_IbLb1EEEEDaS13_S14_EUlS13_E_NS1_11comp_targetILNS1_3genE4ELNS1_11target_archE910ELNS1_3gpuE8ELNS1_3repE0EEENS1_30default_config_static_selectorELNS0_4arch9wavefront6targetE0EEEvT1_
	.globl	_ZN7rocprim17ROCPRIM_400000_NS6detail17trampoline_kernelINS0_14default_configENS1_25partition_config_selectorILNS1_17partition_subalgoE9EssbEEZZNS1_14partition_implILS5_9ELb0ES3_jN6thrust23THRUST_200600_302600_NS6detail15normal_iteratorINS9_10device_ptrIsEEEESE_PNS0_10empty_typeENS0_5tupleIJSE_SF_EEENSH_IJSE_SG_EEENS0_18inequality_wrapperI22is_equal_div_10_uniqueIsEEEPmJSF_EEE10hipError_tPvRmT3_T4_T5_T6_T7_T9_mT8_P12ihipStream_tbDpT10_ENKUlT_T0_E_clISt17integral_constantIbLb0EES17_IbLb1EEEEDaS13_S14_EUlS13_E_NS1_11comp_targetILNS1_3genE4ELNS1_11target_archE910ELNS1_3gpuE8ELNS1_3repE0EEENS1_30default_config_static_selectorELNS0_4arch9wavefront6targetE0EEEvT1_
	.p2align	8
	.type	_ZN7rocprim17ROCPRIM_400000_NS6detail17trampoline_kernelINS0_14default_configENS1_25partition_config_selectorILNS1_17partition_subalgoE9EssbEEZZNS1_14partition_implILS5_9ELb0ES3_jN6thrust23THRUST_200600_302600_NS6detail15normal_iteratorINS9_10device_ptrIsEEEESE_PNS0_10empty_typeENS0_5tupleIJSE_SF_EEENSH_IJSE_SG_EEENS0_18inequality_wrapperI22is_equal_div_10_uniqueIsEEEPmJSF_EEE10hipError_tPvRmT3_T4_T5_T6_T7_T9_mT8_P12ihipStream_tbDpT10_ENKUlT_T0_E_clISt17integral_constantIbLb0EES17_IbLb1EEEEDaS13_S14_EUlS13_E_NS1_11comp_targetILNS1_3genE4ELNS1_11target_archE910ELNS1_3gpuE8ELNS1_3repE0EEENS1_30default_config_static_selectorELNS0_4arch9wavefront6targetE0EEEvT1_,@function
_ZN7rocprim17ROCPRIM_400000_NS6detail17trampoline_kernelINS0_14default_configENS1_25partition_config_selectorILNS1_17partition_subalgoE9EssbEEZZNS1_14partition_implILS5_9ELb0ES3_jN6thrust23THRUST_200600_302600_NS6detail15normal_iteratorINS9_10device_ptrIsEEEESE_PNS0_10empty_typeENS0_5tupleIJSE_SF_EEENSH_IJSE_SG_EEENS0_18inequality_wrapperI22is_equal_div_10_uniqueIsEEEPmJSF_EEE10hipError_tPvRmT3_T4_T5_T6_T7_T9_mT8_P12ihipStream_tbDpT10_ENKUlT_T0_E_clISt17integral_constantIbLb0EES17_IbLb1EEEEDaS13_S14_EUlS13_E_NS1_11comp_targetILNS1_3genE4ELNS1_11target_archE910ELNS1_3gpuE8ELNS1_3repE0EEENS1_30default_config_static_selectorELNS0_4arch9wavefront6targetE0EEEvT1_: ; @_ZN7rocprim17ROCPRIM_400000_NS6detail17trampoline_kernelINS0_14default_configENS1_25partition_config_selectorILNS1_17partition_subalgoE9EssbEEZZNS1_14partition_implILS5_9ELb0ES3_jN6thrust23THRUST_200600_302600_NS6detail15normal_iteratorINS9_10device_ptrIsEEEESE_PNS0_10empty_typeENS0_5tupleIJSE_SF_EEENSH_IJSE_SG_EEENS0_18inequality_wrapperI22is_equal_div_10_uniqueIsEEEPmJSF_EEE10hipError_tPvRmT3_T4_T5_T6_T7_T9_mT8_P12ihipStream_tbDpT10_ENKUlT_T0_E_clISt17integral_constantIbLb0EES17_IbLb1EEEEDaS13_S14_EUlS13_E_NS1_11comp_targetILNS1_3genE4ELNS1_11target_archE910ELNS1_3gpuE8ELNS1_3repE0EEENS1_30default_config_static_selectorELNS0_4arch9wavefront6targetE0EEEvT1_
; %bb.0:
	.section	.rodata,"a",@progbits
	.p2align	6, 0x0
	.amdhsa_kernel _ZN7rocprim17ROCPRIM_400000_NS6detail17trampoline_kernelINS0_14default_configENS1_25partition_config_selectorILNS1_17partition_subalgoE9EssbEEZZNS1_14partition_implILS5_9ELb0ES3_jN6thrust23THRUST_200600_302600_NS6detail15normal_iteratorINS9_10device_ptrIsEEEESE_PNS0_10empty_typeENS0_5tupleIJSE_SF_EEENSH_IJSE_SG_EEENS0_18inequality_wrapperI22is_equal_div_10_uniqueIsEEEPmJSF_EEE10hipError_tPvRmT3_T4_T5_T6_T7_T9_mT8_P12ihipStream_tbDpT10_ENKUlT_T0_E_clISt17integral_constantIbLb0EES17_IbLb1EEEEDaS13_S14_EUlS13_E_NS1_11comp_targetILNS1_3genE4ELNS1_11target_archE910ELNS1_3gpuE8ELNS1_3repE0EEENS1_30default_config_static_selectorELNS0_4arch9wavefront6targetE0EEEvT1_
		.amdhsa_group_segment_fixed_size 0
		.amdhsa_private_segment_fixed_size 0
		.amdhsa_kernarg_size 128
		.amdhsa_user_sgpr_count 15
		.amdhsa_user_sgpr_dispatch_ptr 0
		.amdhsa_user_sgpr_queue_ptr 0
		.amdhsa_user_sgpr_kernarg_segment_ptr 1
		.amdhsa_user_sgpr_dispatch_id 0
		.amdhsa_user_sgpr_private_segment_size 0
		.amdhsa_wavefront_size32 1
		.amdhsa_uses_dynamic_stack 0
		.amdhsa_enable_private_segment 0
		.amdhsa_system_sgpr_workgroup_id_x 1
		.amdhsa_system_sgpr_workgroup_id_y 0
		.amdhsa_system_sgpr_workgroup_id_z 0
		.amdhsa_system_sgpr_workgroup_info 0
		.amdhsa_system_vgpr_workitem_id 0
		.amdhsa_next_free_vgpr 1
		.amdhsa_next_free_sgpr 1
		.amdhsa_reserve_vcc 0
		.amdhsa_float_round_mode_32 0
		.amdhsa_float_round_mode_16_64 0
		.amdhsa_float_denorm_mode_32 3
		.amdhsa_float_denorm_mode_16_64 3
		.amdhsa_dx10_clamp 1
		.amdhsa_ieee_mode 1
		.amdhsa_fp16_overflow 0
		.amdhsa_workgroup_processor_mode 1
		.amdhsa_memory_ordered 1
		.amdhsa_forward_progress 0
		.amdhsa_shared_vgpr_count 0
		.amdhsa_exception_fp_ieee_invalid_op 0
		.amdhsa_exception_fp_denorm_src 0
		.amdhsa_exception_fp_ieee_div_zero 0
		.amdhsa_exception_fp_ieee_overflow 0
		.amdhsa_exception_fp_ieee_underflow 0
		.amdhsa_exception_fp_ieee_inexact 0
		.amdhsa_exception_int_div_zero 0
	.end_amdhsa_kernel
	.section	.text._ZN7rocprim17ROCPRIM_400000_NS6detail17trampoline_kernelINS0_14default_configENS1_25partition_config_selectorILNS1_17partition_subalgoE9EssbEEZZNS1_14partition_implILS5_9ELb0ES3_jN6thrust23THRUST_200600_302600_NS6detail15normal_iteratorINS9_10device_ptrIsEEEESE_PNS0_10empty_typeENS0_5tupleIJSE_SF_EEENSH_IJSE_SG_EEENS0_18inequality_wrapperI22is_equal_div_10_uniqueIsEEEPmJSF_EEE10hipError_tPvRmT3_T4_T5_T6_T7_T9_mT8_P12ihipStream_tbDpT10_ENKUlT_T0_E_clISt17integral_constantIbLb0EES17_IbLb1EEEEDaS13_S14_EUlS13_E_NS1_11comp_targetILNS1_3genE4ELNS1_11target_archE910ELNS1_3gpuE8ELNS1_3repE0EEENS1_30default_config_static_selectorELNS0_4arch9wavefront6targetE0EEEvT1_,"axG",@progbits,_ZN7rocprim17ROCPRIM_400000_NS6detail17trampoline_kernelINS0_14default_configENS1_25partition_config_selectorILNS1_17partition_subalgoE9EssbEEZZNS1_14partition_implILS5_9ELb0ES3_jN6thrust23THRUST_200600_302600_NS6detail15normal_iteratorINS9_10device_ptrIsEEEESE_PNS0_10empty_typeENS0_5tupleIJSE_SF_EEENSH_IJSE_SG_EEENS0_18inequality_wrapperI22is_equal_div_10_uniqueIsEEEPmJSF_EEE10hipError_tPvRmT3_T4_T5_T6_T7_T9_mT8_P12ihipStream_tbDpT10_ENKUlT_T0_E_clISt17integral_constantIbLb0EES17_IbLb1EEEEDaS13_S14_EUlS13_E_NS1_11comp_targetILNS1_3genE4ELNS1_11target_archE910ELNS1_3gpuE8ELNS1_3repE0EEENS1_30default_config_static_selectorELNS0_4arch9wavefront6targetE0EEEvT1_,comdat
.Lfunc_end527:
	.size	_ZN7rocprim17ROCPRIM_400000_NS6detail17trampoline_kernelINS0_14default_configENS1_25partition_config_selectorILNS1_17partition_subalgoE9EssbEEZZNS1_14partition_implILS5_9ELb0ES3_jN6thrust23THRUST_200600_302600_NS6detail15normal_iteratorINS9_10device_ptrIsEEEESE_PNS0_10empty_typeENS0_5tupleIJSE_SF_EEENSH_IJSE_SG_EEENS0_18inequality_wrapperI22is_equal_div_10_uniqueIsEEEPmJSF_EEE10hipError_tPvRmT3_T4_T5_T6_T7_T9_mT8_P12ihipStream_tbDpT10_ENKUlT_T0_E_clISt17integral_constantIbLb0EES17_IbLb1EEEEDaS13_S14_EUlS13_E_NS1_11comp_targetILNS1_3genE4ELNS1_11target_archE910ELNS1_3gpuE8ELNS1_3repE0EEENS1_30default_config_static_selectorELNS0_4arch9wavefront6targetE0EEEvT1_, .Lfunc_end527-_ZN7rocprim17ROCPRIM_400000_NS6detail17trampoline_kernelINS0_14default_configENS1_25partition_config_selectorILNS1_17partition_subalgoE9EssbEEZZNS1_14partition_implILS5_9ELb0ES3_jN6thrust23THRUST_200600_302600_NS6detail15normal_iteratorINS9_10device_ptrIsEEEESE_PNS0_10empty_typeENS0_5tupleIJSE_SF_EEENSH_IJSE_SG_EEENS0_18inequality_wrapperI22is_equal_div_10_uniqueIsEEEPmJSF_EEE10hipError_tPvRmT3_T4_T5_T6_T7_T9_mT8_P12ihipStream_tbDpT10_ENKUlT_T0_E_clISt17integral_constantIbLb0EES17_IbLb1EEEEDaS13_S14_EUlS13_E_NS1_11comp_targetILNS1_3genE4ELNS1_11target_archE910ELNS1_3gpuE8ELNS1_3repE0EEENS1_30default_config_static_selectorELNS0_4arch9wavefront6targetE0EEEvT1_
                                        ; -- End function
	.section	.AMDGPU.csdata,"",@progbits
; Kernel info:
; codeLenInByte = 0
; NumSgprs: 0
; NumVgprs: 0
; ScratchSize: 0
; MemoryBound: 0
; FloatMode: 240
; IeeeMode: 1
; LDSByteSize: 0 bytes/workgroup (compile time only)
; SGPRBlocks: 0
; VGPRBlocks: 0
; NumSGPRsForWavesPerEU: 1
; NumVGPRsForWavesPerEU: 1
; Occupancy: 16
; WaveLimiterHint : 0
; COMPUTE_PGM_RSRC2:SCRATCH_EN: 0
; COMPUTE_PGM_RSRC2:USER_SGPR: 15
; COMPUTE_PGM_RSRC2:TRAP_HANDLER: 0
; COMPUTE_PGM_RSRC2:TGID_X_EN: 1
; COMPUTE_PGM_RSRC2:TGID_Y_EN: 0
; COMPUTE_PGM_RSRC2:TGID_Z_EN: 0
; COMPUTE_PGM_RSRC2:TIDIG_COMP_CNT: 0
	.section	.text._ZN7rocprim17ROCPRIM_400000_NS6detail17trampoline_kernelINS0_14default_configENS1_25partition_config_selectorILNS1_17partition_subalgoE9EssbEEZZNS1_14partition_implILS5_9ELb0ES3_jN6thrust23THRUST_200600_302600_NS6detail15normal_iteratorINS9_10device_ptrIsEEEESE_PNS0_10empty_typeENS0_5tupleIJSE_SF_EEENSH_IJSE_SG_EEENS0_18inequality_wrapperI22is_equal_div_10_uniqueIsEEEPmJSF_EEE10hipError_tPvRmT3_T4_T5_T6_T7_T9_mT8_P12ihipStream_tbDpT10_ENKUlT_T0_E_clISt17integral_constantIbLb0EES17_IbLb1EEEEDaS13_S14_EUlS13_E_NS1_11comp_targetILNS1_3genE3ELNS1_11target_archE908ELNS1_3gpuE7ELNS1_3repE0EEENS1_30default_config_static_selectorELNS0_4arch9wavefront6targetE0EEEvT1_,"axG",@progbits,_ZN7rocprim17ROCPRIM_400000_NS6detail17trampoline_kernelINS0_14default_configENS1_25partition_config_selectorILNS1_17partition_subalgoE9EssbEEZZNS1_14partition_implILS5_9ELb0ES3_jN6thrust23THRUST_200600_302600_NS6detail15normal_iteratorINS9_10device_ptrIsEEEESE_PNS0_10empty_typeENS0_5tupleIJSE_SF_EEENSH_IJSE_SG_EEENS0_18inequality_wrapperI22is_equal_div_10_uniqueIsEEEPmJSF_EEE10hipError_tPvRmT3_T4_T5_T6_T7_T9_mT8_P12ihipStream_tbDpT10_ENKUlT_T0_E_clISt17integral_constantIbLb0EES17_IbLb1EEEEDaS13_S14_EUlS13_E_NS1_11comp_targetILNS1_3genE3ELNS1_11target_archE908ELNS1_3gpuE7ELNS1_3repE0EEENS1_30default_config_static_selectorELNS0_4arch9wavefront6targetE0EEEvT1_,comdat
	.protected	_ZN7rocprim17ROCPRIM_400000_NS6detail17trampoline_kernelINS0_14default_configENS1_25partition_config_selectorILNS1_17partition_subalgoE9EssbEEZZNS1_14partition_implILS5_9ELb0ES3_jN6thrust23THRUST_200600_302600_NS6detail15normal_iteratorINS9_10device_ptrIsEEEESE_PNS0_10empty_typeENS0_5tupleIJSE_SF_EEENSH_IJSE_SG_EEENS0_18inequality_wrapperI22is_equal_div_10_uniqueIsEEEPmJSF_EEE10hipError_tPvRmT3_T4_T5_T6_T7_T9_mT8_P12ihipStream_tbDpT10_ENKUlT_T0_E_clISt17integral_constantIbLb0EES17_IbLb1EEEEDaS13_S14_EUlS13_E_NS1_11comp_targetILNS1_3genE3ELNS1_11target_archE908ELNS1_3gpuE7ELNS1_3repE0EEENS1_30default_config_static_selectorELNS0_4arch9wavefront6targetE0EEEvT1_ ; -- Begin function _ZN7rocprim17ROCPRIM_400000_NS6detail17trampoline_kernelINS0_14default_configENS1_25partition_config_selectorILNS1_17partition_subalgoE9EssbEEZZNS1_14partition_implILS5_9ELb0ES3_jN6thrust23THRUST_200600_302600_NS6detail15normal_iteratorINS9_10device_ptrIsEEEESE_PNS0_10empty_typeENS0_5tupleIJSE_SF_EEENSH_IJSE_SG_EEENS0_18inequality_wrapperI22is_equal_div_10_uniqueIsEEEPmJSF_EEE10hipError_tPvRmT3_T4_T5_T6_T7_T9_mT8_P12ihipStream_tbDpT10_ENKUlT_T0_E_clISt17integral_constantIbLb0EES17_IbLb1EEEEDaS13_S14_EUlS13_E_NS1_11comp_targetILNS1_3genE3ELNS1_11target_archE908ELNS1_3gpuE7ELNS1_3repE0EEENS1_30default_config_static_selectorELNS0_4arch9wavefront6targetE0EEEvT1_
	.globl	_ZN7rocprim17ROCPRIM_400000_NS6detail17trampoline_kernelINS0_14default_configENS1_25partition_config_selectorILNS1_17partition_subalgoE9EssbEEZZNS1_14partition_implILS5_9ELb0ES3_jN6thrust23THRUST_200600_302600_NS6detail15normal_iteratorINS9_10device_ptrIsEEEESE_PNS0_10empty_typeENS0_5tupleIJSE_SF_EEENSH_IJSE_SG_EEENS0_18inequality_wrapperI22is_equal_div_10_uniqueIsEEEPmJSF_EEE10hipError_tPvRmT3_T4_T5_T6_T7_T9_mT8_P12ihipStream_tbDpT10_ENKUlT_T0_E_clISt17integral_constantIbLb0EES17_IbLb1EEEEDaS13_S14_EUlS13_E_NS1_11comp_targetILNS1_3genE3ELNS1_11target_archE908ELNS1_3gpuE7ELNS1_3repE0EEENS1_30default_config_static_selectorELNS0_4arch9wavefront6targetE0EEEvT1_
	.p2align	8
	.type	_ZN7rocprim17ROCPRIM_400000_NS6detail17trampoline_kernelINS0_14default_configENS1_25partition_config_selectorILNS1_17partition_subalgoE9EssbEEZZNS1_14partition_implILS5_9ELb0ES3_jN6thrust23THRUST_200600_302600_NS6detail15normal_iteratorINS9_10device_ptrIsEEEESE_PNS0_10empty_typeENS0_5tupleIJSE_SF_EEENSH_IJSE_SG_EEENS0_18inequality_wrapperI22is_equal_div_10_uniqueIsEEEPmJSF_EEE10hipError_tPvRmT3_T4_T5_T6_T7_T9_mT8_P12ihipStream_tbDpT10_ENKUlT_T0_E_clISt17integral_constantIbLb0EES17_IbLb1EEEEDaS13_S14_EUlS13_E_NS1_11comp_targetILNS1_3genE3ELNS1_11target_archE908ELNS1_3gpuE7ELNS1_3repE0EEENS1_30default_config_static_selectorELNS0_4arch9wavefront6targetE0EEEvT1_,@function
_ZN7rocprim17ROCPRIM_400000_NS6detail17trampoline_kernelINS0_14default_configENS1_25partition_config_selectorILNS1_17partition_subalgoE9EssbEEZZNS1_14partition_implILS5_9ELb0ES3_jN6thrust23THRUST_200600_302600_NS6detail15normal_iteratorINS9_10device_ptrIsEEEESE_PNS0_10empty_typeENS0_5tupleIJSE_SF_EEENSH_IJSE_SG_EEENS0_18inequality_wrapperI22is_equal_div_10_uniqueIsEEEPmJSF_EEE10hipError_tPvRmT3_T4_T5_T6_T7_T9_mT8_P12ihipStream_tbDpT10_ENKUlT_T0_E_clISt17integral_constantIbLb0EES17_IbLb1EEEEDaS13_S14_EUlS13_E_NS1_11comp_targetILNS1_3genE3ELNS1_11target_archE908ELNS1_3gpuE7ELNS1_3repE0EEENS1_30default_config_static_selectorELNS0_4arch9wavefront6targetE0EEEvT1_: ; @_ZN7rocprim17ROCPRIM_400000_NS6detail17trampoline_kernelINS0_14default_configENS1_25partition_config_selectorILNS1_17partition_subalgoE9EssbEEZZNS1_14partition_implILS5_9ELb0ES3_jN6thrust23THRUST_200600_302600_NS6detail15normal_iteratorINS9_10device_ptrIsEEEESE_PNS0_10empty_typeENS0_5tupleIJSE_SF_EEENSH_IJSE_SG_EEENS0_18inequality_wrapperI22is_equal_div_10_uniqueIsEEEPmJSF_EEE10hipError_tPvRmT3_T4_T5_T6_T7_T9_mT8_P12ihipStream_tbDpT10_ENKUlT_T0_E_clISt17integral_constantIbLb0EES17_IbLb1EEEEDaS13_S14_EUlS13_E_NS1_11comp_targetILNS1_3genE3ELNS1_11target_archE908ELNS1_3gpuE7ELNS1_3repE0EEENS1_30default_config_static_selectorELNS0_4arch9wavefront6targetE0EEEvT1_
; %bb.0:
	.section	.rodata,"a",@progbits
	.p2align	6, 0x0
	.amdhsa_kernel _ZN7rocprim17ROCPRIM_400000_NS6detail17trampoline_kernelINS0_14default_configENS1_25partition_config_selectorILNS1_17partition_subalgoE9EssbEEZZNS1_14partition_implILS5_9ELb0ES3_jN6thrust23THRUST_200600_302600_NS6detail15normal_iteratorINS9_10device_ptrIsEEEESE_PNS0_10empty_typeENS0_5tupleIJSE_SF_EEENSH_IJSE_SG_EEENS0_18inequality_wrapperI22is_equal_div_10_uniqueIsEEEPmJSF_EEE10hipError_tPvRmT3_T4_T5_T6_T7_T9_mT8_P12ihipStream_tbDpT10_ENKUlT_T0_E_clISt17integral_constantIbLb0EES17_IbLb1EEEEDaS13_S14_EUlS13_E_NS1_11comp_targetILNS1_3genE3ELNS1_11target_archE908ELNS1_3gpuE7ELNS1_3repE0EEENS1_30default_config_static_selectorELNS0_4arch9wavefront6targetE0EEEvT1_
		.amdhsa_group_segment_fixed_size 0
		.amdhsa_private_segment_fixed_size 0
		.amdhsa_kernarg_size 128
		.amdhsa_user_sgpr_count 15
		.amdhsa_user_sgpr_dispatch_ptr 0
		.amdhsa_user_sgpr_queue_ptr 0
		.amdhsa_user_sgpr_kernarg_segment_ptr 1
		.amdhsa_user_sgpr_dispatch_id 0
		.amdhsa_user_sgpr_private_segment_size 0
		.amdhsa_wavefront_size32 1
		.amdhsa_uses_dynamic_stack 0
		.amdhsa_enable_private_segment 0
		.amdhsa_system_sgpr_workgroup_id_x 1
		.amdhsa_system_sgpr_workgroup_id_y 0
		.amdhsa_system_sgpr_workgroup_id_z 0
		.amdhsa_system_sgpr_workgroup_info 0
		.amdhsa_system_vgpr_workitem_id 0
		.amdhsa_next_free_vgpr 1
		.amdhsa_next_free_sgpr 1
		.amdhsa_reserve_vcc 0
		.amdhsa_float_round_mode_32 0
		.amdhsa_float_round_mode_16_64 0
		.amdhsa_float_denorm_mode_32 3
		.amdhsa_float_denorm_mode_16_64 3
		.amdhsa_dx10_clamp 1
		.amdhsa_ieee_mode 1
		.amdhsa_fp16_overflow 0
		.amdhsa_workgroup_processor_mode 1
		.amdhsa_memory_ordered 1
		.amdhsa_forward_progress 0
		.amdhsa_shared_vgpr_count 0
		.amdhsa_exception_fp_ieee_invalid_op 0
		.amdhsa_exception_fp_denorm_src 0
		.amdhsa_exception_fp_ieee_div_zero 0
		.amdhsa_exception_fp_ieee_overflow 0
		.amdhsa_exception_fp_ieee_underflow 0
		.amdhsa_exception_fp_ieee_inexact 0
		.amdhsa_exception_int_div_zero 0
	.end_amdhsa_kernel
	.section	.text._ZN7rocprim17ROCPRIM_400000_NS6detail17trampoline_kernelINS0_14default_configENS1_25partition_config_selectorILNS1_17partition_subalgoE9EssbEEZZNS1_14partition_implILS5_9ELb0ES3_jN6thrust23THRUST_200600_302600_NS6detail15normal_iteratorINS9_10device_ptrIsEEEESE_PNS0_10empty_typeENS0_5tupleIJSE_SF_EEENSH_IJSE_SG_EEENS0_18inequality_wrapperI22is_equal_div_10_uniqueIsEEEPmJSF_EEE10hipError_tPvRmT3_T4_T5_T6_T7_T9_mT8_P12ihipStream_tbDpT10_ENKUlT_T0_E_clISt17integral_constantIbLb0EES17_IbLb1EEEEDaS13_S14_EUlS13_E_NS1_11comp_targetILNS1_3genE3ELNS1_11target_archE908ELNS1_3gpuE7ELNS1_3repE0EEENS1_30default_config_static_selectorELNS0_4arch9wavefront6targetE0EEEvT1_,"axG",@progbits,_ZN7rocprim17ROCPRIM_400000_NS6detail17trampoline_kernelINS0_14default_configENS1_25partition_config_selectorILNS1_17partition_subalgoE9EssbEEZZNS1_14partition_implILS5_9ELb0ES3_jN6thrust23THRUST_200600_302600_NS6detail15normal_iteratorINS9_10device_ptrIsEEEESE_PNS0_10empty_typeENS0_5tupleIJSE_SF_EEENSH_IJSE_SG_EEENS0_18inequality_wrapperI22is_equal_div_10_uniqueIsEEEPmJSF_EEE10hipError_tPvRmT3_T4_T5_T6_T7_T9_mT8_P12ihipStream_tbDpT10_ENKUlT_T0_E_clISt17integral_constantIbLb0EES17_IbLb1EEEEDaS13_S14_EUlS13_E_NS1_11comp_targetILNS1_3genE3ELNS1_11target_archE908ELNS1_3gpuE7ELNS1_3repE0EEENS1_30default_config_static_selectorELNS0_4arch9wavefront6targetE0EEEvT1_,comdat
.Lfunc_end528:
	.size	_ZN7rocprim17ROCPRIM_400000_NS6detail17trampoline_kernelINS0_14default_configENS1_25partition_config_selectorILNS1_17partition_subalgoE9EssbEEZZNS1_14partition_implILS5_9ELb0ES3_jN6thrust23THRUST_200600_302600_NS6detail15normal_iteratorINS9_10device_ptrIsEEEESE_PNS0_10empty_typeENS0_5tupleIJSE_SF_EEENSH_IJSE_SG_EEENS0_18inequality_wrapperI22is_equal_div_10_uniqueIsEEEPmJSF_EEE10hipError_tPvRmT3_T4_T5_T6_T7_T9_mT8_P12ihipStream_tbDpT10_ENKUlT_T0_E_clISt17integral_constantIbLb0EES17_IbLb1EEEEDaS13_S14_EUlS13_E_NS1_11comp_targetILNS1_3genE3ELNS1_11target_archE908ELNS1_3gpuE7ELNS1_3repE0EEENS1_30default_config_static_selectorELNS0_4arch9wavefront6targetE0EEEvT1_, .Lfunc_end528-_ZN7rocprim17ROCPRIM_400000_NS6detail17trampoline_kernelINS0_14default_configENS1_25partition_config_selectorILNS1_17partition_subalgoE9EssbEEZZNS1_14partition_implILS5_9ELb0ES3_jN6thrust23THRUST_200600_302600_NS6detail15normal_iteratorINS9_10device_ptrIsEEEESE_PNS0_10empty_typeENS0_5tupleIJSE_SF_EEENSH_IJSE_SG_EEENS0_18inequality_wrapperI22is_equal_div_10_uniqueIsEEEPmJSF_EEE10hipError_tPvRmT3_T4_T5_T6_T7_T9_mT8_P12ihipStream_tbDpT10_ENKUlT_T0_E_clISt17integral_constantIbLb0EES17_IbLb1EEEEDaS13_S14_EUlS13_E_NS1_11comp_targetILNS1_3genE3ELNS1_11target_archE908ELNS1_3gpuE7ELNS1_3repE0EEENS1_30default_config_static_selectorELNS0_4arch9wavefront6targetE0EEEvT1_
                                        ; -- End function
	.section	.AMDGPU.csdata,"",@progbits
; Kernel info:
; codeLenInByte = 0
; NumSgprs: 0
; NumVgprs: 0
; ScratchSize: 0
; MemoryBound: 0
; FloatMode: 240
; IeeeMode: 1
; LDSByteSize: 0 bytes/workgroup (compile time only)
; SGPRBlocks: 0
; VGPRBlocks: 0
; NumSGPRsForWavesPerEU: 1
; NumVGPRsForWavesPerEU: 1
; Occupancy: 16
; WaveLimiterHint : 0
; COMPUTE_PGM_RSRC2:SCRATCH_EN: 0
; COMPUTE_PGM_RSRC2:USER_SGPR: 15
; COMPUTE_PGM_RSRC2:TRAP_HANDLER: 0
; COMPUTE_PGM_RSRC2:TGID_X_EN: 1
; COMPUTE_PGM_RSRC2:TGID_Y_EN: 0
; COMPUTE_PGM_RSRC2:TGID_Z_EN: 0
; COMPUTE_PGM_RSRC2:TIDIG_COMP_CNT: 0
	.section	.text._ZN7rocprim17ROCPRIM_400000_NS6detail17trampoline_kernelINS0_14default_configENS1_25partition_config_selectorILNS1_17partition_subalgoE9EssbEEZZNS1_14partition_implILS5_9ELb0ES3_jN6thrust23THRUST_200600_302600_NS6detail15normal_iteratorINS9_10device_ptrIsEEEESE_PNS0_10empty_typeENS0_5tupleIJSE_SF_EEENSH_IJSE_SG_EEENS0_18inequality_wrapperI22is_equal_div_10_uniqueIsEEEPmJSF_EEE10hipError_tPvRmT3_T4_T5_T6_T7_T9_mT8_P12ihipStream_tbDpT10_ENKUlT_T0_E_clISt17integral_constantIbLb0EES17_IbLb1EEEEDaS13_S14_EUlS13_E_NS1_11comp_targetILNS1_3genE2ELNS1_11target_archE906ELNS1_3gpuE6ELNS1_3repE0EEENS1_30default_config_static_selectorELNS0_4arch9wavefront6targetE0EEEvT1_,"axG",@progbits,_ZN7rocprim17ROCPRIM_400000_NS6detail17trampoline_kernelINS0_14default_configENS1_25partition_config_selectorILNS1_17partition_subalgoE9EssbEEZZNS1_14partition_implILS5_9ELb0ES3_jN6thrust23THRUST_200600_302600_NS6detail15normal_iteratorINS9_10device_ptrIsEEEESE_PNS0_10empty_typeENS0_5tupleIJSE_SF_EEENSH_IJSE_SG_EEENS0_18inequality_wrapperI22is_equal_div_10_uniqueIsEEEPmJSF_EEE10hipError_tPvRmT3_T4_T5_T6_T7_T9_mT8_P12ihipStream_tbDpT10_ENKUlT_T0_E_clISt17integral_constantIbLb0EES17_IbLb1EEEEDaS13_S14_EUlS13_E_NS1_11comp_targetILNS1_3genE2ELNS1_11target_archE906ELNS1_3gpuE6ELNS1_3repE0EEENS1_30default_config_static_selectorELNS0_4arch9wavefront6targetE0EEEvT1_,comdat
	.protected	_ZN7rocprim17ROCPRIM_400000_NS6detail17trampoline_kernelINS0_14default_configENS1_25partition_config_selectorILNS1_17partition_subalgoE9EssbEEZZNS1_14partition_implILS5_9ELb0ES3_jN6thrust23THRUST_200600_302600_NS6detail15normal_iteratorINS9_10device_ptrIsEEEESE_PNS0_10empty_typeENS0_5tupleIJSE_SF_EEENSH_IJSE_SG_EEENS0_18inequality_wrapperI22is_equal_div_10_uniqueIsEEEPmJSF_EEE10hipError_tPvRmT3_T4_T5_T6_T7_T9_mT8_P12ihipStream_tbDpT10_ENKUlT_T0_E_clISt17integral_constantIbLb0EES17_IbLb1EEEEDaS13_S14_EUlS13_E_NS1_11comp_targetILNS1_3genE2ELNS1_11target_archE906ELNS1_3gpuE6ELNS1_3repE0EEENS1_30default_config_static_selectorELNS0_4arch9wavefront6targetE0EEEvT1_ ; -- Begin function _ZN7rocprim17ROCPRIM_400000_NS6detail17trampoline_kernelINS0_14default_configENS1_25partition_config_selectorILNS1_17partition_subalgoE9EssbEEZZNS1_14partition_implILS5_9ELb0ES3_jN6thrust23THRUST_200600_302600_NS6detail15normal_iteratorINS9_10device_ptrIsEEEESE_PNS0_10empty_typeENS0_5tupleIJSE_SF_EEENSH_IJSE_SG_EEENS0_18inequality_wrapperI22is_equal_div_10_uniqueIsEEEPmJSF_EEE10hipError_tPvRmT3_T4_T5_T6_T7_T9_mT8_P12ihipStream_tbDpT10_ENKUlT_T0_E_clISt17integral_constantIbLb0EES17_IbLb1EEEEDaS13_S14_EUlS13_E_NS1_11comp_targetILNS1_3genE2ELNS1_11target_archE906ELNS1_3gpuE6ELNS1_3repE0EEENS1_30default_config_static_selectorELNS0_4arch9wavefront6targetE0EEEvT1_
	.globl	_ZN7rocprim17ROCPRIM_400000_NS6detail17trampoline_kernelINS0_14default_configENS1_25partition_config_selectorILNS1_17partition_subalgoE9EssbEEZZNS1_14partition_implILS5_9ELb0ES3_jN6thrust23THRUST_200600_302600_NS6detail15normal_iteratorINS9_10device_ptrIsEEEESE_PNS0_10empty_typeENS0_5tupleIJSE_SF_EEENSH_IJSE_SG_EEENS0_18inequality_wrapperI22is_equal_div_10_uniqueIsEEEPmJSF_EEE10hipError_tPvRmT3_T4_T5_T6_T7_T9_mT8_P12ihipStream_tbDpT10_ENKUlT_T0_E_clISt17integral_constantIbLb0EES17_IbLb1EEEEDaS13_S14_EUlS13_E_NS1_11comp_targetILNS1_3genE2ELNS1_11target_archE906ELNS1_3gpuE6ELNS1_3repE0EEENS1_30default_config_static_selectorELNS0_4arch9wavefront6targetE0EEEvT1_
	.p2align	8
	.type	_ZN7rocprim17ROCPRIM_400000_NS6detail17trampoline_kernelINS0_14default_configENS1_25partition_config_selectorILNS1_17partition_subalgoE9EssbEEZZNS1_14partition_implILS5_9ELb0ES3_jN6thrust23THRUST_200600_302600_NS6detail15normal_iteratorINS9_10device_ptrIsEEEESE_PNS0_10empty_typeENS0_5tupleIJSE_SF_EEENSH_IJSE_SG_EEENS0_18inequality_wrapperI22is_equal_div_10_uniqueIsEEEPmJSF_EEE10hipError_tPvRmT3_T4_T5_T6_T7_T9_mT8_P12ihipStream_tbDpT10_ENKUlT_T0_E_clISt17integral_constantIbLb0EES17_IbLb1EEEEDaS13_S14_EUlS13_E_NS1_11comp_targetILNS1_3genE2ELNS1_11target_archE906ELNS1_3gpuE6ELNS1_3repE0EEENS1_30default_config_static_selectorELNS0_4arch9wavefront6targetE0EEEvT1_,@function
_ZN7rocprim17ROCPRIM_400000_NS6detail17trampoline_kernelINS0_14default_configENS1_25partition_config_selectorILNS1_17partition_subalgoE9EssbEEZZNS1_14partition_implILS5_9ELb0ES3_jN6thrust23THRUST_200600_302600_NS6detail15normal_iteratorINS9_10device_ptrIsEEEESE_PNS0_10empty_typeENS0_5tupleIJSE_SF_EEENSH_IJSE_SG_EEENS0_18inequality_wrapperI22is_equal_div_10_uniqueIsEEEPmJSF_EEE10hipError_tPvRmT3_T4_T5_T6_T7_T9_mT8_P12ihipStream_tbDpT10_ENKUlT_T0_E_clISt17integral_constantIbLb0EES17_IbLb1EEEEDaS13_S14_EUlS13_E_NS1_11comp_targetILNS1_3genE2ELNS1_11target_archE906ELNS1_3gpuE6ELNS1_3repE0EEENS1_30default_config_static_selectorELNS0_4arch9wavefront6targetE0EEEvT1_: ; @_ZN7rocprim17ROCPRIM_400000_NS6detail17trampoline_kernelINS0_14default_configENS1_25partition_config_selectorILNS1_17partition_subalgoE9EssbEEZZNS1_14partition_implILS5_9ELb0ES3_jN6thrust23THRUST_200600_302600_NS6detail15normal_iteratorINS9_10device_ptrIsEEEESE_PNS0_10empty_typeENS0_5tupleIJSE_SF_EEENSH_IJSE_SG_EEENS0_18inequality_wrapperI22is_equal_div_10_uniqueIsEEEPmJSF_EEE10hipError_tPvRmT3_T4_T5_T6_T7_T9_mT8_P12ihipStream_tbDpT10_ENKUlT_T0_E_clISt17integral_constantIbLb0EES17_IbLb1EEEEDaS13_S14_EUlS13_E_NS1_11comp_targetILNS1_3genE2ELNS1_11target_archE906ELNS1_3gpuE6ELNS1_3repE0EEENS1_30default_config_static_selectorELNS0_4arch9wavefront6targetE0EEEvT1_
; %bb.0:
	.section	.rodata,"a",@progbits
	.p2align	6, 0x0
	.amdhsa_kernel _ZN7rocprim17ROCPRIM_400000_NS6detail17trampoline_kernelINS0_14default_configENS1_25partition_config_selectorILNS1_17partition_subalgoE9EssbEEZZNS1_14partition_implILS5_9ELb0ES3_jN6thrust23THRUST_200600_302600_NS6detail15normal_iteratorINS9_10device_ptrIsEEEESE_PNS0_10empty_typeENS0_5tupleIJSE_SF_EEENSH_IJSE_SG_EEENS0_18inequality_wrapperI22is_equal_div_10_uniqueIsEEEPmJSF_EEE10hipError_tPvRmT3_T4_T5_T6_T7_T9_mT8_P12ihipStream_tbDpT10_ENKUlT_T0_E_clISt17integral_constantIbLb0EES17_IbLb1EEEEDaS13_S14_EUlS13_E_NS1_11comp_targetILNS1_3genE2ELNS1_11target_archE906ELNS1_3gpuE6ELNS1_3repE0EEENS1_30default_config_static_selectorELNS0_4arch9wavefront6targetE0EEEvT1_
		.amdhsa_group_segment_fixed_size 0
		.amdhsa_private_segment_fixed_size 0
		.amdhsa_kernarg_size 128
		.amdhsa_user_sgpr_count 15
		.amdhsa_user_sgpr_dispatch_ptr 0
		.amdhsa_user_sgpr_queue_ptr 0
		.amdhsa_user_sgpr_kernarg_segment_ptr 1
		.amdhsa_user_sgpr_dispatch_id 0
		.amdhsa_user_sgpr_private_segment_size 0
		.amdhsa_wavefront_size32 1
		.amdhsa_uses_dynamic_stack 0
		.amdhsa_enable_private_segment 0
		.amdhsa_system_sgpr_workgroup_id_x 1
		.amdhsa_system_sgpr_workgroup_id_y 0
		.amdhsa_system_sgpr_workgroup_id_z 0
		.amdhsa_system_sgpr_workgroup_info 0
		.amdhsa_system_vgpr_workitem_id 0
		.amdhsa_next_free_vgpr 1
		.amdhsa_next_free_sgpr 1
		.amdhsa_reserve_vcc 0
		.amdhsa_float_round_mode_32 0
		.amdhsa_float_round_mode_16_64 0
		.amdhsa_float_denorm_mode_32 3
		.amdhsa_float_denorm_mode_16_64 3
		.amdhsa_dx10_clamp 1
		.amdhsa_ieee_mode 1
		.amdhsa_fp16_overflow 0
		.amdhsa_workgroup_processor_mode 1
		.amdhsa_memory_ordered 1
		.amdhsa_forward_progress 0
		.amdhsa_shared_vgpr_count 0
		.amdhsa_exception_fp_ieee_invalid_op 0
		.amdhsa_exception_fp_denorm_src 0
		.amdhsa_exception_fp_ieee_div_zero 0
		.amdhsa_exception_fp_ieee_overflow 0
		.amdhsa_exception_fp_ieee_underflow 0
		.amdhsa_exception_fp_ieee_inexact 0
		.amdhsa_exception_int_div_zero 0
	.end_amdhsa_kernel
	.section	.text._ZN7rocprim17ROCPRIM_400000_NS6detail17trampoline_kernelINS0_14default_configENS1_25partition_config_selectorILNS1_17partition_subalgoE9EssbEEZZNS1_14partition_implILS5_9ELb0ES3_jN6thrust23THRUST_200600_302600_NS6detail15normal_iteratorINS9_10device_ptrIsEEEESE_PNS0_10empty_typeENS0_5tupleIJSE_SF_EEENSH_IJSE_SG_EEENS0_18inequality_wrapperI22is_equal_div_10_uniqueIsEEEPmJSF_EEE10hipError_tPvRmT3_T4_T5_T6_T7_T9_mT8_P12ihipStream_tbDpT10_ENKUlT_T0_E_clISt17integral_constantIbLb0EES17_IbLb1EEEEDaS13_S14_EUlS13_E_NS1_11comp_targetILNS1_3genE2ELNS1_11target_archE906ELNS1_3gpuE6ELNS1_3repE0EEENS1_30default_config_static_selectorELNS0_4arch9wavefront6targetE0EEEvT1_,"axG",@progbits,_ZN7rocprim17ROCPRIM_400000_NS6detail17trampoline_kernelINS0_14default_configENS1_25partition_config_selectorILNS1_17partition_subalgoE9EssbEEZZNS1_14partition_implILS5_9ELb0ES3_jN6thrust23THRUST_200600_302600_NS6detail15normal_iteratorINS9_10device_ptrIsEEEESE_PNS0_10empty_typeENS0_5tupleIJSE_SF_EEENSH_IJSE_SG_EEENS0_18inequality_wrapperI22is_equal_div_10_uniqueIsEEEPmJSF_EEE10hipError_tPvRmT3_T4_T5_T6_T7_T9_mT8_P12ihipStream_tbDpT10_ENKUlT_T0_E_clISt17integral_constantIbLb0EES17_IbLb1EEEEDaS13_S14_EUlS13_E_NS1_11comp_targetILNS1_3genE2ELNS1_11target_archE906ELNS1_3gpuE6ELNS1_3repE0EEENS1_30default_config_static_selectorELNS0_4arch9wavefront6targetE0EEEvT1_,comdat
.Lfunc_end529:
	.size	_ZN7rocprim17ROCPRIM_400000_NS6detail17trampoline_kernelINS0_14default_configENS1_25partition_config_selectorILNS1_17partition_subalgoE9EssbEEZZNS1_14partition_implILS5_9ELb0ES3_jN6thrust23THRUST_200600_302600_NS6detail15normal_iteratorINS9_10device_ptrIsEEEESE_PNS0_10empty_typeENS0_5tupleIJSE_SF_EEENSH_IJSE_SG_EEENS0_18inequality_wrapperI22is_equal_div_10_uniqueIsEEEPmJSF_EEE10hipError_tPvRmT3_T4_T5_T6_T7_T9_mT8_P12ihipStream_tbDpT10_ENKUlT_T0_E_clISt17integral_constantIbLb0EES17_IbLb1EEEEDaS13_S14_EUlS13_E_NS1_11comp_targetILNS1_3genE2ELNS1_11target_archE906ELNS1_3gpuE6ELNS1_3repE0EEENS1_30default_config_static_selectorELNS0_4arch9wavefront6targetE0EEEvT1_, .Lfunc_end529-_ZN7rocprim17ROCPRIM_400000_NS6detail17trampoline_kernelINS0_14default_configENS1_25partition_config_selectorILNS1_17partition_subalgoE9EssbEEZZNS1_14partition_implILS5_9ELb0ES3_jN6thrust23THRUST_200600_302600_NS6detail15normal_iteratorINS9_10device_ptrIsEEEESE_PNS0_10empty_typeENS0_5tupleIJSE_SF_EEENSH_IJSE_SG_EEENS0_18inequality_wrapperI22is_equal_div_10_uniqueIsEEEPmJSF_EEE10hipError_tPvRmT3_T4_T5_T6_T7_T9_mT8_P12ihipStream_tbDpT10_ENKUlT_T0_E_clISt17integral_constantIbLb0EES17_IbLb1EEEEDaS13_S14_EUlS13_E_NS1_11comp_targetILNS1_3genE2ELNS1_11target_archE906ELNS1_3gpuE6ELNS1_3repE0EEENS1_30default_config_static_selectorELNS0_4arch9wavefront6targetE0EEEvT1_
                                        ; -- End function
	.section	.AMDGPU.csdata,"",@progbits
; Kernel info:
; codeLenInByte = 0
; NumSgprs: 0
; NumVgprs: 0
; ScratchSize: 0
; MemoryBound: 0
; FloatMode: 240
; IeeeMode: 1
; LDSByteSize: 0 bytes/workgroup (compile time only)
; SGPRBlocks: 0
; VGPRBlocks: 0
; NumSGPRsForWavesPerEU: 1
; NumVGPRsForWavesPerEU: 1
; Occupancy: 16
; WaveLimiterHint : 0
; COMPUTE_PGM_RSRC2:SCRATCH_EN: 0
; COMPUTE_PGM_RSRC2:USER_SGPR: 15
; COMPUTE_PGM_RSRC2:TRAP_HANDLER: 0
; COMPUTE_PGM_RSRC2:TGID_X_EN: 1
; COMPUTE_PGM_RSRC2:TGID_Y_EN: 0
; COMPUTE_PGM_RSRC2:TGID_Z_EN: 0
; COMPUTE_PGM_RSRC2:TIDIG_COMP_CNT: 0
	.section	.text._ZN7rocprim17ROCPRIM_400000_NS6detail17trampoline_kernelINS0_14default_configENS1_25partition_config_selectorILNS1_17partition_subalgoE9EssbEEZZNS1_14partition_implILS5_9ELb0ES3_jN6thrust23THRUST_200600_302600_NS6detail15normal_iteratorINS9_10device_ptrIsEEEESE_PNS0_10empty_typeENS0_5tupleIJSE_SF_EEENSH_IJSE_SG_EEENS0_18inequality_wrapperI22is_equal_div_10_uniqueIsEEEPmJSF_EEE10hipError_tPvRmT3_T4_T5_T6_T7_T9_mT8_P12ihipStream_tbDpT10_ENKUlT_T0_E_clISt17integral_constantIbLb0EES17_IbLb1EEEEDaS13_S14_EUlS13_E_NS1_11comp_targetILNS1_3genE10ELNS1_11target_archE1200ELNS1_3gpuE4ELNS1_3repE0EEENS1_30default_config_static_selectorELNS0_4arch9wavefront6targetE0EEEvT1_,"axG",@progbits,_ZN7rocprim17ROCPRIM_400000_NS6detail17trampoline_kernelINS0_14default_configENS1_25partition_config_selectorILNS1_17partition_subalgoE9EssbEEZZNS1_14partition_implILS5_9ELb0ES3_jN6thrust23THRUST_200600_302600_NS6detail15normal_iteratorINS9_10device_ptrIsEEEESE_PNS0_10empty_typeENS0_5tupleIJSE_SF_EEENSH_IJSE_SG_EEENS0_18inequality_wrapperI22is_equal_div_10_uniqueIsEEEPmJSF_EEE10hipError_tPvRmT3_T4_T5_T6_T7_T9_mT8_P12ihipStream_tbDpT10_ENKUlT_T0_E_clISt17integral_constantIbLb0EES17_IbLb1EEEEDaS13_S14_EUlS13_E_NS1_11comp_targetILNS1_3genE10ELNS1_11target_archE1200ELNS1_3gpuE4ELNS1_3repE0EEENS1_30default_config_static_selectorELNS0_4arch9wavefront6targetE0EEEvT1_,comdat
	.protected	_ZN7rocprim17ROCPRIM_400000_NS6detail17trampoline_kernelINS0_14default_configENS1_25partition_config_selectorILNS1_17partition_subalgoE9EssbEEZZNS1_14partition_implILS5_9ELb0ES3_jN6thrust23THRUST_200600_302600_NS6detail15normal_iteratorINS9_10device_ptrIsEEEESE_PNS0_10empty_typeENS0_5tupleIJSE_SF_EEENSH_IJSE_SG_EEENS0_18inequality_wrapperI22is_equal_div_10_uniqueIsEEEPmJSF_EEE10hipError_tPvRmT3_T4_T5_T6_T7_T9_mT8_P12ihipStream_tbDpT10_ENKUlT_T0_E_clISt17integral_constantIbLb0EES17_IbLb1EEEEDaS13_S14_EUlS13_E_NS1_11comp_targetILNS1_3genE10ELNS1_11target_archE1200ELNS1_3gpuE4ELNS1_3repE0EEENS1_30default_config_static_selectorELNS0_4arch9wavefront6targetE0EEEvT1_ ; -- Begin function _ZN7rocprim17ROCPRIM_400000_NS6detail17trampoline_kernelINS0_14default_configENS1_25partition_config_selectorILNS1_17partition_subalgoE9EssbEEZZNS1_14partition_implILS5_9ELb0ES3_jN6thrust23THRUST_200600_302600_NS6detail15normal_iteratorINS9_10device_ptrIsEEEESE_PNS0_10empty_typeENS0_5tupleIJSE_SF_EEENSH_IJSE_SG_EEENS0_18inequality_wrapperI22is_equal_div_10_uniqueIsEEEPmJSF_EEE10hipError_tPvRmT3_T4_T5_T6_T7_T9_mT8_P12ihipStream_tbDpT10_ENKUlT_T0_E_clISt17integral_constantIbLb0EES17_IbLb1EEEEDaS13_S14_EUlS13_E_NS1_11comp_targetILNS1_3genE10ELNS1_11target_archE1200ELNS1_3gpuE4ELNS1_3repE0EEENS1_30default_config_static_selectorELNS0_4arch9wavefront6targetE0EEEvT1_
	.globl	_ZN7rocprim17ROCPRIM_400000_NS6detail17trampoline_kernelINS0_14default_configENS1_25partition_config_selectorILNS1_17partition_subalgoE9EssbEEZZNS1_14partition_implILS5_9ELb0ES3_jN6thrust23THRUST_200600_302600_NS6detail15normal_iteratorINS9_10device_ptrIsEEEESE_PNS0_10empty_typeENS0_5tupleIJSE_SF_EEENSH_IJSE_SG_EEENS0_18inequality_wrapperI22is_equal_div_10_uniqueIsEEEPmJSF_EEE10hipError_tPvRmT3_T4_T5_T6_T7_T9_mT8_P12ihipStream_tbDpT10_ENKUlT_T0_E_clISt17integral_constantIbLb0EES17_IbLb1EEEEDaS13_S14_EUlS13_E_NS1_11comp_targetILNS1_3genE10ELNS1_11target_archE1200ELNS1_3gpuE4ELNS1_3repE0EEENS1_30default_config_static_selectorELNS0_4arch9wavefront6targetE0EEEvT1_
	.p2align	8
	.type	_ZN7rocprim17ROCPRIM_400000_NS6detail17trampoline_kernelINS0_14default_configENS1_25partition_config_selectorILNS1_17partition_subalgoE9EssbEEZZNS1_14partition_implILS5_9ELb0ES3_jN6thrust23THRUST_200600_302600_NS6detail15normal_iteratorINS9_10device_ptrIsEEEESE_PNS0_10empty_typeENS0_5tupleIJSE_SF_EEENSH_IJSE_SG_EEENS0_18inequality_wrapperI22is_equal_div_10_uniqueIsEEEPmJSF_EEE10hipError_tPvRmT3_T4_T5_T6_T7_T9_mT8_P12ihipStream_tbDpT10_ENKUlT_T0_E_clISt17integral_constantIbLb0EES17_IbLb1EEEEDaS13_S14_EUlS13_E_NS1_11comp_targetILNS1_3genE10ELNS1_11target_archE1200ELNS1_3gpuE4ELNS1_3repE0EEENS1_30default_config_static_selectorELNS0_4arch9wavefront6targetE0EEEvT1_,@function
_ZN7rocprim17ROCPRIM_400000_NS6detail17trampoline_kernelINS0_14default_configENS1_25partition_config_selectorILNS1_17partition_subalgoE9EssbEEZZNS1_14partition_implILS5_9ELb0ES3_jN6thrust23THRUST_200600_302600_NS6detail15normal_iteratorINS9_10device_ptrIsEEEESE_PNS0_10empty_typeENS0_5tupleIJSE_SF_EEENSH_IJSE_SG_EEENS0_18inequality_wrapperI22is_equal_div_10_uniqueIsEEEPmJSF_EEE10hipError_tPvRmT3_T4_T5_T6_T7_T9_mT8_P12ihipStream_tbDpT10_ENKUlT_T0_E_clISt17integral_constantIbLb0EES17_IbLb1EEEEDaS13_S14_EUlS13_E_NS1_11comp_targetILNS1_3genE10ELNS1_11target_archE1200ELNS1_3gpuE4ELNS1_3repE0EEENS1_30default_config_static_selectorELNS0_4arch9wavefront6targetE0EEEvT1_: ; @_ZN7rocprim17ROCPRIM_400000_NS6detail17trampoline_kernelINS0_14default_configENS1_25partition_config_selectorILNS1_17partition_subalgoE9EssbEEZZNS1_14partition_implILS5_9ELb0ES3_jN6thrust23THRUST_200600_302600_NS6detail15normal_iteratorINS9_10device_ptrIsEEEESE_PNS0_10empty_typeENS0_5tupleIJSE_SF_EEENSH_IJSE_SG_EEENS0_18inequality_wrapperI22is_equal_div_10_uniqueIsEEEPmJSF_EEE10hipError_tPvRmT3_T4_T5_T6_T7_T9_mT8_P12ihipStream_tbDpT10_ENKUlT_T0_E_clISt17integral_constantIbLb0EES17_IbLb1EEEEDaS13_S14_EUlS13_E_NS1_11comp_targetILNS1_3genE10ELNS1_11target_archE1200ELNS1_3gpuE4ELNS1_3repE0EEENS1_30default_config_static_selectorELNS0_4arch9wavefront6targetE0EEEvT1_
; %bb.0:
	.section	.rodata,"a",@progbits
	.p2align	6, 0x0
	.amdhsa_kernel _ZN7rocprim17ROCPRIM_400000_NS6detail17trampoline_kernelINS0_14default_configENS1_25partition_config_selectorILNS1_17partition_subalgoE9EssbEEZZNS1_14partition_implILS5_9ELb0ES3_jN6thrust23THRUST_200600_302600_NS6detail15normal_iteratorINS9_10device_ptrIsEEEESE_PNS0_10empty_typeENS0_5tupleIJSE_SF_EEENSH_IJSE_SG_EEENS0_18inequality_wrapperI22is_equal_div_10_uniqueIsEEEPmJSF_EEE10hipError_tPvRmT3_T4_T5_T6_T7_T9_mT8_P12ihipStream_tbDpT10_ENKUlT_T0_E_clISt17integral_constantIbLb0EES17_IbLb1EEEEDaS13_S14_EUlS13_E_NS1_11comp_targetILNS1_3genE10ELNS1_11target_archE1200ELNS1_3gpuE4ELNS1_3repE0EEENS1_30default_config_static_selectorELNS0_4arch9wavefront6targetE0EEEvT1_
		.amdhsa_group_segment_fixed_size 0
		.amdhsa_private_segment_fixed_size 0
		.amdhsa_kernarg_size 128
		.amdhsa_user_sgpr_count 15
		.amdhsa_user_sgpr_dispatch_ptr 0
		.amdhsa_user_sgpr_queue_ptr 0
		.amdhsa_user_sgpr_kernarg_segment_ptr 1
		.amdhsa_user_sgpr_dispatch_id 0
		.amdhsa_user_sgpr_private_segment_size 0
		.amdhsa_wavefront_size32 1
		.amdhsa_uses_dynamic_stack 0
		.amdhsa_enable_private_segment 0
		.amdhsa_system_sgpr_workgroup_id_x 1
		.amdhsa_system_sgpr_workgroup_id_y 0
		.amdhsa_system_sgpr_workgroup_id_z 0
		.amdhsa_system_sgpr_workgroup_info 0
		.amdhsa_system_vgpr_workitem_id 0
		.amdhsa_next_free_vgpr 1
		.amdhsa_next_free_sgpr 1
		.amdhsa_reserve_vcc 0
		.amdhsa_float_round_mode_32 0
		.amdhsa_float_round_mode_16_64 0
		.amdhsa_float_denorm_mode_32 3
		.amdhsa_float_denorm_mode_16_64 3
		.amdhsa_dx10_clamp 1
		.amdhsa_ieee_mode 1
		.amdhsa_fp16_overflow 0
		.amdhsa_workgroup_processor_mode 1
		.amdhsa_memory_ordered 1
		.amdhsa_forward_progress 0
		.amdhsa_shared_vgpr_count 0
		.amdhsa_exception_fp_ieee_invalid_op 0
		.amdhsa_exception_fp_denorm_src 0
		.amdhsa_exception_fp_ieee_div_zero 0
		.amdhsa_exception_fp_ieee_overflow 0
		.amdhsa_exception_fp_ieee_underflow 0
		.amdhsa_exception_fp_ieee_inexact 0
		.amdhsa_exception_int_div_zero 0
	.end_amdhsa_kernel
	.section	.text._ZN7rocprim17ROCPRIM_400000_NS6detail17trampoline_kernelINS0_14default_configENS1_25partition_config_selectorILNS1_17partition_subalgoE9EssbEEZZNS1_14partition_implILS5_9ELb0ES3_jN6thrust23THRUST_200600_302600_NS6detail15normal_iteratorINS9_10device_ptrIsEEEESE_PNS0_10empty_typeENS0_5tupleIJSE_SF_EEENSH_IJSE_SG_EEENS0_18inequality_wrapperI22is_equal_div_10_uniqueIsEEEPmJSF_EEE10hipError_tPvRmT3_T4_T5_T6_T7_T9_mT8_P12ihipStream_tbDpT10_ENKUlT_T0_E_clISt17integral_constantIbLb0EES17_IbLb1EEEEDaS13_S14_EUlS13_E_NS1_11comp_targetILNS1_3genE10ELNS1_11target_archE1200ELNS1_3gpuE4ELNS1_3repE0EEENS1_30default_config_static_selectorELNS0_4arch9wavefront6targetE0EEEvT1_,"axG",@progbits,_ZN7rocprim17ROCPRIM_400000_NS6detail17trampoline_kernelINS0_14default_configENS1_25partition_config_selectorILNS1_17partition_subalgoE9EssbEEZZNS1_14partition_implILS5_9ELb0ES3_jN6thrust23THRUST_200600_302600_NS6detail15normal_iteratorINS9_10device_ptrIsEEEESE_PNS0_10empty_typeENS0_5tupleIJSE_SF_EEENSH_IJSE_SG_EEENS0_18inequality_wrapperI22is_equal_div_10_uniqueIsEEEPmJSF_EEE10hipError_tPvRmT3_T4_T5_T6_T7_T9_mT8_P12ihipStream_tbDpT10_ENKUlT_T0_E_clISt17integral_constantIbLb0EES17_IbLb1EEEEDaS13_S14_EUlS13_E_NS1_11comp_targetILNS1_3genE10ELNS1_11target_archE1200ELNS1_3gpuE4ELNS1_3repE0EEENS1_30default_config_static_selectorELNS0_4arch9wavefront6targetE0EEEvT1_,comdat
.Lfunc_end530:
	.size	_ZN7rocprim17ROCPRIM_400000_NS6detail17trampoline_kernelINS0_14default_configENS1_25partition_config_selectorILNS1_17partition_subalgoE9EssbEEZZNS1_14partition_implILS5_9ELb0ES3_jN6thrust23THRUST_200600_302600_NS6detail15normal_iteratorINS9_10device_ptrIsEEEESE_PNS0_10empty_typeENS0_5tupleIJSE_SF_EEENSH_IJSE_SG_EEENS0_18inequality_wrapperI22is_equal_div_10_uniqueIsEEEPmJSF_EEE10hipError_tPvRmT3_T4_T5_T6_T7_T9_mT8_P12ihipStream_tbDpT10_ENKUlT_T0_E_clISt17integral_constantIbLb0EES17_IbLb1EEEEDaS13_S14_EUlS13_E_NS1_11comp_targetILNS1_3genE10ELNS1_11target_archE1200ELNS1_3gpuE4ELNS1_3repE0EEENS1_30default_config_static_selectorELNS0_4arch9wavefront6targetE0EEEvT1_, .Lfunc_end530-_ZN7rocprim17ROCPRIM_400000_NS6detail17trampoline_kernelINS0_14default_configENS1_25partition_config_selectorILNS1_17partition_subalgoE9EssbEEZZNS1_14partition_implILS5_9ELb0ES3_jN6thrust23THRUST_200600_302600_NS6detail15normal_iteratorINS9_10device_ptrIsEEEESE_PNS0_10empty_typeENS0_5tupleIJSE_SF_EEENSH_IJSE_SG_EEENS0_18inequality_wrapperI22is_equal_div_10_uniqueIsEEEPmJSF_EEE10hipError_tPvRmT3_T4_T5_T6_T7_T9_mT8_P12ihipStream_tbDpT10_ENKUlT_T0_E_clISt17integral_constantIbLb0EES17_IbLb1EEEEDaS13_S14_EUlS13_E_NS1_11comp_targetILNS1_3genE10ELNS1_11target_archE1200ELNS1_3gpuE4ELNS1_3repE0EEENS1_30default_config_static_selectorELNS0_4arch9wavefront6targetE0EEEvT1_
                                        ; -- End function
	.section	.AMDGPU.csdata,"",@progbits
; Kernel info:
; codeLenInByte = 0
; NumSgprs: 0
; NumVgprs: 0
; ScratchSize: 0
; MemoryBound: 0
; FloatMode: 240
; IeeeMode: 1
; LDSByteSize: 0 bytes/workgroup (compile time only)
; SGPRBlocks: 0
; VGPRBlocks: 0
; NumSGPRsForWavesPerEU: 1
; NumVGPRsForWavesPerEU: 1
; Occupancy: 16
; WaveLimiterHint : 0
; COMPUTE_PGM_RSRC2:SCRATCH_EN: 0
; COMPUTE_PGM_RSRC2:USER_SGPR: 15
; COMPUTE_PGM_RSRC2:TRAP_HANDLER: 0
; COMPUTE_PGM_RSRC2:TGID_X_EN: 1
; COMPUTE_PGM_RSRC2:TGID_Y_EN: 0
; COMPUTE_PGM_RSRC2:TGID_Z_EN: 0
; COMPUTE_PGM_RSRC2:TIDIG_COMP_CNT: 0
	.section	.text._ZN7rocprim17ROCPRIM_400000_NS6detail17trampoline_kernelINS0_14default_configENS1_25partition_config_selectorILNS1_17partition_subalgoE9EssbEEZZNS1_14partition_implILS5_9ELb0ES3_jN6thrust23THRUST_200600_302600_NS6detail15normal_iteratorINS9_10device_ptrIsEEEESE_PNS0_10empty_typeENS0_5tupleIJSE_SF_EEENSH_IJSE_SG_EEENS0_18inequality_wrapperI22is_equal_div_10_uniqueIsEEEPmJSF_EEE10hipError_tPvRmT3_T4_T5_T6_T7_T9_mT8_P12ihipStream_tbDpT10_ENKUlT_T0_E_clISt17integral_constantIbLb0EES17_IbLb1EEEEDaS13_S14_EUlS13_E_NS1_11comp_targetILNS1_3genE9ELNS1_11target_archE1100ELNS1_3gpuE3ELNS1_3repE0EEENS1_30default_config_static_selectorELNS0_4arch9wavefront6targetE0EEEvT1_,"axG",@progbits,_ZN7rocprim17ROCPRIM_400000_NS6detail17trampoline_kernelINS0_14default_configENS1_25partition_config_selectorILNS1_17partition_subalgoE9EssbEEZZNS1_14partition_implILS5_9ELb0ES3_jN6thrust23THRUST_200600_302600_NS6detail15normal_iteratorINS9_10device_ptrIsEEEESE_PNS0_10empty_typeENS0_5tupleIJSE_SF_EEENSH_IJSE_SG_EEENS0_18inequality_wrapperI22is_equal_div_10_uniqueIsEEEPmJSF_EEE10hipError_tPvRmT3_T4_T5_T6_T7_T9_mT8_P12ihipStream_tbDpT10_ENKUlT_T0_E_clISt17integral_constantIbLb0EES17_IbLb1EEEEDaS13_S14_EUlS13_E_NS1_11comp_targetILNS1_3genE9ELNS1_11target_archE1100ELNS1_3gpuE3ELNS1_3repE0EEENS1_30default_config_static_selectorELNS0_4arch9wavefront6targetE0EEEvT1_,comdat
	.protected	_ZN7rocprim17ROCPRIM_400000_NS6detail17trampoline_kernelINS0_14default_configENS1_25partition_config_selectorILNS1_17partition_subalgoE9EssbEEZZNS1_14partition_implILS5_9ELb0ES3_jN6thrust23THRUST_200600_302600_NS6detail15normal_iteratorINS9_10device_ptrIsEEEESE_PNS0_10empty_typeENS0_5tupleIJSE_SF_EEENSH_IJSE_SG_EEENS0_18inequality_wrapperI22is_equal_div_10_uniqueIsEEEPmJSF_EEE10hipError_tPvRmT3_T4_T5_T6_T7_T9_mT8_P12ihipStream_tbDpT10_ENKUlT_T0_E_clISt17integral_constantIbLb0EES17_IbLb1EEEEDaS13_S14_EUlS13_E_NS1_11comp_targetILNS1_3genE9ELNS1_11target_archE1100ELNS1_3gpuE3ELNS1_3repE0EEENS1_30default_config_static_selectorELNS0_4arch9wavefront6targetE0EEEvT1_ ; -- Begin function _ZN7rocprim17ROCPRIM_400000_NS6detail17trampoline_kernelINS0_14default_configENS1_25partition_config_selectorILNS1_17partition_subalgoE9EssbEEZZNS1_14partition_implILS5_9ELb0ES3_jN6thrust23THRUST_200600_302600_NS6detail15normal_iteratorINS9_10device_ptrIsEEEESE_PNS0_10empty_typeENS0_5tupleIJSE_SF_EEENSH_IJSE_SG_EEENS0_18inequality_wrapperI22is_equal_div_10_uniqueIsEEEPmJSF_EEE10hipError_tPvRmT3_T4_T5_T6_T7_T9_mT8_P12ihipStream_tbDpT10_ENKUlT_T0_E_clISt17integral_constantIbLb0EES17_IbLb1EEEEDaS13_S14_EUlS13_E_NS1_11comp_targetILNS1_3genE9ELNS1_11target_archE1100ELNS1_3gpuE3ELNS1_3repE0EEENS1_30default_config_static_selectorELNS0_4arch9wavefront6targetE0EEEvT1_
	.globl	_ZN7rocprim17ROCPRIM_400000_NS6detail17trampoline_kernelINS0_14default_configENS1_25partition_config_selectorILNS1_17partition_subalgoE9EssbEEZZNS1_14partition_implILS5_9ELb0ES3_jN6thrust23THRUST_200600_302600_NS6detail15normal_iteratorINS9_10device_ptrIsEEEESE_PNS0_10empty_typeENS0_5tupleIJSE_SF_EEENSH_IJSE_SG_EEENS0_18inequality_wrapperI22is_equal_div_10_uniqueIsEEEPmJSF_EEE10hipError_tPvRmT3_T4_T5_T6_T7_T9_mT8_P12ihipStream_tbDpT10_ENKUlT_T0_E_clISt17integral_constantIbLb0EES17_IbLb1EEEEDaS13_S14_EUlS13_E_NS1_11comp_targetILNS1_3genE9ELNS1_11target_archE1100ELNS1_3gpuE3ELNS1_3repE0EEENS1_30default_config_static_selectorELNS0_4arch9wavefront6targetE0EEEvT1_
	.p2align	8
	.type	_ZN7rocprim17ROCPRIM_400000_NS6detail17trampoline_kernelINS0_14default_configENS1_25partition_config_selectorILNS1_17partition_subalgoE9EssbEEZZNS1_14partition_implILS5_9ELb0ES3_jN6thrust23THRUST_200600_302600_NS6detail15normal_iteratorINS9_10device_ptrIsEEEESE_PNS0_10empty_typeENS0_5tupleIJSE_SF_EEENSH_IJSE_SG_EEENS0_18inequality_wrapperI22is_equal_div_10_uniqueIsEEEPmJSF_EEE10hipError_tPvRmT3_T4_T5_T6_T7_T9_mT8_P12ihipStream_tbDpT10_ENKUlT_T0_E_clISt17integral_constantIbLb0EES17_IbLb1EEEEDaS13_S14_EUlS13_E_NS1_11comp_targetILNS1_3genE9ELNS1_11target_archE1100ELNS1_3gpuE3ELNS1_3repE0EEENS1_30default_config_static_selectorELNS0_4arch9wavefront6targetE0EEEvT1_,@function
_ZN7rocprim17ROCPRIM_400000_NS6detail17trampoline_kernelINS0_14default_configENS1_25partition_config_selectorILNS1_17partition_subalgoE9EssbEEZZNS1_14partition_implILS5_9ELb0ES3_jN6thrust23THRUST_200600_302600_NS6detail15normal_iteratorINS9_10device_ptrIsEEEESE_PNS0_10empty_typeENS0_5tupleIJSE_SF_EEENSH_IJSE_SG_EEENS0_18inequality_wrapperI22is_equal_div_10_uniqueIsEEEPmJSF_EEE10hipError_tPvRmT3_T4_T5_T6_T7_T9_mT8_P12ihipStream_tbDpT10_ENKUlT_T0_E_clISt17integral_constantIbLb0EES17_IbLb1EEEEDaS13_S14_EUlS13_E_NS1_11comp_targetILNS1_3genE9ELNS1_11target_archE1100ELNS1_3gpuE3ELNS1_3repE0EEENS1_30default_config_static_selectorELNS0_4arch9wavefront6targetE0EEEvT1_: ; @_ZN7rocprim17ROCPRIM_400000_NS6detail17trampoline_kernelINS0_14default_configENS1_25partition_config_selectorILNS1_17partition_subalgoE9EssbEEZZNS1_14partition_implILS5_9ELb0ES3_jN6thrust23THRUST_200600_302600_NS6detail15normal_iteratorINS9_10device_ptrIsEEEESE_PNS0_10empty_typeENS0_5tupleIJSE_SF_EEENSH_IJSE_SG_EEENS0_18inequality_wrapperI22is_equal_div_10_uniqueIsEEEPmJSF_EEE10hipError_tPvRmT3_T4_T5_T6_T7_T9_mT8_P12ihipStream_tbDpT10_ENKUlT_T0_E_clISt17integral_constantIbLb0EES17_IbLb1EEEEDaS13_S14_EUlS13_E_NS1_11comp_targetILNS1_3genE9ELNS1_11target_archE1100ELNS1_3gpuE3ELNS1_3repE0EEENS1_30default_config_static_selectorELNS0_4arch9wavefront6targetE0EEEvT1_
; %bb.0:
	s_clause 0x4
	s_load_b128 s[4:7], s[0:1], 0x8
	s_load_b64 s[18:19], s[0:1], 0x18
	s_load_b128 s[8:11], s[0:1], 0x40
	s_load_b64 s[22:23], s[0:1], 0x50
	s_load_b64 s[16:17], s[0:1], 0x60
	v_cmp_ne_u32_e64 s3, 0, v0
	v_cmp_eq_u32_e64 s2, 0, v0
	s_delay_alu instid0(VALU_DEP_1)
	s_and_saveexec_b32 s12, s2
	s_cbranch_execz .LBB531_4
; %bb.1:
	s_mov_b32 s14, exec_lo
	s_mov_b32 s13, exec_lo
	v_mbcnt_lo_u32_b32 v1, s14, 0
                                        ; implicit-def: $vgpr2
	s_delay_alu instid0(VALU_DEP_1)
	v_cmpx_eq_u32_e32 0, v1
	s_cbranch_execz .LBB531_3
; %bb.2:
	s_load_b64 s[20:21], s[0:1], 0x70
	s_bcnt1_i32_b32 s14, s14
	s_delay_alu instid0(SALU_CYCLE_1)
	v_dual_mov_b32 v2, 0 :: v_dual_mov_b32 v3, s14
	s_waitcnt lgkmcnt(0)
	global_atomic_add_u32 v2, v2, v3, s[20:21] glc
.LBB531_3:
	s_or_b32 exec_lo, exec_lo, s13
	s_waitcnt vmcnt(0)
	v_readfirstlane_b32 s13, v2
	s_delay_alu instid0(VALU_DEP_1)
	v_dual_mov_b32 v2, 0 :: v_dual_add_nc_u32 v1, s13, v1
	ds_store_b32 v2, v1
.LBB531_4:
	s_or_b32 exec_lo, exec_lo, s12
	v_mov_b32_e32 v1, 0
	s_clause 0x1
	s_load_b128 s[12:15], s[0:1], 0x28
	s_load_b32 s0, s[0:1], 0x68
	s_waitcnt lgkmcnt(0)
	s_barrier
	buffer_gl0_inv
	ds_load_b32 v3, v1
	s_waitcnt lgkmcnt(0)
	s_barrier
	buffer_gl0_inv
	global_load_b64 v[1:2], v1, s[10:11]
	s_lshl_b64 s[20:21], s[6:7], 1
	s_mov_b32 s28, -1
	s_add_u32 s10, s4, s20
	s_addc_u32 s11, s5, s21
	s_mov_b32 s5, 0
	s_mul_i32 s1, s0, 0x600
	s_delay_alu instid0(SALU_CYCLE_1) | instskip(NEXT) | instid1(SALU_CYCLE_1)
	s_add_i32 s4, s1, s6
	s_sub_i32 s25, s22, s4
	s_add_i32 s4, s0, -1
	s_addk_i32 s25, 0x600
	s_add_u32 s0, s6, s1
	v_readfirstlane_b32 s24, v3
	s_addc_u32 s1, s7, 0
	s_delay_alu instid0(SALU_CYCLE_1) | instskip(NEXT) | instid1(VALU_DEP_2)
	v_cmp_ge_u64_e64 s0, s[0:1], s[22:23]
	s_cmp_eq_u32 s24, s4
	s_mul_i32 s4, s24, 0x600
	s_cselect_b32 s22, -1, 0
	s_lshl_b64 s[4:5], s[4:5], 1
	s_delay_alu instid0(VALU_DEP_1) | instskip(NEXT) | instid1(SALU_CYCLE_1)
	s_and_b32 s1, s0, s22
	s_xor_b32 s23, s1, -1
	s_add_u32 s27, s10, s4
	s_addc_u32 s26, s11, s5
	s_and_b32 vcc_lo, exec_lo, s23
	s_waitcnt vmcnt(0)
	v_readfirstlane_b32 s10, v1
	v_readfirstlane_b32 s11, v2
	s_cbranch_vccz .LBB531_6
; %bb.5:
	v_lshlrev_b32_e32 v3, 1, v0
	s_mov_b32 s28, 0
	s_delay_alu instid0(VALU_DEP_1) | instskip(NEXT) | instid1(VALU_DEP_1)
	v_add_co_u32 v1, s0, s27, v3
	v_add_co_ci_u32_e64 v2, null, s26, 0, s0
	s_clause 0xb
	flat_load_u16 v4, v[1:2]
	flat_load_u16 v5, v[1:2] offset:256
	flat_load_u16 v6, v[1:2] offset:512
	;; [unrolled: 1-line block ×11, first 2 shown]
	s_waitcnt vmcnt(11) lgkmcnt(11)
	ds_store_b16 v3, v4
	s_waitcnt vmcnt(10) lgkmcnt(11)
	ds_store_b16 v3, v5 offset:256
	s_waitcnt vmcnt(9) lgkmcnt(11)
	ds_store_b16 v3, v6 offset:512
	;; [unrolled: 2-line block ×11, first 2 shown]
	s_waitcnt lgkmcnt(0)
	s_barrier
.LBB531_6:
	v_cmp_gt_u32_e64 s0, s25, v0
	s_and_not1_b32 vcc_lo, exec_lo, s28
	s_cbranch_vccnz .LBB531_32
; %bb.7:
                                        ; implicit-def: $vgpr1_vgpr2_vgpr3_vgpr4_vgpr5_vgpr6_vgpr7_vgpr8
	s_delay_alu instid0(VALU_DEP_1)
	s_and_saveexec_b32 s28, s0
	s_cbranch_execz .LBB531_9
; %bb.8:
	v_lshlrev_b32_e32 v1, 1, v0
	s_delay_alu instid0(VALU_DEP_1) | instskip(NEXT) | instid1(VALU_DEP_1)
	v_add_co_u32 v1, s0, s27, v1
	v_add_co_ci_u32_e64 v2, null, s26, 0, s0
	flat_load_d16_b16 v1, v[1:2]
.LBB531_9:
	s_or_b32 exec_lo, exec_lo, s28
	v_or_b32_e32 v7, 0x80, v0
	s_mov_b32 s0, exec_lo
	s_delay_alu instid0(VALU_DEP_1)
	v_cmpx_gt_u32_e64 s25, v7
	s_cbranch_execz .LBB531_11
; %bb.10:
	v_lshlrev_b32_e32 v7, 1, v0
	s_delay_alu instid0(VALU_DEP_1) | instskip(NEXT) | instid1(VALU_DEP_1)
	v_add_co_u32 v7, s28, s27, v7
	v_add_co_ci_u32_e64 v8, null, s26, 0, s28
	s_waitcnt vmcnt(0) lgkmcnt(0)
	flat_load_d16_hi_b16 v1, v[7:8] offset:256
.LBB531_11:
	s_or_b32 exec_lo, exec_lo, s0
	v_or_b32_e32 v7, 0x100, v0
	s_mov_b32 s0, exec_lo
	s_delay_alu instid0(VALU_DEP_1)
	v_cmpx_gt_u32_e64 s25, v7
	s_cbranch_execz .LBB531_13
; %bb.12:
	v_lshlrev_b32_e32 v7, 1, v0
	s_delay_alu instid0(VALU_DEP_1) | instskip(NEXT) | instid1(VALU_DEP_1)
	v_add_co_u32 v7, s28, s27, v7
	v_add_co_ci_u32_e64 v8, null, s26, 0, s28
	flat_load_d16_b16 v2, v[7:8] offset:512
.LBB531_13:
	s_or_b32 exec_lo, exec_lo, s0
	v_or_b32_e32 v7, 0x180, v0
	s_mov_b32 s0, exec_lo
	s_delay_alu instid0(VALU_DEP_1)
	v_cmpx_gt_u32_e64 s25, v7
	s_cbranch_execz .LBB531_15
; %bb.14:
	v_lshlrev_b32_e32 v7, 1, v0
	s_delay_alu instid0(VALU_DEP_1) | instskip(NEXT) | instid1(VALU_DEP_1)
	v_add_co_u32 v7, s28, s27, v7
	v_add_co_ci_u32_e64 v8, null, s26, 0, s28
	s_waitcnt vmcnt(0) lgkmcnt(0)
	flat_load_d16_hi_b16 v2, v[7:8] offset:768
.LBB531_15:
	s_or_b32 exec_lo, exec_lo, s0
	v_or_b32_e32 v7, 0x200, v0
	s_mov_b32 s0, exec_lo
	s_delay_alu instid0(VALU_DEP_1)
	v_cmpx_gt_u32_e64 s25, v7
	s_cbranch_execz .LBB531_17
; %bb.16:
	v_lshlrev_b32_e32 v7, 1, v0
	s_delay_alu instid0(VALU_DEP_1) | instskip(NEXT) | instid1(VALU_DEP_1)
	v_add_co_u32 v7, s28, s27, v7
	v_add_co_ci_u32_e64 v8, null, s26, 0, s28
	flat_load_d16_b16 v3, v[7:8] offset:1024
.LBB531_17:
	;; [unrolled: 27-line block ×5, first 2 shown]
	s_or_b32 exec_lo, exec_lo, s0
	v_or_b32_e32 v7, 0x580, v0
	s_mov_b32 s0, exec_lo
	s_delay_alu instid0(VALU_DEP_1)
	v_cmpx_gt_u32_e64 s25, v7
	s_cbranch_execz .LBB531_31
; %bb.30:
	v_lshlrev_b32_e32 v7, 1, v0
	s_delay_alu instid0(VALU_DEP_1) | instskip(NEXT) | instid1(VALU_DEP_1)
	v_add_co_u32 v7, s28, s27, v7
	v_add_co_ci_u32_e64 v8, null, s26, 0, s28
	s_waitcnt vmcnt(0) lgkmcnt(0)
	flat_load_d16_hi_b16 v6, v[7:8] offset:2816
.LBB531_31:
	s_or_b32 exec_lo, exec_lo, s0
	v_lshlrev_b32_e32 v7, 1, v0
	s_waitcnt vmcnt(0) lgkmcnt(0)
	ds_store_b16 v7, v1
	ds_store_b16_d16_hi v7, v1 offset:256
	ds_store_b16 v7, v2 offset:512
	ds_store_b16_d16_hi v7, v2 offset:768
	ds_store_b16 v7, v3 offset:1024
	;; [unrolled: 2-line block ×5, first 2 shown]
	ds_store_b16_d16_hi v7, v6 offset:2816
	s_waitcnt lgkmcnt(0)
	s_barrier
.LBB531_32:
	v_mul_u32_u24_e32 v1, 12, v0
	buffer_gl0_inv
	s_add_u32 s0, s18, s20
	s_addc_u32 s18, s19, s21
	s_add_u32 s0, s0, s4
	v_lshlrev_b32_e32 v8, 1, v1
	s_addc_u32 s4, s18, s5
	s_and_b32 vcc_lo, exec_lo, s23
	s_mov_b32 s5, -1
	ds_load_2addr_b64 v[18:21], v8 offset1:1
	ds_load_b64 v[27:28], v8 offset:16
	s_waitcnt lgkmcnt(0)
	s_barrier
	buffer_gl0_inv
	s_cbranch_vccz .LBB531_34
; %bb.33:
	v_lshlrev_b32_e32 v4, 1, v0
	s_delay_alu instid0(VALU_DEP_1) | instskip(NEXT) | instid1(VALU_DEP_1)
	v_add_co_u32 v2, s5, s0, v4
	v_add_co_ci_u32_e64 v3, null, s4, 0, s5
	s_mov_b32 s5, 0
	s_clause 0xb
	flat_load_u16 v5, v[2:3]
	flat_load_u16 v6, v[2:3] offset:256
	flat_load_u16 v7, v[2:3] offset:512
	;; [unrolled: 1-line block ×11, first 2 shown]
	s_waitcnt vmcnt(11) lgkmcnt(11)
	ds_store_b16 v4, v5
	s_waitcnt vmcnt(10) lgkmcnt(11)
	ds_store_b16 v4, v6 offset:256
	s_waitcnt vmcnt(9) lgkmcnt(11)
	ds_store_b16 v4, v7 offset:512
	;; [unrolled: 2-line block ×11, first 2 shown]
	s_waitcnt lgkmcnt(0)
	s_barrier
.LBB531_34:
	s_and_not1_b32 vcc_lo, exec_lo, s5
	s_cbranch_vccnz .LBB531_60
; %bb.35:
	s_mov_b32 s5, exec_lo
                                        ; implicit-def: $vgpr2
	v_cmpx_gt_u32_e64 s25, v0
	s_cbranch_execz .LBB531_37
; %bb.36:
	v_lshlrev_b32_e32 v2, 1, v0
	s_delay_alu instid0(VALU_DEP_1) | instskip(NEXT) | instid1(VALU_DEP_1)
	v_add_co_u32 v2, s18, s0, v2
	v_add_co_ci_u32_e64 v3, null, s4, 0, s18
	flat_load_u16 v2, v[2:3]
.LBB531_37:
	s_or_b32 exec_lo, exec_lo, s5
	v_or_b32_e32 v3, 0x80, v0
	s_delay_alu instid0(VALU_DEP_1)
	v_cmp_gt_u32_e32 vcc_lo, s25, v3
                                        ; implicit-def: $vgpr3
	s_and_saveexec_b32 s5, vcc_lo
	s_cbranch_execz .LBB531_39
; %bb.38:
	v_lshlrev_b32_e32 v3, 1, v0
	s_delay_alu instid0(VALU_DEP_1) | instskip(NEXT) | instid1(VALU_DEP_1)
	v_add_co_u32 v3, s18, s0, v3
	v_add_co_ci_u32_e64 v4, null, s4, 0, s18
	flat_load_u16 v3, v[3:4] offset:256
.LBB531_39:
	s_or_b32 exec_lo, exec_lo, s5
	v_or_b32_e32 v4, 0x100, v0
	s_delay_alu instid0(VALU_DEP_1)
	v_cmp_gt_u32_e32 vcc_lo, s25, v4
                                        ; implicit-def: $vgpr4
	s_and_saveexec_b32 s5, vcc_lo
	s_cbranch_execz .LBB531_41
; %bb.40:
	v_lshlrev_b32_e32 v4, 1, v0
	s_delay_alu instid0(VALU_DEP_1) | instskip(NEXT) | instid1(VALU_DEP_1)
	v_add_co_u32 v4, s18, s0, v4
	v_add_co_ci_u32_e64 v5, null, s4, 0, s18
	flat_load_u16 v4, v[4:5] offset:512
.LBB531_41:
	s_or_b32 exec_lo, exec_lo, s5
	v_or_b32_e32 v5, 0x180, v0
	s_delay_alu instid0(VALU_DEP_1)
	v_cmp_gt_u32_e32 vcc_lo, s25, v5
                                        ; implicit-def: $vgpr5
	s_and_saveexec_b32 s5, vcc_lo
	s_cbranch_execz .LBB531_43
; %bb.42:
	v_lshlrev_b32_e32 v5, 1, v0
	s_delay_alu instid0(VALU_DEP_1) | instskip(NEXT) | instid1(VALU_DEP_1)
	v_add_co_u32 v5, s18, s0, v5
	v_add_co_ci_u32_e64 v6, null, s4, 0, s18
	flat_load_u16 v5, v[5:6] offset:768
.LBB531_43:
	s_or_b32 exec_lo, exec_lo, s5
	v_or_b32_e32 v6, 0x200, v0
	s_delay_alu instid0(VALU_DEP_1)
	v_cmp_gt_u32_e32 vcc_lo, s25, v6
                                        ; implicit-def: $vgpr6
	s_and_saveexec_b32 s5, vcc_lo
	s_cbranch_execz .LBB531_45
; %bb.44:
	v_lshlrev_b32_e32 v6, 1, v0
	s_delay_alu instid0(VALU_DEP_1) | instskip(NEXT) | instid1(VALU_DEP_1)
	v_add_co_u32 v6, s18, s0, v6
	v_add_co_ci_u32_e64 v7, null, s4, 0, s18
	flat_load_u16 v6, v[6:7] offset:1024
.LBB531_45:
	s_or_b32 exec_lo, exec_lo, s5
	v_or_b32_e32 v7, 0x280, v0
	s_delay_alu instid0(VALU_DEP_1)
	v_cmp_gt_u32_e32 vcc_lo, s25, v7
                                        ; implicit-def: $vgpr7
	s_and_saveexec_b32 s5, vcc_lo
	s_cbranch_execz .LBB531_47
; %bb.46:
	v_lshlrev_b32_e32 v7, 1, v0
	s_delay_alu instid0(VALU_DEP_1) | instskip(NEXT) | instid1(VALU_DEP_1)
	v_add_co_u32 v9, s18, s0, v7
	v_add_co_ci_u32_e64 v10, null, s4, 0, s18
	flat_load_u16 v7, v[9:10] offset:1280
.LBB531_47:
	s_or_b32 exec_lo, exec_lo, s5
	v_or_b32_e32 v9, 0x300, v0
	s_delay_alu instid0(VALU_DEP_1)
	v_cmp_gt_u32_e32 vcc_lo, s25, v9
                                        ; implicit-def: $vgpr9
	s_and_saveexec_b32 s5, vcc_lo
	s_cbranch_execz .LBB531_49
; %bb.48:
	v_lshlrev_b32_e32 v9, 1, v0
	s_delay_alu instid0(VALU_DEP_1) | instskip(NEXT) | instid1(VALU_DEP_1)
	v_add_co_u32 v9, s18, s0, v9
	v_add_co_ci_u32_e64 v10, null, s4, 0, s18
	flat_load_u16 v9, v[9:10] offset:1536
.LBB531_49:
	s_or_b32 exec_lo, exec_lo, s5
	v_or_b32_e32 v10, 0x380, v0
	s_delay_alu instid0(VALU_DEP_1)
	v_cmp_gt_u32_e32 vcc_lo, s25, v10
                                        ; implicit-def: $vgpr10
	s_and_saveexec_b32 s5, vcc_lo
	s_cbranch_execz .LBB531_51
; %bb.50:
	v_lshlrev_b32_e32 v10, 1, v0
	s_delay_alu instid0(VALU_DEP_1) | instskip(NEXT) | instid1(VALU_DEP_1)
	v_add_co_u32 v10, s18, s0, v10
	v_add_co_ci_u32_e64 v11, null, s4, 0, s18
	flat_load_u16 v10, v[10:11] offset:1792
.LBB531_51:
	s_or_b32 exec_lo, exec_lo, s5
	v_or_b32_e32 v11, 0x400, v0
	s_delay_alu instid0(VALU_DEP_1)
	v_cmp_gt_u32_e32 vcc_lo, s25, v11
                                        ; implicit-def: $vgpr11
	s_and_saveexec_b32 s5, vcc_lo
	s_cbranch_execz .LBB531_53
; %bb.52:
	v_lshlrev_b32_e32 v11, 1, v0
	s_delay_alu instid0(VALU_DEP_1) | instskip(NEXT) | instid1(VALU_DEP_1)
	v_add_co_u32 v11, s18, s0, v11
	v_add_co_ci_u32_e64 v12, null, s4, 0, s18
	flat_load_u16 v11, v[11:12] offset:2048
.LBB531_53:
	s_or_b32 exec_lo, exec_lo, s5
	v_or_b32_e32 v12, 0x480, v0
	s_delay_alu instid0(VALU_DEP_1)
	v_cmp_gt_u32_e32 vcc_lo, s25, v12
                                        ; implicit-def: $vgpr12
	s_and_saveexec_b32 s5, vcc_lo
	s_cbranch_execz .LBB531_55
; %bb.54:
	v_lshlrev_b32_e32 v12, 1, v0
	s_delay_alu instid0(VALU_DEP_1) | instskip(NEXT) | instid1(VALU_DEP_1)
	v_add_co_u32 v12, s18, s0, v12
	v_add_co_ci_u32_e64 v13, null, s4, 0, s18
	flat_load_u16 v12, v[12:13] offset:2304
.LBB531_55:
	s_or_b32 exec_lo, exec_lo, s5
	v_or_b32_e32 v13, 0x500, v0
	s_delay_alu instid0(VALU_DEP_1)
	v_cmp_gt_u32_e32 vcc_lo, s25, v13
                                        ; implicit-def: $vgpr13
	s_and_saveexec_b32 s5, vcc_lo
	s_cbranch_execz .LBB531_57
; %bb.56:
	v_lshlrev_b32_e32 v13, 1, v0
	s_delay_alu instid0(VALU_DEP_1) | instskip(NEXT) | instid1(VALU_DEP_1)
	v_add_co_u32 v13, s18, s0, v13
	v_add_co_ci_u32_e64 v14, null, s4, 0, s18
	flat_load_u16 v13, v[13:14] offset:2560
.LBB531_57:
	s_or_b32 exec_lo, exec_lo, s5
	v_or_b32_e32 v14, 0x580, v0
	s_delay_alu instid0(VALU_DEP_1)
	v_cmp_gt_u32_e32 vcc_lo, s25, v14
                                        ; implicit-def: $vgpr14
	s_and_saveexec_b32 s5, vcc_lo
	s_cbranch_execz .LBB531_59
; %bb.58:
	v_lshlrev_b32_e32 v14, 1, v0
	s_delay_alu instid0(VALU_DEP_1) | instskip(NEXT) | instid1(VALU_DEP_1)
	v_add_co_u32 v14, s0, s0, v14
	v_add_co_ci_u32_e64 v15, null, s4, 0, s0
	flat_load_u16 v14, v[14:15] offset:2816
.LBB531_59:
	s_or_b32 exec_lo, exec_lo, s5
	v_mad_i32_i24 v15, 0xffffffea, v0, v8
	s_waitcnt vmcnt(0) lgkmcnt(0)
	ds_store_b16 v15, v2
	ds_store_b16 v15, v3 offset:256
	ds_store_b16 v15, v4 offset:512
	ds_store_b16 v15, v5 offset:768
	ds_store_b16 v15, v6 offset:1024
	ds_store_b16 v15, v7 offset:1280
	ds_store_b16 v15, v9 offset:1536
	ds_store_b16 v15, v10 offset:1792
	ds_store_b16 v15, v11 offset:2048
	ds_store_b16 v15, v12 offset:2304
	ds_store_b16 v15, v13 offset:2560
	ds_store_b16 v15, v14 offset:2816
	s_waitcnt lgkmcnt(0)
	s_barrier
.LBB531_60:
	buffer_gl0_inv
	ds_load_2addr_b64 v[14:17], v8 offset1:1
	ds_load_b64 v[25:26], v8 offset:16
	s_cmp_lg_u32 s24, 0
	v_lshrrev_b32_e32 v40, 16, v18
	s_cselect_b32 s18, -1, 0
	s_cmp_lg_u64 s[6:7], 0
	v_lshrrev_b32_e32 v39, 16, v19
	s_cselect_b32 s0, -1, 0
	v_lshrrev_b32_e32 v38, 16, v20
	v_lshrrev_b32_e32 v37, 16, v21
	v_or_b32_e32 v12, 1, v1
	v_or_b32_e32 v6, 2, v1
	;; [unrolled: 1-line block ×3, first 2 shown]
	v_add_nc_u32_e32 v7, 4, v1
	v_add_nc_u32_e32 v5, 5, v1
	;; [unrolled: 1-line block ×5, first 2 shown]
	v_lshrrev_b32_e32 v36, 16, v27
	v_lshrrev_b32_e32 v31, 16, v28
	v_add_nc_u32_e32 v10, 9, v1
	v_add_nc_u32_e32 v8, 10, v1
	;; [unrolled: 1-line block ×3, first 2 shown]
	s_or_b32 s0, s0, s18
	s_waitcnt lgkmcnt(0)
	s_and_b32 vcc_lo, exec_lo, s0
	s_mov_b32 s0, 0
	s_barrier
	buffer_gl0_inv
	s_cbranch_vccz .LBB531_65
; %bb.61:
	v_add_co_u32 v22, s0, -2, s27
	s_delay_alu instid0(VALU_DEP_1)
	v_add_co_ci_u32_e64 v23, null, -1, s26, s0
	v_lshlrev_b32_e32 v29, 1, v0
	s_mov_b32 s0, -1
	s_and_b32 vcc_lo, exec_lo, s23
	flat_load_u16 v13, v[22:23]
	ds_store_b16 v29, v31
	s_cbranch_vccz .LBB531_66
; %bb.62:
	s_waitcnt vmcnt(0) lgkmcnt(1)
	v_mov_b32_e32 v22, v13
	s_waitcnt lgkmcnt(0)
	s_barrier
	buffer_gl0_inv
	s_and_saveexec_b32 s0, s3
	s_cbranch_execz .LBB531_64
; %bb.63:
	v_add_nc_u32_e32 v22, -2, v29
	ds_load_u16 v22, v22
.LBB531_64:
	s_or_b32 exec_lo, exec_lo, s0
	v_bfe_i32 v23, v28, 0, 16
	v_bfe_i32 v24, v31, 0, 16
	;; [unrolled: 1-line block ×5, first 2 shown]
	v_mul_i32_i24_e32 v23, 0x6667, v23
	v_mul_i32_i24_e32 v24, 0x6667, v24
	;; [unrolled: 1-line block ×4, first 2 shown]
	v_bfe_i32 v42, v38, 0, 16
	v_lshrrev_b32_e32 v33, 31, v23
	v_ashrrev_i32_e32 v23, 18, v23
	v_lshrrev_b32_e32 v34, 31, v24
	v_ashrrev_i32_e32 v24, 18, v24
	;; [unrolled: 2-line block ×3, first 2 shown]
	v_add_nc_u16 v23, v23, v33
	v_mul_i32_i24_e32 v33, 0x6667, v35
	v_add_nc_u16 v24, v24, v34
	v_bfe_i32 v34, v21, 0, 16
	v_add_nc_u16 v30, v30, v41
	v_lshrrev_b32_e32 v35, 31, v32
	v_ashrrev_i32_e32 v32, 18, v32
	v_cmp_ne_u16_e32 vcc_lo, v23, v24
	v_lshrrev_b32_e32 v41, 31, v33
	v_ashrrev_i32_e32 v33, 18, v33
	v_mul_i32_i24_e32 v34, 0x6667, v34
	v_add_nc_u16 v32, v32, v35
	v_cndmask_b32_e64 v24, 0, 1, vcc_lo
	v_cmp_ne_u16_e32 vcc_lo, v30, v23
	v_add_nc_u16 v33, v33, v41
	v_lshrrev_b32_e32 v35, 31, v34
	v_ashrrev_i32_e32 v34, 18, v34
	v_mul_i32_i24_e32 v41, 0x6667, v42
	v_cndmask_b32_e64 v23, 0, 1, vcc_lo
	v_cmp_ne_u16_e32 vcc_lo, v32, v30
	v_bfe_i32 v42, v39, 0, 16
	v_add_nc_u16 v34, v34, v35
	v_lshrrev_b32_e32 v35, 31, v41
	v_ashrrev_i32_e32 v41, 18, v41
	v_bfe_i32 v44, v19, 0, 16
	v_cndmask_b32_e64 v30, 0, 1, vcc_lo
	v_cmp_ne_u16_e32 vcc_lo, v33, v32
	v_mul_i32_i24_e32 v42, 0x6667, v42
	v_add_nc_u16 v35, v41, v35
	v_mul_i32_i24_e32 v41, 0x6667, v44
	v_bfe_i32 v44, v40, 0, 16
	v_cndmask_b32_e64 v32, 0, 1, vcc_lo
	v_bfe_i32 v43, v20, 0, 16
	v_cmp_ne_u16_e32 vcc_lo, v34, v33
	v_lshrrev_b32_e32 v45, 31, v42
	v_ashrrev_i32_e32 v42, 18, v42
	v_lshrrev_b32_e32 v46, 31, v41
	v_ashrrev_i32_e32 v41, 18, v41
	v_mul_i32_i24_e32 v44, 0x6667, v44
	v_cndmask_b32_e64 v33, 0, 1, vcc_lo
	v_mul_i32_i24_e32 v43, 0x6667, v43
	v_add_nc_u16 v42, v42, v45
	v_add_nc_u16 v41, v41, v46
	v_lshrrev_b32_e32 v45, 31, v44
	v_ashrrev_i32_e32 v44, 18, v44
	v_cmp_ne_u16_e32 vcc_lo, v35, v34
	v_lshrrev_b32_e32 v47, 31, v43
	v_ashrrev_i32_e32 v43, 18, v43
	v_bfe_i32 v46, v18, 0, 16
	v_add_nc_u16 v44, v44, v45
	v_cndmask_b32_e64 v34, 0, 1, vcc_lo
	v_cmp_ne_u16_e32 vcc_lo, v41, v42
	v_add_nc_u16 v43, v43, v47
	v_mul_i32_i24_e32 v45, 0x6667, v46
	s_waitcnt lgkmcnt(0)
	v_bfe_i32 v22, v22, 0, 16
	v_lshlrev_b16 v33, 8, v33
	v_cndmask_b32_e64 v46, 0, 1, vcc_lo
	v_cmp_ne_u16_e32 vcc_lo, v44, v41
	v_lshrrev_b32_e32 v47, 31, v45
	v_ashrrev_i32_e32 v45, 18, v45
	v_mul_i32_i24_e32 v22, 0x6667, v22
	v_lshlrev_b16 v46, 8, v46
	v_cndmask_b32_e64 v41, 0, 1, vcc_lo
	v_cmp_ne_u16_e32 vcc_lo, v43, v35
	v_add_nc_u16 v45, v45, v47
	v_lshlrev_b16 v30, 8, v30
	v_lshlrev_b16 v24, 8, v24
	v_lshrrev_b32_e32 v47, 31, v22
	v_cndmask_b32_e64 v35, 0, 1, vcc_lo
	v_cmp_ne_u16_e32 vcc_lo, v42, v43
	v_ashrrev_i32_e32 v22, 18, v22
	v_or_b32_e32 v41, v41, v46
	v_or_b32_e32 v33, v34, v33
	v_lshlrev_b16 v35, 8, v35
	v_cndmask_b32_e64 v42, 0, 1, vcc_lo
	v_cmp_ne_u16_e32 vcc_lo, v45, v44
	v_or_b32_e32 v30, v32, v30
	v_or_b32_e32 v23, v23, v24
	v_add_nc_u16 v22, v22, v47
	v_or_b32_e32 v35, v42, v35
	v_cndmask_b32_e64 v43, 0, 1, vcc_lo
	v_lshlrev_b32_e32 v41, 16, v41
	v_lshlrev_b32_e32 v33, 16, v33
	v_and_b32_e32 v30, 0xffff, v30
	v_and_b32_e32 v32, 0xffff, v35
	v_lshlrev_b16 v43, 8, v43
	v_lshlrev_b32_e32 v34, 16, v23
	v_cmp_ne_u16_e64 s4, v22, v45
	s_delay_alu instid0(VALU_DEP_4) | instskip(NEXT) | instid1(VALU_DEP_4)
	v_or_b32_e32 v23, v32, v33
	v_and_b32_e32 v24, 0xffff, v43
	s_delay_alu instid0(VALU_DEP_1)
	v_or_b32_e32 v22, v24, v41
	v_or_b32_e32 v41, v30, v34
	s_branch .LBB531_94
.LBB531_65:
                                        ; implicit-def: $sgpr4
                                        ; implicit-def: $vgpr41
                                        ; implicit-def: $vgpr22_vgpr23_vgpr24
	s_branch .LBB531_95
.LBB531_66:
                                        ; implicit-def: $sgpr4
                                        ; implicit-def: $vgpr41
                                        ; implicit-def: $vgpr22_vgpr23_vgpr24
	s_and_b32 vcc_lo, exec_lo, s0
	s_cbranch_vccz .LBB531_94
; %bb.67:
	s_mov_b32 s4, 0
	s_mov_b32 s0, 0
	s_mov_b32 s5, exec_lo
	v_cmpx_gt_u32_e64 s25, v9
	s_cbranch_execz .LBB531_69
; %bb.68:
	v_bfe_i32 v22, v28, 0, 16
	v_bfe_i32 v23, v31, 0, 16
	s_delay_alu instid0(VALU_DEP_2) | instskip(NEXT) | instid1(VALU_DEP_2)
	v_mul_i32_i24_e32 v22, 0x6667, v22
	v_mul_i32_i24_e32 v23, 0x6667, v23
	s_delay_alu instid0(VALU_DEP_2) | instskip(SKIP_1) | instid1(VALU_DEP_3)
	v_lshrrev_b32_e32 v24, 31, v22
	v_ashrrev_i32_e32 v22, 18, v22
	v_lshrrev_b32_e32 v30, 31, v23
	v_ashrrev_i32_e32 v23, 18, v23
	s_delay_alu instid0(VALU_DEP_3) | instskip(NEXT) | instid1(VALU_DEP_2)
	v_add_nc_u16 v22, v22, v24
	v_add_nc_u16 v23, v23, v30
	s_delay_alu instid0(VALU_DEP_1)
	v_cmp_ne_u16_e32 vcc_lo, v22, v23
	s_and_b32 s0, vcc_lo, exec_lo
.LBB531_69:
	s_or_b32 exec_lo, exec_lo, s5
	s_delay_alu instid0(SALU_CYCLE_1)
	s_mov_b32 s5, exec_lo
	v_cmpx_gt_u32_e64 s25, v8
	s_cbranch_execz .LBB531_71
; %bb.70:
	v_bfe_i32 v22, v36, 0, 16
	v_bfe_i32 v23, v28, 0, 16
	s_delay_alu instid0(VALU_DEP_2) | instskip(NEXT) | instid1(VALU_DEP_2)
	v_mul_i32_i24_e32 v22, 0x6667, v22
	v_mul_i32_i24_e32 v23, 0x6667, v23
	s_delay_alu instid0(VALU_DEP_2) | instskip(SKIP_1) | instid1(VALU_DEP_3)
	v_lshrrev_b32_e32 v24, 31, v22
	v_ashrrev_i32_e32 v22, 18, v22
	v_lshrrev_b32_e32 v30, 31, v23
	v_ashrrev_i32_e32 v23, 18, v23
	s_delay_alu instid0(VALU_DEP_3) | instskip(NEXT) | instid1(VALU_DEP_2)
	v_add_nc_u16 v22, v22, v24
	v_add_nc_u16 v23, v23, v30
	s_delay_alu instid0(VALU_DEP_1)
	v_cmp_ne_u16_e32 vcc_lo, v22, v23
	s_and_b32 s4, vcc_lo, exec_lo
.LBB531_71:
	s_or_b32 exec_lo, exec_lo, s5
	s_mov_b32 s6, 0
	s_mov_b32 s5, 0
	s_mov_b32 s7, exec_lo
	v_cmpx_gt_u32_e64 s25, v10
	s_cbranch_execz .LBB531_73
; %bb.72:
	v_bfe_i32 v22, v27, 0, 16
	v_bfe_i32 v23, v36, 0, 16
	s_delay_alu instid0(VALU_DEP_2) | instskip(NEXT) | instid1(VALU_DEP_2)
	v_mul_i32_i24_e32 v22, 0x6667, v22
	v_mul_i32_i24_e32 v23, 0x6667, v23
	s_delay_alu instid0(VALU_DEP_2) | instskip(SKIP_1) | instid1(VALU_DEP_3)
	v_lshrrev_b32_e32 v24, 31, v22
	v_ashrrev_i32_e32 v22, 18, v22
	v_lshrrev_b32_e32 v30, 31, v23
	v_ashrrev_i32_e32 v23, 18, v23
	s_delay_alu instid0(VALU_DEP_3) | instskip(NEXT) | instid1(VALU_DEP_2)
	v_add_nc_u16 v22, v22, v24
	v_add_nc_u16 v23, v23, v30
	s_delay_alu instid0(VALU_DEP_1)
	v_cmp_ne_u16_e32 vcc_lo, v22, v23
	s_and_b32 s5, vcc_lo, exec_lo
.LBB531_73:
	s_or_b32 exec_lo, exec_lo, s7
	s_delay_alu instid0(SALU_CYCLE_1)
	s_mov_b32 s7, exec_lo
	v_cmpx_gt_u32_e64 s25, v11
	s_cbranch_execz .LBB531_75
; %bb.74:
	v_bfe_i32 v22, v37, 0, 16
	v_bfe_i32 v23, v27, 0, 16
	s_delay_alu instid0(VALU_DEP_2) | instskip(NEXT) | instid1(VALU_DEP_2)
	v_mul_i32_i24_e32 v22, 0x6667, v22
	v_mul_i32_i24_e32 v23, 0x6667, v23
	s_delay_alu instid0(VALU_DEP_2) | instskip(SKIP_1) | instid1(VALU_DEP_3)
	v_lshrrev_b32_e32 v24, 31, v22
	v_ashrrev_i32_e32 v22, 18, v22
	v_lshrrev_b32_e32 v30, 31, v23
	v_ashrrev_i32_e32 v23, 18, v23
	s_delay_alu instid0(VALU_DEP_3) | instskip(NEXT) | instid1(VALU_DEP_2)
	v_add_nc_u16 v22, v22, v24
	v_add_nc_u16 v23, v23, v30
	s_delay_alu instid0(VALU_DEP_1)
	v_cmp_ne_u16_e32 vcc_lo, v22, v23
	s_and_b32 s6, vcc_lo, exec_lo
.LBB531_75:
	s_or_b32 exec_lo, exec_lo, s7
	;; [unrolled: 47-line block ×5, first 2 shown]
	s_mov_b32 s28, 0
	s_mov_b32 s29, exec_lo
	v_cmpx_gt_u32_e64 s25, v12
	s_cbranch_execz .LBB531_89
; %bb.88:
	v_bfe_i32 v22, v18, 0, 16
	v_bfe_i32 v23, v40, 0, 16
	s_delay_alu instid0(VALU_DEP_2) | instskip(NEXT) | instid1(VALU_DEP_2)
	v_mul_i32_i24_e32 v22, 0x6667, v22
	v_mul_i32_i24_e32 v23, 0x6667, v23
	s_delay_alu instid0(VALU_DEP_2) | instskip(SKIP_1) | instid1(VALU_DEP_3)
	v_lshrrev_b32_e32 v24, 31, v22
	v_ashrrev_i32_e32 v22, 18, v22
	v_lshrrev_b32_e32 v30, 31, v23
	v_ashrrev_i32_e32 v23, 18, v23
	s_delay_alu instid0(VALU_DEP_3) | instskip(NEXT) | instid1(VALU_DEP_2)
	v_add_nc_u16 v22, v22, v24
	v_add_nc_u16 v23, v23, v30
	s_delay_alu instid0(VALU_DEP_1)
	v_cmp_ne_u16_e32 vcc_lo, v22, v23
	s_and_b32 s28, vcc_lo, exec_lo
.LBB531_89:
	s_or_b32 exec_lo, exec_lo, s29
	s_waitcnt vmcnt(0) lgkmcnt(0)
	s_barrier
	buffer_gl0_inv
	s_and_saveexec_b32 s29, s3
	s_cbranch_execz .LBB531_91
; %bb.90:
	v_add_nc_u32_e32 v13, -2, v29
	ds_load_u16 v13, v13
.LBB531_91:
	s_or_b32 exec_lo, exec_lo, s29
	v_cndmask_b32_e64 v24, 0, 1, s26
	v_cndmask_b32_e64 v30, 0, 1, s20
	;; [unrolled: 1-line block ×11, first 2 shown]
	v_lshlrev_b16 v24, 8, v24
	v_lshlrev_b16 v30, 8, v30
	v_lshlrev_b16 v33, 8, v33
	v_lshlrev_b16 v35, 8, v35
	v_lshlrev_b16 v42, 8, v42
	v_lshlrev_b16 v22, 8, v22
	v_or_b32_e32 v23, v23, v24
	v_or_b32_e32 v24, v29, v30
	v_or_b32_e32 v29, v32, v33
	v_or_b32_e32 v30, v34, v35
	v_or_b32_e32 v32, v41, v42
	v_and_b32_e32 v22, 0xffff, v22
	v_lshlrev_b32_e32 v23, 16, v23
	v_and_b32_e32 v24, 0xffff, v24
	v_lshlrev_b32_e32 v29, 16, v29
	;; [unrolled: 2-line block ×3, first 2 shown]
	s_mov_b32 s4, 0
	s_mov_b32 s0, exec_lo
	v_cmpx_gt_u32_e64 s25, v1
	s_cbranch_execz .LBB531_93
; %bb.92:
	s_waitcnt lgkmcnt(0)
	v_bfe_i32 v13, v13, 0, 16
	v_bfe_i32 v33, v18, 0, 16
	s_delay_alu instid0(VALU_DEP_2) | instskip(NEXT) | instid1(VALU_DEP_2)
	v_mul_i32_i24_e32 v13, 0x6667, v13
	v_mul_i32_i24_e32 v33, 0x6667, v33
	s_delay_alu instid0(VALU_DEP_2) | instskip(SKIP_1) | instid1(VALU_DEP_3)
	v_lshrrev_b32_e32 v34, 31, v13
	v_ashrrev_i32_e32 v13, 18, v13
	v_lshrrev_b32_e32 v35, 31, v33
	v_ashrrev_i32_e32 v33, 18, v33
	s_delay_alu instid0(VALU_DEP_3) | instskip(NEXT) | instid1(VALU_DEP_2)
	v_add_nc_u16 v13, v13, v34
	v_add_nc_u16 v33, v33, v35
	s_delay_alu instid0(VALU_DEP_1)
	v_cmp_ne_u16_e32 vcc_lo, v13, v33
	s_and_b32 s4, vcc_lo, exec_lo
.LBB531_93:
	s_or_b32 exec_lo, exec_lo, s0
	v_or_b32_e32 v22, v22, v23
	v_or_b32_e32 v23, v24, v29
	v_or_b32_e32 v41, v30, v32
.LBB531_94:
	s_mov_b32 s0, -1
	s_cbranch_execnz .LBB531_127
.LBB531_95:
	v_bfe_i32 v22, v28, 0, 16
	v_bfe_i32 v23, v36, 0, 16
	;; [unrolled: 1-line block ×10, first 2 shown]
	s_waitcnt vmcnt(0) lgkmcnt(0)
	v_lshlrev_b32_e32 v13, 1, v0
	v_mul_i32_i24_e32 v45, 0x6667, v22
	v_mul_i32_i24_e32 v44, 0x6667, v23
	;; [unrolled: 1-line block ×10, first 2 shown]
	s_and_b32 vcc_lo, exec_lo, s23
	ds_store_b16 v13, v31
	s_cbranch_vccz .LBB531_99
; %bb.96:
	v_bfe_i32 v22, v31, 0, 16
	v_lshrrev_b32_e32 v23, 31, v45
	v_ashrrev_i32_e32 v24, 18, v45
	v_lshrrev_b32_e32 v41, 31, v44
	v_ashrrev_i32_e32 v46, 18, v44
	v_mul_i32_i24_e32 v22, 0x6667, v22
	v_lshrrev_b32_e32 v47, 31, v43
	v_add_nc_u16 v23, v24, v23
	v_ashrrev_i32_e32 v48, 18, v43
	v_add_nc_u16 v24, v46, v41
	v_lshrrev_b32_e32 v50, 31, v22
	v_ashrrev_i32_e32 v22, 18, v22
	v_lshrrev_b32_e32 v49, 31, v42
	v_ashrrev_i32_e32 v51, 18, v42
	v_cmp_ne_u16_e32 vcc_lo, v24, v23
	v_add_nc_u16 v41, v48, v47
	v_add_nc_u16 v22, v22, v50
	v_ashrrev_i32_e32 v48, 18, v35
	v_add_nc_u16 v46, v51, v49
	v_cndmask_b32_e64 v47, 0, 1, vcc_lo
	v_lshrrev_b32_e32 v49, 31, v34
	v_cmp_ne_u16_e32 vcc_lo, v23, v22
	v_lshrrev_b32_e32 v23, 31, v35
	v_ashrrev_i32_e32 v50, 18, v34
	v_ashrrev_i32_e32 v51, 18, v32
	v_bfe_i32 v52, v18, 0, 16
	v_cndmask_b32_e64 v22, 0, 1, vcc_lo
	v_cmp_ne_u16_e32 vcc_lo, v41, v24
	v_add_nc_u16 v23, v48, v23
	v_add_nc_u16 v48, v50, v49
	v_lshrrev_b32_e32 v49, 31, v33
	v_ashrrev_i32_e32 v50, 18, v33
	v_cndmask_b32_e64 v24, 0, 1, vcc_lo
	v_cmp_ne_u16_e32 vcc_lo, v46, v41
	v_lshrrev_b32_e32 v53, 31, v30
	v_ashrrev_i32_e32 v54, 18, v30
	v_add_nc_u16 v49, v50, v49
	v_lshrrev_b32_e32 v50, 31, v32
	v_cndmask_b32_e64 v41, 0, 1, vcc_lo
	v_cmp_ne_u16_e32 vcc_lo, v23, v46
	v_mul_i32_i24_e32 v52, 0x6667, v52
	v_lshlrev_b16 v56, 8, v24
	v_add_nc_u16 v50, v51, v50
	v_add_nc_u16 v51, v54, v53
	v_cndmask_b32_e64 v46, 0, 1, vcc_lo
	v_cmp_ne_u16_e32 vcc_lo, v48, v23
	v_lshrrev_b32_e32 v53, 31, v29
	v_ashrrev_i32_e32 v54, 18, v29
	v_lshrrev_b32_e32 v55, 31, v52
	v_ashrrev_i32_e32 v52, 18, v52
	v_cndmask_b32_e64 v23, 0, 1, vcc_lo
	v_cmp_ne_u16_e32 vcc_lo, v49, v48
	v_add_nc_u16 v53, v54, v53
	v_lshlrev_b16 v22, 8, v22
	v_add_nc_u16 v24, v52, v55
	v_lshlrev_b16 v46, 8, v46
	v_cndmask_b32_e64 v48, 0, 1, vcc_lo
	v_cmp_ne_u16_e32 vcc_lo, v50, v49
	v_or_b32_e32 v41, v41, v56
	v_or_b32_e32 v22, v47, v22
	;; [unrolled: 1-line block ×3, first 2 shown]
	v_lshlrev_b16 v48, 8, v48
	v_cndmask_b32_e64 v49, 0, 1, vcc_lo
	v_cmp_ne_u16_e32 vcc_lo, v51, v50
	v_and_b32_e32 v41, 0xffff, v41
	v_lshlrev_b32_e32 v22, 16, v22
	v_lshlrev_b32_e32 v23, 16, v23
	v_or_b32_e32 v47, v49, v48
	v_cndmask_b32_e64 v50, 0, 1, vcc_lo
	v_cmp_ne_u16_e32 vcc_lo, v53, v51
	v_or_b32_e32 v41, v41, v22
	s_waitcnt lgkmcnt(0)
	v_and_b32_e32 v47, 0xffff, v47
	v_lshlrev_b16 v50, 8, v50
	v_cndmask_b32_e64 v51, 0, 1, vcc_lo
	v_cmp_ne_u16_e32 vcc_lo, v24, v53
	s_barrier
	v_or_b32_e32 v23, v47, v23
	buffer_gl0_inv
	v_or_b32_e32 v46, v51, v50
	v_cndmask_b32_e64 v52, 0, 1, vcc_lo
                                        ; implicit-def: $sgpr4
	s_delay_alu instid0(VALU_DEP_2) | instskip(NEXT) | instid1(VALU_DEP_2)
	v_lshlrev_b32_e32 v46, 16, v46
	v_lshlrev_b16 v52, 8, v52
	s_delay_alu instid0(VALU_DEP_1) | instskip(NEXT) | instid1(VALU_DEP_1)
	v_or_b32_e32 v48, 1, v52
	v_and_b32_e32 v48, 0xffff, v48
	s_delay_alu instid0(VALU_DEP_1) | instskip(SKIP_1) | instid1(SALU_CYCLE_1)
	v_or_b32_e32 v22, v48, v46
	s_and_saveexec_b32 s5, s3
	s_xor_b32 s5, exec_lo, s5
	s_cbranch_execz .LBB531_98
; %bb.97:
	v_add_nc_u32_e32 v46, -2, v13
	s_or_b32 s0, s0, exec_lo
	ds_load_i16 v46, v46
	s_waitcnt lgkmcnt(0)
	v_mul_i32_i24_e32 v46, 0x6667, v46
	s_delay_alu instid0(VALU_DEP_1) | instskip(SKIP_1) | instid1(VALU_DEP_1)
	v_lshrrev_b32_e32 v47, 31, v46
	v_ashrrev_i32_e32 v46, 18, v46
	v_add_nc_u16 v46, v46, v47
	s_delay_alu instid0(VALU_DEP_1)
	v_cmp_ne_u16_e32 vcc_lo, v46, v24
	s_and_b32 s4, vcc_lo, exec_lo
.LBB531_98:
	s_or_b32 exec_lo, exec_lo, s5
	s_branch .LBB531_127
.LBB531_99:
                                        ; implicit-def: $sgpr4
                                        ; implicit-def: $vgpr41
                                        ; implicit-def: $vgpr22_vgpr23_vgpr24
	s_cbranch_execz .LBB531_127
; %bb.100:
	s_mov_b32 s4, 0
	s_mov_b32 s5, 0
	s_mov_b32 s6, exec_lo
	v_cmpx_gt_u32_e64 s25, v9
; %bb.101:
	v_bfe_i32 v22, v31, 0, 16
	v_lshrrev_b32_e32 v23, 31, v45
	v_ashrrev_i32_e32 v24, 18, v45
	s_delay_alu instid0(VALU_DEP_3) | instskip(NEXT) | instid1(VALU_DEP_2)
	v_mul_i32_i24_e32 v22, 0x6667, v22
	v_add_nc_u16 v23, v24, v23
	s_delay_alu instid0(VALU_DEP_2) | instskip(SKIP_1) | instid1(VALU_DEP_1)
	v_lshrrev_b32_e32 v41, 31, v22
	v_ashrrev_i32_e32 v22, 18, v22
	v_add_nc_u16 v22, v22, v41
	s_delay_alu instid0(VALU_DEP_1)
	v_cmp_ne_u16_e32 vcc_lo, v23, v22
	s_and_b32 s5, vcc_lo, exec_lo
; %bb.102:
	s_or_b32 exec_lo, exec_lo, s6
	s_delay_alu instid0(SALU_CYCLE_1)
	s_mov_b32 s6, exec_lo
	v_cmpx_gt_u32_e64 s25, v8
; %bb.103:
	v_lshrrev_b32_e32 v22, 31, v44
	v_ashrrev_i32_e32 v23, 18, v44
	v_lshrrev_b32_e32 v24, 31, v45
	v_ashrrev_i32_e32 v41, 18, v45
	s_delay_alu instid0(VALU_DEP_3) | instskip(NEXT) | instid1(VALU_DEP_2)
	v_add_nc_u16 v22, v23, v22
	v_add_nc_u16 v23, v41, v24
	s_delay_alu instid0(VALU_DEP_1)
	v_cmp_ne_u16_e32 vcc_lo, v22, v23
	s_and_b32 s4, vcc_lo, exec_lo
; %bb.104:
	s_or_b32 exec_lo, exec_lo, s6
	s_mov_b32 s6, 0
	s_mov_b32 s7, 0
	s_mov_b32 s19, exec_lo
	v_cmpx_gt_u32_e64 s25, v10
; %bb.105:
	v_lshrrev_b32_e32 v22, 31, v43
	v_ashrrev_i32_e32 v23, 18, v43
	v_lshrrev_b32_e32 v24, 31, v44
	v_ashrrev_i32_e32 v41, 18, v44
	s_delay_alu instid0(VALU_DEP_3) | instskip(NEXT) | instid1(VALU_DEP_2)
	v_add_nc_u16 v22, v23, v22
	v_add_nc_u16 v23, v41, v24
	s_delay_alu instid0(VALU_DEP_1)
	v_cmp_ne_u16_e32 vcc_lo, v22, v23
	s_and_b32 s7, vcc_lo, exec_lo
; %bb.106:
	s_or_b32 exec_lo, exec_lo, s19
	s_delay_alu instid0(SALU_CYCLE_1)
	s_mov_b32 s19, exec_lo
	v_cmpx_gt_u32_e64 s25, v11
; %bb.107:
	v_lshrrev_b32_e32 v22, 31, v42
	v_ashrrev_i32_e32 v23, 18, v42
	v_lshrrev_b32_e32 v24, 31, v43
	v_ashrrev_i32_e32 v41, 18, v43
	s_delay_alu instid0(VALU_DEP_3) | instskip(NEXT) | instid1(VALU_DEP_2)
	v_add_nc_u16 v22, v23, v22
	v_add_nc_u16 v23, v41, v24
	s_delay_alu instid0(VALU_DEP_1)
	v_cmp_ne_u16_e32 vcc_lo, v22, v23
	s_and_b32 s6, vcc_lo, exec_lo
; %bb.108:
	s_or_b32 exec_lo, exec_lo, s19
	s_mov_b32 s20, 0
	s_mov_b32 s19, 0
	s_mov_b32 s21, exec_lo
	v_cmpx_gt_u32_e64 s25, v2
; %bb.109:
	v_lshrrev_b32_e32 v22, 31, v35
	v_ashrrev_i32_e32 v23, 18, v35
	v_lshrrev_b32_e32 v24, 31, v42
	v_ashrrev_i32_e32 v41, 18, v42
	s_delay_alu instid0(VALU_DEP_3) | instskip(NEXT) | instid1(VALU_DEP_2)
	v_add_nc_u16 v22, v23, v22
	;; [unrolled: 33-line block ×4, first 2 shown]
	v_add_nc_u16 v23, v32, v24
	s_delay_alu instid0(VALU_DEP_1)
	v_cmp_ne_u16_e32 vcc_lo, v22, v23
	s_and_b32 s27, vcc_lo, exec_lo
; %bb.118:
	s_or_b32 exec_lo, exec_lo, s29
	s_delay_alu instid0(SALU_CYCLE_1)
	s_mov_b32 s29, exec_lo
	v_cmpx_gt_u32_e64 s25, v6
; %bb.119:
	v_lshrrev_b32_e32 v22, 31, v29
	v_ashrrev_i32_e32 v23, 18, v29
	v_lshrrev_b32_e32 v24, 31, v30
	v_ashrrev_i32_e32 v30, 18, v30
	s_delay_alu instid0(VALU_DEP_3) | instskip(NEXT) | instid1(VALU_DEP_2)
	v_add_nc_u16 v22, v23, v22
	v_add_nc_u16 v23, v30, v24
	s_delay_alu instid0(VALU_DEP_1)
	v_cmp_ne_u16_e32 vcc_lo, v22, v23
	s_and_b32 s28, vcc_lo, exec_lo
; %bb.120:
	s_or_b32 exec_lo, exec_lo, s29
	s_mov_b32 s29, 0
	s_mov_b32 s30, exec_lo
	v_cmpx_gt_u32_e64 s25, v12
; %bb.121:
	v_bfe_i32 v22, v18, 0, 16
	v_lshrrev_b32_e32 v23, 31, v29
	v_ashrrev_i32_e32 v29, 18, v29
	s_delay_alu instid0(VALU_DEP_3) | instskip(NEXT) | instid1(VALU_DEP_2)
	v_mul_i32_i24_e32 v22, 0x6667, v22
	v_add_nc_u16 v23, v29, v23
	s_delay_alu instid0(VALU_DEP_2) | instskip(SKIP_1) | instid1(VALU_DEP_1)
	v_lshrrev_b32_e32 v24, 31, v22
	v_ashrrev_i32_e32 v22, 18, v22
	v_add_nc_u16 v22, v22, v24
	s_delay_alu instid0(VALU_DEP_1)
	v_cmp_ne_u16_e32 vcc_lo, v22, v23
	s_and_b32 s29, vcc_lo, exec_lo
; %bb.122:
	s_or_b32 exec_lo, exec_lo, s30
	v_cndmask_b32_e64 v22, 0, 1, s7
	v_cndmask_b32_e64 v24, 0, 1, s27
	;; [unrolled: 1-line block ×5, first 2 shown]
	v_lshlrev_b16 v22, 8, v22
	v_cndmask_b32_e64 v35, 0, 1, s19
	v_cndmask_b32_e64 v41, 0, 1, s29
	;; [unrolled: 1-line block ×5, first 2 shown]
	v_or_b32_e32 v22, v30, v22
	v_cndmask_b32_e64 v30, 0, 1, s4
	v_lshlrev_b16 v34, 8, v34
	v_lshlrev_b16 v32, 8, v32
	;; [unrolled: 1-line block ×5, first 2 shown]
	v_or_b32_e32 v30, v30, v34
	v_or_b32_e32 v29, v29, v32
	;; [unrolled: 1-line block ×5, first 2 shown]
	v_and_b32_e32 v22, 0xffff, v22
	v_lshlrev_b32_e32 v24, 16, v30
	v_and_b32_e32 v29, 0xffff, v29
	v_lshlrev_b32_e32 v30, 16, v32
	;; [unrolled: 2-line block ×3, first 2 shown]
	v_or_b32_e32 v41, v22, v24
	s_waitcnt lgkmcnt(0)
	v_or_b32_e32 v23, v29, v30
	s_barrier
	v_or_b32_e32 v22, v32, v33
	buffer_gl0_inv
                                        ; implicit-def: $sgpr4
	s_and_saveexec_b32 s5, s3
	s_cbranch_execz .LBB531_126
; %bb.123:
	s_mov_b32 s4, 0
	s_mov_b32 s3, exec_lo
	v_cmpx_gt_u32_e64 s25, v1
	s_cbranch_execz .LBB531_125
; %bb.124:
	v_add_nc_u32_e32 v13, -2, v13
	v_bfe_i32 v24, v18, 0, 16
	ds_load_i16 v13, v13
	v_mul_i32_i24_e32 v24, 0x6667, v24
	s_delay_alu instid0(VALU_DEP_1) | instskip(SKIP_1) | instid1(VALU_DEP_1)
	v_lshrrev_b32_e32 v29, 31, v24
	v_ashrrev_i32_e32 v24, 18, v24
	v_add_nc_u16 v24, v24, v29
	s_waitcnt lgkmcnt(0)
	v_mul_i32_i24_e32 v13, 0x6667, v13
	s_delay_alu instid0(VALU_DEP_1) | instskip(SKIP_1) | instid1(VALU_DEP_1)
	v_lshrrev_b32_e32 v30, 31, v13
	v_ashrrev_i32_e32 v13, 18, v13
	v_add_nc_u16 v13, v13, v30
	s_delay_alu instid0(VALU_DEP_1)
	v_cmp_ne_u16_e32 vcc_lo, v13, v24
	s_and_b32 s4, vcc_lo, exec_lo
.LBB531_125:
	s_or_b32 exec_lo, exec_lo, s3
	s_delay_alu instid0(SALU_CYCLE_1)
	s_and_b32 s4, s4, exec_lo
	s_or_b32 s0, s0, exec_lo
.LBB531_126:
	s_or_b32 exec_lo, exec_lo, s5
.LBB531_127:
	s_and_saveexec_b32 s3, s0
	s_cbranch_execz .LBB531_129
; %bb.128:
	s_waitcnt vmcnt(0) lgkmcnt(0)
	v_and_b32_e32 v13, 0xffffff00, v22
	v_cndmask_b32_e64 v24, 0, 1, s4
	s_delay_alu instid0(VALU_DEP_1) | instskip(NEXT) | instid1(VALU_DEP_1)
	v_or_b32_e32 v13, v24, v13
	v_and_b32_e32 v13, 0xffff, v13
	s_delay_alu instid0(VALU_DEP_1)
	v_and_or_b32 v22, 0xffff0000, v22, v13
.LBB531_129:
	s_or_b32 exec_lo, exec_lo, s3
	s_delay_alu instid0(SALU_CYCLE_1)
	s_and_not1_b32 vcc_lo, exec_lo, s1
	s_cbranch_vccnz .LBB531_131
; %bb.130:
	v_cmp_gt_u32_e32 vcc_lo, s25, v1
	v_cmp_gt_u32_e64 s1, s25, v6
	v_cmp_gt_u32_e64 s4, s25, v4
	;; [unrolled: 1-line block ×4, first 2 shown]
	v_cndmask_b32_e32 v1, 0, v22, vcc_lo
	v_cmp_gt_u32_e32 vcc_lo, s25, v12
	v_and_b32_e32 v12, 0xffffff00, v23
	v_cmp_gt_u32_e64 s5, s25, v3
	s_delay_alu instid0(VALU_DEP_4) | instskip(NEXT) | instid1(VALU_DEP_3)
	v_and_b32_e32 v1, 0xff, v1
	v_cndmask_b32_e64 v7, v12, v23, s0
	s_delay_alu instid0(VALU_DEP_2) | instskip(SKIP_1) | instid1(VALU_DEP_3)
	v_cndmask_b32_e32 v1, v1, v22, vcc_lo
	v_cmp_gt_u32_e32 vcc_lo, s25, v11
	v_and_b32_e32 v7, 0xffff00ff, v7
	s_delay_alu instid0(VALU_DEP_3) | instskip(SKIP_1) | instid1(VALU_DEP_3)
	v_and_b32_e32 v1, 0xffff, v1
	v_cndmask_b32_e32 v11, 0, v41, vcc_lo
	v_cndmask_b32_e64 v5, v7, v23, s3
	s_delay_alu instid0(VALU_DEP_3) | instskip(SKIP_1) | instid1(VALU_DEP_3)
	v_cndmask_b32_e64 v1, v1, v22, s1
	v_cmp_gt_u32_e64 s1, s25, v10
	v_and_b32_e32 v5, 0xff00ffff, v5
	s_delay_alu instid0(VALU_DEP_3) | instskip(NEXT) | instid1(VALU_DEP_2)
	v_and_b32_e32 v1, 0xffffff, v1
	v_cndmask_b32_e64 v3, v5, v23, s5
	s_delay_alu instid0(VALU_DEP_2) | instskip(SKIP_1) | instid1(VALU_DEP_2)
	v_cndmask_b32_e64 v1, v1, v22, s4
	v_cmp_gt_u32_e64 s4, s25, v8
	v_cndmask_b32_e64 v1, v1, v22, s0
	v_cmp_gt_u32_e64 s0, s25, v9
	s_delay_alu instid0(VALU_DEP_2) | instskip(SKIP_2) | instid1(VALU_DEP_3)
	v_cndmask_b32_e64 v1, v1, v22, s3
	v_cmp_gt_u32_e64 s3, s25, v2
	v_and_b32_e32 v2, 0xffffff, v3
	v_cndmask_b32_e64 v1, v1, v22, s5
	v_and_b32_e32 v11, 0xff, v11
	s_delay_alu instid0(VALU_DEP_1) | instskip(NEXT) | instid1(VALU_DEP_1)
	v_cndmask_b32_e64 v6, v11, v41, s1
	v_and_b32_e32 v6, 0xffff, v6
	s_delay_alu instid0(VALU_DEP_1) | instskip(NEXT) | instid1(VALU_DEP_1)
	v_cndmask_b32_e64 v4, v6, v41, s4
	v_and_b32_e32 v4, 0xffffff, v4
	s_delay_alu instid0(VALU_DEP_1) | instskip(SKIP_1) | instid1(SALU_CYCLE_1)
	v_cndmask_b32_e64 v41, v4, v41, s0
	s_or_b32 s0, s0, s4
	s_or_b32 s0, s0, s1
	s_delay_alu instid0(SALU_CYCLE_1) | instskip(NEXT) | instid1(SALU_CYCLE_1)
	s_or_b32 s0, s0, vcc_lo
	s_or_b32 vcc_lo, s0, s3
	v_dual_cndmask_b32 v22, v1, v22 :: v_dual_cndmask_b32 v23, v2, v23
.LBB531_131:
	s_delay_alu instid0(VALU_DEP_1) | instskip(NEXT) | instid1(VALU_DEP_2)
	v_and_b32_e32 v42, 0xff, v22
	v_alignbit_b32 v1, v23, v22, 24
	v_bfe_u32 v43, v22, 8, 8
	v_bfe_u32 v44, v22, 16, 8
	v_and_b32_e32 v46, 0xff, v23
	v_bfe_u32 v47, v23, 8, 8
	v_and_b32_e32 v45, 0xff, v1
	v_dual_mov_b32 v1, v41 :: v_dual_add_nc_u32 v2, v43, v42
	v_bfe_u32 v48, v23, 16, 8
	v_lshrrev_b32_e32 v24, 24, v23
	v_and_b32_e32 v49, 0xff, v41
	v_mbcnt_lo_u32_b32 v52, -1, 0
	v_add3_u32 v2, v2, v44, v45
	v_bfe_u32 v50, v41, 8, 8
	v_alignbit_b32 v3, s0, v41, 24
	v_bfe_u32 v51, v41, 16, 8
	v_and_b32_e32 v4, 15, v52
	v_add3_u32 v2, v2, v46, v47
	v_or_b32_e32 v5, 31, v0
	v_and_b32_e32 v3, 0xff, v3
	v_and_b32_e32 v6, 16, v52
	v_cmp_eq_u32_e64 s6, 0, v4
	v_add3_u32 v2, v2, v48, v24
	v_cmp_lt_u32_e64 s5, 1, v4
	v_cmp_lt_u32_e64 s4, 3, v4
	;; [unrolled: 1-line block ×3, first 2 shown]
	v_cmp_eq_u32_e64 s1, 0, v6
	v_add3_u32 v2, v2, v49, v50
	v_lshrrev_b32_e32 v53, 5, v0
	v_cmp_eq_u32_e64 s0, v5, v0
	s_and_b32 vcc_lo, exec_lo, s18
	s_mov_b32 s7, -1
	v_add3_u32 v54, v2, v51, v3
	s_waitcnt vmcnt(0) lgkmcnt(0)
	s_barrier
	buffer_gl0_inv
	s_cbranch_vccz .LBB531_157
; %bb.132:
	v_mov_b32_dpp v2, v54 row_shr:1 row_mask:0xf bank_mask:0xf
	s_delay_alu instid0(VALU_DEP_1) | instskip(NEXT) | instid1(VALU_DEP_1)
	v_cndmask_b32_e64 v2, v2, 0, s6
	v_add_nc_u32_e32 v2, v2, v54
	s_delay_alu instid0(VALU_DEP_1) | instskip(NEXT) | instid1(VALU_DEP_1)
	v_mov_b32_dpp v3, v2 row_shr:2 row_mask:0xf bank_mask:0xf
	v_cndmask_b32_e64 v3, 0, v3, s5
	s_delay_alu instid0(VALU_DEP_1) | instskip(NEXT) | instid1(VALU_DEP_1)
	v_add_nc_u32_e32 v2, v2, v3
	v_mov_b32_dpp v3, v2 row_shr:4 row_mask:0xf bank_mask:0xf
	s_delay_alu instid0(VALU_DEP_1) | instskip(NEXT) | instid1(VALU_DEP_1)
	v_cndmask_b32_e64 v3, 0, v3, s4
	v_add_nc_u32_e32 v2, v2, v3
	s_delay_alu instid0(VALU_DEP_1) | instskip(NEXT) | instid1(VALU_DEP_1)
	v_mov_b32_dpp v3, v2 row_shr:8 row_mask:0xf bank_mask:0xf
	v_cndmask_b32_e64 v3, 0, v3, s3
	s_delay_alu instid0(VALU_DEP_1) | instskip(SKIP_3) | instid1(VALU_DEP_1)
	v_add_nc_u32_e32 v2, v2, v3
	ds_swizzle_b32 v3, v2 offset:swizzle(BROADCAST,32,15)
	s_waitcnt lgkmcnt(0)
	v_cndmask_b32_e64 v3, v3, 0, s1
	v_add_nc_u32_e32 v2, v2, v3
	s_and_saveexec_b32 s7, s0
	s_cbranch_execz .LBB531_134
; %bb.133:
	v_lshlrev_b32_e32 v3, 2, v53
	ds_store_b32 v3, v2
.LBB531_134:
	s_or_b32 exec_lo, exec_lo, s7
	s_delay_alu instid0(SALU_CYCLE_1)
	s_mov_b32 s7, exec_lo
	s_waitcnt lgkmcnt(0)
	s_barrier
	buffer_gl0_inv
	v_cmpx_gt_u32_e32 4, v0
	s_cbranch_execz .LBB531_136
; %bb.135:
	v_and_b32_e32 v5, 3, v52
	s_delay_alu instid0(VALU_DEP_1) | instskip(SKIP_4) | instid1(VALU_DEP_1)
	v_cmp_ne_u32_e32 vcc_lo, 0, v5
	v_lshlrev_b32_e32 v3, 2, v0
	ds_load_b32 v4, v3
	s_waitcnt lgkmcnt(0)
	v_mov_b32_dpp v6, v4 row_shr:1 row_mask:0xf bank_mask:0xf
	v_cndmask_b32_e32 v6, 0, v6, vcc_lo
	v_cmp_lt_u32_e32 vcc_lo, 1, v5
	s_delay_alu instid0(VALU_DEP_2) | instskip(NEXT) | instid1(VALU_DEP_1)
	v_add_nc_u32_e32 v4, v6, v4
	v_mov_b32_dpp v6, v4 row_shr:2 row_mask:0xf bank_mask:0xf
	s_delay_alu instid0(VALU_DEP_1) | instskip(NEXT) | instid1(VALU_DEP_1)
	v_cndmask_b32_e32 v5, 0, v6, vcc_lo
	v_add_nc_u32_e32 v4, v4, v5
	ds_store_b32 v3, v4
.LBB531_136:
	s_or_b32 exec_lo, exec_lo, s7
	v_cmp_gt_u32_e32 vcc_lo, 32, v0
	s_mov_b32 s18, exec_lo
	s_waitcnt lgkmcnt(0)
	s_barrier
	buffer_gl0_inv
                                        ; implicit-def: $vgpr10
	v_cmpx_lt_u32_e32 31, v0
	s_cbranch_execz .LBB531_138
; %bb.137:
	v_lshl_add_u32 v3, v53, 2, -4
	ds_load_b32 v10, v3
	s_waitcnt lgkmcnt(0)
	v_add_nc_u32_e32 v2, v10, v2
.LBB531_138:
	s_or_b32 exec_lo, exec_lo, s18
	v_add_nc_u32_e32 v3, -1, v52
	s_delay_alu instid0(VALU_DEP_1) | instskip(NEXT) | instid1(VALU_DEP_1)
	v_cmp_gt_i32_e64 s7, 0, v3
	v_cndmask_b32_e64 v3, v3, v52, s7
	v_cmp_eq_u32_e64 s7, 0, v52
	s_delay_alu instid0(VALU_DEP_2)
	v_lshlrev_b32_e32 v3, 2, v3
	ds_bpermute_b32 v11, v3, v2
	s_and_saveexec_b32 s18, vcc_lo
	s_cbranch_execz .LBB531_156
; %bb.139:
	v_mov_b32_e32 v6, 0
	ds_load_b32 v2, v6 offset:12
	s_and_saveexec_b32 s19, s7
	s_cbranch_execz .LBB531_141
; %bb.140:
	s_add_i32 s20, s24, 32
	s_mov_b32 s21, 0
	v_mov_b32_e32 v3, 1
	s_lshl_b64 s[20:21], s[20:21], 3
	s_delay_alu instid0(SALU_CYCLE_1)
	s_add_u32 s20, s16, s20
	s_addc_u32 s21, s17, s21
	s_waitcnt lgkmcnt(0)
	global_store_b64 v6, v[2:3], s[20:21]
.LBB531_141:
	s_or_b32 exec_lo, exec_lo, s19
	v_xad_u32 v4, v52, -1, s24
	s_mov_b32 s20, 0
	s_mov_b32 s19, exec_lo
	s_delay_alu instid0(VALU_DEP_1) | instskip(NEXT) | instid1(VALU_DEP_1)
	v_add_nc_u32_e32 v5, 32, v4
	v_lshlrev_b64 v[5:6], 3, v[5:6]
	s_delay_alu instid0(VALU_DEP_1) | instskip(NEXT) | instid1(VALU_DEP_2)
	v_add_co_u32 v8, vcc_lo, s16, v5
	v_add_co_ci_u32_e32 v9, vcc_lo, s17, v6, vcc_lo
	global_load_b64 v[6:7], v[8:9], off glc
	s_waitcnt vmcnt(0)
	v_and_b32_e32 v3, 0xff, v7
	s_delay_alu instid0(VALU_DEP_1)
	v_cmpx_eq_u16_e32 0, v3
	s_cbranch_execz .LBB531_144
.LBB531_142:                            ; =>This Inner Loop Header: Depth=1
	global_load_b64 v[6:7], v[8:9], off glc
	s_waitcnt vmcnt(0)
	v_and_b32_e32 v3, 0xff, v7
	s_delay_alu instid0(VALU_DEP_1) | instskip(SKIP_1) | instid1(SALU_CYCLE_1)
	v_cmp_ne_u16_e32 vcc_lo, 0, v3
	s_or_b32 s20, vcc_lo, s20
	s_and_not1_b32 exec_lo, exec_lo, s20
	s_cbranch_execnz .LBB531_142
; %bb.143:
	s_or_b32 exec_lo, exec_lo, s20
.LBB531_144:
	s_delay_alu instid0(SALU_CYCLE_1)
	s_or_b32 exec_lo, exec_lo, s19
	v_cmp_ne_u32_e32 vcc_lo, 31, v52
	v_lshlrev_b32_e64 v13, v52, -1
	v_add_nc_u32_e32 v30, 2, v52
	v_add_nc_u32_e32 v56, 16, v52
	v_add_co_ci_u32_e32 v3, vcc_lo, 0, v52, vcc_lo
	s_delay_alu instid0(VALU_DEP_1)
	v_lshlrev_b32_e32 v12, 2, v3
	v_and_b32_e32 v3, 0xff, v7
	ds_bpermute_b32 v5, v12, v6
	v_cmp_eq_u16_e32 vcc_lo, 2, v3
	v_and_or_b32 v3, vcc_lo, v13, 0x80000000
	v_cmp_gt_u32_e32 vcc_lo, 30, v52
	s_delay_alu instid0(VALU_DEP_2) | instskip(SKIP_1) | instid1(VALU_DEP_2)
	v_ctz_i32_b32_e32 v3, v3
	v_cndmask_b32_e64 v8, 0, 1, vcc_lo
	v_cmp_lt_u32_e32 vcc_lo, v52, v3
	s_waitcnt lgkmcnt(0)
	s_delay_alu instid0(VALU_DEP_2) | instskip(NEXT) | instid1(VALU_DEP_1)
	v_dual_cndmask_b32 v5, 0, v5 :: v_dual_lshlrev_b32 v8, 1, v8
	v_add_lshl_u32 v29, v8, v52, 2
	v_cmp_gt_u32_e32 vcc_lo, 28, v52
	s_delay_alu instid0(VALU_DEP_3) | instskip(SKIP_4) | instid1(VALU_DEP_1)
	v_add_nc_u32_e32 v5, v5, v6
	v_cndmask_b32_e64 v8, 0, 1, vcc_lo
	v_cmp_le_u32_e32 vcc_lo, v30, v3
	ds_bpermute_b32 v6, v29, v5
	v_lshlrev_b32_e32 v8, 2, v8
	v_add_lshl_u32 v32, v8, v52, 2
	s_waitcnt lgkmcnt(0)
	v_cndmask_b32_e32 v6, 0, v6, vcc_lo
	v_cmp_gt_u32_e32 vcc_lo, 24, v52
	s_delay_alu instid0(VALU_DEP_2) | instskip(SKIP_4) | instid1(VALU_DEP_2)
	v_add_nc_u32_e32 v5, v5, v6
	v_cndmask_b32_e64 v8, 0, 1, vcc_lo
	ds_bpermute_b32 v6, v32, v5
	v_add_nc_u32_e32 v33, 4, v52
	v_lshlrev_b32_e32 v8, 3, v8
	v_cmp_le_u32_e32 vcc_lo, v33, v3
	s_delay_alu instid0(VALU_DEP_2) | instskip(SKIP_3) | instid1(VALU_DEP_2)
	v_add_lshl_u32 v34, v8, v52, 2
	s_waitcnt lgkmcnt(0)
	v_cndmask_b32_e32 v6, 0, v6, vcc_lo
	v_cmp_gt_u32_e32 vcc_lo, 16, v52
	v_add_nc_u32_e32 v5, v5, v6
	v_cndmask_b32_e64 v8, 0, 1, vcc_lo
	ds_bpermute_b32 v6, v34, v5
	v_add_nc_u32_e32 v35, 8, v52
	v_lshlrev_b32_e32 v8, 4, v8
	s_delay_alu instid0(VALU_DEP_2) | instskip(NEXT) | instid1(VALU_DEP_2)
	v_cmp_le_u32_e32 vcc_lo, v35, v3
	v_add_lshl_u32 v55, v8, v52, 2
	s_waitcnt lgkmcnt(0)
	v_cndmask_b32_e32 v6, 0, v6, vcc_lo
	v_cmp_le_u32_e32 vcc_lo, v56, v3
	s_delay_alu instid0(VALU_DEP_2) | instskip(SKIP_3) | instid1(VALU_DEP_1)
	v_add_nc_u32_e32 v5, v5, v6
	ds_bpermute_b32 v6, v55, v5
	s_waitcnt lgkmcnt(0)
	v_cndmask_b32_e32 v3, 0, v6, vcc_lo
	v_dual_mov_b32 v5, 0 :: v_dual_add_nc_u32 v6, v5, v3
	s_branch .LBB531_146
.LBB531_145:                            ;   in Loop: Header=BB531_146 Depth=1
	s_or_b32 exec_lo, exec_lo, s19
	ds_bpermute_b32 v9, v12, v6
	v_and_b32_e32 v8, 0xff, v7
	v_subrev_nc_u32_e32 v4, 32, v4
	s_delay_alu instid0(VALU_DEP_2) | instskip(SKIP_1) | instid1(VALU_DEP_1)
	v_cmp_eq_u16_e32 vcc_lo, 2, v8
	v_and_or_b32 v8, vcc_lo, v13, 0x80000000
	v_ctz_i32_b32_e32 v8, v8
	s_delay_alu instid0(VALU_DEP_1) | instskip(SKIP_3) | instid1(VALU_DEP_2)
	v_cmp_lt_u32_e32 vcc_lo, v52, v8
	s_waitcnt lgkmcnt(0)
	v_cndmask_b32_e32 v9, 0, v9, vcc_lo
	v_cmp_le_u32_e32 vcc_lo, v30, v8
	v_add_nc_u32_e32 v6, v9, v6
	ds_bpermute_b32 v9, v29, v6
	s_waitcnt lgkmcnt(0)
	v_cndmask_b32_e32 v9, 0, v9, vcc_lo
	v_cmp_le_u32_e32 vcc_lo, v33, v8
	s_delay_alu instid0(VALU_DEP_2) | instskip(SKIP_4) | instid1(VALU_DEP_2)
	v_add_nc_u32_e32 v6, v6, v9
	ds_bpermute_b32 v9, v32, v6
	s_waitcnt lgkmcnt(0)
	v_cndmask_b32_e32 v9, 0, v9, vcc_lo
	v_cmp_le_u32_e32 vcc_lo, v35, v8
	v_add_nc_u32_e32 v6, v6, v9
	ds_bpermute_b32 v9, v34, v6
	s_waitcnt lgkmcnt(0)
	v_cndmask_b32_e32 v9, 0, v9, vcc_lo
	v_cmp_le_u32_e32 vcc_lo, v56, v8
	s_delay_alu instid0(VALU_DEP_2) | instskip(SKIP_3) | instid1(VALU_DEP_1)
	v_add_nc_u32_e32 v6, v6, v9
	ds_bpermute_b32 v9, v55, v6
	s_waitcnt lgkmcnt(0)
	v_cndmask_b32_e32 v8, 0, v9, vcc_lo
	v_add3_u32 v6, v8, v3, v6
.LBB531_146:                            ; =>This Loop Header: Depth=1
                                        ;     Child Loop BB531_149 Depth 2
	v_and_b32_e32 v3, 0xff, v7
	s_delay_alu instid0(VALU_DEP_1) | instskip(SKIP_2) | instid1(VALU_DEP_1)
	v_cmp_ne_u16_e32 vcc_lo, 2, v3
	v_cndmask_b32_e64 v3, 0, 1, vcc_lo
	;;#ASMSTART
	;;#ASMEND
	v_cmp_ne_u32_e32 vcc_lo, 0, v3
	v_mov_b32_e32 v3, v6
	s_cmp_lg_u32 vcc_lo, exec_lo
	s_cbranch_scc1 .LBB531_151
; %bb.147:                              ;   in Loop: Header=BB531_146 Depth=1
	v_lshlrev_b64 v[6:7], 3, v[4:5]
	s_mov_b32 s19, exec_lo
	s_delay_alu instid0(VALU_DEP_1) | instskip(NEXT) | instid1(VALU_DEP_2)
	v_add_co_u32 v8, vcc_lo, s16, v6
	v_add_co_ci_u32_e32 v9, vcc_lo, s17, v7, vcc_lo
	global_load_b64 v[6:7], v[8:9], off glc
	s_waitcnt vmcnt(0)
	v_and_b32_e32 v57, 0xff, v7
	s_delay_alu instid0(VALU_DEP_1)
	v_cmpx_eq_u16_e32 0, v57
	s_cbranch_execz .LBB531_145
; %bb.148:                              ;   in Loop: Header=BB531_146 Depth=1
	s_mov_b32 s20, 0
.LBB531_149:                            ;   Parent Loop BB531_146 Depth=1
                                        ; =>  This Inner Loop Header: Depth=2
	global_load_b64 v[6:7], v[8:9], off glc
	s_waitcnt vmcnt(0)
	v_and_b32_e32 v57, 0xff, v7
	s_delay_alu instid0(VALU_DEP_1) | instskip(SKIP_1) | instid1(SALU_CYCLE_1)
	v_cmp_ne_u16_e32 vcc_lo, 0, v57
	s_or_b32 s20, vcc_lo, s20
	s_and_not1_b32 exec_lo, exec_lo, s20
	s_cbranch_execnz .LBB531_149
; %bb.150:                              ;   in Loop: Header=BB531_146 Depth=1
	s_or_b32 exec_lo, exec_lo, s20
	s_branch .LBB531_145
.LBB531_151:                            ;   in Loop: Header=BB531_146 Depth=1
                                        ; implicit-def: $vgpr6
                                        ; implicit-def: $vgpr7
	s_cbranch_execz .LBB531_146
; %bb.152:
	s_and_saveexec_b32 s19, s7
	s_cbranch_execz .LBB531_154
; %bb.153:
	s_add_i32 s20, s24, 32
	s_mov_b32 s21, 0
	v_dual_mov_b32 v5, 2 :: v_dual_add_nc_u32 v4, v3, v2
	s_lshl_b64 s[20:21], s[20:21], 3
	v_mov_b32_e32 v6, 0
	s_add_u32 s20, s16, s20
	s_addc_u32 s21, s17, s21
	global_store_b64 v6, v[4:5], s[20:21]
	ds_store_b64 v6, v[2:3] offset:3072
.LBB531_154:
	s_or_b32 exec_lo, exec_lo, s19
	s_delay_alu instid0(SALU_CYCLE_1)
	s_and_b32 exec_lo, exec_lo, s2
	s_cbranch_execz .LBB531_156
; %bb.155:
	v_mov_b32_e32 v2, 0
	ds_store_b32 v2, v3 offset:12
.LBB531_156:
	s_or_b32 exec_lo, exec_lo, s18
	v_mov_b32_e32 v12, 0
	s_waitcnt lgkmcnt(0)
	s_waitcnt_vscnt null, 0x0
	s_barrier
	buffer_gl0_inv
	v_cndmask_b32_e64 v3, v11, v10, s7
	ds_load_b32 v2, v12 offset:12
	s_waitcnt lgkmcnt(0)
	s_barrier
	buffer_gl0_inv
	v_cndmask_b32_e64 v3, v3, 0, s2
	s_delay_alu instid0(VALU_DEP_1) | instskip(NEXT) | instid1(VALU_DEP_1)
	v_add_nc_u32_e32 v2, v2, v3
	v_add_nc_u32_e32 v3, v2, v42
	ds_load_b64 v[29:30], v12 offset:3072
	v_add_nc_u32_e32 v4, v3, v43
	s_delay_alu instid0(VALU_DEP_1) | instskip(NEXT) | instid1(VALU_DEP_1)
	v_add_nc_u32_e32 v5, v4, v44
	v_add_nc_u32_e32 v6, v5, v45
	s_delay_alu instid0(VALU_DEP_1) | instskip(NEXT) | instid1(VALU_DEP_1)
	v_add_nc_u32_e32 v7, v6, v46
	;; [unrolled: 3-line block ×4, first 2 shown]
	v_add_nc_u32_e32 v12, v11, v50
	s_delay_alu instid0(VALU_DEP_1)
	v_add_nc_u32_e32 v13, v12, v51
	v_lshrrev_b64 v[34:35], 24, v[22:23]
	v_lshrrev_b64 v[32:33], 24, v[1:2]
	s_branch .LBB531_167
.LBB531_157:
                                        ; implicit-def: $vgpr30
                                        ; implicit-def: $vgpr2_vgpr3_vgpr4_vgpr5_vgpr6_vgpr7_vgpr8_vgpr9_vgpr10_vgpr11_vgpr12_vgpr13
                                        ; implicit-def: $vgpr29
	v_lshrrev_b64 v[34:35], 24, v[22:23]
	v_lshrrev_b64 v[32:33], 24, v[1:2]
	s_and_b32 vcc_lo, exec_lo, s7
	s_cbranch_vccz .LBB531_167
; %bb.158:
	v_mov_b32_dpp v1, v54 row_shr:1 row_mask:0xf bank_mask:0xf
	s_delay_alu instid0(VALU_DEP_1) | instskip(NEXT) | instid1(VALU_DEP_1)
	v_cndmask_b32_e64 v1, v1, 0, s6
	v_add_nc_u32_e32 v1, v1, v54
	s_delay_alu instid0(VALU_DEP_1) | instskip(NEXT) | instid1(VALU_DEP_1)
	v_mov_b32_dpp v2, v1 row_shr:2 row_mask:0xf bank_mask:0xf
	v_cndmask_b32_e64 v2, 0, v2, s5
	s_delay_alu instid0(VALU_DEP_1) | instskip(NEXT) | instid1(VALU_DEP_1)
	v_add_nc_u32_e32 v1, v1, v2
	v_mov_b32_dpp v2, v1 row_shr:4 row_mask:0xf bank_mask:0xf
	s_delay_alu instid0(VALU_DEP_1) | instskip(NEXT) | instid1(VALU_DEP_1)
	v_cndmask_b32_e64 v2, 0, v2, s4
	v_add_nc_u32_e32 v1, v1, v2
	s_delay_alu instid0(VALU_DEP_1) | instskip(NEXT) | instid1(VALU_DEP_1)
	v_mov_b32_dpp v2, v1 row_shr:8 row_mask:0xf bank_mask:0xf
	v_cndmask_b32_e64 v2, 0, v2, s3
	s_delay_alu instid0(VALU_DEP_1) | instskip(SKIP_3) | instid1(VALU_DEP_1)
	v_add_nc_u32_e32 v1, v1, v2
	ds_swizzle_b32 v2, v1 offset:swizzle(BROADCAST,32,15)
	s_waitcnt lgkmcnt(0)
	v_cndmask_b32_e64 v2, v2, 0, s1
	v_add_nc_u32_e32 v1, v1, v2
	s_and_saveexec_b32 s1, s0
	s_cbranch_execz .LBB531_160
; %bb.159:
	v_lshlrev_b32_e32 v2, 2, v53
	ds_store_b32 v2, v1
.LBB531_160:
	s_or_b32 exec_lo, exec_lo, s1
	s_delay_alu instid0(SALU_CYCLE_1)
	s_mov_b32 s0, exec_lo
	s_waitcnt lgkmcnt(0)
	s_barrier
	buffer_gl0_inv
	v_cmpx_gt_u32_e32 4, v0
	s_cbranch_execz .LBB531_162
; %bb.161:
	v_and_b32_e32 v4, 3, v52
	s_delay_alu instid0(VALU_DEP_1) | instskip(SKIP_4) | instid1(VALU_DEP_1)
	v_cmp_ne_u32_e32 vcc_lo, 0, v4
	v_lshlrev_b32_e32 v2, 2, v0
	ds_load_b32 v3, v2
	s_waitcnt lgkmcnt(0)
	v_mov_b32_dpp v5, v3 row_shr:1 row_mask:0xf bank_mask:0xf
	v_cndmask_b32_e32 v5, 0, v5, vcc_lo
	v_cmp_lt_u32_e32 vcc_lo, 1, v4
	s_delay_alu instid0(VALU_DEP_2) | instskip(NEXT) | instid1(VALU_DEP_1)
	v_add_nc_u32_e32 v3, v5, v3
	v_mov_b32_dpp v5, v3 row_shr:2 row_mask:0xf bank_mask:0xf
	s_delay_alu instid0(VALU_DEP_1) | instskip(NEXT) | instid1(VALU_DEP_1)
	v_cndmask_b32_e32 v4, 0, v5, vcc_lo
	v_add_nc_u32_e32 v3, v3, v4
	ds_store_b32 v2, v3
.LBB531_162:
	s_or_b32 exec_lo, exec_lo, s0
	v_dual_mov_b32 v3, 0 :: v_dual_mov_b32 v2, 0
	s_mov_b32 s0, exec_lo
	s_waitcnt lgkmcnt(0)
	s_barrier
	buffer_gl0_inv
	v_cmpx_lt_u32_e32 31, v0
	s_cbranch_execz .LBB531_164
; %bb.163:
	v_lshl_add_u32 v2, v53, 2, -4
	ds_load_b32 v2, v2
.LBB531_164:
	s_or_b32 exec_lo, exec_lo, s0
	v_add_nc_u32_e32 v4, -1, v52
	ds_load_b32 v29, v3 offset:12
	s_waitcnt lgkmcnt(1)
	v_add_nc_u32_e32 v1, v2, v1
	v_cmp_gt_i32_e32 vcc_lo, 0, v4
	v_cndmask_b32_e32 v4, v4, v52, vcc_lo
	s_delay_alu instid0(VALU_DEP_1)
	v_lshlrev_b32_e32 v4, 2, v4
	ds_bpermute_b32 v1, v4, v1
	s_and_saveexec_b32 s0, s2
	s_cbranch_execz .LBB531_166
; %bb.165:
	v_dual_mov_b32 v3, 0 :: v_dual_mov_b32 v30, 2
	s_waitcnt lgkmcnt(1)
	global_store_b64 v3, v[29:30], s[16:17] offset:256
.LBB531_166:
	s_or_b32 exec_lo, exec_lo, s0
	v_cmp_eq_u32_e32 vcc_lo, 0, v52
	s_waitcnt lgkmcnt(0)
	s_waitcnt_vscnt null, 0x0
	s_barrier
	buffer_gl0_inv
	v_dual_mov_b32 v30, 0 :: v_dual_cndmask_b32 v1, v1, v2
	s_delay_alu instid0(VALU_DEP_1) | instskip(NEXT) | instid1(VALU_DEP_1)
	v_cndmask_b32_e64 v2, v1, 0, s2
	v_add_nc_u32_e32 v3, v2, v42
	s_delay_alu instid0(VALU_DEP_1) | instskip(NEXT) | instid1(VALU_DEP_1)
	v_add_nc_u32_e32 v4, v3, v43
	v_add_nc_u32_e32 v5, v4, v44
	s_delay_alu instid0(VALU_DEP_1) | instskip(NEXT) | instid1(VALU_DEP_1)
	v_add_nc_u32_e32 v6, v5, v45
	;; [unrolled: 3-line block ×5, first 2 shown]
	v_add_nc_u32_e32 v13, v12, v51
.LBB531_167:
	s_waitcnt lgkmcnt(0)
	v_add_nc_u32_e32 v46, v30, v29
	v_cmp_gt_u32_e64 s0, 0x81, v29
	v_lshrrev_b32_e32 v33, 16, v41
	v_lshrrev_b32_e32 v44, 16, v22
	;; [unrolled: 1-line block ×6, first 2 shown]
	v_cmp_lt_u32_e64 s1, v2, v46
	s_and_b32 vcc_lo, exec_lo, s0
	s_mov_b32 s3, -1
	s_cbranch_vccz .LBB531_205
; %bb.168:
	s_lshl_b64 s[4:5], s[10:11], 1
	s_delay_alu instid0(SALU_CYCLE_1) | instskip(SKIP_2) | instid1(SALU_CYCLE_1)
	s_add_u32 s3, s12, s4
	s_addc_u32 s4, s13, s5
	s_or_b32 s5, s23, s1
	s_and_saveexec_b32 s1, s5
	s_cbranch_execz .LBB531_171
; %bb.169:
	v_and_b32_e32 v1, 1, v22
	s_delay_alu instid0(VALU_DEP_1)
	v_cmp_eq_u32_e32 vcc_lo, 1, v1
	s_and_b32 exec_lo, exec_lo, vcc_lo
	s_cbranch_execz .LBB531_171
; %bb.170:
	v_dual_mov_b32 v48, 0 :: v_dual_mov_b32 v47, v2
	s_delay_alu instid0(VALU_DEP_1) | instskip(NEXT) | instid1(VALU_DEP_1)
	v_lshlrev_b64 v[47:48], 1, v[47:48]
	v_add_co_u32 v47, vcc_lo, s3, v47
	s_delay_alu instid0(VALU_DEP_2)
	v_add_co_ci_u32_e32 v48, vcc_lo, s4, v48, vcc_lo
	global_store_b16 v[47:48], v18, off
.LBB531_171:
	s_or_b32 exec_lo, exec_lo, s1
	v_cmp_lt_u32_e32 vcc_lo, v3, v46
	s_or_b32 s5, s23, vcc_lo
	s_delay_alu instid0(SALU_CYCLE_1)
	s_and_saveexec_b32 s1, s5
	s_cbranch_execz .LBB531_174
; %bb.172:
	v_and_b32_e32 v1, 1, v45
	s_delay_alu instid0(VALU_DEP_1)
	v_cmp_eq_u32_e32 vcc_lo, 1, v1
	s_and_b32 exec_lo, exec_lo, vcc_lo
	s_cbranch_execz .LBB531_174
; %bb.173:
	v_dual_mov_b32 v48, 0 :: v_dual_mov_b32 v47, v3
	s_delay_alu instid0(VALU_DEP_1) | instskip(NEXT) | instid1(VALU_DEP_1)
	v_lshlrev_b64 v[47:48], 1, v[47:48]
	v_add_co_u32 v47, vcc_lo, s3, v47
	s_delay_alu instid0(VALU_DEP_2)
	v_add_co_ci_u32_e32 v48, vcc_lo, s4, v48, vcc_lo
	global_store_b16 v[47:48], v40, off
.LBB531_174:
	s_or_b32 exec_lo, exec_lo, s1
	v_cmp_lt_u32_e32 vcc_lo, v4, v46
	s_or_b32 s5, s23, vcc_lo
	s_delay_alu instid0(SALU_CYCLE_1)
	s_and_saveexec_b32 s1, s5
	s_cbranch_execz .LBB531_177
; %bb.175:
	v_and_b32_e32 v1, 1, v44
	s_delay_alu instid0(VALU_DEP_1)
	v_cmp_eq_u32_e32 vcc_lo, 1, v1
	s_and_b32 exec_lo, exec_lo, vcc_lo
	s_cbranch_execz .LBB531_177
; %bb.176:
	v_dual_mov_b32 v48, 0 :: v_dual_mov_b32 v47, v4
	s_delay_alu instid0(VALU_DEP_1) | instskip(NEXT) | instid1(VALU_DEP_1)
	v_lshlrev_b64 v[47:48], 1, v[47:48]
	v_add_co_u32 v47, vcc_lo, s3, v47
	s_delay_alu instid0(VALU_DEP_2)
	v_add_co_ci_u32_e32 v48, vcc_lo, s4, v48, vcc_lo
	global_store_b16 v[47:48], v19, off
.LBB531_177:
	s_or_b32 exec_lo, exec_lo, s1
	v_cmp_lt_u32_e32 vcc_lo, v5, v46
	s_or_b32 s5, s23, vcc_lo
	s_delay_alu instid0(SALU_CYCLE_1)
	s_and_saveexec_b32 s1, s5
	s_cbranch_execz .LBB531_180
; %bb.178:
	v_and_b32_e32 v1, 1, v34
	s_delay_alu instid0(VALU_DEP_1)
	v_cmp_eq_u32_e32 vcc_lo, 1, v1
	s_and_b32 exec_lo, exec_lo, vcc_lo
	s_cbranch_execz .LBB531_180
; %bb.179:
	v_dual_mov_b32 v48, 0 :: v_dual_mov_b32 v47, v5
	s_delay_alu instid0(VALU_DEP_1) | instskip(NEXT) | instid1(VALU_DEP_1)
	v_lshlrev_b64 v[47:48], 1, v[47:48]
	v_add_co_u32 v47, vcc_lo, s3, v47
	s_delay_alu instid0(VALU_DEP_2)
	v_add_co_ci_u32_e32 v48, vcc_lo, s4, v48, vcc_lo
	global_store_b16 v[47:48], v39, off
.LBB531_180:
	s_or_b32 exec_lo, exec_lo, s1
	v_cmp_lt_u32_e32 vcc_lo, v6, v46
	s_or_b32 s5, s23, vcc_lo
	s_delay_alu instid0(SALU_CYCLE_1)
	s_and_saveexec_b32 s1, s5
	s_cbranch_execz .LBB531_183
; %bb.181:
	v_and_b32_e32 v1, 1, v23
	s_delay_alu instid0(VALU_DEP_1)
	v_cmp_eq_u32_e32 vcc_lo, 1, v1
	s_and_b32 exec_lo, exec_lo, vcc_lo
	s_cbranch_execz .LBB531_183
; %bb.182:
	v_dual_mov_b32 v48, 0 :: v_dual_mov_b32 v47, v6
	s_delay_alu instid0(VALU_DEP_1) | instskip(NEXT) | instid1(VALU_DEP_1)
	v_lshlrev_b64 v[47:48], 1, v[47:48]
	v_add_co_u32 v47, vcc_lo, s3, v47
	s_delay_alu instid0(VALU_DEP_2)
	v_add_co_ci_u32_e32 v48, vcc_lo, s4, v48, vcc_lo
	global_store_b16 v[47:48], v20, off
.LBB531_183:
	s_or_b32 exec_lo, exec_lo, s1
	v_cmp_lt_u32_e32 vcc_lo, v7, v46
	s_or_b32 s5, s23, vcc_lo
	s_delay_alu instid0(SALU_CYCLE_1)
	s_and_saveexec_b32 s1, s5
	s_cbranch_execz .LBB531_186
; %bb.184:
	v_and_b32_e32 v1, 1, v43
	s_delay_alu instid0(VALU_DEP_1)
	v_cmp_eq_u32_e32 vcc_lo, 1, v1
	s_and_b32 exec_lo, exec_lo, vcc_lo
	s_cbranch_execz .LBB531_186
; %bb.185:
	v_dual_mov_b32 v48, 0 :: v_dual_mov_b32 v47, v7
	s_delay_alu instid0(VALU_DEP_1) | instskip(NEXT) | instid1(VALU_DEP_1)
	v_lshlrev_b64 v[47:48], 1, v[47:48]
	v_add_co_u32 v47, vcc_lo, s3, v47
	s_delay_alu instid0(VALU_DEP_2)
	v_add_co_ci_u32_e32 v48, vcc_lo, s4, v48, vcc_lo
	global_store_b16 v[47:48], v38, off
.LBB531_186:
	s_or_b32 exec_lo, exec_lo, s1
	v_cmp_lt_u32_e32 vcc_lo, v8, v46
	s_or_b32 s5, s23, vcc_lo
	s_delay_alu instid0(SALU_CYCLE_1)
	s_and_saveexec_b32 s1, s5
	s_cbranch_execz .LBB531_189
; %bb.187:
	v_and_b32_e32 v1, 1, v42
	s_delay_alu instid0(VALU_DEP_1)
	v_cmp_eq_u32_e32 vcc_lo, 1, v1
	s_and_b32 exec_lo, exec_lo, vcc_lo
	s_cbranch_execz .LBB531_189
; %bb.188:
	v_dual_mov_b32 v48, 0 :: v_dual_mov_b32 v47, v8
	s_delay_alu instid0(VALU_DEP_1) | instskip(NEXT) | instid1(VALU_DEP_1)
	v_lshlrev_b64 v[47:48], 1, v[47:48]
	v_add_co_u32 v47, vcc_lo, s3, v47
	s_delay_alu instid0(VALU_DEP_2)
	v_add_co_ci_u32_e32 v48, vcc_lo, s4, v48, vcc_lo
	global_store_b16 v[47:48], v21, off
.LBB531_189:
	s_or_b32 exec_lo, exec_lo, s1
	v_cmp_lt_u32_e32 vcc_lo, v9, v46
	s_or_b32 s5, s23, vcc_lo
	s_delay_alu instid0(SALU_CYCLE_1)
	s_and_saveexec_b32 s1, s5
	s_cbranch_execz .LBB531_192
; %bb.190:
	v_and_b32_e32 v1, 1, v24
	s_delay_alu instid0(VALU_DEP_1)
	v_cmp_eq_u32_e32 vcc_lo, 1, v1
	s_and_b32 exec_lo, exec_lo, vcc_lo
	s_cbranch_execz .LBB531_192
; %bb.191:
	v_dual_mov_b32 v48, 0 :: v_dual_mov_b32 v47, v9
	s_delay_alu instid0(VALU_DEP_1) | instskip(NEXT) | instid1(VALU_DEP_1)
	v_lshlrev_b64 v[47:48], 1, v[47:48]
	v_add_co_u32 v47, vcc_lo, s3, v47
	s_delay_alu instid0(VALU_DEP_2)
	v_add_co_ci_u32_e32 v48, vcc_lo, s4, v48, vcc_lo
	global_store_b16 v[47:48], v37, off
.LBB531_192:
	s_or_b32 exec_lo, exec_lo, s1
	v_cmp_lt_u32_e32 vcc_lo, v10, v46
	s_or_b32 s5, s23, vcc_lo
	s_delay_alu instid0(SALU_CYCLE_1)
	s_and_saveexec_b32 s1, s5
	s_cbranch_execz .LBB531_195
; %bb.193:
	v_and_b32_e32 v1, 1, v41
	s_delay_alu instid0(VALU_DEP_1)
	v_cmp_eq_u32_e32 vcc_lo, 1, v1
	s_and_b32 exec_lo, exec_lo, vcc_lo
	s_cbranch_execz .LBB531_195
; %bb.194:
	v_dual_mov_b32 v48, 0 :: v_dual_mov_b32 v47, v10
	s_delay_alu instid0(VALU_DEP_1) | instskip(NEXT) | instid1(VALU_DEP_1)
	v_lshlrev_b64 v[47:48], 1, v[47:48]
	v_add_co_u32 v47, vcc_lo, s3, v47
	s_delay_alu instid0(VALU_DEP_2)
	v_add_co_ci_u32_e32 v48, vcc_lo, s4, v48, vcc_lo
	global_store_b16 v[47:48], v27, off
.LBB531_195:
	s_or_b32 exec_lo, exec_lo, s1
	v_cmp_lt_u32_e32 vcc_lo, v11, v46
	s_or_b32 s5, s23, vcc_lo
	s_delay_alu instid0(SALU_CYCLE_1)
	s_and_saveexec_b32 s1, s5
	s_cbranch_execz .LBB531_198
; %bb.196:
	v_and_b32_e32 v1, 1, v35
	s_delay_alu instid0(VALU_DEP_1)
	v_cmp_eq_u32_e32 vcc_lo, 1, v1
	s_and_b32 exec_lo, exec_lo, vcc_lo
	s_cbranch_execz .LBB531_198
; %bb.197:
	v_dual_mov_b32 v48, 0 :: v_dual_mov_b32 v47, v11
	s_delay_alu instid0(VALU_DEP_1) | instskip(NEXT) | instid1(VALU_DEP_1)
	v_lshlrev_b64 v[47:48], 1, v[47:48]
	v_add_co_u32 v47, vcc_lo, s3, v47
	s_delay_alu instid0(VALU_DEP_2)
	v_add_co_ci_u32_e32 v48, vcc_lo, s4, v48, vcc_lo
	global_store_b16 v[47:48], v36, off
.LBB531_198:
	s_or_b32 exec_lo, exec_lo, s1
	v_cmp_lt_u32_e32 vcc_lo, v12, v46
	s_or_b32 s5, s23, vcc_lo
	s_delay_alu instid0(SALU_CYCLE_1)
	s_and_saveexec_b32 s1, s5
	s_cbranch_execz .LBB531_201
; %bb.199:
	v_and_b32_e32 v1, 1, v33
	s_delay_alu instid0(VALU_DEP_1)
	v_cmp_eq_u32_e32 vcc_lo, 1, v1
	s_and_b32 exec_lo, exec_lo, vcc_lo
	s_cbranch_execz .LBB531_201
; %bb.200:
	v_dual_mov_b32 v48, 0 :: v_dual_mov_b32 v47, v12
	s_delay_alu instid0(VALU_DEP_1) | instskip(NEXT) | instid1(VALU_DEP_1)
	v_lshlrev_b64 v[47:48], 1, v[47:48]
	v_add_co_u32 v47, vcc_lo, s3, v47
	s_delay_alu instid0(VALU_DEP_2)
	v_add_co_ci_u32_e32 v48, vcc_lo, s4, v48, vcc_lo
	global_store_b16 v[47:48], v28, off
.LBB531_201:
	s_or_b32 exec_lo, exec_lo, s1
	v_cmp_lt_u32_e32 vcc_lo, v13, v46
	s_or_b32 s5, s23, vcc_lo
	s_delay_alu instid0(SALU_CYCLE_1)
	s_and_saveexec_b32 s1, s5
	s_cbranch_execz .LBB531_204
; %bb.202:
	v_and_b32_e32 v1, 1, v32
	s_delay_alu instid0(VALU_DEP_1)
	v_cmp_eq_u32_e32 vcc_lo, 1, v1
	s_and_b32 exec_lo, exec_lo, vcc_lo
	s_cbranch_execz .LBB531_204
; %bb.203:
	v_dual_mov_b32 v48, 0 :: v_dual_mov_b32 v47, v13
	s_delay_alu instid0(VALU_DEP_1) | instskip(NEXT) | instid1(VALU_DEP_1)
	v_lshlrev_b64 v[47:48], 1, v[47:48]
	v_add_co_u32 v47, vcc_lo, s3, v47
	s_delay_alu instid0(VALU_DEP_2)
	v_add_co_ci_u32_e32 v48, vcc_lo, s4, v48, vcc_lo
	global_store_b16 v[47:48], v31, off
.LBB531_204:
	s_or_b32 exec_lo, exec_lo, s1
	s_mov_b32 s3, 0
.LBB531_205:
	v_and_b32_e32 v22, 1, v22
	s_and_b32 vcc_lo, exec_lo, s3
	s_delay_alu instid0(VALU_DEP_1)
	v_cmp_eq_u32_e64 s1, 1, v22
	s_cbranch_vccz .LBB531_246
; %bb.206:
	s_delay_alu instid0(VALU_DEP_1)
	s_and_saveexec_b32 s3, s1
	s_cbranch_execz .LBB531_208
; %bb.207:
	v_sub_nc_u32_e32 v1, v2, v30
	s_delay_alu instid0(VALU_DEP_1)
	v_lshlrev_b32_e32 v1, 1, v1
	ds_store_b16 v1, v18
.LBB531_208:
	s_or_b32 exec_lo, exec_lo, s3
	v_and_b32_e32 v1, 1, v45
	s_mov_b32 s1, exec_lo
	s_delay_alu instid0(VALU_DEP_1)
	v_cmpx_eq_u32_e32 1, v1
	s_cbranch_execz .LBB531_210
; %bb.209:
	v_sub_nc_u32_e32 v1, v3, v30
	s_delay_alu instid0(VALU_DEP_1)
	v_lshlrev_b32_e32 v1, 1, v1
	ds_store_b16 v1, v40
.LBB531_210:
	s_or_b32 exec_lo, exec_lo, s1
	v_and_b32_e32 v1, 1, v44
	s_mov_b32 s1, exec_lo
	s_delay_alu instid0(VALU_DEP_1)
	v_cmpx_eq_u32_e32 1, v1
	s_cbranch_execz .LBB531_212
; %bb.211:
	v_sub_nc_u32_e32 v1, v4, v30
	s_delay_alu instid0(VALU_DEP_1)
	v_lshlrev_b32_e32 v1, 1, v1
	ds_store_b16 v1, v19
.LBB531_212:
	s_or_b32 exec_lo, exec_lo, s1
	v_and_b32_e32 v1, 1, v34
	s_mov_b32 s1, exec_lo
	s_delay_alu instid0(VALU_DEP_1)
	v_cmpx_eq_u32_e32 1, v1
	s_cbranch_execz .LBB531_214
; %bb.213:
	v_sub_nc_u32_e32 v1, v5, v30
	s_delay_alu instid0(VALU_DEP_1)
	v_lshlrev_b32_e32 v1, 1, v1
	ds_store_b16 v1, v39
.LBB531_214:
	s_or_b32 exec_lo, exec_lo, s1
	v_and_b32_e32 v1, 1, v23
	s_mov_b32 s1, exec_lo
	s_delay_alu instid0(VALU_DEP_1)
	v_cmpx_eq_u32_e32 1, v1
	s_cbranch_execz .LBB531_216
; %bb.215:
	v_sub_nc_u32_e32 v1, v6, v30
	s_delay_alu instid0(VALU_DEP_1)
	v_lshlrev_b32_e32 v1, 1, v1
	ds_store_b16 v1, v20
.LBB531_216:
	s_or_b32 exec_lo, exec_lo, s1
	v_and_b32_e32 v1, 1, v43
	s_mov_b32 s1, exec_lo
	s_delay_alu instid0(VALU_DEP_1)
	v_cmpx_eq_u32_e32 1, v1
	s_cbranch_execz .LBB531_218
; %bb.217:
	v_sub_nc_u32_e32 v1, v7, v30
	s_delay_alu instid0(VALU_DEP_1)
	v_lshlrev_b32_e32 v1, 1, v1
	ds_store_b16 v1, v38
.LBB531_218:
	s_or_b32 exec_lo, exec_lo, s1
	v_and_b32_e32 v1, 1, v42
	s_mov_b32 s1, exec_lo
	s_delay_alu instid0(VALU_DEP_1)
	v_cmpx_eq_u32_e32 1, v1
	s_cbranch_execz .LBB531_220
; %bb.219:
	v_sub_nc_u32_e32 v1, v8, v30
	s_delay_alu instid0(VALU_DEP_1)
	v_lshlrev_b32_e32 v1, 1, v1
	ds_store_b16 v1, v21
.LBB531_220:
	s_or_b32 exec_lo, exec_lo, s1
	v_and_b32_e32 v1, 1, v24
	s_mov_b32 s1, exec_lo
	s_delay_alu instid0(VALU_DEP_1)
	v_cmpx_eq_u32_e32 1, v1
	s_cbranch_execz .LBB531_222
; %bb.221:
	v_sub_nc_u32_e32 v1, v9, v30
	s_delay_alu instid0(VALU_DEP_1)
	v_lshlrev_b32_e32 v1, 1, v1
	ds_store_b16 v1, v37
.LBB531_222:
	s_or_b32 exec_lo, exec_lo, s1
	v_and_b32_e32 v1, 1, v41
	s_mov_b32 s1, exec_lo
	s_delay_alu instid0(VALU_DEP_1)
	v_cmpx_eq_u32_e32 1, v1
	s_cbranch_execz .LBB531_224
; %bb.223:
	v_sub_nc_u32_e32 v1, v10, v30
	s_delay_alu instid0(VALU_DEP_1)
	v_lshlrev_b32_e32 v1, 1, v1
	ds_store_b16 v1, v27
.LBB531_224:
	s_or_b32 exec_lo, exec_lo, s1
	v_and_b32_e32 v1, 1, v35
	s_mov_b32 s1, exec_lo
	s_delay_alu instid0(VALU_DEP_1)
	v_cmpx_eq_u32_e32 1, v1
	s_cbranch_execz .LBB531_226
; %bb.225:
	v_sub_nc_u32_e32 v1, v11, v30
	s_delay_alu instid0(VALU_DEP_1)
	v_lshlrev_b32_e32 v1, 1, v1
	ds_store_b16 v1, v36
.LBB531_226:
	s_or_b32 exec_lo, exec_lo, s1
	v_and_b32_e32 v1, 1, v33
	s_mov_b32 s1, exec_lo
	s_delay_alu instid0(VALU_DEP_1)
	v_cmpx_eq_u32_e32 1, v1
	s_cbranch_execz .LBB531_228
; %bb.227:
	v_sub_nc_u32_e32 v1, v12, v30
	s_delay_alu instid0(VALU_DEP_1)
	v_lshlrev_b32_e32 v1, 1, v1
	ds_store_b16 v1, v28
.LBB531_228:
	s_or_b32 exec_lo, exec_lo, s1
	v_and_b32_e32 v1, 1, v32
	s_mov_b32 s1, exec_lo
	s_delay_alu instid0(VALU_DEP_1)
	v_cmpx_eq_u32_e32 1, v1
	s_cbranch_execz .LBB531_230
; %bb.229:
	v_sub_nc_u32_e32 v1, v13, v30
	s_delay_alu instid0(VALU_DEP_1)
	v_lshlrev_b32_e32 v1, 1, v1
	ds_store_b16 v1, v31
.LBB531_230:
	s_or_b32 exec_lo, exec_lo, s1
	s_delay_alu instid0(SALU_CYCLE_1)
	s_mov_b32 s4, exec_lo
	s_waitcnt lgkmcnt(0)
	s_waitcnt_vscnt null, 0x0
	s_barrier
	buffer_gl0_inv
	v_cmpx_lt_u32_e64 v0, v29
	s_cbranch_execz .LBB531_245
; %bb.231:
	v_mov_b32_e32 v31, 0
	s_lshl_b64 s[6:7], s[10:11], 1
	v_xad_u32 v1, v0, -1, v29
	s_add_u32 s3, s12, s6
	s_addc_u32 s5, s13, s7
	v_lshlrev_b64 v[18:19], 1, v[30:31]
	s_delay_alu instid0(VALU_DEP_2) | instskip(NEXT) | instid1(VALU_DEP_2)
	v_cmp_gt_u32_e32 vcc_lo, 0xc80, v1
	v_add_co_u32 v27, s3, s3, v18
	v_mov_b32_e32 v18, v0
	s_delay_alu instid0(VALU_DEP_4)
	v_add_co_ci_u32_e64 v28, s3, s5, v19, s3
	s_mov_b32 s3, -1
	s_mov_b32 s5, exec_lo
	v_cmpx_lt_u32_e32 0xc7f, v1
	s_cbranch_execz .LBB531_242
; %bb.232:
	v_sub_nc_u32_e32 v18, v0, v29
	s_delay_alu instid0(VALU_DEP_1) | instskip(NEXT) | instid1(VALU_DEP_1)
	v_or_b32_e32 v18, 0x7f, v18
	v_cmp_ge_u32_e64 s1, v18, v0
	v_mov_b32_e32 v18, v0
	s_delay_alu instid0(VALU_DEP_2)
	s_and_saveexec_b32 s6, s1
	s_cbranch_execz .LBB531_241
; %bb.233:
	v_lshrrev_b32_e32 v31, 7, v1
	v_or_b32_e32 v1, 0x80, v0
	s_delay_alu instid0(VALU_DEP_2) | instskip(NEXT) | instid1(VALU_DEP_1)
	v_dual_mov_b32 v39, 0 :: v_dual_add_nc_u32 v18, -1, v31
	v_lshrrev_b32_e32 v19, 1, v18
	v_cmp_lt_u32_e64 s1, 13, v18
	s_delay_alu instid0(VALU_DEP_2) | instskip(SKIP_1) | instid1(VALU_DEP_3)
	v_dual_mov_b32 v19, v1 :: v_dual_add_nc_u32 v36, 1, v19
	v_mov_b32_e32 v18, v0
	s_and_saveexec_b32 s3, s1
	s_cbranch_execz .LBB531_237
; %bb.234:
	v_mov_b32_e32 v19, v1
	v_dual_mov_b32 v18, v0 :: v_dual_and_b32 v37, -8, v36
	v_dual_mov_b32 v21, 0 :: v_dual_lshlrev_b32 v38, 1, v0
	s_mov_b32 s7, 0
	s_mov_b32 s12, 0
.LBB531_235:                            ; =>This Inner Loop Header: Depth=1
	s_delay_alu instid0(VALU_DEP_2) | instskip(NEXT) | instid1(VALU_DEP_2)
	v_dual_mov_b32 v20, v18 :: v_dual_add_nc_u32 v47, 0x100, v19
	v_dual_mov_b32 v60, v21 :: v_dual_add_nc_u32 v37, -8, v37
	v_dual_mov_b32 v48, v21 :: v_dual_add_nc_u32 v49, 0x200, v19
	s_delay_alu instid0(VALU_DEP_3) | instskip(SKIP_1) | instid1(VALU_DEP_4)
	v_lshlrev_b64 v[61:62], 1, v[20:21]
	v_dual_mov_b32 v50, v21 :: v_dual_add_nc_u32 v51, 0x300, v19
	v_cmp_eq_u32_e64 s1, 0, v37
	s_delay_alu instid0(VALU_DEP_4)
	v_lshlrev_b64 v[47:48], 1, v[47:48]
	v_dual_mov_b32 v52, v21 :: v_dual_add_nc_u32 v53, 0x400, v19
	s_add_i32 s12, s12, 16
	v_lshlrev_b64 v[49:50], 1, v[49:50]
	s_or_b32 s7, s1, s7
	v_add_co_u32 v61, s1, v27, v61
	v_dual_mov_b32 v54, v21 :: v_dual_add_nc_u32 v55, 0x500, v19
	v_add_co_ci_u32_e64 v62, s1, v28, v62, s1
	v_lshlrev_b64 v[51:52], 1, v[51:52]
	v_add_co_u32 v47, s1, v27, v47
	v_dual_mov_b32 v56, v21 :: v_dual_add_nc_u32 v57, 0x600, v19
	v_add_co_ci_u32_e64 v48, s1, v28, v48, s1
	v_lshlrev_b64 v[53:54], 1, v[53:54]
	;; [unrolled: 4-line block ×4, first 2 shown]
	v_add_co_u32 v53, s1, v27, v53
	ds_load_u16 v1, v38
	ds_load_u16 v40, v38 offset:256
	ds_load_u16 v67, v38 offset:512
	;; [unrolled: 1-line block ×7, first 2 shown]
	v_add_co_ci_u32_e64 v54, s1, v28, v54, s1
	v_lshlrev_b64 v[59:60], 1, v[59:60]
	v_add_co_u32 v55, s1, v27, v55
	v_lshlrev_b64 v[63:64], 1, v[20:21]
	v_add_nc_u32_e32 v20, 0x100, v18
	v_add_co_ci_u32_e64 v56, s1, v28, v56, s1
	v_add_co_u32 v57, s1, v27, v57
	s_delay_alu instid0(VALU_DEP_1)
	v_add_co_ci_u32_e64 v58, s1, v28, v58, s1
	v_add_co_u32 v59, s1, v27, v59
	v_lshlrev_b64 v[65:66], 1, v[20:21]
	v_add_nc_u32_e32 v20, 0x200, v18
	v_add_co_ci_u32_e64 v60, s1, v28, v60, s1
	v_add_co_u32 v63, s1, v27, v63
	ds_load_u16 v73, v38 offset:2048
	ds_load_u16 v74, v38 offset:2304
	;; [unrolled: 1-line block ×8, first 2 shown]
	v_add_co_ci_u32_e64 v64, s1, v28, v64, s1
	s_waitcnt lgkmcnt(15)
	global_store_b16 v[61:62], v1, off
	v_lshlrev_b64 v[61:62], 1, v[20:21]
	v_add_nc_u32_e32 v20, 0x300, v18
	v_add_co_u32 v65, s1, v27, v65
	s_delay_alu instid0(VALU_DEP_1)
	v_add_co_ci_u32_e64 v66, s1, v28, v66, s1
	s_waitcnt lgkmcnt(14)
	global_store_b16 v[63:64], v40, off
	v_lshlrev_b64 v[63:64], 1, v[20:21]
	v_add_nc_u32_e32 v20, 0x400, v18
	s_waitcnt lgkmcnt(13)
	global_store_b16 v[65:66], v67, off
	s_waitcnt lgkmcnt(12)
	global_store_b16 v[47:48], v68, off
	v_add_co_u32 v47, s1, v27, v61
	s_delay_alu instid0(VALU_DEP_1) | instskip(SKIP_3) | instid1(VALU_DEP_1)
	v_add_co_ci_u32_e64 v48, s1, v28, v62, s1
	v_lshlrev_b64 v[61:62], 1, v[20:21]
	v_add_nc_u32_e32 v20, 0x500, v18
	v_add_co_u32 v63, s1, v27, v63
	v_add_co_ci_u32_e64 v64, s1, v28, v64, s1
	s_waitcnt lgkmcnt(11)
	global_store_b16 v[47:48], v69, off
	s_waitcnt lgkmcnt(10)
	global_store_b16 v[49:50], v70, off
	v_lshlrev_b64 v[47:48], 1, v[20:21]
	v_add_nc_u32_e32 v20, 0x600, v18
	v_add_co_u32 v49, s1, v27, v61
	s_waitcnt lgkmcnt(9)
	global_store_b16 v[63:64], v71, off
	s_waitcnt lgkmcnt(8)
	global_store_b16 v[51:52], v72, off
	v_add_co_ci_u32_e64 v50, s1, v28, v62, s1
	v_lshlrev_b64 v[51:52], 1, v[20:21]
	v_add_nc_u32_e32 v20, 0x700, v18
	v_add_co_u32 v47, s1, v27, v47
	s_delay_alu instid0(VALU_DEP_1)
	v_add_co_ci_u32_e64 v48, s1, v28, v48, s1
	s_waitcnt lgkmcnt(7)
	global_store_b16 v[49:50], v73, off
	s_waitcnt lgkmcnt(6)
	global_store_b16 v[53:54], v74, off
	v_lshlrev_b64 v[49:50], 1, v[20:21]
	v_dual_mov_b32 v39, s12 :: v_dual_add_nc_u32 v38, 0x1000, v38
	s_waitcnt lgkmcnt(5)
	global_store_b16 v[47:48], v75, off
	v_add_co_u32 v47, s1, v27, v51
	v_add_nc_u32_e32 v18, 0x800, v18
	v_add_co_ci_u32_e64 v48, s1, v28, v52, s1
	v_add_co_u32 v49, s1, v27, v49
	s_delay_alu instid0(VALU_DEP_1)
	v_add_co_ci_u32_e64 v50, s1, v28, v50, s1
	s_waitcnt lgkmcnt(4)
	global_store_b16 v[55:56], v76, off
	s_waitcnt lgkmcnt(3)
	global_store_b16 v[47:48], v77, off
	s_waitcnt lgkmcnt(2)
	global_store_b16 v[57:58], v78, off
	s_waitcnt lgkmcnt(1)
	global_store_b16 v[49:50], v79, off
	s_waitcnt lgkmcnt(0)
	global_store_b16 v[59:60], v80, off
	s_and_not1_b32 exec_lo, exec_lo, s7
	s_cbranch_execnz .LBB531_235
; %bb.236:
	s_or_b32 exec_lo, exec_lo, s7
.LBB531_237:
	s_delay_alu instid0(SALU_CYCLE_1) | instskip(SKIP_3) | instid1(VALU_DEP_1)
	s_or_b32 exec_lo, exec_lo, s3
	v_and_b32_e32 v1, 7, v36
	s_mov_b32 s12, 0
	s_mov_b32 s7, exec_lo
	v_cmpx_ne_u32_e32 0, v1
	s_cbranch_execz .LBB531_240
; %bb.238:
	v_dual_mov_b32 v21, 0 :: v_dual_lshlrev_b32 v20, 1, v0
	s_delay_alu instid0(VALU_DEP_1)
	v_lshl_or_b32 v36, v39, 8, v20
	s_set_inst_prefetch_distance 0x1
	.p2align	6
.LBB531_239:                            ; =>This Inner Loop Header: Depth=1
	v_dual_mov_b32 v20, v18 :: v_dual_add_nc_u32 v1, -1, v1
	ds_load_u16 v47, v36
	ds_load_u16 v48, v36 offset:256
	v_add_nc_u32_e32 v18, 0x100, v18
	v_add_nc_u32_e32 v36, 0x200, v36
	v_lshlrev_b64 v[37:38], 1, v[20:21]
	v_dual_mov_b32 v20, v19 :: v_dual_add_nc_u32 v19, 0x100, v19
	v_cmp_eq_u32_e64 s1, 0, v1
	s_delay_alu instid0(VALU_DEP_2) | instskip(NEXT) | instid1(VALU_DEP_4)
	v_lshlrev_b64 v[39:40], 1, v[20:21]
	v_add_co_u32 v37, s3, v27, v37
	s_delay_alu instid0(VALU_DEP_1) | instskip(NEXT) | instid1(VALU_DEP_4)
	v_add_co_ci_u32_e64 v38, s3, v28, v38, s3
	s_or_b32 s12, s1, s12
	s_delay_alu instid0(VALU_DEP_3) | instskip(NEXT) | instid1(VALU_DEP_1)
	v_add_co_u32 v39, s3, v27, v39
	v_add_co_ci_u32_e64 v40, s3, v28, v40, s3
	s_waitcnt lgkmcnt(1)
	global_store_b16 v[37:38], v47, off
	s_waitcnt lgkmcnt(0)
	global_store_b16 v[39:40], v48, off
	s_and_not1_b32 exec_lo, exec_lo, s12
	s_cbranch_execnz .LBB531_239
.LBB531_240:
	s_set_inst_prefetch_distance 0x2
	s_or_b32 exec_lo, exec_lo, s7
	v_add_nc_u32_e32 v1, 1, v31
	s_delay_alu instid0(VALU_DEP_1) | instskip(NEXT) | instid1(VALU_DEP_1)
	v_and_b32_e32 v18, 0x3fffffe, v1
	v_cmp_ne_u32_e64 s1, v1, v18
	v_lshl_or_b32 v18, v18, 7, v0
	s_delay_alu instid0(VALU_DEP_2)
	s_or_not1_b32 s3, s1, exec_lo
.LBB531_241:
	s_or_b32 exec_lo, exec_lo, s6
	s_delay_alu instid0(SALU_CYCLE_1) | instskip(SKIP_1) | instid1(SALU_CYCLE_1)
	s_and_not1_b32 s1, vcc_lo, exec_lo
	s_and_b32 s3, s3, exec_lo
	s_or_b32 vcc_lo, s1, s3
.LBB531_242:
	s_or_b32 exec_lo, exec_lo, s5
	s_delay_alu instid0(SALU_CYCLE_1)
	s_and_b32 exec_lo, exec_lo, vcc_lo
	s_cbranch_execz .LBB531_245
; %bb.243:
	v_lshlrev_b32_e32 v1, 1, v18
	v_mov_b32_e32 v19, 0
	s_mov_b32 s3, 0
	.p2align	6
.LBB531_244:                            ; =>This Inner Loop Header: Depth=1
	ds_load_u16 v31, v1
	v_lshlrev_b64 v[20:21], 1, v[18:19]
	v_add_nc_u32_e32 v18, 0x80, v18
	v_add_nc_u32_e32 v1, 0x100, v1
	s_delay_alu instid0(VALU_DEP_2) | instskip(NEXT) | instid1(VALU_DEP_4)
	v_cmp_ge_u32_e32 vcc_lo, v18, v29
	v_add_co_u32 v20, s1, v27, v20
	s_delay_alu instid0(VALU_DEP_1)
	v_add_co_ci_u32_e64 v21, s1, v28, v21, s1
	s_or_b32 s3, vcc_lo, s3
	s_waitcnt lgkmcnt(0)
	global_store_b16 v[20:21], v31, off
	s_and_not1_b32 exec_lo, exec_lo, s3
	s_cbranch_execnz .LBB531_244
.LBB531_245:
	s_or_b32 exec_lo, exec_lo, s4
.LBB531_246:
	v_lshrrev_b32_e32 v27, 16, v14
	v_lshrrev_b32_e32 v21, 16, v15
	;; [unrolled: 1-line block ×6, first 2 shown]
	s_and_b32 vcc_lo, exec_lo, s0
	s_mov_b32 s0, -1
	s_waitcnt_vscnt null, 0x0
	s_barrier
	buffer_gl0_inv
	s_cbranch_vccnz .LBB531_250
; %bb.247:
	s_and_b32 vcc_lo, exec_lo, s0
	s_cbranch_vccnz .LBB531_287
.LBB531_248:
	s_and_b32 s0, s2, s22
	s_delay_alu instid0(SALU_CYCLE_1)
	s_and_saveexec_b32 s1, s0
	s_cbranch_execnz .LBB531_327
.LBB531_249:
	s_nop 0
	s_sendmsg sendmsg(MSG_DEALLOC_VGPRS)
	s_endpgm
.LBB531_250:
	v_cmp_lt_u32_e32 vcc_lo, v2, v46
	s_lshl_b64 s[0:1], s[10:11], 1
	s_delay_alu instid0(SALU_CYCLE_1) | instskip(SKIP_2) | instid1(SALU_CYCLE_1)
	s_add_u32 s0, s14, s0
	s_addc_u32 s1, s15, s1
	s_or_b32 s4, s23, vcc_lo
	s_and_saveexec_b32 s3, s4
	s_cbranch_execz .LBB531_253
; %bb.251:
	v_cmp_eq_u32_e32 vcc_lo, 1, v22
	s_and_b32 exec_lo, exec_lo, vcc_lo
	s_cbranch_execz .LBB531_253
; %bb.252:
	v_dual_mov_b32 v37, 0 :: v_dual_mov_b32 v36, v2
	s_delay_alu instid0(VALU_DEP_1) | instskip(NEXT) | instid1(VALU_DEP_1)
	v_lshlrev_b64 v[36:37], 1, v[36:37]
	v_add_co_u32 v36, vcc_lo, s0, v36
	s_delay_alu instid0(VALU_DEP_2)
	v_add_co_ci_u32_e32 v37, vcc_lo, s1, v37, vcc_lo
	global_store_b16 v[36:37], v14, off
.LBB531_253:
	s_or_b32 exec_lo, exec_lo, s3
	v_cmp_lt_u32_e32 vcc_lo, v3, v46
	s_or_b32 s4, s23, vcc_lo
	s_delay_alu instid0(SALU_CYCLE_1)
	s_and_saveexec_b32 s3, s4
	s_cbranch_execz .LBB531_256
; %bb.254:
	v_and_b32_e32 v28, 1, v45
	s_delay_alu instid0(VALU_DEP_1)
	v_cmp_eq_u32_e32 vcc_lo, 1, v28
	s_and_b32 exec_lo, exec_lo, vcc_lo
	s_cbranch_execz .LBB531_256
; %bb.255:
	v_dual_mov_b32 v37, 0 :: v_dual_mov_b32 v36, v3
	s_delay_alu instid0(VALU_DEP_1) | instskip(NEXT) | instid1(VALU_DEP_1)
	v_lshlrev_b64 v[36:37], 1, v[36:37]
	v_add_co_u32 v36, vcc_lo, s0, v36
	s_delay_alu instid0(VALU_DEP_2)
	v_add_co_ci_u32_e32 v37, vcc_lo, s1, v37, vcc_lo
	global_store_b16 v[36:37], v27, off
.LBB531_256:
	s_or_b32 exec_lo, exec_lo, s3
	v_cmp_lt_u32_e32 vcc_lo, v4, v46
	s_or_b32 s4, s23, vcc_lo
	s_delay_alu instid0(SALU_CYCLE_1)
	s_and_saveexec_b32 s3, s4
	s_cbranch_execz .LBB531_259
; %bb.257:
	v_and_b32_e32 v28, 1, v44
	s_delay_alu instid0(VALU_DEP_1)
	v_cmp_eq_u32_e32 vcc_lo, 1, v28
	s_and_b32 exec_lo, exec_lo, vcc_lo
	s_cbranch_execz .LBB531_259
; %bb.258:
	v_dual_mov_b32 v37, 0 :: v_dual_mov_b32 v36, v4
	s_delay_alu instid0(VALU_DEP_1) | instskip(NEXT) | instid1(VALU_DEP_1)
	v_lshlrev_b64 v[36:37], 1, v[36:37]
	v_add_co_u32 v36, vcc_lo, s0, v36
	s_delay_alu instid0(VALU_DEP_2)
	v_add_co_ci_u32_e32 v37, vcc_lo, s1, v37, vcc_lo
	global_store_b16 v[36:37], v15, off
.LBB531_259:
	;; [unrolled: 21-line block ×11, first 2 shown]
	s_or_b32 exec_lo, exec_lo, s3
	s_branch .LBB531_248
.LBB531_287:
	s_mov_b32 s0, exec_lo
	v_cmpx_eq_u32_e32 1, v22
	s_cbranch_execz .LBB531_289
; %bb.288:
	v_sub_nc_u32_e32 v2, v2, v30
	s_delay_alu instid0(VALU_DEP_1)
	v_lshlrev_b32_e32 v2, 1, v2
	ds_store_b16 v2, v14
.LBB531_289:
	s_or_b32 exec_lo, exec_lo, s0
	v_and_b32_e32 v2, 1, v45
	s_mov_b32 s0, exec_lo
	s_delay_alu instid0(VALU_DEP_1)
	v_cmpx_eq_u32_e32 1, v2
	s_cbranch_execz .LBB531_291
; %bb.290:
	v_sub_nc_u32_e32 v2, v3, v30
	s_delay_alu instid0(VALU_DEP_1)
	v_lshlrev_b32_e32 v2, 1, v2
	ds_store_b16 v2, v27
.LBB531_291:
	s_or_b32 exec_lo, exec_lo, s0
	v_and_b32_e32 v2, 1, v44
	s_mov_b32 s0, exec_lo
	s_delay_alu instid0(VALU_DEP_1)
	;; [unrolled: 12-line block ×11, first 2 shown]
	v_cmpx_eq_u32_e32 1, v2
	s_cbranch_execz .LBB531_311
; %bb.310:
	v_sub_nc_u32_e32 v2, v13, v30
	s_delay_alu instid0(VALU_DEP_1)
	v_lshlrev_b32_e32 v2, 1, v2
	ds_store_b16 v2, v1
.LBB531_311:
	s_or_b32 exec_lo, exec_lo, s0
	s_delay_alu instid0(SALU_CYCLE_1)
	s_mov_b32 s3, exec_lo
	s_waitcnt lgkmcnt(0)
	s_waitcnt_vscnt null, 0x0
	s_barrier
	buffer_gl0_inv
	v_cmpx_lt_u32_e64 v0, v29
	s_cbranch_execz .LBB531_326
; %bb.312:
	v_mov_b32_e32 v31, 0
	s_lshl_b64 s[0:1], s[10:11], 1
	v_xad_u32 v1, v0, -1, v29
	s_add_u32 s0, s14, s0
	s_addc_u32 s1, s15, s1
	v_lshlrev_b64 v[2:3], 1, v[30:31]
	s_mov_b32 s4, exec_lo
	v_cmp_gt_u32_e32 vcc_lo, 0xc80, v1
	s_delay_alu instid0(VALU_DEP_2) | instskip(NEXT) | instid1(VALU_DEP_1)
	v_add_co_u32 v6, s0, s0, v2
	v_add_co_ci_u32_e64 v7, s0, s1, v3, s0
	s_mov_b32 s1, -1
	v_cmpx_lt_u32_e32 0xc7f, v1
	s_cbranch_execz .LBB531_323
; %bb.313:
	v_sub_nc_u32_e32 v2, v0, v29
	s_mov_b32 s5, exec_lo
	s_delay_alu instid0(VALU_DEP_1) | instskip(NEXT) | instid1(VALU_DEP_1)
	v_or_b32_e32 v2, 0x7f, v2
	v_cmpx_ge_u32_e64 v2, v0
	s_cbranch_execz .LBB531_322
; %bb.314:
	v_lshrrev_b32_e32 v8, 7, v1
	v_or_b32_e32 v1, 0x80, v0
	v_lshlrev_b32_e32 v9, 1, v0
	s_delay_alu instid0(VALU_DEP_3) | instskip(NEXT) | instid1(VALU_DEP_1)
	v_dual_mov_b32 v13, 0 :: v_dual_add_nc_u32 v2, -1, v8
	v_lshrrev_b32_e32 v3, 1, v2
	v_cmp_lt_u32_e64 s0, 13, v2
	s_delay_alu instid0(VALU_DEP_2) | instskip(SKIP_1) | instid1(VALU_DEP_3)
	v_dual_mov_b32 v3, v1 :: v_dual_add_nc_u32 v10, 1, v3
	v_mov_b32_e32 v2, v0
	s_and_saveexec_b32 s1, s0
	s_cbranch_execz .LBB531_318
; %bb.315:
	v_mov_b32_e32 v3, v1
	v_dual_mov_b32 v12, v9 :: v_dual_and_b32 v11, -8, v10
	v_dual_mov_b32 v5, 0 :: v_dual_mov_b32 v2, v0
	s_mov_b32 s6, 0
	s_mov_b32 s7, 0
.LBB531_316:                            ; =>This Inner Loop Header: Depth=1
	s_delay_alu instid0(VALU_DEP_1) | instskip(SKIP_2) | instid1(VALU_DEP_3)
	v_dual_mov_b32 v4, v2 :: v_dual_mov_b32 v15, v5
	v_add_nc_u32_e32 v11, -8, v11
	v_dual_mov_b32 v17, v5 :: v_dual_add_nc_u32 v14, 0x100, v3
	v_lshlrev_b64 v[31:32], 1, v[4:5]
	v_dual_mov_b32 v19, v5 :: v_dual_add_nc_u32 v16, 0x200, v3
	v_mov_b32_e32 v4, v3
	v_cmp_eq_u32_e64 s0, 0, v11
	v_lshlrev_b64 v[14:15], 1, v[14:15]
	v_dual_mov_b32 v21, v5 :: v_dual_add_nc_u32 v18, 0x300, v3
	s_add_i32 s7, s7, 16
	v_lshlrev_b64 v[16:17], 1, v[16:17]
	s_or_b32 s6, s0, s6
	v_add_co_u32 v31, s0, v6, v31
	v_dual_mov_b32 v23, v5 :: v_dual_add_nc_u32 v20, 0x400, v3
	v_add_co_ci_u32_e64 v32, s0, v7, v32, s0
	v_lshlrev_b64 v[18:19], 1, v[18:19]
	v_add_co_u32 v14, s0, v6, v14
	v_dual_mov_b32 v25, v5 :: v_dual_add_nc_u32 v22, 0x500, v3
	v_add_co_ci_u32_e64 v15, s0, v7, v15, s0
	v_lshlrev_b64 v[20:21], 1, v[20:21]
	;; [unrolled: 4-line block ×4, first 2 shown]
	v_add_co_u32 v20, s0, v6, v20
	ds_load_u16 v1, v12
	ds_load_u16 v28, v12 offset:256
	ds_load_u16 v37, v12 offset:512
	;; [unrolled: 1-line block ×7, first 2 shown]
	v_add_co_ci_u32_e64 v21, s0, v7, v21, s0
	v_lshlrev_b64 v[26:27], 1, v[26:27]
	v_add_co_u32 v22, s0, v6, v22
	v_lshlrev_b64 v[33:34], 1, v[4:5]
	v_add_nc_u32_e32 v4, 0x100, v2
	v_add_co_ci_u32_e64 v23, s0, v7, v23, s0
	v_add_co_u32 v24, s0, v6, v24
	s_delay_alu instid0(VALU_DEP_1)
	v_add_co_ci_u32_e64 v25, s0, v7, v25, s0
	v_add_co_u32 v26, s0, v6, v26
	v_lshlrev_b64 v[35:36], 1, v[4:5]
	v_add_nc_u32_e32 v4, 0x200, v2
	v_add_co_ci_u32_e64 v27, s0, v7, v27, s0
	v_add_co_u32 v33, s0, v6, v33
	ds_load_u16 v43, v12 offset:2048
	ds_load_u16 v44, v12 offset:2304
	;; [unrolled: 1-line block ×8, first 2 shown]
	v_add_co_ci_u32_e64 v34, s0, v7, v34, s0
	s_waitcnt lgkmcnt(15)
	global_store_b16 v[31:32], v1, off
	v_lshlrev_b64 v[31:32], 1, v[4:5]
	v_add_nc_u32_e32 v4, 0x300, v2
	v_add_co_u32 v35, s0, v6, v35
	s_delay_alu instid0(VALU_DEP_1)
	v_add_co_ci_u32_e64 v36, s0, v7, v36, s0
	s_waitcnt lgkmcnt(14)
	global_store_b16 v[33:34], v28, off
	v_lshlrev_b64 v[33:34], 1, v[4:5]
	v_add_nc_u32_e32 v4, 0x400, v2
	s_waitcnt lgkmcnt(13)
	global_store_b16 v[35:36], v37, off
	s_waitcnt lgkmcnt(12)
	global_store_b16 v[14:15], v38, off
	v_add_co_u32 v14, s0, v6, v31
	s_delay_alu instid0(VALU_DEP_1) | instskip(SKIP_3) | instid1(VALU_DEP_1)
	v_add_co_ci_u32_e64 v15, s0, v7, v32, s0
	v_lshlrev_b64 v[31:32], 1, v[4:5]
	v_add_nc_u32_e32 v4, 0x500, v2
	v_add_co_u32 v33, s0, v6, v33
	v_add_co_ci_u32_e64 v34, s0, v7, v34, s0
	s_waitcnt lgkmcnt(11)
	global_store_b16 v[14:15], v39, off
	s_waitcnt lgkmcnt(10)
	global_store_b16 v[16:17], v40, off
	v_lshlrev_b64 v[14:15], 1, v[4:5]
	v_add_nc_u32_e32 v4, 0x600, v2
	v_add_co_u32 v16, s0, v6, v31
	s_waitcnt lgkmcnt(9)
	global_store_b16 v[33:34], v41, off
	s_waitcnt lgkmcnt(8)
	global_store_b16 v[18:19], v42, off
	v_add_co_ci_u32_e64 v17, s0, v7, v32, s0
	v_lshlrev_b64 v[18:19], 1, v[4:5]
	v_add_nc_u32_e32 v4, 0x700, v2
	v_add_co_u32 v14, s0, v6, v14
	s_delay_alu instid0(VALU_DEP_1)
	v_add_co_ci_u32_e64 v15, s0, v7, v15, s0
	s_waitcnt lgkmcnt(7)
	global_store_b16 v[16:17], v43, off
	s_waitcnt lgkmcnt(6)
	global_store_b16 v[20:21], v44, off
	v_lshlrev_b64 v[16:17], 1, v[4:5]
	v_add_nc_u32_e32 v12, 0x1000, v12
	s_waitcnt lgkmcnt(5)
	global_store_b16 v[14:15], v45, off
	v_add_co_u32 v14, s0, v6, v18
	v_add_nc_u32_e32 v3, 0x800, v3
	v_add_nc_u32_e32 v2, 0x800, v2
	v_add_co_ci_u32_e64 v15, s0, v7, v19, s0
	v_add_co_u32 v16, s0, v6, v16
	s_delay_alu instid0(VALU_DEP_1)
	v_add_co_ci_u32_e64 v17, s0, v7, v17, s0
	s_waitcnt lgkmcnt(4)
	global_store_b16 v[22:23], v46, off
	s_waitcnt lgkmcnt(3)
	global_store_b16 v[14:15], v47, off
	;; [unrolled: 2-line block ×5, first 2 shown]
	s_and_not1_b32 exec_lo, exec_lo, s6
	s_cbranch_execnz .LBB531_316
; %bb.317:
	s_or_b32 exec_lo, exec_lo, s6
.LBB531_318:
	s_delay_alu instid0(SALU_CYCLE_1) | instskip(SKIP_3) | instid1(VALU_DEP_1)
	s_or_b32 exec_lo, exec_lo, s1
	v_and_b32_e32 v1, 7, v10
	s_mov_b32 s7, 0
	s_mov_b32 s6, exec_lo
	v_cmpx_ne_u32_e32 0, v1
	s_cbranch_execz .LBB531_321
; %bb.319:
	v_lshl_or_b32 v9, v13, 8, v9
	v_mov_b32_e32 v5, 0
	s_set_inst_prefetch_distance 0x1
	.p2align	6
.LBB531_320:                            ; =>This Inner Loop Header: Depth=1
	v_dual_mov_b32 v4, v2 :: v_dual_add_nc_u32 v1, -1, v1
	ds_load_u16 v14, v9
	ds_load_u16 v15, v9 offset:256
	v_add_nc_u32_e32 v2, 0x100, v2
	v_add_nc_u32_e32 v9, 0x200, v9
	v_lshlrev_b64 v[10:11], 1, v[4:5]
	v_mov_b32_e32 v4, v3
	v_cmp_eq_u32_e64 s0, 0, v1
	v_add_nc_u32_e32 v3, 0x100, v3
	s_delay_alu instid0(VALU_DEP_3) | instskip(SKIP_1) | instid1(VALU_DEP_1)
	v_lshlrev_b64 v[12:13], 1, v[4:5]
	v_add_co_u32 v10, s1, v6, v10
	v_add_co_ci_u32_e64 v11, s1, v7, v11, s1
	s_or_b32 s7, s0, s7
	s_delay_alu instid0(VALU_DEP_3) | instskip(NEXT) | instid1(VALU_DEP_1)
	v_add_co_u32 v12, s1, v6, v12
	v_add_co_ci_u32_e64 v13, s1, v7, v13, s1
	s_waitcnt lgkmcnt(1)
	global_store_b16 v[10:11], v14, off
	s_waitcnt lgkmcnt(0)
	global_store_b16 v[12:13], v15, off
	s_and_not1_b32 exec_lo, exec_lo, s7
	s_cbranch_execnz .LBB531_320
.LBB531_321:
	s_set_inst_prefetch_distance 0x2
	s_or_b32 exec_lo, exec_lo, s6
	v_add_nc_u32_e32 v1, 1, v8
	s_delay_alu instid0(VALU_DEP_1) | instskip(NEXT) | instid1(VALU_DEP_1)
	v_and_b32_e32 v2, 0x3fffffe, v1
	v_cmp_ne_u32_e64 s0, v1, v2
	v_lshl_or_b32 v0, v2, 7, v0
	s_delay_alu instid0(VALU_DEP_2)
	s_or_not1_b32 s1, s0, exec_lo
.LBB531_322:
	s_or_b32 exec_lo, exec_lo, s5
	s_delay_alu instid0(SALU_CYCLE_1) | instskip(SKIP_1) | instid1(SALU_CYCLE_1)
	s_and_not1_b32 s0, vcc_lo, exec_lo
	s_and_b32 s1, s1, exec_lo
	s_or_b32 vcc_lo, s0, s1
.LBB531_323:
	s_or_b32 exec_lo, exec_lo, s4
	s_delay_alu instid0(SALU_CYCLE_1)
	s_and_b32 exec_lo, exec_lo, vcc_lo
	s_cbranch_execz .LBB531_326
; %bb.324:
	v_dual_mov_b32 v1, 0 :: v_dual_lshlrev_b32 v2, 1, v0
	s_mov_b32 s1, 0
	.p2align	6
.LBB531_325:                            ; =>This Inner Loop Header: Depth=1
	ds_load_u16 v5, v2
	v_lshlrev_b64 v[3:4], 1, v[0:1]
	v_add_nc_u32_e32 v0, 0x80, v0
	v_add_nc_u32_e32 v2, 0x100, v2
	s_delay_alu instid0(VALU_DEP_2) | instskip(NEXT) | instid1(VALU_DEP_4)
	v_cmp_ge_u32_e32 vcc_lo, v0, v29
	v_add_co_u32 v3, s0, v6, v3
	s_delay_alu instid0(VALU_DEP_1)
	v_add_co_ci_u32_e64 v4, s0, v7, v4, s0
	s_or_b32 s1, vcc_lo, s1
	s_waitcnt lgkmcnt(0)
	global_store_b16 v[3:4], v5, off
	s_and_not1_b32 exec_lo, exec_lo, s1
	s_cbranch_execnz .LBB531_325
.LBB531_326:
	s_or_b32 exec_lo, exec_lo, s3
	s_and_b32 s0, s2, s22
	s_delay_alu instid0(SALU_CYCLE_1)
	s_and_saveexec_b32 s1, s0
	s_cbranch_execz .LBB531_249
.LBB531_327:
	v_add_co_u32 v0, s0, s10, v29
	s_delay_alu instid0(VALU_DEP_1) | instskip(SKIP_1) | instid1(VALU_DEP_3)
	v_add_co_ci_u32_e64 v1, null, s11, 0, s0
	v_mov_b32_e32 v2, 0
	v_add_co_u32 v0, vcc_lo, v0, v30
	s_delay_alu instid0(VALU_DEP_3)
	v_add_co_ci_u32_e32 v1, vcc_lo, 0, v1, vcc_lo
	global_store_b64 v2, v[0:1], s[8:9]
	s_nop 0
	s_sendmsg sendmsg(MSG_DEALLOC_VGPRS)
	s_endpgm
	.section	.rodata,"a",@progbits
	.p2align	6, 0x0
	.amdhsa_kernel _ZN7rocprim17ROCPRIM_400000_NS6detail17trampoline_kernelINS0_14default_configENS1_25partition_config_selectorILNS1_17partition_subalgoE9EssbEEZZNS1_14partition_implILS5_9ELb0ES3_jN6thrust23THRUST_200600_302600_NS6detail15normal_iteratorINS9_10device_ptrIsEEEESE_PNS0_10empty_typeENS0_5tupleIJSE_SF_EEENSH_IJSE_SG_EEENS0_18inequality_wrapperI22is_equal_div_10_uniqueIsEEEPmJSF_EEE10hipError_tPvRmT3_T4_T5_T6_T7_T9_mT8_P12ihipStream_tbDpT10_ENKUlT_T0_E_clISt17integral_constantIbLb0EES17_IbLb1EEEEDaS13_S14_EUlS13_E_NS1_11comp_targetILNS1_3genE9ELNS1_11target_archE1100ELNS1_3gpuE3ELNS1_3repE0EEENS1_30default_config_static_selectorELNS0_4arch9wavefront6targetE0EEEvT1_
		.amdhsa_group_segment_fixed_size 3080
		.amdhsa_private_segment_fixed_size 0
		.amdhsa_kernarg_size 128
		.amdhsa_user_sgpr_count 15
		.amdhsa_user_sgpr_dispatch_ptr 0
		.amdhsa_user_sgpr_queue_ptr 0
		.amdhsa_user_sgpr_kernarg_segment_ptr 1
		.amdhsa_user_sgpr_dispatch_id 0
		.amdhsa_user_sgpr_private_segment_size 0
		.amdhsa_wavefront_size32 1
		.amdhsa_uses_dynamic_stack 0
		.amdhsa_enable_private_segment 0
		.amdhsa_system_sgpr_workgroup_id_x 1
		.amdhsa_system_sgpr_workgroup_id_y 0
		.amdhsa_system_sgpr_workgroup_id_z 0
		.amdhsa_system_sgpr_workgroup_info 0
		.amdhsa_system_vgpr_workitem_id 0
		.amdhsa_next_free_vgpr 81
		.amdhsa_next_free_sgpr 31
		.amdhsa_reserve_vcc 1
		.amdhsa_float_round_mode_32 0
		.amdhsa_float_round_mode_16_64 0
		.amdhsa_float_denorm_mode_32 3
		.amdhsa_float_denorm_mode_16_64 3
		.amdhsa_dx10_clamp 1
		.amdhsa_ieee_mode 1
		.amdhsa_fp16_overflow 0
		.amdhsa_workgroup_processor_mode 1
		.amdhsa_memory_ordered 1
		.amdhsa_forward_progress 0
		.amdhsa_shared_vgpr_count 0
		.amdhsa_exception_fp_ieee_invalid_op 0
		.amdhsa_exception_fp_denorm_src 0
		.amdhsa_exception_fp_ieee_div_zero 0
		.amdhsa_exception_fp_ieee_overflow 0
		.amdhsa_exception_fp_ieee_underflow 0
		.amdhsa_exception_fp_ieee_inexact 0
		.amdhsa_exception_int_div_zero 0
	.end_amdhsa_kernel
	.section	.text._ZN7rocprim17ROCPRIM_400000_NS6detail17trampoline_kernelINS0_14default_configENS1_25partition_config_selectorILNS1_17partition_subalgoE9EssbEEZZNS1_14partition_implILS5_9ELb0ES3_jN6thrust23THRUST_200600_302600_NS6detail15normal_iteratorINS9_10device_ptrIsEEEESE_PNS0_10empty_typeENS0_5tupleIJSE_SF_EEENSH_IJSE_SG_EEENS0_18inequality_wrapperI22is_equal_div_10_uniqueIsEEEPmJSF_EEE10hipError_tPvRmT3_T4_T5_T6_T7_T9_mT8_P12ihipStream_tbDpT10_ENKUlT_T0_E_clISt17integral_constantIbLb0EES17_IbLb1EEEEDaS13_S14_EUlS13_E_NS1_11comp_targetILNS1_3genE9ELNS1_11target_archE1100ELNS1_3gpuE3ELNS1_3repE0EEENS1_30default_config_static_selectorELNS0_4arch9wavefront6targetE0EEEvT1_,"axG",@progbits,_ZN7rocprim17ROCPRIM_400000_NS6detail17trampoline_kernelINS0_14default_configENS1_25partition_config_selectorILNS1_17partition_subalgoE9EssbEEZZNS1_14partition_implILS5_9ELb0ES3_jN6thrust23THRUST_200600_302600_NS6detail15normal_iteratorINS9_10device_ptrIsEEEESE_PNS0_10empty_typeENS0_5tupleIJSE_SF_EEENSH_IJSE_SG_EEENS0_18inequality_wrapperI22is_equal_div_10_uniqueIsEEEPmJSF_EEE10hipError_tPvRmT3_T4_T5_T6_T7_T9_mT8_P12ihipStream_tbDpT10_ENKUlT_T0_E_clISt17integral_constantIbLb0EES17_IbLb1EEEEDaS13_S14_EUlS13_E_NS1_11comp_targetILNS1_3genE9ELNS1_11target_archE1100ELNS1_3gpuE3ELNS1_3repE0EEENS1_30default_config_static_selectorELNS0_4arch9wavefront6targetE0EEEvT1_,comdat
.Lfunc_end531:
	.size	_ZN7rocprim17ROCPRIM_400000_NS6detail17trampoline_kernelINS0_14default_configENS1_25partition_config_selectorILNS1_17partition_subalgoE9EssbEEZZNS1_14partition_implILS5_9ELb0ES3_jN6thrust23THRUST_200600_302600_NS6detail15normal_iteratorINS9_10device_ptrIsEEEESE_PNS0_10empty_typeENS0_5tupleIJSE_SF_EEENSH_IJSE_SG_EEENS0_18inequality_wrapperI22is_equal_div_10_uniqueIsEEEPmJSF_EEE10hipError_tPvRmT3_T4_T5_T6_T7_T9_mT8_P12ihipStream_tbDpT10_ENKUlT_T0_E_clISt17integral_constantIbLb0EES17_IbLb1EEEEDaS13_S14_EUlS13_E_NS1_11comp_targetILNS1_3genE9ELNS1_11target_archE1100ELNS1_3gpuE3ELNS1_3repE0EEENS1_30default_config_static_selectorELNS0_4arch9wavefront6targetE0EEEvT1_, .Lfunc_end531-_ZN7rocprim17ROCPRIM_400000_NS6detail17trampoline_kernelINS0_14default_configENS1_25partition_config_selectorILNS1_17partition_subalgoE9EssbEEZZNS1_14partition_implILS5_9ELb0ES3_jN6thrust23THRUST_200600_302600_NS6detail15normal_iteratorINS9_10device_ptrIsEEEESE_PNS0_10empty_typeENS0_5tupleIJSE_SF_EEENSH_IJSE_SG_EEENS0_18inequality_wrapperI22is_equal_div_10_uniqueIsEEEPmJSF_EEE10hipError_tPvRmT3_T4_T5_T6_T7_T9_mT8_P12ihipStream_tbDpT10_ENKUlT_T0_E_clISt17integral_constantIbLb0EES17_IbLb1EEEEDaS13_S14_EUlS13_E_NS1_11comp_targetILNS1_3genE9ELNS1_11target_archE1100ELNS1_3gpuE3ELNS1_3repE0EEENS1_30default_config_static_selectorELNS0_4arch9wavefront6targetE0EEEvT1_
                                        ; -- End function
	.section	.AMDGPU.csdata,"",@progbits
; Kernel info:
; codeLenInByte = 16520
; NumSgprs: 33
; NumVgprs: 81
; ScratchSize: 0
; MemoryBound: 0
; FloatMode: 240
; IeeeMode: 1
; LDSByteSize: 3080 bytes/workgroup (compile time only)
; SGPRBlocks: 4
; VGPRBlocks: 10
; NumSGPRsForWavesPerEU: 33
; NumVGPRsForWavesPerEU: 81
; Occupancy: 16
; WaveLimiterHint : 1
; COMPUTE_PGM_RSRC2:SCRATCH_EN: 0
; COMPUTE_PGM_RSRC2:USER_SGPR: 15
; COMPUTE_PGM_RSRC2:TRAP_HANDLER: 0
; COMPUTE_PGM_RSRC2:TGID_X_EN: 1
; COMPUTE_PGM_RSRC2:TGID_Y_EN: 0
; COMPUTE_PGM_RSRC2:TGID_Z_EN: 0
; COMPUTE_PGM_RSRC2:TIDIG_COMP_CNT: 0
	.section	.text._ZN7rocprim17ROCPRIM_400000_NS6detail17trampoline_kernelINS0_14default_configENS1_25partition_config_selectorILNS1_17partition_subalgoE9EssbEEZZNS1_14partition_implILS5_9ELb0ES3_jN6thrust23THRUST_200600_302600_NS6detail15normal_iteratorINS9_10device_ptrIsEEEESE_PNS0_10empty_typeENS0_5tupleIJSE_SF_EEENSH_IJSE_SG_EEENS0_18inequality_wrapperI22is_equal_div_10_uniqueIsEEEPmJSF_EEE10hipError_tPvRmT3_T4_T5_T6_T7_T9_mT8_P12ihipStream_tbDpT10_ENKUlT_T0_E_clISt17integral_constantIbLb0EES17_IbLb1EEEEDaS13_S14_EUlS13_E_NS1_11comp_targetILNS1_3genE8ELNS1_11target_archE1030ELNS1_3gpuE2ELNS1_3repE0EEENS1_30default_config_static_selectorELNS0_4arch9wavefront6targetE0EEEvT1_,"axG",@progbits,_ZN7rocprim17ROCPRIM_400000_NS6detail17trampoline_kernelINS0_14default_configENS1_25partition_config_selectorILNS1_17partition_subalgoE9EssbEEZZNS1_14partition_implILS5_9ELb0ES3_jN6thrust23THRUST_200600_302600_NS6detail15normal_iteratorINS9_10device_ptrIsEEEESE_PNS0_10empty_typeENS0_5tupleIJSE_SF_EEENSH_IJSE_SG_EEENS0_18inequality_wrapperI22is_equal_div_10_uniqueIsEEEPmJSF_EEE10hipError_tPvRmT3_T4_T5_T6_T7_T9_mT8_P12ihipStream_tbDpT10_ENKUlT_T0_E_clISt17integral_constantIbLb0EES17_IbLb1EEEEDaS13_S14_EUlS13_E_NS1_11comp_targetILNS1_3genE8ELNS1_11target_archE1030ELNS1_3gpuE2ELNS1_3repE0EEENS1_30default_config_static_selectorELNS0_4arch9wavefront6targetE0EEEvT1_,comdat
	.protected	_ZN7rocprim17ROCPRIM_400000_NS6detail17trampoline_kernelINS0_14default_configENS1_25partition_config_selectorILNS1_17partition_subalgoE9EssbEEZZNS1_14partition_implILS5_9ELb0ES3_jN6thrust23THRUST_200600_302600_NS6detail15normal_iteratorINS9_10device_ptrIsEEEESE_PNS0_10empty_typeENS0_5tupleIJSE_SF_EEENSH_IJSE_SG_EEENS0_18inequality_wrapperI22is_equal_div_10_uniqueIsEEEPmJSF_EEE10hipError_tPvRmT3_T4_T5_T6_T7_T9_mT8_P12ihipStream_tbDpT10_ENKUlT_T0_E_clISt17integral_constantIbLb0EES17_IbLb1EEEEDaS13_S14_EUlS13_E_NS1_11comp_targetILNS1_3genE8ELNS1_11target_archE1030ELNS1_3gpuE2ELNS1_3repE0EEENS1_30default_config_static_selectorELNS0_4arch9wavefront6targetE0EEEvT1_ ; -- Begin function _ZN7rocprim17ROCPRIM_400000_NS6detail17trampoline_kernelINS0_14default_configENS1_25partition_config_selectorILNS1_17partition_subalgoE9EssbEEZZNS1_14partition_implILS5_9ELb0ES3_jN6thrust23THRUST_200600_302600_NS6detail15normal_iteratorINS9_10device_ptrIsEEEESE_PNS0_10empty_typeENS0_5tupleIJSE_SF_EEENSH_IJSE_SG_EEENS0_18inequality_wrapperI22is_equal_div_10_uniqueIsEEEPmJSF_EEE10hipError_tPvRmT3_T4_T5_T6_T7_T9_mT8_P12ihipStream_tbDpT10_ENKUlT_T0_E_clISt17integral_constantIbLb0EES17_IbLb1EEEEDaS13_S14_EUlS13_E_NS1_11comp_targetILNS1_3genE8ELNS1_11target_archE1030ELNS1_3gpuE2ELNS1_3repE0EEENS1_30default_config_static_selectorELNS0_4arch9wavefront6targetE0EEEvT1_
	.globl	_ZN7rocprim17ROCPRIM_400000_NS6detail17trampoline_kernelINS0_14default_configENS1_25partition_config_selectorILNS1_17partition_subalgoE9EssbEEZZNS1_14partition_implILS5_9ELb0ES3_jN6thrust23THRUST_200600_302600_NS6detail15normal_iteratorINS9_10device_ptrIsEEEESE_PNS0_10empty_typeENS0_5tupleIJSE_SF_EEENSH_IJSE_SG_EEENS0_18inequality_wrapperI22is_equal_div_10_uniqueIsEEEPmJSF_EEE10hipError_tPvRmT3_T4_T5_T6_T7_T9_mT8_P12ihipStream_tbDpT10_ENKUlT_T0_E_clISt17integral_constantIbLb0EES17_IbLb1EEEEDaS13_S14_EUlS13_E_NS1_11comp_targetILNS1_3genE8ELNS1_11target_archE1030ELNS1_3gpuE2ELNS1_3repE0EEENS1_30default_config_static_selectorELNS0_4arch9wavefront6targetE0EEEvT1_
	.p2align	8
	.type	_ZN7rocprim17ROCPRIM_400000_NS6detail17trampoline_kernelINS0_14default_configENS1_25partition_config_selectorILNS1_17partition_subalgoE9EssbEEZZNS1_14partition_implILS5_9ELb0ES3_jN6thrust23THRUST_200600_302600_NS6detail15normal_iteratorINS9_10device_ptrIsEEEESE_PNS0_10empty_typeENS0_5tupleIJSE_SF_EEENSH_IJSE_SG_EEENS0_18inequality_wrapperI22is_equal_div_10_uniqueIsEEEPmJSF_EEE10hipError_tPvRmT3_T4_T5_T6_T7_T9_mT8_P12ihipStream_tbDpT10_ENKUlT_T0_E_clISt17integral_constantIbLb0EES17_IbLb1EEEEDaS13_S14_EUlS13_E_NS1_11comp_targetILNS1_3genE8ELNS1_11target_archE1030ELNS1_3gpuE2ELNS1_3repE0EEENS1_30default_config_static_selectorELNS0_4arch9wavefront6targetE0EEEvT1_,@function
_ZN7rocprim17ROCPRIM_400000_NS6detail17trampoline_kernelINS0_14default_configENS1_25partition_config_selectorILNS1_17partition_subalgoE9EssbEEZZNS1_14partition_implILS5_9ELb0ES3_jN6thrust23THRUST_200600_302600_NS6detail15normal_iteratorINS9_10device_ptrIsEEEESE_PNS0_10empty_typeENS0_5tupleIJSE_SF_EEENSH_IJSE_SG_EEENS0_18inequality_wrapperI22is_equal_div_10_uniqueIsEEEPmJSF_EEE10hipError_tPvRmT3_T4_T5_T6_T7_T9_mT8_P12ihipStream_tbDpT10_ENKUlT_T0_E_clISt17integral_constantIbLb0EES17_IbLb1EEEEDaS13_S14_EUlS13_E_NS1_11comp_targetILNS1_3genE8ELNS1_11target_archE1030ELNS1_3gpuE2ELNS1_3repE0EEENS1_30default_config_static_selectorELNS0_4arch9wavefront6targetE0EEEvT1_: ; @_ZN7rocprim17ROCPRIM_400000_NS6detail17trampoline_kernelINS0_14default_configENS1_25partition_config_selectorILNS1_17partition_subalgoE9EssbEEZZNS1_14partition_implILS5_9ELb0ES3_jN6thrust23THRUST_200600_302600_NS6detail15normal_iteratorINS9_10device_ptrIsEEEESE_PNS0_10empty_typeENS0_5tupleIJSE_SF_EEENSH_IJSE_SG_EEENS0_18inequality_wrapperI22is_equal_div_10_uniqueIsEEEPmJSF_EEE10hipError_tPvRmT3_T4_T5_T6_T7_T9_mT8_P12ihipStream_tbDpT10_ENKUlT_T0_E_clISt17integral_constantIbLb0EES17_IbLb1EEEEDaS13_S14_EUlS13_E_NS1_11comp_targetILNS1_3genE8ELNS1_11target_archE1030ELNS1_3gpuE2ELNS1_3repE0EEENS1_30default_config_static_selectorELNS0_4arch9wavefront6targetE0EEEvT1_
; %bb.0:
	.section	.rodata,"a",@progbits
	.p2align	6, 0x0
	.amdhsa_kernel _ZN7rocprim17ROCPRIM_400000_NS6detail17trampoline_kernelINS0_14default_configENS1_25partition_config_selectorILNS1_17partition_subalgoE9EssbEEZZNS1_14partition_implILS5_9ELb0ES3_jN6thrust23THRUST_200600_302600_NS6detail15normal_iteratorINS9_10device_ptrIsEEEESE_PNS0_10empty_typeENS0_5tupleIJSE_SF_EEENSH_IJSE_SG_EEENS0_18inequality_wrapperI22is_equal_div_10_uniqueIsEEEPmJSF_EEE10hipError_tPvRmT3_T4_T5_T6_T7_T9_mT8_P12ihipStream_tbDpT10_ENKUlT_T0_E_clISt17integral_constantIbLb0EES17_IbLb1EEEEDaS13_S14_EUlS13_E_NS1_11comp_targetILNS1_3genE8ELNS1_11target_archE1030ELNS1_3gpuE2ELNS1_3repE0EEENS1_30default_config_static_selectorELNS0_4arch9wavefront6targetE0EEEvT1_
		.amdhsa_group_segment_fixed_size 0
		.amdhsa_private_segment_fixed_size 0
		.amdhsa_kernarg_size 128
		.amdhsa_user_sgpr_count 15
		.amdhsa_user_sgpr_dispatch_ptr 0
		.amdhsa_user_sgpr_queue_ptr 0
		.amdhsa_user_sgpr_kernarg_segment_ptr 1
		.amdhsa_user_sgpr_dispatch_id 0
		.amdhsa_user_sgpr_private_segment_size 0
		.amdhsa_wavefront_size32 1
		.amdhsa_uses_dynamic_stack 0
		.amdhsa_enable_private_segment 0
		.amdhsa_system_sgpr_workgroup_id_x 1
		.amdhsa_system_sgpr_workgroup_id_y 0
		.amdhsa_system_sgpr_workgroup_id_z 0
		.amdhsa_system_sgpr_workgroup_info 0
		.amdhsa_system_vgpr_workitem_id 0
		.amdhsa_next_free_vgpr 1
		.amdhsa_next_free_sgpr 1
		.amdhsa_reserve_vcc 0
		.amdhsa_float_round_mode_32 0
		.amdhsa_float_round_mode_16_64 0
		.amdhsa_float_denorm_mode_32 3
		.amdhsa_float_denorm_mode_16_64 3
		.amdhsa_dx10_clamp 1
		.amdhsa_ieee_mode 1
		.amdhsa_fp16_overflow 0
		.amdhsa_workgroup_processor_mode 1
		.amdhsa_memory_ordered 1
		.amdhsa_forward_progress 0
		.amdhsa_shared_vgpr_count 0
		.amdhsa_exception_fp_ieee_invalid_op 0
		.amdhsa_exception_fp_denorm_src 0
		.amdhsa_exception_fp_ieee_div_zero 0
		.amdhsa_exception_fp_ieee_overflow 0
		.amdhsa_exception_fp_ieee_underflow 0
		.amdhsa_exception_fp_ieee_inexact 0
		.amdhsa_exception_int_div_zero 0
	.end_amdhsa_kernel
	.section	.text._ZN7rocprim17ROCPRIM_400000_NS6detail17trampoline_kernelINS0_14default_configENS1_25partition_config_selectorILNS1_17partition_subalgoE9EssbEEZZNS1_14partition_implILS5_9ELb0ES3_jN6thrust23THRUST_200600_302600_NS6detail15normal_iteratorINS9_10device_ptrIsEEEESE_PNS0_10empty_typeENS0_5tupleIJSE_SF_EEENSH_IJSE_SG_EEENS0_18inequality_wrapperI22is_equal_div_10_uniqueIsEEEPmJSF_EEE10hipError_tPvRmT3_T4_T5_T6_T7_T9_mT8_P12ihipStream_tbDpT10_ENKUlT_T0_E_clISt17integral_constantIbLb0EES17_IbLb1EEEEDaS13_S14_EUlS13_E_NS1_11comp_targetILNS1_3genE8ELNS1_11target_archE1030ELNS1_3gpuE2ELNS1_3repE0EEENS1_30default_config_static_selectorELNS0_4arch9wavefront6targetE0EEEvT1_,"axG",@progbits,_ZN7rocprim17ROCPRIM_400000_NS6detail17trampoline_kernelINS0_14default_configENS1_25partition_config_selectorILNS1_17partition_subalgoE9EssbEEZZNS1_14partition_implILS5_9ELb0ES3_jN6thrust23THRUST_200600_302600_NS6detail15normal_iteratorINS9_10device_ptrIsEEEESE_PNS0_10empty_typeENS0_5tupleIJSE_SF_EEENSH_IJSE_SG_EEENS0_18inequality_wrapperI22is_equal_div_10_uniqueIsEEEPmJSF_EEE10hipError_tPvRmT3_T4_T5_T6_T7_T9_mT8_P12ihipStream_tbDpT10_ENKUlT_T0_E_clISt17integral_constantIbLb0EES17_IbLb1EEEEDaS13_S14_EUlS13_E_NS1_11comp_targetILNS1_3genE8ELNS1_11target_archE1030ELNS1_3gpuE2ELNS1_3repE0EEENS1_30default_config_static_selectorELNS0_4arch9wavefront6targetE0EEEvT1_,comdat
.Lfunc_end532:
	.size	_ZN7rocprim17ROCPRIM_400000_NS6detail17trampoline_kernelINS0_14default_configENS1_25partition_config_selectorILNS1_17partition_subalgoE9EssbEEZZNS1_14partition_implILS5_9ELb0ES3_jN6thrust23THRUST_200600_302600_NS6detail15normal_iteratorINS9_10device_ptrIsEEEESE_PNS0_10empty_typeENS0_5tupleIJSE_SF_EEENSH_IJSE_SG_EEENS0_18inequality_wrapperI22is_equal_div_10_uniqueIsEEEPmJSF_EEE10hipError_tPvRmT3_T4_T5_T6_T7_T9_mT8_P12ihipStream_tbDpT10_ENKUlT_T0_E_clISt17integral_constantIbLb0EES17_IbLb1EEEEDaS13_S14_EUlS13_E_NS1_11comp_targetILNS1_3genE8ELNS1_11target_archE1030ELNS1_3gpuE2ELNS1_3repE0EEENS1_30default_config_static_selectorELNS0_4arch9wavefront6targetE0EEEvT1_, .Lfunc_end532-_ZN7rocprim17ROCPRIM_400000_NS6detail17trampoline_kernelINS0_14default_configENS1_25partition_config_selectorILNS1_17partition_subalgoE9EssbEEZZNS1_14partition_implILS5_9ELb0ES3_jN6thrust23THRUST_200600_302600_NS6detail15normal_iteratorINS9_10device_ptrIsEEEESE_PNS0_10empty_typeENS0_5tupleIJSE_SF_EEENSH_IJSE_SG_EEENS0_18inequality_wrapperI22is_equal_div_10_uniqueIsEEEPmJSF_EEE10hipError_tPvRmT3_T4_T5_T6_T7_T9_mT8_P12ihipStream_tbDpT10_ENKUlT_T0_E_clISt17integral_constantIbLb0EES17_IbLb1EEEEDaS13_S14_EUlS13_E_NS1_11comp_targetILNS1_3genE8ELNS1_11target_archE1030ELNS1_3gpuE2ELNS1_3repE0EEENS1_30default_config_static_selectorELNS0_4arch9wavefront6targetE0EEEvT1_
                                        ; -- End function
	.section	.AMDGPU.csdata,"",@progbits
; Kernel info:
; codeLenInByte = 0
; NumSgprs: 0
; NumVgprs: 0
; ScratchSize: 0
; MemoryBound: 0
; FloatMode: 240
; IeeeMode: 1
; LDSByteSize: 0 bytes/workgroup (compile time only)
; SGPRBlocks: 0
; VGPRBlocks: 0
; NumSGPRsForWavesPerEU: 1
; NumVGPRsForWavesPerEU: 1
; Occupancy: 15
; WaveLimiterHint : 0
; COMPUTE_PGM_RSRC2:SCRATCH_EN: 0
; COMPUTE_PGM_RSRC2:USER_SGPR: 15
; COMPUTE_PGM_RSRC2:TRAP_HANDLER: 0
; COMPUTE_PGM_RSRC2:TGID_X_EN: 1
; COMPUTE_PGM_RSRC2:TGID_Y_EN: 0
; COMPUTE_PGM_RSRC2:TGID_Z_EN: 0
; COMPUTE_PGM_RSRC2:TIDIG_COMP_CNT: 0
	.section	.text._ZN7rocprim17ROCPRIM_400000_NS6detail17trampoline_kernelINS0_14default_configENS1_25partition_config_selectorILNS1_17partition_subalgoE9EyjbEEZZNS1_14partition_implILS5_9ELb0ES3_jN6thrust23THRUST_200600_302600_NS6detail15normal_iteratorINS9_10device_ptrIyEEEENSB_INSC_IjEEEEPNS0_10empty_typeENS0_5tupleIJSE_SH_EEENSJ_IJSG_SI_EEENS0_18inequality_wrapperINS9_8equal_toIyEEEEPmJSH_EEE10hipError_tPvRmT3_T4_T5_T6_T7_T9_mT8_P12ihipStream_tbDpT10_ENKUlT_T0_E_clISt17integral_constantIbLb0EES1A_EEDaS15_S16_EUlS15_E_NS1_11comp_targetILNS1_3genE0ELNS1_11target_archE4294967295ELNS1_3gpuE0ELNS1_3repE0EEENS1_30default_config_static_selectorELNS0_4arch9wavefront6targetE0EEEvT1_,"axG",@progbits,_ZN7rocprim17ROCPRIM_400000_NS6detail17trampoline_kernelINS0_14default_configENS1_25partition_config_selectorILNS1_17partition_subalgoE9EyjbEEZZNS1_14partition_implILS5_9ELb0ES3_jN6thrust23THRUST_200600_302600_NS6detail15normal_iteratorINS9_10device_ptrIyEEEENSB_INSC_IjEEEEPNS0_10empty_typeENS0_5tupleIJSE_SH_EEENSJ_IJSG_SI_EEENS0_18inequality_wrapperINS9_8equal_toIyEEEEPmJSH_EEE10hipError_tPvRmT3_T4_T5_T6_T7_T9_mT8_P12ihipStream_tbDpT10_ENKUlT_T0_E_clISt17integral_constantIbLb0EES1A_EEDaS15_S16_EUlS15_E_NS1_11comp_targetILNS1_3genE0ELNS1_11target_archE4294967295ELNS1_3gpuE0ELNS1_3repE0EEENS1_30default_config_static_selectorELNS0_4arch9wavefront6targetE0EEEvT1_,comdat
	.protected	_ZN7rocprim17ROCPRIM_400000_NS6detail17trampoline_kernelINS0_14default_configENS1_25partition_config_selectorILNS1_17partition_subalgoE9EyjbEEZZNS1_14partition_implILS5_9ELb0ES3_jN6thrust23THRUST_200600_302600_NS6detail15normal_iteratorINS9_10device_ptrIyEEEENSB_INSC_IjEEEEPNS0_10empty_typeENS0_5tupleIJSE_SH_EEENSJ_IJSG_SI_EEENS0_18inequality_wrapperINS9_8equal_toIyEEEEPmJSH_EEE10hipError_tPvRmT3_T4_T5_T6_T7_T9_mT8_P12ihipStream_tbDpT10_ENKUlT_T0_E_clISt17integral_constantIbLb0EES1A_EEDaS15_S16_EUlS15_E_NS1_11comp_targetILNS1_3genE0ELNS1_11target_archE4294967295ELNS1_3gpuE0ELNS1_3repE0EEENS1_30default_config_static_selectorELNS0_4arch9wavefront6targetE0EEEvT1_ ; -- Begin function _ZN7rocprim17ROCPRIM_400000_NS6detail17trampoline_kernelINS0_14default_configENS1_25partition_config_selectorILNS1_17partition_subalgoE9EyjbEEZZNS1_14partition_implILS5_9ELb0ES3_jN6thrust23THRUST_200600_302600_NS6detail15normal_iteratorINS9_10device_ptrIyEEEENSB_INSC_IjEEEEPNS0_10empty_typeENS0_5tupleIJSE_SH_EEENSJ_IJSG_SI_EEENS0_18inequality_wrapperINS9_8equal_toIyEEEEPmJSH_EEE10hipError_tPvRmT3_T4_T5_T6_T7_T9_mT8_P12ihipStream_tbDpT10_ENKUlT_T0_E_clISt17integral_constantIbLb0EES1A_EEDaS15_S16_EUlS15_E_NS1_11comp_targetILNS1_3genE0ELNS1_11target_archE4294967295ELNS1_3gpuE0ELNS1_3repE0EEENS1_30default_config_static_selectorELNS0_4arch9wavefront6targetE0EEEvT1_
	.globl	_ZN7rocprim17ROCPRIM_400000_NS6detail17trampoline_kernelINS0_14default_configENS1_25partition_config_selectorILNS1_17partition_subalgoE9EyjbEEZZNS1_14partition_implILS5_9ELb0ES3_jN6thrust23THRUST_200600_302600_NS6detail15normal_iteratorINS9_10device_ptrIyEEEENSB_INSC_IjEEEEPNS0_10empty_typeENS0_5tupleIJSE_SH_EEENSJ_IJSG_SI_EEENS0_18inequality_wrapperINS9_8equal_toIyEEEEPmJSH_EEE10hipError_tPvRmT3_T4_T5_T6_T7_T9_mT8_P12ihipStream_tbDpT10_ENKUlT_T0_E_clISt17integral_constantIbLb0EES1A_EEDaS15_S16_EUlS15_E_NS1_11comp_targetILNS1_3genE0ELNS1_11target_archE4294967295ELNS1_3gpuE0ELNS1_3repE0EEENS1_30default_config_static_selectorELNS0_4arch9wavefront6targetE0EEEvT1_
	.p2align	8
	.type	_ZN7rocprim17ROCPRIM_400000_NS6detail17trampoline_kernelINS0_14default_configENS1_25partition_config_selectorILNS1_17partition_subalgoE9EyjbEEZZNS1_14partition_implILS5_9ELb0ES3_jN6thrust23THRUST_200600_302600_NS6detail15normal_iteratorINS9_10device_ptrIyEEEENSB_INSC_IjEEEEPNS0_10empty_typeENS0_5tupleIJSE_SH_EEENSJ_IJSG_SI_EEENS0_18inequality_wrapperINS9_8equal_toIyEEEEPmJSH_EEE10hipError_tPvRmT3_T4_T5_T6_T7_T9_mT8_P12ihipStream_tbDpT10_ENKUlT_T0_E_clISt17integral_constantIbLb0EES1A_EEDaS15_S16_EUlS15_E_NS1_11comp_targetILNS1_3genE0ELNS1_11target_archE4294967295ELNS1_3gpuE0ELNS1_3repE0EEENS1_30default_config_static_selectorELNS0_4arch9wavefront6targetE0EEEvT1_,@function
_ZN7rocprim17ROCPRIM_400000_NS6detail17trampoline_kernelINS0_14default_configENS1_25partition_config_selectorILNS1_17partition_subalgoE9EyjbEEZZNS1_14partition_implILS5_9ELb0ES3_jN6thrust23THRUST_200600_302600_NS6detail15normal_iteratorINS9_10device_ptrIyEEEENSB_INSC_IjEEEEPNS0_10empty_typeENS0_5tupleIJSE_SH_EEENSJ_IJSG_SI_EEENS0_18inequality_wrapperINS9_8equal_toIyEEEEPmJSH_EEE10hipError_tPvRmT3_T4_T5_T6_T7_T9_mT8_P12ihipStream_tbDpT10_ENKUlT_T0_E_clISt17integral_constantIbLb0EES1A_EEDaS15_S16_EUlS15_E_NS1_11comp_targetILNS1_3genE0ELNS1_11target_archE4294967295ELNS1_3gpuE0ELNS1_3repE0EEENS1_30default_config_static_selectorELNS0_4arch9wavefront6targetE0EEEvT1_: ; @_ZN7rocprim17ROCPRIM_400000_NS6detail17trampoline_kernelINS0_14default_configENS1_25partition_config_selectorILNS1_17partition_subalgoE9EyjbEEZZNS1_14partition_implILS5_9ELb0ES3_jN6thrust23THRUST_200600_302600_NS6detail15normal_iteratorINS9_10device_ptrIyEEEENSB_INSC_IjEEEEPNS0_10empty_typeENS0_5tupleIJSE_SH_EEENSJ_IJSG_SI_EEENS0_18inequality_wrapperINS9_8equal_toIyEEEEPmJSH_EEE10hipError_tPvRmT3_T4_T5_T6_T7_T9_mT8_P12ihipStream_tbDpT10_ENKUlT_T0_E_clISt17integral_constantIbLb0EES1A_EEDaS15_S16_EUlS15_E_NS1_11comp_targetILNS1_3genE0ELNS1_11target_archE4294967295ELNS1_3gpuE0ELNS1_3repE0EEENS1_30default_config_static_selectorELNS0_4arch9wavefront6targetE0EEEvT1_
; %bb.0:
	.section	.rodata,"a",@progbits
	.p2align	6, 0x0
	.amdhsa_kernel _ZN7rocprim17ROCPRIM_400000_NS6detail17trampoline_kernelINS0_14default_configENS1_25partition_config_selectorILNS1_17partition_subalgoE9EyjbEEZZNS1_14partition_implILS5_9ELb0ES3_jN6thrust23THRUST_200600_302600_NS6detail15normal_iteratorINS9_10device_ptrIyEEEENSB_INSC_IjEEEEPNS0_10empty_typeENS0_5tupleIJSE_SH_EEENSJ_IJSG_SI_EEENS0_18inequality_wrapperINS9_8equal_toIyEEEEPmJSH_EEE10hipError_tPvRmT3_T4_T5_T6_T7_T9_mT8_P12ihipStream_tbDpT10_ENKUlT_T0_E_clISt17integral_constantIbLb0EES1A_EEDaS15_S16_EUlS15_E_NS1_11comp_targetILNS1_3genE0ELNS1_11target_archE4294967295ELNS1_3gpuE0ELNS1_3repE0EEENS1_30default_config_static_selectorELNS0_4arch9wavefront6targetE0EEEvT1_
		.amdhsa_group_segment_fixed_size 0
		.amdhsa_private_segment_fixed_size 0
		.amdhsa_kernarg_size 112
		.amdhsa_user_sgpr_count 15
		.amdhsa_user_sgpr_dispatch_ptr 0
		.amdhsa_user_sgpr_queue_ptr 0
		.amdhsa_user_sgpr_kernarg_segment_ptr 1
		.amdhsa_user_sgpr_dispatch_id 0
		.amdhsa_user_sgpr_private_segment_size 0
		.amdhsa_wavefront_size32 1
		.amdhsa_uses_dynamic_stack 0
		.amdhsa_enable_private_segment 0
		.amdhsa_system_sgpr_workgroup_id_x 1
		.amdhsa_system_sgpr_workgroup_id_y 0
		.amdhsa_system_sgpr_workgroup_id_z 0
		.amdhsa_system_sgpr_workgroup_info 0
		.amdhsa_system_vgpr_workitem_id 0
		.amdhsa_next_free_vgpr 1
		.amdhsa_next_free_sgpr 1
		.amdhsa_reserve_vcc 0
		.amdhsa_float_round_mode_32 0
		.amdhsa_float_round_mode_16_64 0
		.amdhsa_float_denorm_mode_32 3
		.amdhsa_float_denorm_mode_16_64 3
		.amdhsa_dx10_clamp 1
		.amdhsa_ieee_mode 1
		.amdhsa_fp16_overflow 0
		.amdhsa_workgroup_processor_mode 1
		.amdhsa_memory_ordered 1
		.amdhsa_forward_progress 0
		.amdhsa_shared_vgpr_count 0
		.amdhsa_exception_fp_ieee_invalid_op 0
		.amdhsa_exception_fp_denorm_src 0
		.amdhsa_exception_fp_ieee_div_zero 0
		.amdhsa_exception_fp_ieee_overflow 0
		.amdhsa_exception_fp_ieee_underflow 0
		.amdhsa_exception_fp_ieee_inexact 0
		.amdhsa_exception_int_div_zero 0
	.end_amdhsa_kernel
	.section	.text._ZN7rocprim17ROCPRIM_400000_NS6detail17trampoline_kernelINS0_14default_configENS1_25partition_config_selectorILNS1_17partition_subalgoE9EyjbEEZZNS1_14partition_implILS5_9ELb0ES3_jN6thrust23THRUST_200600_302600_NS6detail15normal_iteratorINS9_10device_ptrIyEEEENSB_INSC_IjEEEEPNS0_10empty_typeENS0_5tupleIJSE_SH_EEENSJ_IJSG_SI_EEENS0_18inequality_wrapperINS9_8equal_toIyEEEEPmJSH_EEE10hipError_tPvRmT3_T4_T5_T6_T7_T9_mT8_P12ihipStream_tbDpT10_ENKUlT_T0_E_clISt17integral_constantIbLb0EES1A_EEDaS15_S16_EUlS15_E_NS1_11comp_targetILNS1_3genE0ELNS1_11target_archE4294967295ELNS1_3gpuE0ELNS1_3repE0EEENS1_30default_config_static_selectorELNS0_4arch9wavefront6targetE0EEEvT1_,"axG",@progbits,_ZN7rocprim17ROCPRIM_400000_NS6detail17trampoline_kernelINS0_14default_configENS1_25partition_config_selectorILNS1_17partition_subalgoE9EyjbEEZZNS1_14partition_implILS5_9ELb0ES3_jN6thrust23THRUST_200600_302600_NS6detail15normal_iteratorINS9_10device_ptrIyEEEENSB_INSC_IjEEEEPNS0_10empty_typeENS0_5tupleIJSE_SH_EEENSJ_IJSG_SI_EEENS0_18inequality_wrapperINS9_8equal_toIyEEEEPmJSH_EEE10hipError_tPvRmT3_T4_T5_T6_T7_T9_mT8_P12ihipStream_tbDpT10_ENKUlT_T0_E_clISt17integral_constantIbLb0EES1A_EEDaS15_S16_EUlS15_E_NS1_11comp_targetILNS1_3genE0ELNS1_11target_archE4294967295ELNS1_3gpuE0ELNS1_3repE0EEENS1_30default_config_static_selectorELNS0_4arch9wavefront6targetE0EEEvT1_,comdat
.Lfunc_end533:
	.size	_ZN7rocprim17ROCPRIM_400000_NS6detail17trampoline_kernelINS0_14default_configENS1_25partition_config_selectorILNS1_17partition_subalgoE9EyjbEEZZNS1_14partition_implILS5_9ELb0ES3_jN6thrust23THRUST_200600_302600_NS6detail15normal_iteratorINS9_10device_ptrIyEEEENSB_INSC_IjEEEEPNS0_10empty_typeENS0_5tupleIJSE_SH_EEENSJ_IJSG_SI_EEENS0_18inequality_wrapperINS9_8equal_toIyEEEEPmJSH_EEE10hipError_tPvRmT3_T4_T5_T6_T7_T9_mT8_P12ihipStream_tbDpT10_ENKUlT_T0_E_clISt17integral_constantIbLb0EES1A_EEDaS15_S16_EUlS15_E_NS1_11comp_targetILNS1_3genE0ELNS1_11target_archE4294967295ELNS1_3gpuE0ELNS1_3repE0EEENS1_30default_config_static_selectorELNS0_4arch9wavefront6targetE0EEEvT1_, .Lfunc_end533-_ZN7rocprim17ROCPRIM_400000_NS6detail17trampoline_kernelINS0_14default_configENS1_25partition_config_selectorILNS1_17partition_subalgoE9EyjbEEZZNS1_14partition_implILS5_9ELb0ES3_jN6thrust23THRUST_200600_302600_NS6detail15normal_iteratorINS9_10device_ptrIyEEEENSB_INSC_IjEEEEPNS0_10empty_typeENS0_5tupleIJSE_SH_EEENSJ_IJSG_SI_EEENS0_18inequality_wrapperINS9_8equal_toIyEEEEPmJSH_EEE10hipError_tPvRmT3_T4_T5_T6_T7_T9_mT8_P12ihipStream_tbDpT10_ENKUlT_T0_E_clISt17integral_constantIbLb0EES1A_EEDaS15_S16_EUlS15_E_NS1_11comp_targetILNS1_3genE0ELNS1_11target_archE4294967295ELNS1_3gpuE0ELNS1_3repE0EEENS1_30default_config_static_selectorELNS0_4arch9wavefront6targetE0EEEvT1_
                                        ; -- End function
	.section	.AMDGPU.csdata,"",@progbits
; Kernel info:
; codeLenInByte = 0
; NumSgprs: 0
; NumVgprs: 0
; ScratchSize: 0
; MemoryBound: 0
; FloatMode: 240
; IeeeMode: 1
; LDSByteSize: 0 bytes/workgroup (compile time only)
; SGPRBlocks: 0
; VGPRBlocks: 0
; NumSGPRsForWavesPerEU: 1
; NumVGPRsForWavesPerEU: 1
; Occupancy: 16
; WaveLimiterHint : 0
; COMPUTE_PGM_RSRC2:SCRATCH_EN: 0
; COMPUTE_PGM_RSRC2:USER_SGPR: 15
; COMPUTE_PGM_RSRC2:TRAP_HANDLER: 0
; COMPUTE_PGM_RSRC2:TGID_X_EN: 1
; COMPUTE_PGM_RSRC2:TGID_Y_EN: 0
; COMPUTE_PGM_RSRC2:TGID_Z_EN: 0
; COMPUTE_PGM_RSRC2:TIDIG_COMP_CNT: 0
	.section	.text._ZN7rocprim17ROCPRIM_400000_NS6detail17trampoline_kernelINS0_14default_configENS1_25partition_config_selectorILNS1_17partition_subalgoE9EyjbEEZZNS1_14partition_implILS5_9ELb0ES3_jN6thrust23THRUST_200600_302600_NS6detail15normal_iteratorINS9_10device_ptrIyEEEENSB_INSC_IjEEEEPNS0_10empty_typeENS0_5tupleIJSE_SH_EEENSJ_IJSG_SI_EEENS0_18inequality_wrapperINS9_8equal_toIyEEEEPmJSH_EEE10hipError_tPvRmT3_T4_T5_T6_T7_T9_mT8_P12ihipStream_tbDpT10_ENKUlT_T0_E_clISt17integral_constantIbLb0EES1A_EEDaS15_S16_EUlS15_E_NS1_11comp_targetILNS1_3genE5ELNS1_11target_archE942ELNS1_3gpuE9ELNS1_3repE0EEENS1_30default_config_static_selectorELNS0_4arch9wavefront6targetE0EEEvT1_,"axG",@progbits,_ZN7rocprim17ROCPRIM_400000_NS6detail17trampoline_kernelINS0_14default_configENS1_25partition_config_selectorILNS1_17partition_subalgoE9EyjbEEZZNS1_14partition_implILS5_9ELb0ES3_jN6thrust23THRUST_200600_302600_NS6detail15normal_iteratorINS9_10device_ptrIyEEEENSB_INSC_IjEEEEPNS0_10empty_typeENS0_5tupleIJSE_SH_EEENSJ_IJSG_SI_EEENS0_18inequality_wrapperINS9_8equal_toIyEEEEPmJSH_EEE10hipError_tPvRmT3_T4_T5_T6_T7_T9_mT8_P12ihipStream_tbDpT10_ENKUlT_T0_E_clISt17integral_constantIbLb0EES1A_EEDaS15_S16_EUlS15_E_NS1_11comp_targetILNS1_3genE5ELNS1_11target_archE942ELNS1_3gpuE9ELNS1_3repE0EEENS1_30default_config_static_selectorELNS0_4arch9wavefront6targetE0EEEvT1_,comdat
	.protected	_ZN7rocprim17ROCPRIM_400000_NS6detail17trampoline_kernelINS0_14default_configENS1_25partition_config_selectorILNS1_17partition_subalgoE9EyjbEEZZNS1_14partition_implILS5_9ELb0ES3_jN6thrust23THRUST_200600_302600_NS6detail15normal_iteratorINS9_10device_ptrIyEEEENSB_INSC_IjEEEEPNS0_10empty_typeENS0_5tupleIJSE_SH_EEENSJ_IJSG_SI_EEENS0_18inequality_wrapperINS9_8equal_toIyEEEEPmJSH_EEE10hipError_tPvRmT3_T4_T5_T6_T7_T9_mT8_P12ihipStream_tbDpT10_ENKUlT_T0_E_clISt17integral_constantIbLb0EES1A_EEDaS15_S16_EUlS15_E_NS1_11comp_targetILNS1_3genE5ELNS1_11target_archE942ELNS1_3gpuE9ELNS1_3repE0EEENS1_30default_config_static_selectorELNS0_4arch9wavefront6targetE0EEEvT1_ ; -- Begin function _ZN7rocprim17ROCPRIM_400000_NS6detail17trampoline_kernelINS0_14default_configENS1_25partition_config_selectorILNS1_17partition_subalgoE9EyjbEEZZNS1_14partition_implILS5_9ELb0ES3_jN6thrust23THRUST_200600_302600_NS6detail15normal_iteratorINS9_10device_ptrIyEEEENSB_INSC_IjEEEEPNS0_10empty_typeENS0_5tupleIJSE_SH_EEENSJ_IJSG_SI_EEENS0_18inequality_wrapperINS9_8equal_toIyEEEEPmJSH_EEE10hipError_tPvRmT3_T4_T5_T6_T7_T9_mT8_P12ihipStream_tbDpT10_ENKUlT_T0_E_clISt17integral_constantIbLb0EES1A_EEDaS15_S16_EUlS15_E_NS1_11comp_targetILNS1_3genE5ELNS1_11target_archE942ELNS1_3gpuE9ELNS1_3repE0EEENS1_30default_config_static_selectorELNS0_4arch9wavefront6targetE0EEEvT1_
	.globl	_ZN7rocprim17ROCPRIM_400000_NS6detail17trampoline_kernelINS0_14default_configENS1_25partition_config_selectorILNS1_17partition_subalgoE9EyjbEEZZNS1_14partition_implILS5_9ELb0ES3_jN6thrust23THRUST_200600_302600_NS6detail15normal_iteratorINS9_10device_ptrIyEEEENSB_INSC_IjEEEEPNS0_10empty_typeENS0_5tupleIJSE_SH_EEENSJ_IJSG_SI_EEENS0_18inequality_wrapperINS9_8equal_toIyEEEEPmJSH_EEE10hipError_tPvRmT3_T4_T5_T6_T7_T9_mT8_P12ihipStream_tbDpT10_ENKUlT_T0_E_clISt17integral_constantIbLb0EES1A_EEDaS15_S16_EUlS15_E_NS1_11comp_targetILNS1_3genE5ELNS1_11target_archE942ELNS1_3gpuE9ELNS1_3repE0EEENS1_30default_config_static_selectorELNS0_4arch9wavefront6targetE0EEEvT1_
	.p2align	8
	.type	_ZN7rocprim17ROCPRIM_400000_NS6detail17trampoline_kernelINS0_14default_configENS1_25partition_config_selectorILNS1_17partition_subalgoE9EyjbEEZZNS1_14partition_implILS5_9ELb0ES3_jN6thrust23THRUST_200600_302600_NS6detail15normal_iteratorINS9_10device_ptrIyEEEENSB_INSC_IjEEEEPNS0_10empty_typeENS0_5tupleIJSE_SH_EEENSJ_IJSG_SI_EEENS0_18inequality_wrapperINS9_8equal_toIyEEEEPmJSH_EEE10hipError_tPvRmT3_T4_T5_T6_T7_T9_mT8_P12ihipStream_tbDpT10_ENKUlT_T0_E_clISt17integral_constantIbLb0EES1A_EEDaS15_S16_EUlS15_E_NS1_11comp_targetILNS1_3genE5ELNS1_11target_archE942ELNS1_3gpuE9ELNS1_3repE0EEENS1_30default_config_static_selectorELNS0_4arch9wavefront6targetE0EEEvT1_,@function
_ZN7rocprim17ROCPRIM_400000_NS6detail17trampoline_kernelINS0_14default_configENS1_25partition_config_selectorILNS1_17partition_subalgoE9EyjbEEZZNS1_14partition_implILS5_9ELb0ES3_jN6thrust23THRUST_200600_302600_NS6detail15normal_iteratorINS9_10device_ptrIyEEEENSB_INSC_IjEEEEPNS0_10empty_typeENS0_5tupleIJSE_SH_EEENSJ_IJSG_SI_EEENS0_18inequality_wrapperINS9_8equal_toIyEEEEPmJSH_EEE10hipError_tPvRmT3_T4_T5_T6_T7_T9_mT8_P12ihipStream_tbDpT10_ENKUlT_T0_E_clISt17integral_constantIbLb0EES1A_EEDaS15_S16_EUlS15_E_NS1_11comp_targetILNS1_3genE5ELNS1_11target_archE942ELNS1_3gpuE9ELNS1_3repE0EEENS1_30default_config_static_selectorELNS0_4arch9wavefront6targetE0EEEvT1_: ; @_ZN7rocprim17ROCPRIM_400000_NS6detail17trampoline_kernelINS0_14default_configENS1_25partition_config_selectorILNS1_17partition_subalgoE9EyjbEEZZNS1_14partition_implILS5_9ELb0ES3_jN6thrust23THRUST_200600_302600_NS6detail15normal_iteratorINS9_10device_ptrIyEEEENSB_INSC_IjEEEEPNS0_10empty_typeENS0_5tupleIJSE_SH_EEENSJ_IJSG_SI_EEENS0_18inequality_wrapperINS9_8equal_toIyEEEEPmJSH_EEE10hipError_tPvRmT3_T4_T5_T6_T7_T9_mT8_P12ihipStream_tbDpT10_ENKUlT_T0_E_clISt17integral_constantIbLb0EES1A_EEDaS15_S16_EUlS15_E_NS1_11comp_targetILNS1_3genE5ELNS1_11target_archE942ELNS1_3gpuE9ELNS1_3repE0EEENS1_30default_config_static_selectorELNS0_4arch9wavefront6targetE0EEEvT1_
; %bb.0:
	.section	.rodata,"a",@progbits
	.p2align	6, 0x0
	.amdhsa_kernel _ZN7rocprim17ROCPRIM_400000_NS6detail17trampoline_kernelINS0_14default_configENS1_25partition_config_selectorILNS1_17partition_subalgoE9EyjbEEZZNS1_14partition_implILS5_9ELb0ES3_jN6thrust23THRUST_200600_302600_NS6detail15normal_iteratorINS9_10device_ptrIyEEEENSB_INSC_IjEEEEPNS0_10empty_typeENS0_5tupleIJSE_SH_EEENSJ_IJSG_SI_EEENS0_18inequality_wrapperINS9_8equal_toIyEEEEPmJSH_EEE10hipError_tPvRmT3_T4_T5_T6_T7_T9_mT8_P12ihipStream_tbDpT10_ENKUlT_T0_E_clISt17integral_constantIbLb0EES1A_EEDaS15_S16_EUlS15_E_NS1_11comp_targetILNS1_3genE5ELNS1_11target_archE942ELNS1_3gpuE9ELNS1_3repE0EEENS1_30default_config_static_selectorELNS0_4arch9wavefront6targetE0EEEvT1_
		.amdhsa_group_segment_fixed_size 0
		.amdhsa_private_segment_fixed_size 0
		.amdhsa_kernarg_size 112
		.amdhsa_user_sgpr_count 15
		.amdhsa_user_sgpr_dispatch_ptr 0
		.amdhsa_user_sgpr_queue_ptr 0
		.amdhsa_user_sgpr_kernarg_segment_ptr 1
		.amdhsa_user_sgpr_dispatch_id 0
		.amdhsa_user_sgpr_private_segment_size 0
		.amdhsa_wavefront_size32 1
		.amdhsa_uses_dynamic_stack 0
		.amdhsa_enable_private_segment 0
		.amdhsa_system_sgpr_workgroup_id_x 1
		.amdhsa_system_sgpr_workgroup_id_y 0
		.amdhsa_system_sgpr_workgroup_id_z 0
		.amdhsa_system_sgpr_workgroup_info 0
		.amdhsa_system_vgpr_workitem_id 0
		.amdhsa_next_free_vgpr 1
		.amdhsa_next_free_sgpr 1
		.amdhsa_reserve_vcc 0
		.amdhsa_float_round_mode_32 0
		.amdhsa_float_round_mode_16_64 0
		.amdhsa_float_denorm_mode_32 3
		.amdhsa_float_denorm_mode_16_64 3
		.amdhsa_dx10_clamp 1
		.amdhsa_ieee_mode 1
		.amdhsa_fp16_overflow 0
		.amdhsa_workgroup_processor_mode 1
		.amdhsa_memory_ordered 1
		.amdhsa_forward_progress 0
		.amdhsa_shared_vgpr_count 0
		.amdhsa_exception_fp_ieee_invalid_op 0
		.amdhsa_exception_fp_denorm_src 0
		.amdhsa_exception_fp_ieee_div_zero 0
		.amdhsa_exception_fp_ieee_overflow 0
		.amdhsa_exception_fp_ieee_underflow 0
		.amdhsa_exception_fp_ieee_inexact 0
		.amdhsa_exception_int_div_zero 0
	.end_amdhsa_kernel
	.section	.text._ZN7rocprim17ROCPRIM_400000_NS6detail17trampoline_kernelINS0_14default_configENS1_25partition_config_selectorILNS1_17partition_subalgoE9EyjbEEZZNS1_14partition_implILS5_9ELb0ES3_jN6thrust23THRUST_200600_302600_NS6detail15normal_iteratorINS9_10device_ptrIyEEEENSB_INSC_IjEEEEPNS0_10empty_typeENS0_5tupleIJSE_SH_EEENSJ_IJSG_SI_EEENS0_18inequality_wrapperINS9_8equal_toIyEEEEPmJSH_EEE10hipError_tPvRmT3_T4_T5_T6_T7_T9_mT8_P12ihipStream_tbDpT10_ENKUlT_T0_E_clISt17integral_constantIbLb0EES1A_EEDaS15_S16_EUlS15_E_NS1_11comp_targetILNS1_3genE5ELNS1_11target_archE942ELNS1_3gpuE9ELNS1_3repE0EEENS1_30default_config_static_selectorELNS0_4arch9wavefront6targetE0EEEvT1_,"axG",@progbits,_ZN7rocprim17ROCPRIM_400000_NS6detail17trampoline_kernelINS0_14default_configENS1_25partition_config_selectorILNS1_17partition_subalgoE9EyjbEEZZNS1_14partition_implILS5_9ELb0ES3_jN6thrust23THRUST_200600_302600_NS6detail15normal_iteratorINS9_10device_ptrIyEEEENSB_INSC_IjEEEEPNS0_10empty_typeENS0_5tupleIJSE_SH_EEENSJ_IJSG_SI_EEENS0_18inequality_wrapperINS9_8equal_toIyEEEEPmJSH_EEE10hipError_tPvRmT3_T4_T5_T6_T7_T9_mT8_P12ihipStream_tbDpT10_ENKUlT_T0_E_clISt17integral_constantIbLb0EES1A_EEDaS15_S16_EUlS15_E_NS1_11comp_targetILNS1_3genE5ELNS1_11target_archE942ELNS1_3gpuE9ELNS1_3repE0EEENS1_30default_config_static_selectorELNS0_4arch9wavefront6targetE0EEEvT1_,comdat
.Lfunc_end534:
	.size	_ZN7rocprim17ROCPRIM_400000_NS6detail17trampoline_kernelINS0_14default_configENS1_25partition_config_selectorILNS1_17partition_subalgoE9EyjbEEZZNS1_14partition_implILS5_9ELb0ES3_jN6thrust23THRUST_200600_302600_NS6detail15normal_iteratorINS9_10device_ptrIyEEEENSB_INSC_IjEEEEPNS0_10empty_typeENS0_5tupleIJSE_SH_EEENSJ_IJSG_SI_EEENS0_18inequality_wrapperINS9_8equal_toIyEEEEPmJSH_EEE10hipError_tPvRmT3_T4_T5_T6_T7_T9_mT8_P12ihipStream_tbDpT10_ENKUlT_T0_E_clISt17integral_constantIbLb0EES1A_EEDaS15_S16_EUlS15_E_NS1_11comp_targetILNS1_3genE5ELNS1_11target_archE942ELNS1_3gpuE9ELNS1_3repE0EEENS1_30default_config_static_selectorELNS0_4arch9wavefront6targetE0EEEvT1_, .Lfunc_end534-_ZN7rocprim17ROCPRIM_400000_NS6detail17trampoline_kernelINS0_14default_configENS1_25partition_config_selectorILNS1_17partition_subalgoE9EyjbEEZZNS1_14partition_implILS5_9ELb0ES3_jN6thrust23THRUST_200600_302600_NS6detail15normal_iteratorINS9_10device_ptrIyEEEENSB_INSC_IjEEEEPNS0_10empty_typeENS0_5tupleIJSE_SH_EEENSJ_IJSG_SI_EEENS0_18inequality_wrapperINS9_8equal_toIyEEEEPmJSH_EEE10hipError_tPvRmT3_T4_T5_T6_T7_T9_mT8_P12ihipStream_tbDpT10_ENKUlT_T0_E_clISt17integral_constantIbLb0EES1A_EEDaS15_S16_EUlS15_E_NS1_11comp_targetILNS1_3genE5ELNS1_11target_archE942ELNS1_3gpuE9ELNS1_3repE0EEENS1_30default_config_static_selectorELNS0_4arch9wavefront6targetE0EEEvT1_
                                        ; -- End function
	.section	.AMDGPU.csdata,"",@progbits
; Kernel info:
; codeLenInByte = 0
; NumSgprs: 0
; NumVgprs: 0
; ScratchSize: 0
; MemoryBound: 0
; FloatMode: 240
; IeeeMode: 1
; LDSByteSize: 0 bytes/workgroup (compile time only)
; SGPRBlocks: 0
; VGPRBlocks: 0
; NumSGPRsForWavesPerEU: 1
; NumVGPRsForWavesPerEU: 1
; Occupancy: 16
; WaveLimiterHint : 0
; COMPUTE_PGM_RSRC2:SCRATCH_EN: 0
; COMPUTE_PGM_RSRC2:USER_SGPR: 15
; COMPUTE_PGM_RSRC2:TRAP_HANDLER: 0
; COMPUTE_PGM_RSRC2:TGID_X_EN: 1
; COMPUTE_PGM_RSRC2:TGID_Y_EN: 0
; COMPUTE_PGM_RSRC2:TGID_Z_EN: 0
; COMPUTE_PGM_RSRC2:TIDIG_COMP_CNT: 0
	.section	.text._ZN7rocprim17ROCPRIM_400000_NS6detail17trampoline_kernelINS0_14default_configENS1_25partition_config_selectorILNS1_17partition_subalgoE9EyjbEEZZNS1_14partition_implILS5_9ELb0ES3_jN6thrust23THRUST_200600_302600_NS6detail15normal_iteratorINS9_10device_ptrIyEEEENSB_INSC_IjEEEEPNS0_10empty_typeENS0_5tupleIJSE_SH_EEENSJ_IJSG_SI_EEENS0_18inequality_wrapperINS9_8equal_toIyEEEEPmJSH_EEE10hipError_tPvRmT3_T4_T5_T6_T7_T9_mT8_P12ihipStream_tbDpT10_ENKUlT_T0_E_clISt17integral_constantIbLb0EES1A_EEDaS15_S16_EUlS15_E_NS1_11comp_targetILNS1_3genE4ELNS1_11target_archE910ELNS1_3gpuE8ELNS1_3repE0EEENS1_30default_config_static_selectorELNS0_4arch9wavefront6targetE0EEEvT1_,"axG",@progbits,_ZN7rocprim17ROCPRIM_400000_NS6detail17trampoline_kernelINS0_14default_configENS1_25partition_config_selectorILNS1_17partition_subalgoE9EyjbEEZZNS1_14partition_implILS5_9ELb0ES3_jN6thrust23THRUST_200600_302600_NS6detail15normal_iteratorINS9_10device_ptrIyEEEENSB_INSC_IjEEEEPNS0_10empty_typeENS0_5tupleIJSE_SH_EEENSJ_IJSG_SI_EEENS0_18inequality_wrapperINS9_8equal_toIyEEEEPmJSH_EEE10hipError_tPvRmT3_T4_T5_T6_T7_T9_mT8_P12ihipStream_tbDpT10_ENKUlT_T0_E_clISt17integral_constantIbLb0EES1A_EEDaS15_S16_EUlS15_E_NS1_11comp_targetILNS1_3genE4ELNS1_11target_archE910ELNS1_3gpuE8ELNS1_3repE0EEENS1_30default_config_static_selectorELNS0_4arch9wavefront6targetE0EEEvT1_,comdat
	.protected	_ZN7rocprim17ROCPRIM_400000_NS6detail17trampoline_kernelINS0_14default_configENS1_25partition_config_selectorILNS1_17partition_subalgoE9EyjbEEZZNS1_14partition_implILS5_9ELb0ES3_jN6thrust23THRUST_200600_302600_NS6detail15normal_iteratorINS9_10device_ptrIyEEEENSB_INSC_IjEEEEPNS0_10empty_typeENS0_5tupleIJSE_SH_EEENSJ_IJSG_SI_EEENS0_18inequality_wrapperINS9_8equal_toIyEEEEPmJSH_EEE10hipError_tPvRmT3_T4_T5_T6_T7_T9_mT8_P12ihipStream_tbDpT10_ENKUlT_T0_E_clISt17integral_constantIbLb0EES1A_EEDaS15_S16_EUlS15_E_NS1_11comp_targetILNS1_3genE4ELNS1_11target_archE910ELNS1_3gpuE8ELNS1_3repE0EEENS1_30default_config_static_selectorELNS0_4arch9wavefront6targetE0EEEvT1_ ; -- Begin function _ZN7rocprim17ROCPRIM_400000_NS6detail17trampoline_kernelINS0_14default_configENS1_25partition_config_selectorILNS1_17partition_subalgoE9EyjbEEZZNS1_14partition_implILS5_9ELb0ES3_jN6thrust23THRUST_200600_302600_NS6detail15normal_iteratorINS9_10device_ptrIyEEEENSB_INSC_IjEEEEPNS0_10empty_typeENS0_5tupleIJSE_SH_EEENSJ_IJSG_SI_EEENS0_18inequality_wrapperINS9_8equal_toIyEEEEPmJSH_EEE10hipError_tPvRmT3_T4_T5_T6_T7_T9_mT8_P12ihipStream_tbDpT10_ENKUlT_T0_E_clISt17integral_constantIbLb0EES1A_EEDaS15_S16_EUlS15_E_NS1_11comp_targetILNS1_3genE4ELNS1_11target_archE910ELNS1_3gpuE8ELNS1_3repE0EEENS1_30default_config_static_selectorELNS0_4arch9wavefront6targetE0EEEvT1_
	.globl	_ZN7rocprim17ROCPRIM_400000_NS6detail17trampoline_kernelINS0_14default_configENS1_25partition_config_selectorILNS1_17partition_subalgoE9EyjbEEZZNS1_14partition_implILS5_9ELb0ES3_jN6thrust23THRUST_200600_302600_NS6detail15normal_iteratorINS9_10device_ptrIyEEEENSB_INSC_IjEEEEPNS0_10empty_typeENS0_5tupleIJSE_SH_EEENSJ_IJSG_SI_EEENS0_18inequality_wrapperINS9_8equal_toIyEEEEPmJSH_EEE10hipError_tPvRmT3_T4_T5_T6_T7_T9_mT8_P12ihipStream_tbDpT10_ENKUlT_T0_E_clISt17integral_constantIbLb0EES1A_EEDaS15_S16_EUlS15_E_NS1_11comp_targetILNS1_3genE4ELNS1_11target_archE910ELNS1_3gpuE8ELNS1_3repE0EEENS1_30default_config_static_selectorELNS0_4arch9wavefront6targetE0EEEvT1_
	.p2align	8
	.type	_ZN7rocprim17ROCPRIM_400000_NS6detail17trampoline_kernelINS0_14default_configENS1_25partition_config_selectorILNS1_17partition_subalgoE9EyjbEEZZNS1_14partition_implILS5_9ELb0ES3_jN6thrust23THRUST_200600_302600_NS6detail15normal_iteratorINS9_10device_ptrIyEEEENSB_INSC_IjEEEEPNS0_10empty_typeENS0_5tupleIJSE_SH_EEENSJ_IJSG_SI_EEENS0_18inequality_wrapperINS9_8equal_toIyEEEEPmJSH_EEE10hipError_tPvRmT3_T4_T5_T6_T7_T9_mT8_P12ihipStream_tbDpT10_ENKUlT_T0_E_clISt17integral_constantIbLb0EES1A_EEDaS15_S16_EUlS15_E_NS1_11comp_targetILNS1_3genE4ELNS1_11target_archE910ELNS1_3gpuE8ELNS1_3repE0EEENS1_30default_config_static_selectorELNS0_4arch9wavefront6targetE0EEEvT1_,@function
_ZN7rocprim17ROCPRIM_400000_NS6detail17trampoline_kernelINS0_14default_configENS1_25partition_config_selectorILNS1_17partition_subalgoE9EyjbEEZZNS1_14partition_implILS5_9ELb0ES3_jN6thrust23THRUST_200600_302600_NS6detail15normal_iteratorINS9_10device_ptrIyEEEENSB_INSC_IjEEEEPNS0_10empty_typeENS0_5tupleIJSE_SH_EEENSJ_IJSG_SI_EEENS0_18inequality_wrapperINS9_8equal_toIyEEEEPmJSH_EEE10hipError_tPvRmT3_T4_T5_T6_T7_T9_mT8_P12ihipStream_tbDpT10_ENKUlT_T0_E_clISt17integral_constantIbLb0EES1A_EEDaS15_S16_EUlS15_E_NS1_11comp_targetILNS1_3genE4ELNS1_11target_archE910ELNS1_3gpuE8ELNS1_3repE0EEENS1_30default_config_static_selectorELNS0_4arch9wavefront6targetE0EEEvT1_: ; @_ZN7rocprim17ROCPRIM_400000_NS6detail17trampoline_kernelINS0_14default_configENS1_25partition_config_selectorILNS1_17partition_subalgoE9EyjbEEZZNS1_14partition_implILS5_9ELb0ES3_jN6thrust23THRUST_200600_302600_NS6detail15normal_iteratorINS9_10device_ptrIyEEEENSB_INSC_IjEEEEPNS0_10empty_typeENS0_5tupleIJSE_SH_EEENSJ_IJSG_SI_EEENS0_18inequality_wrapperINS9_8equal_toIyEEEEPmJSH_EEE10hipError_tPvRmT3_T4_T5_T6_T7_T9_mT8_P12ihipStream_tbDpT10_ENKUlT_T0_E_clISt17integral_constantIbLb0EES1A_EEDaS15_S16_EUlS15_E_NS1_11comp_targetILNS1_3genE4ELNS1_11target_archE910ELNS1_3gpuE8ELNS1_3repE0EEENS1_30default_config_static_selectorELNS0_4arch9wavefront6targetE0EEEvT1_
; %bb.0:
	.section	.rodata,"a",@progbits
	.p2align	6, 0x0
	.amdhsa_kernel _ZN7rocprim17ROCPRIM_400000_NS6detail17trampoline_kernelINS0_14default_configENS1_25partition_config_selectorILNS1_17partition_subalgoE9EyjbEEZZNS1_14partition_implILS5_9ELb0ES3_jN6thrust23THRUST_200600_302600_NS6detail15normal_iteratorINS9_10device_ptrIyEEEENSB_INSC_IjEEEEPNS0_10empty_typeENS0_5tupleIJSE_SH_EEENSJ_IJSG_SI_EEENS0_18inequality_wrapperINS9_8equal_toIyEEEEPmJSH_EEE10hipError_tPvRmT3_T4_T5_T6_T7_T9_mT8_P12ihipStream_tbDpT10_ENKUlT_T0_E_clISt17integral_constantIbLb0EES1A_EEDaS15_S16_EUlS15_E_NS1_11comp_targetILNS1_3genE4ELNS1_11target_archE910ELNS1_3gpuE8ELNS1_3repE0EEENS1_30default_config_static_selectorELNS0_4arch9wavefront6targetE0EEEvT1_
		.amdhsa_group_segment_fixed_size 0
		.amdhsa_private_segment_fixed_size 0
		.amdhsa_kernarg_size 112
		.amdhsa_user_sgpr_count 15
		.amdhsa_user_sgpr_dispatch_ptr 0
		.amdhsa_user_sgpr_queue_ptr 0
		.amdhsa_user_sgpr_kernarg_segment_ptr 1
		.amdhsa_user_sgpr_dispatch_id 0
		.amdhsa_user_sgpr_private_segment_size 0
		.amdhsa_wavefront_size32 1
		.amdhsa_uses_dynamic_stack 0
		.amdhsa_enable_private_segment 0
		.amdhsa_system_sgpr_workgroup_id_x 1
		.amdhsa_system_sgpr_workgroup_id_y 0
		.amdhsa_system_sgpr_workgroup_id_z 0
		.amdhsa_system_sgpr_workgroup_info 0
		.amdhsa_system_vgpr_workitem_id 0
		.amdhsa_next_free_vgpr 1
		.amdhsa_next_free_sgpr 1
		.amdhsa_reserve_vcc 0
		.amdhsa_float_round_mode_32 0
		.amdhsa_float_round_mode_16_64 0
		.amdhsa_float_denorm_mode_32 3
		.amdhsa_float_denorm_mode_16_64 3
		.amdhsa_dx10_clamp 1
		.amdhsa_ieee_mode 1
		.amdhsa_fp16_overflow 0
		.amdhsa_workgroup_processor_mode 1
		.amdhsa_memory_ordered 1
		.amdhsa_forward_progress 0
		.amdhsa_shared_vgpr_count 0
		.amdhsa_exception_fp_ieee_invalid_op 0
		.amdhsa_exception_fp_denorm_src 0
		.amdhsa_exception_fp_ieee_div_zero 0
		.amdhsa_exception_fp_ieee_overflow 0
		.amdhsa_exception_fp_ieee_underflow 0
		.amdhsa_exception_fp_ieee_inexact 0
		.amdhsa_exception_int_div_zero 0
	.end_amdhsa_kernel
	.section	.text._ZN7rocprim17ROCPRIM_400000_NS6detail17trampoline_kernelINS0_14default_configENS1_25partition_config_selectorILNS1_17partition_subalgoE9EyjbEEZZNS1_14partition_implILS5_9ELb0ES3_jN6thrust23THRUST_200600_302600_NS6detail15normal_iteratorINS9_10device_ptrIyEEEENSB_INSC_IjEEEEPNS0_10empty_typeENS0_5tupleIJSE_SH_EEENSJ_IJSG_SI_EEENS0_18inequality_wrapperINS9_8equal_toIyEEEEPmJSH_EEE10hipError_tPvRmT3_T4_T5_T6_T7_T9_mT8_P12ihipStream_tbDpT10_ENKUlT_T0_E_clISt17integral_constantIbLb0EES1A_EEDaS15_S16_EUlS15_E_NS1_11comp_targetILNS1_3genE4ELNS1_11target_archE910ELNS1_3gpuE8ELNS1_3repE0EEENS1_30default_config_static_selectorELNS0_4arch9wavefront6targetE0EEEvT1_,"axG",@progbits,_ZN7rocprim17ROCPRIM_400000_NS6detail17trampoline_kernelINS0_14default_configENS1_25partition_config_selectorILNS1_17partition_subalgoE9EyjbEEZZNS1_14partition_implILS5_9ELb0ES3_jN6thrust23THRUST_200600_302600_NS6detail15normal_iteratorINS9_10device_ptrIyEEEENSB_INSC_IjEEEEPNS0_10empty_typeENS0_5tupleIJSE_SH_EEENSJ_IJSG_SI_EEENS0_18inequality_wrapperINS9_8equal_toIyEEEEPmJSH_EEE10hipError_tPvRmT3_T4_T5_T6_T7_T9_mT8_P12ihipStream_tbDpT10_ENKUlT_T0_E_clISt17integral_constantIbLb0EES1A_EEDaS15_S16_EUlS15_E_NS1_11comp_targetILNS1_3genE4ELNS1_11target_archE910ELNS1_3gpuE8ELNS1_3repE0EEENS1_30default_config_static_selectorELNS0_4arch9wavefront6targetE0EEEvT1_,comdat
.Lfunc_end535:
	.size	_ZN7rocprim17ROCPRIM_400000_NS6detail17trampoline_kernelINS0_14default_configENS1_25partition_config_selectorILNS1_17partition_subalgoE9EyjbEEZZNS1_14partition_implILS5_9ELb0ES3_jN6thrust23THRUST_200600_302600_NS6detail15normal_iteratorINS9_10device_ptrIyEEEENSB_INSC_IjEEEEPNS0_10empty_typeENS0_5tupleIJSE_SH_EEENSJ_IJSG_SI_EEENS0_18inequality_wrapperINS9_8equal_toIyEEEEPmJSH_EEE10hipError_tPvRmT3_T4_T5_T6_T7_T9_mT8_P12ihipStream_tbDpT10_ENKUlT_T0_E_clISt17integral_constantIbLb0EES1A_EEDaS15_S16_EUlS15_E_NS1_11comp_targetILNS1_3genE4ELNS1_11target_archE910ELNS1_3gpuE8ELNS1_3repE0EEENS1_30default_config_static_selectorELNS0_4arch9wavefront6targetE0EEEvT1_, .Lfunc_end535-_ZN7rocprim17ROCPRIM_400000_NS6detail17trampoline_kernelINS0_14default_configENS1_25partition_config_selectorILNS1_17partition_subalgoE9EyjbEEZZNS1_14partition_implILS5_9ELb0ES3_jN6thrust23THRUST_200600_302600_NS6detail15normal_iteratorINS9_10device_ptrIyEEEENSB_INSC_IjEEEEPNS0_10empty_typeENS0_5tupleIJSE_SH_EEENSJ_IJSG_SI_EEENS0_18inequality_wrapperINS9_8equal_toIyEEEEPmJSH_EEE10hipError_tPvRmT3_T4_T5_T6_T7_T9_mT8_P12ihipStream_tbDpT10_ENKUlT_T0_E_clISt17integral_constantIbLb0EES1A_EEDaS15_S16_EUlS15_E_NS1_11comp_targetILNS1_3genE4ELNS1_11target_archE910ELNS1_3gpuE8ELNS1_3repE0EEENS1_30default_config_static_selectorELNS0_4arch9wavefront6targetE0EEEvT1_
                                        ; -- End function
	.section	.AMDGPU.csdata,"",@progbits
; Kernel info:
; codeLenInByte = 0
; NumSgprs: 0
; NumVgprs: 0
; ScratchSize: 0
; MemoryBound: 0
; FloatMode: 240
; IeeeMode: 1
; LDSByteSize: 0 bytes/workgroup (compile time only)
; SGPRBlocks: 0
; VGPRBlocks: 0
; NumSGPRsForWavesPerEU: 1
; NumVGPRsForWavesPerEU: 1
; Occupancy: 15
; WaveLimiterHint : 0
; COMPUTE_PGM_RSRC2:SCRATCH_EN: 0
; COMPUTE_PGM_RSRC2:USER_SGPR: 15
; COMPUTE_PGM_RSRC2:TRAP_HANDLER: 0
; COMPUTE_PGM_RSRC2:TGID_X_EN: 1
; COMPUTE_PGM_RSRC2:TGID_Y_EN: 0
; COMPUTE_PGM_RSRC2:TGID_Z_EN: 0
; COMPUTE_PGM_RSRC2:TIDIG_COMP_CNT: 0
	.section	.text._ZN7rocprim17ROCPRIM_400000_NS6detail17trampoline_kernelINS0_14default_configENS1_25partition_config_selectorILNS1_17partition_subalgoE9EyjbEEZZNS1_14partition_implILS5_9ELb0ES3_jN6thrust23THRUST_200600_302600_NS6detail15normal_iteratorINS9_10device_ptrIyEEEENSB_INSC_IjEEEEPNS0_10empty_typeENS0_5tupleIJSE_SH_EEENSJ_IJSG_SI_EEENS0_18inequality_wrapperINS9_8equal_toIyEEEEPmJSH_EEE10hipError_tPvRmT3_T4_T5_T6_T7_T9_mT8_P12ihipStream_tbDpT10_ENKUlT_T0_E_clISt17integral_constantIbLb0EES1A_EEDaS15_S16_EUlS15_E_NS1_11comp_targetILNS1_3genE3ELNS1_11target_archE908ELNS1_3gpuE7ELNS1_3repE0EEENS1_30default_config_static_selectorELNS0_4arch9wavefront6targetE0EEEvT1_,"axG",@progbits,_ZN7rocprim17ROCPRIM_400000_NS6detail17trampoline_kernelINS0_14default_configENS1_25partition_config_selectorILNS1_17partition_subalgoE9EyjbEEZZNS1_14partition_implILS5_9ELb0ES3_jN6thrust23THRUST_200600_302600_NS6detail15normal_iteratorINS9_10device_ptrIyEEEENSB_INSC_IjEEEEPNS0_10empty_typeENS0_5tupleIJSE_SH_EEENSJ_IJSG_SI_EEENS0_18inequality_wrapperINS9_8equal_toIyEEEEPmJSH_EEE10hipError_tPvRmT3_T4_T5_T6_T7_T9_mT8_P12ihipStream_tbDpT10_ENKUlT_T0_E_clISt17integral_constantIbLb0EES1A_EEDaS15_S16_EUlS15_E_NS1_11comp_targetILNS1_3genE3ELNS1_11target_archE908ELNS1_3gpuE7ELNS1_3repE0EEENS1_30default_config_static_selectorELNS0_4arch9wavefront6targetE0EEEvT1_,comdat
	.protected	_ZN7rocprim17ROCPRIM_400000_NS6detail17trampoline_kernelINS0_14default_configENS1_25partition_config_selectorILNS1_17partition_subalgoE9EyjbEEZZNS1_14partition_implILS5_9ELb0ES3_jN6thrust23THRUST_200600_302600_NS6detail15normal_iteratorINS9_10device_ptrIyEEEENSB_INSC_IjEEEEPNS0_10empty_typeENS0_5tupleIJSE_SH_EEENSJ_IJSG_SI_EEENS0_18inequality_wrapperINS9_8equal_toIyEEEEPmJSH_EEE10hipError_tPvRmT3_T4_T5_T6_T7_T9_mT8_P12ihipStream_tbDpT10_ENKUlT_T0_E_clISt17integral_constantIbLb0EES1A_EEDaS15_S16_EUlS15_E_NS1_11comp_targetILNS1_3genE3ELNS1_11target_archE908ELNS1_3gpuE7ELNS1_3repE0EEENS1_30default_config_static_selectorELNS0_4arch9wavefront6targetE0EEEvT1_ ; -- Begin function _ZN7rocprim17ROCPRIM_400000_NS6detail17trampoline_kernelINS0_14default_configENS1_25partition_config_selectorILNS1_17partition_subalgoE9EyjbEEZZNS1_14partition_implILS5_9ELb0ES3_jN6thrust23THRUST_200600_302600_NS6detail15normal_iteratorINS9_10device_ptrIyEEEENSB_INSC_IjEEEEPNS0_10empty_typeENS0_5tupleIJSE_SH_EEENSJ_IJSG_SI_EEENS0_18inequality_wrapperINS9_8equal_toIyEEEEPmJSH_EEE10hipError_tPvRmT3_T4_T5_T6_T7_T9_mT8_P12ihipStream_tbDpT10_ENKUlT_T0_E_clISt17integral_constantIbLb0EES1A_EEDaS15_S16_EUlS15_E_NS1_11comp_targetILNS1_3genE3ELNS1_11target_archE908ELNS1_3gpuE7ELNS1_3repE0EEENS1_30default_config_static_selectorELNS0_4arch9wavefront6targetE0EEEvT1_
	.globl	_ZN7rocprim17ROCPRIM_400000_NS6detail17trampoline_kernelINS0_14default_configENS1_25partition_config_selectorILNS1_17partition_subalgoE9EyjbEEZZNS1_14partition_implILS5_9ELb0ES3_jN6thrust23THRUST_200600_302600_NS6detail15normal_iteratorINS9_10device_ptrIyEEEENSB_INSC_IjEEEEPNS0_10empty_typeENS0_5tupleIJSE_SH_EEENSJ_IJSG_SI_EEENS0_18inequality_wrapperINS9_8equal_toIyEEEEPmJSH_EEE10hipError_tPvRmT3_T4_T5_T6_T7_T9_mT8_P12ihipStream_tbDpT10_ENKUlT_T0_E_clISt17integral_constantIbLb0EES1A_EEDaS15_S16_EUlS15_E_NS1_11comp_targetILNS1_3genE3ELNS1_11target_archE908ELNS1_3gpuE7ELNS1_3repE0EEENS1_30default_config_static_selectorELNS0_4arch9wavefront6targetE0EEEvT1_
	.p2align	8
	.type	_ZN7rocprim17ROCPRIM_400000_NS6detail17trampoline_kernelINS0_14default_configENS1_25partition_config_selectorILNS1_17partition_subalgoE9EyjbEEZZNS1_14partition_implILS5_9ELb0ES3_jN6thrust23THRUST_200600_302600_NS6detail15normal_iteratorINS9_10device_ptrIyEEEENSB_INSC_IjEEEEPNS0_10empty_typeENS0_5tupleIJSE_SH_EEENSJ_IJSG_SI_EEENS0_18inequality_wrapperINS9_8equal_toIyEEEEPmJSH_EEE10hipError_tPvRmT3_T4_T5_T6_T7_T9_mT8_P12ihipStream_tbDpT10_ENKUlT_T0_E_clISt17integral_constantIbLb0EES1A_EEDaS15_S16_EUlS15_E_NS1_11comp_targetILNS1_3genE3ELNS1_11target_archE908ELNS1_3gpuE7ELNS1_3repE0EEENS1_30default_config_static_selectorELNS0_4arch9wavefront6targetE0EEEvT1_,@function
_ZN7rocprim17ROCPRIM_400000_NS6detail17trampoline_kernelINS0_14default_configENS1_25partition_config_selectorILNS1_17partition_subalgoE9EyjbEEZZNS1_14partition_implILS5_9ELb0ES3_jN6thrust23THRUST_200600_302600_NS6detail15normal_iteratorINS9_10device_ptrIyEEEENSB_INSC_IjEEEEPNS0_10empty_typeENS0_5tupleIJSE_SH_EEENSJ_IJSG_SI_EEENS0_18inequality_wrapperINS9_8equal_toIyEEEEPmJSH_EEE10hipError_tPvRmT3_T4_T5_T6_T7_T9_mT8_P12ihipStream_tbDpT10_ENKUlT_T0_E_clISt17integral_constantIbLb0EES1A_EEDaS15_S16_EUlS15_E_NS1_11comp_targetILNS1_3genE3ELNS1_11target_archE908ELNS1_3gpuE7ELNS1_3repE0EEENS1_30default_config_static_selectorELNS0_4arch9wavefront6targetE0EEEvT1_: ; @_ZN7rocprim17ROCPRIM_400000_NS6detail17trampoline_kernelINS0_14default_configENS1_25partition_config_selectorILNS1_17partition_subalgoE9EyjbEEZZNS1_14partition_implILS5_9ELb0ES3_jN6thrust23THRUST_200600_302600_NS6detail15normal_iteratorINS9_10device_ptrIyEEEENSB_INSC_IjEEEEPNS0_10empty_typeENS0_5tupleIJSE_SH_EEENSJ_IJSG_SI_EEENS0_18inequality_wrapperINS9_8equal_toIyEEEEPmJSH_EEE10hipError_tPvRmT3_T4_T5_T6_T7_T9_mT8_P12ihipStream_tbDpT10_ENKUlT_T0_E_clISt17integral_constantIbLb0EES1A_EEDaS15_S16_EUlS15_E_NS1_11comp_targetILNS1_3genE3ELNS1_11target_archE908ELNS1_3gpuE7ELNS1_3repE0EEENS1_30default_config_static_selectorELNS0_4arch9wavefront6targetE0EEEvT1_
; %bb.0:
	.section	.rodata,"a",@progbits
	.p2align	6, 0x0
	.amdhsa_kernel _ZN7rocprim17ROCPRIM_400000_NS6detail17trampoline_kernelINS0_14default_configENS1_25partition_config_selectorILNS1_17partition_subalgoE9EyjbEEZZNS1_14partition_implILS5_9ELb0ES3_jN6thrust23THRUST_200600_302600_NS6detail15normal_iteratorINS9_10device_ptrIyEEEENSB_INSC_IjEEEEPNS0_10empty_typeENS0_5tupleIJSE_SH_EEENSJ_IJSG_SI_EEENS0_18inequality_wrapperINS9_8equal_toIyEEEEPmJSH_EEE10hipError_tPvRmT3_T4_T5_T6_T7_T9_mT8_P12ihipStream_tbDpT10_ENKUlT_T0_E_clISt17integral_constantIbLb0EES1A_EEDaS15_S16_EUlS15_E_NS1_11comp_targetILNS1_3genE3ELNS1_11target_archE908ELNS1_3gpuE7ELNS1_3repE0EEENS1_30default_config_static_selectorELNS0_4arch9wavefront6targetE0EEEvT1_
		.amdhsa_group_segment_fixed_size 0
		.amdhsa_private_segment_fixed_size 0
		.amdhsa_kernarg_size 112
		.amdhsa_user_sgpr_count 15
		.amdhsa_user_sgpr_dispatch_ptr 0
		.amdhsa_user_sgpr_queue_ptr 0
		.amdhsa_user_sgpr_kernarg_segment_ptr 1
		.amdhsa_user_sgpr_dispatch_id 0
		.amdhsa_user_sgpr_private_segment_size 0
		.amdhsa_wavefront_size32 1
		.amdhsa_uses_dynamic_stack 0
		.amdhsa_enable_private_segment 0
		.amdhsa_system_sgpr_workgroup_id_x 1
		.amdhsa_system_sgpr_workgroup_id_y 0
		.amdhsa_system_sgpr_workgroup_id_z 0
		.amdhsa_system_sgpr_workgroup_info 0
		.amdhsa_system_vgpr_workitem_id 0
		.amdhsa_next_free_vgpr 1
		.amdhsa_next_free_sgpr 1
		.amdhsa_reserve_vcc 0
		.amdhsa_float_round_mode_32 0
		.amdhsa_float_round_mode_16_64 0
		.amdhsa_float_denorm_mode_32 3
		.amdhsa_float_denorm_mode_16_64 3
		.amdhsa_dx10_clamp 1
		.amdhsa_ieee_mode 1
		.amdhsa_fp16_overflow 0
		.amdhsa_workgroup_processor_mode 1
		.amdhsa_memory_ordered 1
		.amdhsa_forward_progress 0
		.amdhsa_shared_vgpr_count 0
		.amdhsa_exception_fp_ieee_invalid_op 0
		.amdhsa_exception_fp_denorm_src 0
		.amdhsa_exception_fp_ieee_div_zero 0
		.amdhsa_exception_fp_ieee_overflow 0
		.amdhsa_exception_fp_ieee_underflow 0
		.amdhsa_exception_fp_ieee_inexact 0
		.amdhsa_exception_int_div_zero 0
	.end_amdhsa_kernel
	.section	.text._ZN7rocprim17ROCPRIM_400000_NS6detail17trampoline_kernelINS0_14default_configENS1_25partition_config_selectorILNS1_17partition_subalgoE9EyjbEEZZNS1_14partition_implILS5_9ELb0ES3_jN6thrust23THRUST_200600_302600_NS6detail15normal_iteratorINS9_10device_ptrIyEEEENSB_INSC_IjEEEEPNS0_10empty_typeENS0_5tupleIJSE_SH_EEENSJ_IJSG_SI_EEENS0_18inequality_wrapperINS9_8equal_toIyEEEEPmJSH_EEE10hipError_tPvRmT3_T4_T5_T6_T7_T9_mT8_P12ihipStream_tbDpT10_ENKUlT_T0_E_clISt17integral_constantIbLb0EES1A_EEDaS15_S16_EUlS15_E_NS1_11comp_targetILNS1_3genE3ELNS1_11target_archE908ELNS1_3gpuE7ELNS1_3repE0EEENS1_30default_config_static_selectorELNS0_4arch9wavefront6targetE0EEEvT1_,"axG",@progbits,_ZN7rocprim17ROCPRIM_400000_NS6detail17trampoline_kernelINS0_14default_configENS1_25partition_config_selectorILNS1_17partition_subalgoE9EyjbEEZZNS1_14partition_implILS5_9ELb0ES3_jN6thrust23THRUST_200600_302600_NS6detail15normal_iteratorINS9_10device_ptrIyEEEENSB_INSC_IjEEEEPNS0_10empty_typeENS0_5tupleIJSE_SH_EEENSJ_IJSG_SI_EEENS0_18inequality_wrapperINS9_8equal_toIyEEEEPmJSH_EEE10hipError_tPvRmT3_T4_T5_T6_T7_T9_mT8_P12ihipStream_tbDpT10_ENKUlT_T0_E_clISt17integral_constantIbLb0EES1A_EEDaS15_S16_EUlS15_E_NS1_11comp_targetILNS1_3genE3ELNS1_11target_archE908ELNS1_3gpuE7ELNS1_3repE0EEENS1_30default_config_static_selectorELNS0_4arch9wavefront6targetE0EEEvT1_,comdat
.Lfunc_end536:
	.size	_ZN7rocprim17ROCPRIM_400000_NS6detail17trampoline_kernelINS0_14default_configENS1_25partition_config_selectorILNS1_17partition_subalgoE9EyjbEEZZNS1_14partition_implILS5_9ELb0ES3_jN6thrust23THRUST_200600_302600_NS6detail15normal_iteratorINS9_10device_ptrIyEEEENSB_INSC_IjEEEEPNS0_10empty_typeENS0_5tupleIJSE_SH_EEENSJ_IJSG_SI_EEENS0_18inequality_wrapperINS9_8equal_toIyEEEEPmJSH_EEE10hipError_tPvRmT3_T4_T5_T6_T7_T9_mT8_P12ihipStream_tbDpT10_ENKUlT_T0_E_clISt17integral_constantIbLb0EES1A_EEDaS15_S16_EUlS15_E_NS1_11comp_targetILNS1_3genE3ELNS1_11target_archE908ELNS1_3gpuE7ELNS1_3repE0EEENS1_30default_config_static_selectorELNS0_4arch9wavefront6targetE0EEEvT1_, .Lfunc_end536-_ZN7rocprim17ROCPRIM_400000_NS6detail17trampoline_kernelINS0_14default_configENS1_25partition_config_selectorILNS1_17partition_subalgoE9EyjbEEZZNS1_14partition_implILS5_9ELb0ES3_jN6thrust23THRUST_200600_302600_NS6detail15normal_iteratorINS9_10device_ptrIyEEEENSB_INSC_IjEEEEPNS0_10empty_typeENS0_5tupleIJSE_SH_EEENSJ_IJSG_SI_EEENS0_18inequality_wrapperINS9_8equal_toIyEEEEPmJSH_EEE10hipError_tPvRmT3_T4_T5_T6_T7_T9_mT8_P12ihipStream_tbDpT10_ENKUlT_T0_E_clISt17integral_constantIbLb0EES1A_EEDaS15_S16_EUlS15_E_NS1_11comp_targetILNS1_3genE3ELNS1_11target_archE908ELNS1_3gpuE7ELNS1_3repE0EEENS1_30default_config_static_selectorELNS0_4arch9wavefront6targetE0EEEvT1_
                                        ; -- End function
	.section	.AMDGPU.csdata,"",@progbits
; Kernel info:
; codeLenInByte = 0
; NumSgprs: 0
; NumVgprs: 0
; ScratchSize: 0
; MemoryBound: 0
; FloatMode: 240
; IeeeMode: 1
; LDSByteSize: 0 bytes/workgroup (compile time only)
; SGPRBlocks: 0
; VGPRBlocks: 0
; NumSGPRsForWavesPerEU: 1
; NumVGPRsForWavesPerEU: 1
; Occupancy: 16
; WaveLimiterHint : 0
; COMPUTE_PGM_RSRC2:SCRATCH_EN: 0
; COMPUTE_PGM_RSRC2:USER_SGPR: 15
; COMPUTE_PGM_RSRC2:TRAP_HANDLER: 0
; COMPUTE_PGM_RSRC2:TGID_X_EN: 1
; COMPUTE_PGM_RSRC2:TGID_Y_EN: 0
; COMPUTE_PGM_RSRC2:TGID_Z_EN: 0
; COMPUTE_PGM_RSRC2:TIDIG_COMP_CNT: 0
	.section	.text._ZN7rocprim17ROCPRIM_400000_NS6detail17trampoline_kernelINS0_14default_configENS1_25partition_config_selectorILNS1_17partition_subalgoE9EyjbEEZZNS1_14partition_implILS5_9ELb0ES3_jN6thrust23THRUST_200600_302600_NS6detail15normal_iteratorINS9_10device_ptrIyEEEENSB_INSC_IjEEEEPNS0_10empty_typeENS0_5tupleIJSE_SH_EEENSJ_IJSG_SI_EEENS0_18inequality_wrapperINS9_8equal_toIyEEEEPmJSH_EEE10hipError_tPvRmT3_T4_T5_T6_T7_T9_mT8_P12ihipStream_tbDpT10_ENKUlT_T0_E_clISt17integral_constantIbLb0EES1A_EEDaS15_S16_EUlS15_E_NS1_11comp_targetILNS1_3genE2ELNS1_11target_archE906ELNS1_3gpuE6ELNS1_3repE0EEENS1_30default_config_static_selectorELNS0_4arch9wavefront6targetE0EEEvT1_,"axG",@progbits,_ZN7rocprim17ROCPRIM_400000_NS6detail17trampoline_kernelINS0_14default_configENS1_25partition_config_selectorILNS1_17partition_subalgoE9EyjbEEZZNS1_14partition_implILS5_9ELb0ES3_jN6thrust23THRUST_200600_302600_NS6detail15normal_iteratorINS9_10device_ptrIyEEEENSB_INSC_IjEEEEPNS0_10empty_typeENS0_5tupleIJSE_SH_EEENSJ_IJSG_SI_EEENS0_18inequality_wrapperINS9_8equal_toIyEEEEPmJSH_EEE10hipError_tPvRmT3_T4_T5_T6_T7_T9_mT8_P12ihipStream_tbDpT10_ENKUlT_T0_E_clISt17integral_constantIbLb0EES1A_EEDaS15_S16_EUlS15_E_NS1_11comp_targetILNS1_3genE2ELNS1_11target_archE906ELNS1_3gpuE6ELNS1_3repE0EEENS1_30default_config_static_selectorELNS0_4arch9wavefront6targetE0EEEvT1_,comdat
	.protected	_ZN7rocprim17ROCPRIM_400000_NS6detail17trampoline_kernelINS0_14default_configENS1_25partition_config_selectorILNS1_17partition_subalgoE9EyjbEEZZNS1_14partition_implILS5_9ELb0ES3_jN6thrust23THRUST_200600_302600_NS6detail15normal_iteratorINS9_10device_ptrIyEEEENSB_INSC_IjEEEEPNS0_10empty_typeENS0_5tupleIJSE_SH_EEENSJ_IJSG_SI_EEENS0_18inequality_wrapperINS9_8equal_toIyEEEEPmJSH_EEE10hipError_tPvRmT3_T4_T5_T6_T7_T9_mT8_P12ihipStream_tbDpT10_ENKUlT_T0_E_clISt17integral_constantIbLb0EES1A_EEDaS15_S16_EUlS15_E_NS1_11comp_targetILNS1_3genE2ELNS1_11target_archE906ELNS1_3gpuE6ELNS1_3repE0EEENS1_30default_config_static_selectorELNS0_4arch9wavefront6targetE0EEEvT1_ ; -- Begin function _ZN7rocprim17ROCPRIM_400000_NS6detail17trampoline_kernelINS0_14default_configENS1_25partition_config_selectorILNS1_17partition_subalgoE9EyjbEEZZNS1_14partition_implILS5_9ELb0ES3_jN6thrust23THRUST_200600_302600_NS6detail15normal_iteratorINS9_10device_ptrIyEEEENSB_INSC_IjEEEEPNS0_10empty_typeENS0_5tupleIJSE_SH_EEENSJ_IJSG_SI_EEENS0_18inequality_wrapperINS9_8equal_toIyEEEEPmJSH_EEE10hipError_tPvRmT3_T4_T5_T6_T7_T9_mT8_P12ihipStream_tbDpT10_ENKUlT_T0_E_clISt17integral_constantIbLb0EES1A_EEDaS15_S16_EUlS15_E_NS1_11comp_targetILNS1_3genE2ELNS1_11target_archE906ELNS1_3gpuE6ELNS1_3repE0EEENS1_30default_config_static_selectorELNS0_4arch9wavefront6targetE0EEEvT1_
	.globl	_ZN7rocprim17ROCPRIM_400000_NS6detail17trampoline_kernelINS0_14default_configENS1_25partition_config_selectorILNS1_17partition_subalgoE9EyjbEEZZNS1_14partition_implILS5_9ELb0ES3_jN6thrust23THRUST_200600_302600_NS6detail15normal_iteratorINS9_10device_ptrIyEEEENSB_INSC_IjEEEEPNS0_10empty_typeENS0_5tupleIJSE_SH_EEENSJ_IJSG_SI_EEENS0_18inequality_wrapperINS9_8equal_toIyEEEEPmJSH_EEE10hipError_tPvRmT3_T4_T5_T6_T7_T9_mT8_P12ihipStream_tbDpT10_ENKUlT_T0_E_clISt17integral_constantIbLb0EES1A_EEDaS15_S16_EUlS15_E_NS1_11comp_targetILNS1_3genE2ELNS1_11target_archE906ELNS1_3gpuE6ELNS1_3repE0EEENS1_30default_config_static_selectorELNS0_4arch9wavefront6targetE0EEEvT1_
	.p2align	8
	.type	_ZN7rocprim17ROCPRIM_400000_NS6detail17trampoline_kernelINS0_14default_configENS1_25partition_config_selectorILNS1_17partition_subalgoE9EyjbEEZZNS1_14partition_implILS5_9ELb0ES3_jN6thrust23THRUST_200600_302600_NS6detail15normal_iteratorINS9_10device_ptrIyEEEENSB_INSC_IjEEEEPNS0_10empty_typeENS0_5tupleIJSE_SH_EEENSJ_IJSG_SI_EEENS0_18inequality_wrapperINS9_8equal_toIyEEEEPmJSH_EEE10hipError_tPvRmT3_T4_T5_T6_T7_T9_mT8_P12ihipStream_tbDpT10_ENKUlT_T0_E_clISt17integral_constantIbLb0EES1A_EEDaS15_S16_EUlS15_E_NS1_11comp_targetILNS1_3genE2ELNS1_11target_archE906ELNS1_3gpuE6ELNS1_3repE0EEENS1_30default_config_static_selectorELNS0_4arch9wavefront6targetE0EEEvT1_,@function
_ZN7rocprim17ROCPRIM_400000_NS6detail17trampoline_kernelINS0_14default_configENS1_25partition_config_selectorILNS1_17partition_subalgoE9EyjbEEZZNS1_14partition_implILS5_9ELb0ES3_jN6thrust23THRUST_200600_302600_NS6detail15normal_iteratorINS9_10device_ptrIyEEEENSB_INSC_IjEEEEPNS0_10empty_typeENS0_5tupleIJSE_SH_EEENSJ_IJSG_SI_EEENS0_18inequality_wrapperINS9_8equal_toIyEEEEPmJSH_EEE10hipError_tPvRmT3_T4_T5_T6_T7_T9_mT8_P12ihipStream_tbDpT10_ENKUlT_T0_E_clISt17integral_constantIbLb0EES1A_EEDaS15_S16_EUlS15_E_NS1_11comp_targetILNS1_3genE2ELNS1_11target_archE906ELNS1_3gpuE6ELNS1_3repE0EEENS1_30default_config_static_selectorELNS0_4arch9wavefront6targetE0EEEvT1_: ; @_ZN7rocprim17ROCPRIM_400000_NS6detail17trampoline_kernelINS0_14default_configENS1_25partition_config_selectorILNS1_17partition_subalgoE9EyjbEEZZNS1_14partition_implILS5_9ELb0ES3_jN6thrust23THRUST_200600_302600_NS6detail15normal_iteratorINS9_10device_ptrIyEEEENSB_INSC_IjEEEEPNS0_10empty_typeENS0_5tupleIJSE_SH_EEENSJ_IJSG_SI_EEENS0_18inequality_wrapperINS9_8equal_toIyEEEEPmJSH_EEE10hipError_tPvRmT3_T4_T5_T6_T7_T9_mT8_P12ihipStream_tbDpT10_ENKUlT_T0_E_clISt17integral_constantIbLb0EES1A_EEDaS15_S16_EUlS15_E_NS1_11comp_targetILNS1_3genE2ELNS1_11target_archE906ELNS1_3gpuE6ELNS1_3repE0EEENS1_30default_config_static_selectorELNS0_4arch9wavefront6targetE0EEEvT1_
; %bb.0:
	.section	.rodata,"a",@progbits
	.p2align	6, 0x0
	.amdhsa_kernel _ZN7rocprim17ROCPRIM_400000_NS6detail17trampoline_kernelINS0_14default_configENS1_25partition_config_selectorILNS1_17partition_subalgoE9EyjbEEZZNS1_14partition_implILS5_9ELb0ES3_jN6thrust23THRUST_200600_302600_NS6detail15normal_iteratorINS9_10device_ptrIyEEEENSB_INSC_IjEEEEPNS0_10empty_typeENS0_5tupleIJSE_SH_EEENSJ_IJSG_SI_EEENS0_18inequality_wrapperINS9_8equal_toIyEEEEPmJSH_EEE10hipError_tPvRmT3_T4_T5_T6_T7_T9_mT8_P12ihipStream_tbDpT10_ENKUlT_T0_E_clISt17integral_constantIbLb0EES1A_EEDaS15_S16_EUlS15_E_NS1_11comp_targetILNS1_3genE2ELNS1_11target_archE906ELNS1_3gpuE6ELNS1_3repE0EEENS1_30default_config_static_selectorELNS0_4arch9wavefront6targetE0EEEvT1_
		.amdhsa_group_segment_fixed_size 0
		.amdhsa_private_segment_fixed_size 0
		.amdhsa_kernarg_size 112
		.amdhsa_user_sgpr_count 15
		.amdhsa_user_sgpr_dispatch_ptr 0
		.amdhsa_user_sgpr_queue_ptr 0
		.amdhsa_user_sgpr_kernarg_segment_ptr 1
		.amdhsa_user_sgpr_dispatch_id 0
		.amdhsa_user_sgpr_private_segment_size 0
		.amdhsa_wavefront_size32 1
		.amdhsa_uses_dynamic_stack 0
		.amdhsa_enable_private_segment 0
		.amdhsa_system_sgpr_workgroup_id_x 1
		.amdhsa_system_sgpr_workgroup_id_y 0
		.amdhsa_system_sgpr_workgroup_id_z 0
		.amdhsa_system_sgpr_workgroup_info 0
		.amdhsa_system_vgpr_workitem_id 0
		.amdhsa_next_free_vgpr 1
		.amdhsa_next_free_sgpr 1
		.amdhsa_reserve_vcc 0
		.amdhsa_float_round_mode_32 0
		.amdhsa_float_round_mode_16_64 0
		.amdhsa_float_denorm_mode_32 3
		.amdhsa_float_denorm_mode_16_64 3
		.amdhsa_dx10_clamp 1
		.amdhsa_ieee_mode 1
		.amdhsa_fp16_overflow 0
		.amdhsa_workgroup_processor_mode 1
		.amdhsa_memory_ordered 1
		.amdhsa_forward_progress 0
		.amdhsa_shared_vgpr_count 0
		.amdhsa_exception_fp_ieee_invalid_op 0
		.amdhsa_exception_fp_denorm_src 0
		.amdhsa_exception_fp_ieee_div_zero 0
		.amdhsa_exception_fp_ieee_overflow 0
		.amdhsa_exception_fp_ieee_underflow 0
		.amdhsa_exception_fp_ieee_inexact 0
		.amdhsa_exception_int_div_zero 0
	.end_amdhsa_kernel
	.section	.text._ZN7rocprim17ROCPRIM_400000_NS6detail17trampoline_kernelINS0_14default_configENS1_25partition_config_selectorILNS1_17partition_subalgoE9EyjbEEZZNS1_14partition_implILS5_9ELb0ES3_jN6thrust23THRUST_200600_302600_NS6detail15normal_iteratorINS9_10device_ptrIyEEEENSB_INSC_IjEEEEPNS0_10empty_typeENS0_5tupleIJSE_SH_EEENSJ_IJSG_SI_EEENS0_18inequality_wrapperINS9_8equal_toIyEEEEPmJSH_EEE10hipError_tPvRmT3_T4_T5_T6_T7_T9_mT8_P12ihipStream_tbDpT10_ENKUlT_T0_E_clISt17integral_constantIbLb0EES1A_EEDaS15_S16_EUlS15_E_NS1_11comp_targetILNS1_3genE2ELNS1_11target_archE906ELNS1_3gpuE6ELNS1_3repE0EEENS1_30default_config_static_selectorELNS0_4arch9wavefront6targetE0EEEvT1_,"axG",@progbits,_ZN7rocprim17ROCPRIM_400000_NS6detail17trampoline_kernelINS0_14default_configENS1_25partition_config_selectorILNS1_17partition_subalgoE9EyjbEEZZNS1_14partition_implILS5_9ELb0ES3_jN6thrust23THRUST_200600_302600_NS6detail15normal_iteratorINS9_10device_ptrIyEEEENSB_INSC_IjEEEEPNS0_10empty_typeENS0_5tupleIJSE_SH_EEENSJ_IJSG_SI_EEENS0_18inequality_wrapperINS9_8equal_toIyEEEEPmJSH_EEE10hipError_tPvRmT3_T4_T5_T6_T7_T9_mT8_P12ihipStream_tbDpT10_ENKUlT_T0_E_clISt17integral_constantIbLb0EES1A_EEDaS15_S16_EUlS15_E_NS1_11comp_targetILNS1_3genE2ELNS1_11target_archE906ELNS1_3gpuE6ELNS1_3repE0EEENS1_30default_config_static_selectorELNS0_4arch9wavefront6targetE0EEEvT1_,comdat
.Lfunc_end537:
	.size	_ZN7rocprim17ROCPRIM_400000_NS6detail17trampoline_kernelINS0_14default_configENS1_25partition_config_selectorILNS1_17partition_subalgoE9EyjbEEZZNS1_14partition_implILS5_9ELb0ES3_jN6thrust23THRUST_200600_302600_NS6detail15normal_iteratorINS9_10device_ptrIyEEEENSB_INSC_IjEEEEPNS0_10empty_typeENS0_5tupleIJSE_SH_EEENSJ_IJSG_SI_EEENS0_18inequality_wrapperINS9_8equal_toIyEEEEPmJSH_EEE10hipError_tPvRmT3_T4_T5_T6_T7_T9_mT8_P12ihipStream_tbDpT10_ENKUlT_T0_E_clISt17integral_constantIbLb0EES1A_EEDaS15_S16_EUlS15_E_NS1_11comp_targetILNS1_3genE2ELNS1_11target_archE906ELNS1_3gpuE6ELNS1_3repE0EEENS1_30default_config_static_selectorELNS0_4arch9wavefront6targetE0EEEvT1_, .Lfunc_end537-_ZN7rocprim17ROCPRIM_400000_NS6detail17trampoline_kernelINS0_14default_configENS1_25partition_config_selectorILNS1_17partition_subalgoE9EyjbEEZZNS1_14partition_implILS5_9ELb0ES3_jN6thrust23THRUST_200600_302600_NS6detail15normal_iteratorINS9_10device_ptrIyEEEENSB_INSC_IjEEEEPNS0_10empty_typeENS0_5tupleIJSE_SH_EEENSJ_IJSG_SI_EEENS0_18inequality_wrapperINS9_8equal_toIyEEEEPmJSH_EEE10hipError_tPvRmT3_T4_T5_T6_T7_T9_mT8_P12ihipStream_tbDpT10_ENKUlT_T0_E_clISt17integral_constantIbLb0EES1A_EEDaS15_S16_EUlS15_E_NS1_11comp_targetILNS1_3genE2ELNS1_11target_archE906ELNS1_3gpuE6ELNS1_3repE0EEENS1_30default_config_static_selectorELNS0_4arch9wavefront6targetE0EEEvT1_
                                        ; -- End function
	.section	.AMDGPU.csdata,"",@progbits
; Kernel info:
; codeLenInByte = 0
; NumSgprs: 0
; NumVgprs: 0
; ScratchSize: 0
; MemoryBound: 0
; FloatMode: 240
; IeeeMode: 1
; LDSByteSize: 0 bytes/workgroup (compile time only)
; SGPRBlocks: 0
; VGPRBlocks: 0
; NumSGPRsForWavesPerEU: 1
; NumVGPRsForWavesPerEU: 1
; Occupancy: 16
; WaveLimiterHint : 0
; COMPUTE_PGM_RSRC2:SCRATCH_EN: 0
; COMPUTE_PGM_RSRC2:USER_SGPR: 15
; COMPUTE_PGM_RSRC2:TRAP_HANDLER: 0
; COMPUTE_PGM_RSRC2:TGID_X_EN: 1
; COMPUTE_PGM_RSRC2:TGID_Y_EN: 0
; COMPUTE_PGM_RSRC2:TGID_Z_EN: 0
; COMPUTE_PGM_RSRC2:TIDIG_COMP_CNT: 0
	.section	.text._ZN7rocprim17ROCPRIM_400000_NS6detail17trampoline_kernelINS0_14default_configENS1_25partition_config_selectorILNS1_17partition_subalgoE9EyjbEEZZNS1_14partition_implILS5_9ELb0ES3_jN6thrust23THRUST_200600_302600_NS6detail15normal_iteratorINS9_10device_ptrIyEEEENSB_INSC_IjEEEEPNS0_10empty_typeENS0_5tupleIJSE_SH_EEENSJ_IJSG_SI_EEENS0_18inequality_wrapperINS9_8equal_toIyEEEEPmJSH_EEE10hipError_tPvRmT3_T4_T5_T6_T7_T9_mT8_P12ihipStream_tbDpT10_ENKUlT_T0_E_clISt17integral_constantIbLb0EES1A_EEDaS15_S16_EUlS15_E_NS1_11comp_targetILNS1_3genE10ELNS1_11target_archE1200ELNS1_3gpuE4ELNS1_3repE0EEENS1_30default_config_static_selectorELNS0_4arch9wavefront6targetE0EEEvT1_,"axG",@progbits,_ZN7rocprim17ROCPRIM_400000_NS6detail17trampoline_kernelINS0_14default_configENS1_25partition_config_selectorILNS1_17partition_subalgoE9EyjbEEZZNS1_14partition_implILS5_9ELb0ES3_jN6thrust23THRUST_200600_302600_NS6detail15normal_iteratorINS9_10device_ptrIyEEEENSB_INSC_IjEEEEPNS0_10empty_typeENS0_5tupleIJSE_SH_EEENSJ_IJSG_SI_EEENS0_18inequality_wrapperINS9_8equal_toIyEEEEPmJSH_EEE10hipError_tPvRmT3_T4_T5_T6_T7_T9_mT8_P12ihipStream_tbDpT10_ENKUlT_T0_E_clISt17integral_constantIbLb0EES1A_EEDaS15_S16_EUlS15_E_NS1_11comp_targetILNS1_3genE10ELNS1_11target_archE1200ELNS1_3gpuE4ELNS1_3repE0EEENS1_30default_config_static_selectorELNS0_4arch9wavefront6targetE0EEEvT1_,comdat
	.protected	_ZN7rocprim17ROCPRIM_400000_NS6detail17trampoline_kernelINS0_14default_configENS1_25partition_config_selectorILNS1_17partition_subalgoE9EyjbEEZZNS1_14partition_implILS5_9ELb0ES3_jN6thrust23THRUST_200600_302600_NS6detail15normal_iteratorINS9_10device_ptrIyEEEENSB_INSC_IjEEEEPNS0_10empty_typeENS0_5tupleIJSE_SH_EEENSJ_IJSG_SI_EEENS0_18inequality_wrapperINS9_8equal_toIyEEEEPmJSH_EEE10hipError_tPvRmT3_T4_T5_T6_T7_T9_mT8_P12ihipStream_tbDpT10_ENKUlT_T0_E_clISt17integral_constantIbLb0EES1A_EEDaS15_S16_EUlS15_E_NS1_11comp_targetILNS1_3genE10ELNS1_11target_archE1200ELNS1_3gpuE4ELNS1_3repE0EEENS1_30default_config_static_selectorELNS0_4arch9wavefront6targetE0EEEvT1_ ; -- Begin function _ZN7rocprim17ROCPRIM_400000_NS6detail17trampoline_kernelINS0_14default_configENS1_25partition_config_selectorILNS1_17partition_subalgoE9EyjbEEZZNS1_14partition_implILS5_9ELb0ES3_jN6thrust23THRUST_200600_302600_NS6detail15normal_iteratorINS9_10device_ptrIyEEEENSB_INSC_IjEEEEPNS0_10empty_typeENS0_5tupleIJSE_SH_EEENSJ_IJSG_SI_EEENS0_18inequality_wrapperINS9_8equal_toIyEEEEPmJSH_EEE10hipError_tPvRmT3_T4_T5_T6_T7_T9_mT8_P12ihipStream_tbDpT10_ENKUlT_T0_E_clISt17integral_constantIbLb0EES1A_EEDaS15_S16_EUlS15_E_NS1_11comp_targetILNS1_3genE10ELNS1_11target_archE1200ELNS1_3gpuE4ELNS1_3repE0EEENS1_30default_config_static_selectorELNS0_4arch9wavefront6targetE0EEEvT1_
	.globl	_ZN7rocprim17ROCPRIM_400000_NS6detail17trampoline_kernelINS0_14default_configENS1_25partition_config_selectorILNS1_17partition_subalgoE9EyjbEEZZNS1_14partition_implILS5_9ELb0ES3_jN6thrust23THRUST_200600_302600_NS6detail15normal_iteratorINS9_10device_ptrIyEEEENSB_INSC_IjEEEEPNS0_10empty_typeENS0_5tupleIJSE_SH_EEENSJ_IJSG_SI_EEENS0_18inequality_wrapperINS9_8equal_toIyEEEEPmJSH_EEE10hipError_tPvRmT3_T4_T5_T6_T7_T9_mT8_P12ihipStream_tbDpT10_ENKUlT_T0_E_clISt17integral_constantIbLb0EES1A_EEDaS15_S16_EUlS15_E_NS1_11comp_targetILNS1_3genE10ELNS1_11target_archE1200ELNS1_3gpuE4ELNS1_3repE0EEENS1_30default_config_static_selectorELNS0_4arch9wavefront6targetE0EEEvT1_
	.p2align	8
	.type	_ZN7rocprim17ROCPRIM_400000_NS6detail17trampoline_kernelINS0_14default_configENS1_25partition_config_selectorILNS1_17partition_subalgoE9EyjbEEZZNS1_14partition_implILS5_9ELb0ES3_jN6thrust23THRUST_200600_302600_NS6detail15normal_iteratorINS9_10device_ptrIyEEEENSB_INSC_IjEEEEPNS0_10empty_typeENS0_5tupleIJSE_SH_EEENSJ_IJSG_SI_EEENS0_18inequality_wrapperINS9_8equal_toIyEEEEPmJSH_EEE10hipError_tPvRmT3_T4_T5_T6_T7_T9_mT8_P12ihipStream_tbDpT10_ENKUlT_T0_E_clISt17integral_constantIbLb0EES1A_EEDaS15_S16_EUlS15_E_NS1_11comp_targetILNS1_3genE10ELNS1_11target_archE1200ELNS1_3gpuE4ELNS1_3repE0EEENS1_30default_config_static_selectorELNS0_4arch9wavefront6targetE0EEEvT1_,@function
_ZN7rocprim17ROCPRIM_400000_NS6detail17trampoline_kernelINS0_14default_configENS1_25partition_config_selectorILNS1_17partition_subalgoE9EyjbEEZZNS1_14partition_implILS5_9ELb0ES3_jN6thrust23THRUST_200600_302600_NS6detail15normal_iteratorINS9_10device_ptrIyEEEENSB_INSC_IjEEEEPNS0_10empty_typeENS0_5tupleIJSE_SH_EEENSJ_IJSG_SI_EEENS0_18inequality_wrapperINS9_8equal_toIyEEEEPmJSH_EEE10hipError_tPvRmT3_T4_T5_T6_T7_T9_mT8_P12ihipStream_tbDpT10_ENKUlT_T0_E_clISt17integral_constantIbLb0EES1A_EEDaS15_S16_EUlS15_E_NS1_11comp_targetILNS1_3genE10ELNS1_11target_archE1200ELNS1_3gpuE4ELNS1_3repE0EEENS1_30default_config_static_selectorELNS0_4arch9wavefront6targetE0EEEvT1_: ; @_ZN7rocprim17ROCPRIM_400000_NS6detail17trampoline_kernelINS0_14default_configENS1_25partition_config_selectorILNS1_17partition_subalgoE9EyjbEEZZNS1_14partition_implILS5_9ELb0ES3_jN6thrust23THRUST_200600_302600_NS6detail15normal_iteratorINS9_10device_ptrIyEEEENSB_INSC_IjEEEEPNS0_10empty_typeENS0_5tupleIJSE_SH_EEENSJ_IJSG_SI_EEENS0_18inequality_wrapperINS9_8equal_toIyEEEEPmJSH_EEE10hipError_tPvRmT3_T4_T5_T6_T7_T9_mT8_P12ihipStream_tbDpT10_ENKUlT_T0_E_clISt17integral_constantIbLb0EES1A_EEDaS15_S16_EUlS15_E_NS1_11comp_targetILNS1_3genE10ELNS1_11target_archE1200ELNS1_3gpuE4ELNS1_3repE0EEENS1_30default_config_static_selectorELNS0_4arch9wavefront6targetE0EEEvT1_
; %bb.0:
	.section	.rodata,"a",@progbits
	.p2align	6, 0x0
	.amdhsa_kernel _ZN7rocprim17ROCPRIM_400000_NS6detail17trampoline_kernelINS0_14default_configENS1_25partition_config_selectorILNS1_17partition_subalgoE9EyjbEEZZNS1_14partition_implILS5_9ELb0ES3_jN6thrust23THRUST_200600_302600_NS6detail15normal_iteratorINS9_10device_ptrIyEEEENSB_INSC_IjEEEEPNS0_10empty_typeENS0_5tupleIJSE_SH_EEENSJ_IJSG_SI_EEENS0_18inequality_wrapperINS9_8equal_toIyEEEEPmJSH_EEE10hipError_tPvRmT3_T4_T5_T6_T7_T9_mT8_P12ihipStream_tbDpT10_ENKUlT_T0_E_clISt17integral_constantIbLb0EES1A_EEDaS15_S16_EUlS15_E_NS1_11comp_targetILNS1_3genE10ELNS1_11target_archE1200ELNS1_3gpuE4ELNS1_3repE0EEENS1_30default_config_static_selectorELNS0_4arch9wavefront6targetE0EEEvT1_
		.amdhsa_group_segment_fixed_size 0
		.amdhsa_private_segment_fixed_size 0
		.amdhsa_kernarg_size 112
		.amdhsa_user_sgpr_count 15
		.amdhsa_user_sgpr_dispatch_ptr 0
		.amdhsa_user_sgpr_queue_ptr 0
		.amdhsa_user_sgpr_kernarg_segment_ptr 1
		.amdhsa_user_sgpr_dispatch_id 0
		.amdhsa_user_sgpr_private_segment_size 0
		.amdhsa_wavefront_size32 1
		.amdhsa_uses_dynamic_stack 0
		.amdhsa_enable_private_segment 0
		.amdhsa_system_sgpr_workgroup_id_x 1
		.amdhsa_system_sgpr_workgroup_id_y 0
		.amdhsa_system_sgpr_workgroup_id_z 0
		.amdhsa_system_sgpr_workgroup_info 0
		.amdhsa_system_vgpr_workitem_id 0
		.amdhsa_next_free_vgpr 1
		.amdhsa_next_free_sgpr 1
		.amdhsa_reserve_vcc 0
		.amdhsa_float_round_mode_32 0
		.amdhsa_float_round_mode_16_64 0
		.amdhsa_float_denorm_mode_32 3
		.amdhsa_float_denorm_mode_16_64 3
		.amdhsa_dx10_clamp 1
		.amdhsa_ieee_mode 1
		.amdhsa_fp16_overflow 0
		.amdhsa_workgroup_processor_mode 1
		.amdhsa_memory_ordered 1
		.amdhsa_forward_progress 0
		.amdhsa_shared_vgpr_count 0
		.amdhsa_exception_fp_ieee_invalid_op 0
		.amdhsa_exception_fp_denorm_src 0
		.amdhsa_exception_fp_ieee_div_zero 0
		.amdhsa_exception_fp_ieee_overflow 0
		.amdhsa_exception_fp_ieee_underflow 0
		.amdhsa_exception_fp_ieee_inexact 0
		.amdhsa_exception_int_div_zero 0
	.end_amdhsa_kernel
	.section	.text._ZN7rocprim17ROCPRIM_400000_NS6detail17trampoline_kernelINS0_14default_configENS1_25partition_config_selectorILNS1_17partition_subalgoE9EyjbEEZZNS1_14partition_implILS5_9ELb0ES3_jN6thrust23THRUST_200600_302600_NS6detail15normal_iteratorINS9_10device_ptrIyEEEENSB_INSC_IjEEEEPNS0_10empty_typeENS0_5tupleIJSE_SH_EEENSJ_IJSG_SI_EEENS0_18inequality_wrapperINS9_8equal_toIyEEEEPmJSH_EEE10hipError_tPvRmT3_T4_T5_T6_T7_T9_mT8_P12ihipStream_tbDpT10_ENKUlT_T0_E_clISt17integral_constantIbLb0EES1A_EEDaS15_S16_EUlS15_E_NS1_11comp_targetILNS1_3genE10ELNS1_11target_archE1200ELNS1_3gpuE4ELNS1_3repE0EEENS1_30default_config_static_selectorELNS0_4arch9wavefront6targetE0EEEvT1_,"axG",@progbits,_ZN7rocprim17ROCPRIM_400000_NS6detail17trampoline_kernelINS0_14default_configENS1_25partition_config_selectorILNS1_17partition_subalgoE9EyjbEEZZNS1_14partition_implILS5_9ELb0ES3_jN6thrust23THRUST_200600_302600_NS6detail15normal_iteratorINS9_10device_ptrIyEEEENSB_INSC_IjEEEEPNS0_10empty_typeENS0_5tupleIJSE_SH_EEENSJ_IJSG_SI_EEENS0_18inequality_wrapperINS9_8equal_toIyEEEEPmJSH_EEE10hipError_tPvRmT3_T4_T5_T6_T7_T9_mT8_P12ihipStream_tbDpT10_ENKUlT_T0_E_clISt17integral_constantIbLb0EES1A_EEDaS15_S16_EUlS15_E_NS1_11comp_targetILNS1_3genE10ELNS1_11target_archE1200ELNS1_3gpuE4ELNS1_3repE0EEENS1_30default_config_static_selectorELNS0_4arch9wavefront6targetE0EEEvT1_,comdat
.Lfunc_end538:
	.size	_ZN7rocprim17ROCPRIM_400000_NS6detail17trampoline_kernelINS0_14default_configENS1_25partition_config_selectorILNS1_17partition_subalgoE9EyjbEEZZNS1_14partition_implILS5_9ELb0ES3_jN6thrust23THRUST_200600_302600_NS6detail15normal_iteratorINS9_10device_ptrIyEEEENSB_INSC_IjEEEEPNS0_10empty_typeENS0_5tupleIJSE_SH_EEENSJ_IJSG_SI_EEENS0_18inequality_wrapperINS9_8equal_toIyEEEEPmJSH_EEE10hipError_tPvRmT3_T4_T5_T6_T7_T9_mT8_P12ihipStream_tbDpT10_ENKUlT_T0_E_clISt17integral_constantIbLb0EES1A_EEDaS15_S16_EUlS15_E_NS1_11comp_targetILNS1_3genE10ELNS1_11target_archE1200ELNS1_3gpuE4ELNS1_3repE0EEENS1_30default_config_static_selectorELNS0_4arch9wavefront6targetE0EEEvT1_, .Lfunc_end538-_ZN7rocprim17ROCPRIM_400000_NS6detail17trampoline_kernelINS0_14default_configENS1_25partition_config_selectorILNS1_17partition_subalgoE9EyjbEEZZNS1_14partition_implILS5_9ELb0ES3_jN6thrust23THRUST_200600_302600_NS6detail15normal_iteratorINS9_10device_ptrIyEEEENSB_INSC_IjEEEEPNS0_10empty_typeENS0_5tupleIJSE_SH_EEENSJ_IJSG_SI_EEENS0_18inequality_wrapperINS9_8equal_toIyEEEEPmJSH_EEE10hipError_tPvRmT3_T4_T5_T6_T7_T9_mT8_P12ihipStream_tbDpT10_ENKUlT_T0_E_clISt17integral_constantIbLb0EES1A_EEDaS15_S16_EUlS15_E_NS1_11comp_targetILNS1_3genE10ELNS1_11target_archE1200ELNS1_3gpuE4ELNS1_3repE0EEENS1_30default_config_static_selectorELNS0_4arch9wavefront6targetE0EEEvT1_
                                        ; -- End function
	.section	.AMDGPU.csdata,"",@progbits
; Kernel info:
; codeLenInByte = 0
; NumSgprs: 0
; NumVgprs: 0
; ScratchSize: 0
; MemoryBound: 0
; FloatMode: 240
; IeeeMode: 1
; LDSByteSize: 0 bytes/workgroup (compile time only)
; SGPRBlocks: 0
; VGPRBlocks: 0
; NumSGPRsForWavesPerEU: 1
; NumVGPRsForWavesPerEU: 1
; Occupancy: 15
; WaveLimiterHint : 0
; COMPUTE_PGM_RSRC2:SCRATCH_EN: 0
; COMPUTE_PGM_RSRC2:USER_SGPR: 15
; COMPUTE_PGM_RSRC2:TRAP_HANDLER: 0
; COMPUTE_PGM_RSRC2:TGID_X_EN: 1
; COMPUTE_PGM_RSRC2:TGID_Y_EN: 0
; COMPUTE_PGM_RSRC2:TGID_Z_EN: 0
; COMPUTE_PGM_RSRC2:TIDIG_COMP_CNT: 0
	.section	.text._ZN7rocprim17ROCPRIM_400000_NS6detail17trampoline_kernelINS0_14default_configENS1_25partition_config_selectorILNS1_17partition_subalgoE9EyjbEEZZNS1_14partition_implILS5_9ELb0ES3_jN6thrust23THRUST_200600_302600_NS6detail15normal_iteratorINS9_10device_ptrIyEEEENSB_INSC_IjEEEEPNS0_10empty_typeENS0_5tupleIJSE_SH_EEENSJ_IJSG_SI_EEENS0_18inequality_wrapperINS9_8equal_toIyEEEEPmJSH_EEE10hipError_tPvRmT3_T4_T5_T6_T7_T9_mT8_P12ihipStream_tbDpT10_ENKUlT_T0_E_clISt17integral_constantIbLb0EES1A_EEDaS15_S16_EUlS15_E_NS1_11comp_targetILNS1_3genE9ELNS1_11target_archE1100ELNS1_3gpuE3ELNS1_3repE0EEENS1_30default_config_static_selectorELNS0_4arch9wavefront6targetE0EEEvT1_,"axG",@progbits,_ZN7rocprim17ROCPRIM_400000_NS6detail17trampoline_kernelINS0_14default_configENS1_25partition_config_selectorILNS1_17partition_subalgoE9EyjbEEZZNS1_14partition_implILS5_9ELb0ES3_jN6thrust23THRUST_200600_302600_NS6detail15normal_iteratorINS9_10device_ptrIyEEEENSB_INSC_IjEEEEPNS0_10empty_typeENS0_5tupleIJSE_SH_EEENSJ_IJSG_SI_EEENS0_18inequality_wrapperINS9_8equal_toIyEEEEPmJSH_EEE10hipError_tPvRmT3_T4_T5_T6_T7_T9_mT8_P12ihipStream_tbDpT10_ENKUlT_T0_E_clISt17integral_constantIbLb0EES1A_EEDaS15_S16_EUlS15_E_NS1_11comp_targetILNS1_3genE9ELNS1_11target_archE1100ELNS1_3gpuE3ELNS1_3repE0EEENS1_30default_config_static_selectorELNS0_4arch9wavefront6targetE0EEEvT1_,comdat
	.protected	_ZN7rocprim17ROCPRIM_400000_NS6detail17trampoline_kernelINS0_14default_configENS1_25partition_config_selectorILNS1_17partition_subalgoE9EyjbEEZZNS1_14partition_implILS5_9ELb0ES3_jN6thrust23THRUST_200600_302600_NS6detail15normal_iteratorINS9_10device_ptrIyEEEENSB_INSC_IjEEEEPNS0_10empty_typeENS0_5tupleIJSE_SH_EEENSJ_IJSG_SI_EEENS0_18inequality_wrapperINS9_8equal_toIyEEEEPmJSH_EEE10hipError_tPvRmT3_T4_T5_T6_T7_T9_mT8_P12ihipStream_tbDpT10_ENKUlT_T0_E_clISt17integral_constantIbLb0EES1A_EEDaS15_S16_EUlS15_E_NS1_11comp_targetILNS1_3genE9ELNS1_11target_archE1100ELNS1_3gpuE3ELNS1_3repE0EEENS1_30default_config_static_selectorELNS0_4arch9wavefront6targetE0EEEvT1_ ; -- Begin function _ZN7rocprim17ROCPRIM_400000_NS6detail17trampoline_kernelINS0_14default_configENS1_25partition_config_selectorILNS1_17partition_subalgoE9EyjbEEZZNS1_14partition_implILS5_9ELb0ES3_jN6thrust23THRUST_200600_302600_NS6detail15normal_iteratorINS9_10device_ptrIyEEEENSB_INSC_IjEEEEPNS0_10empty_typeENS0_5tupleIJSE_SH_EEENSJ_IJSG_SI_EEENS0_18inequality_wrapperINS9_8equal_toIyEEEEPmJSH_EEE10hipError_tPvRmT3_T4_T5_T6_T7_T9_mT8_P12ihipStream_tbDpT10_ENKUlT_T0_E_clISt17integral_constantIbLb0EES1A_EEDaS15_S16_EUlS15_E_NS1_11comp_targetILNS1_3genE9ELNS1_11target_archE1100ELNS1_3gpuE3ELNS1_3repE0EEENS1_30default_config_static_selectorELNS0_4arch9wavefront6targetE0EEEvT1_
	.globl	_ZN7rocprim17ROCPRIM_400000_NS6detail17trampoline_kernelINS0_14default_configENS1_25partition_config_selectorILNS1_17partition_subalgoE9EyjbEEZZNS1_14partition_implILS5_9ELb0ES3_jN6thrust23THRUST_200600_302600_NS6detail15normal_iteratorINS9_10device_ptrIyEEEENSB_INSC_IjEEEEPNS0_10empty_typeENS0_5tupleIJSE_SH_EEENSJ_IJSG_SI_EEENS0_18inequality_wrapperINS9_8equal_toIyEEEEPmJSH_EEE10hipError_tPvRmT3_T4_T5_T6_T7_T9_mT8_P12ihipStream_tbDpT10_ENKUlT_T0_E_clISt17integral_constantIbLb0EES1A_EEDaS15_S16_EUlS15_E_NS1_11comp_targetILNS1_3genE9ELNS1_11target_archE1100ELNS1_3gpuE3ELNS1_3repE0EEENS1_30default_config_static_selectorELNS0_4arch9wavefront6targetE0EEEvT1_
	.p2align	8
	.type	_ZN7rocprim17ROCPRIM_400000_NS6detail17trampoline_kernelINS0_14default_configENS1_25partition_config_selectorILNS1_17partition_subalgoE9EyjbEEZZNS1_14partition_implILS5_9ELb0ES3_jN6thrust23THRUST_200600_302600_NS6detail15normal_iteratorINS9_10device_ptrIyEEEENSB_INSC_IjEEEEPNS0_10empty_typeENS0_5tupleIJSE_SH_EEENSJ_IJSG_SI_EEENS0_18inequality_wrapperINS9_8equal_toIyEEEEPmJSH_EEE10hipError_tPvRmT3_T4_T5_T6_T7_T9_mT8_P12ihipStream_tbDpT10_ENKUlT_T0_E_clISt17integral_constantIbLb0EES1A_EEDaS15_S16_EUlS15_E_NS1_11comp_targetILNS1_3genE9ELNS1_11target_archE1100ELNS1_3gpuE3ELNS1_3repE0EEENS1_30default_config_static_selectorELNS0_4arch9wavefront6targetE0EEEvT1_,@function
_ZN7rocprim17ROCPRIM_400000_NS6detail17trampoline_kernelINS0_14default_configENS1_25partition_config_selectorILNS1_17partition_subalgoE9EyjbEEZZNS1_14partition_implILS5_9ELb0ES3_jN6thrust23THRUST_200600_302600_NS6detail15normal_iteratorINS9_10device_ptrIyEEEENSB_INSC_IjEEEEPNS0_10empty_typeENS0_5tupleIJSE_SH_EEENSJ_IJSG_SI_EEENS0_18inequality_wrapperINS9_8equal_toIyEEEEPmJSH_EEE10hipError_tPvRmT3_T4_T5_T6_T7_T9_mT8_P12ihipStream_tbDpT10_ENKUlT_T0_E_clISt17integral_constantIbLb0EES1A_EEDaS15_S16_EUlS15_E_NS1_11comp_targetILNS1_3genE9ELNS1_11target_archE1100ELNS1_3gpuE3ELNS1_3repE0EEENS1_30default_config_static_selectorELNS0_4arch9wavefront6targetE0EEEvT1_: ; @_ZN7rocprim17ROCPRIM_400000_NS6detail17trampoline_kernelINS0_14default_configENS1_25partition_config_selectorILNS1_17partition_subalgoE9EyjbEEZZNS1_14partition_implILS5_9ELb0ES3_jN6thrust23THRUST_200600_302600_NS6detail15normal_iteratorINS9_10device_ptrIyEEEENSB_INSC_IjEEEEPNS0_10empty_typeENS0_5tupleIJSE_SH_EEENSJ_IJSG_SI_EEENS0_18inequality_wrapperINS9_8equal_toIyEEEEPmJSH_EEE10hipError_tPvRmT3_T4_T5_T6_T7_T9_mT8_P12ihipStream_tbDpT10_ENKUlT_T0_E_clISt17integral_constantIbLb0EES1A_EEDaS15_S16_EUlS15_E_NS1_11comp_targetILNS1_3genE9ELNS1_11target_archE1100ELNS1_3gpuE3ELNS1_3repE0EEENS1_30default_config_static_selectorELNS0_4arch9wavefront6targetE0EEEvT1_
; %bb.0:
	s_clause 0x4
	s_load_b128 s[4:7], s[0:1], 0x8
	s_load_b32 s14, s[0:1], 0x68
	s_load_b128 s[16:19], s[0:1], 0x40
	s_load_b64 s[2:3], s[0:1], 0x50
	s_load_b64 s[12:13], s[0:1], 0x18
	s_mov_b32 s9, 0
	v_lshlrev_b32_e32 v47, 3, v0
	v_lshrrev_b32_e32 v24, 2, v0
	v_or_b32_e32 v21, 0x200, v0
	v_or_b32_e32 v20, 0x400, v0
	;; [unrolled: 1-line block ×7, first 2 shown]
	s_waitcnt lgkmcnt(0)
	s_lshl_b64 s[10:11], s[6:7], 3
	s_delay_alu instid0(SALU_CYCLE_1)
	s_add_u32 s21, s4, s10
	s_addc_u32 s22, s5, s11
	s_add_i32 s20, s14, -1
	s_load_b64 s[10:11], s[18:19], 0x0
	s_lshl_b32 s4, s20, 12
	s_lshl_b32 s5, s14, 12
	s_add_i32 s4, s6, s4
	s_lshl_b32 s8, s15, 12
	s_sub_i32 s19, s2, s4
	s_add_u32 s4, s6, s5
	s_addc_u32 s5, s7, 0
	s_cmp_eq_u32 s15, s20
	v_cmp_ge_u64_e64 s2, s[4:5], s[2:3]
	s_cselect_b32 s14, -1, 0
	s_mov_b32 s5, -1
	s_delay_alu instid0(VALU_DEP_1)
	s_and_b32 s20, s14, s2
	s_lshl_b64 s[2:3], s[8:9], 3
	s_xor_b32 s18, s20, -1
	s_add_u32 s4, s21, s2
	s_addc_u32 s3, s22, s3
	s_and_b32 vcc_lo, exec_lo, s18
	s_cbranch_vccz .LBB539_2
; %bb.1:
	v_add_co_u32 v1, s2, s4, v47
	s_delay_alu instid0(VALU_DEP_1) | instskip(SKIP_1) | instid1(VALU_DEP_3)
	v_add_co_ci_u32_e64 v2, null, s3, 0, s2
	v_lshrrev_b32_e32 v26, 2, v21
	v_add_co_u32 v3, vcc_lo, 0x1000, v1
	s_delay_alu instid0(VALU_DEP_3)
	v_add_co_ci_u32_e32 v4, vcc_lo, 0, v2, vcc_lo
	v_add_co_u32 v5, vcc_lo, 0x2000, v1
	v_add_co_ci_u32_e32 v6, vcc_lo, 0, v2, vcc_lo
	v_add_co_u32 v7, vcc_lo, 0x3000, v1
	v_add_co_ci_u32_e32 v8, vcc_lo, 0, v2, vcc_lo
	v_add_co_u32 v9, vcc_lo, 0x4000, v1
	v_add_co_ci_u32_e32 v10, vcc_lo, 0, v2, vcc_lo
	v_add_co_u32 v11, vcc_lo, 0x5000, v1
	v_add_co_ci_u32_e32 v12, vcc_lo, 0, v2, vcc_lo
	v_add_co_u32 v13, vcc_lo, 0x6000, v1
	v_add_co_ci_u32_e32 v14, vcc_lo, 0, v2, vcc_lo
	v_add_co_u32 v15, vcc_lo, 0x7000, v1
	v_add_co_ci_u32_e32 v16, vcc_lo, 0, v2, vcc_lo
	s_clause 0x7
	flat_load_b64 v[1:2], v[1:2]
	flat_load_b64 v[3:4], v[3:4]
	;; [unrolled: 1-line block ×8, first 2 shown]
	v_lshrrev_b32_e32 v27, 2, v20
	v_lshrrev_b32_e32 v28, 2, v23
	;; [unrolled: 1-line block ×3, first 2 shown]
	v_and_b32_e32 v25, 0x78, v24
	v_lshrrev_b32_e32 v30, 2, v18
	v_lshrrev_b32_e32 v31, 2, v17
	;; [unrolled: 1-line block ×3, first 2 shown]
	v_and_b32_e32 v26, 0xf8, v26
	v_and_b32_e32 v27, 0x178, v27
	;; [unrolled: 1-line block ×4, first 2 shown]
	v_add_nc_u32_e32 v25, v25, v47
	v_and_b32_e32 v30, 0x2f8, v30
	v_and_b32_e32 v31, 0x378, v31
	;; [unrolled: 1-line block ×3, first 2 shown]
	v_add_nc_u32_e32 v26, v26, v47
	v_add_nc_u32_e32 v27, v27, v47
	;; [unrolled: 1-line block ×4, first 2 shown]
	s_mov_b32 s5, s9
	v_add_nc_u32_e32 v30, v30, v47
	v_add_nc_u32_e32 v31, v31, v47
	;; [unrolled: 1-line block ×3, first 2 shown]
	s_waitcnt vmcnt(7) lgkmcnt(0)
	ds_store_b64 v25, v[1:2]
	s_waitcnt vmcnt(6)
	ds_store_b64 v26, v[3:4] offset:4096
	s_waitcnt vmcnt(5)
	ds_store_b64 v27, v[5:6] offset:8192
	s_waitcnt vmcnt(4)
	ds_store_b64 v28, v[7:8] offset:12288
	s_waitcnt vmcnt(3)
	ds_store_b64 v29, v[9:10] offset:16384
	s_waitcnt vmcnt(2)
	ds_store_b64 v30, v[11:12] offset:20480
	s_waitcnt vmcnt(1)
	ds_store_b64 v31, v[13:14] offset:24576
	s_waitcnt vmcnt(0)
	ds_store_b64 v32, v[15:16] offset:28672
	s_waitcnt lgkmcnt(0)
	s_barrier
.LBB539_2:
	v_cmp_gt_u32_e64 s2, s19, v0
	s_and_not1_b32 vcc_lo, exec_lo, s5
	s_cbranch_vccnz .LBB539_20
; %bb.3:
                                        ; implicit-def: $vgpr1_vgpr2_vgpr3_vgpr4_vgpr5_vgpr6_vgpr7_vgpr8_vgpr9_vgpr10_vgpr11_vgpr12_vgpr13_vgpr14_vgpr15_vgpr16
	s_delay_alu instid0(VALU_DEP_1)
	s_and_saveexec_b32 s5, s2
	s_cbranch_execz .LBB539_11
; %bb.4:
	v_add_co_u32 v1, s2, s4, v47
	s_delay_alu instid0(VALU_DEP_1) | instskip(SKIP_2) | instid1(SALU_CYCLE_1)
	v_add_co_ci_u32_e64 v2, null, s3, 0, s2
	flat_load_b64 v[1:2], v[1:2]
	s_or_b32 exec_lo, exec_lo, s5
	s_mov_b32 s2, exec_lo
	v_cmpx_gt_u32_e64 s19, v21
	s_cbranch_execnz .LBB539_12
.LBB539_5:
	s_or_b32 exec_lo, exec_lo, s2
	s_delay_alu instid0(SALU_CYCLE_1)
	s_mov_b32 s2, exec_lo
	v_cmpx_gt_u32_e64 s19, v20
	s_cbranch_execz .LBB539_13
.LBB539_6:
	v_lshlrev_b32_e32 v5, 3, v20
	s_delay_alu instid0(VALU_DEP_1) | instskip(NEXT) | instid1(VALU_DEP_1)
	v_add_co_u32 v5, s5, s4, v5
	v_add_co_ci_u32_e64 v6, null, s3, 0, s5
	flat_load_b64 v[5:6], v[5:6]
	s_or_b32 exec_lo, exec_lo, s2
	s_delay_alu instid0(SALU_CYCLE_1)
	s_mov_b32 s2, exec_lo
	v_cmpx_gt_u32_e64 s19, v23
	s_cbranch_execnz .LBB539_14
.LBB539_7:
	s_or_b32 exec_lo, exec_lo, s2
	s_delay_alu instid0(SALU_CYCLE_1)
	s_mov_b32 s2, exec_lo
	v_cmpx_gt_u32_e64 s19, v22
	s_cbranch_execz .LBB539_15
.LBB539_8:
	v_lshlrev_b32_e32 v9, 3, v22
	s_delay_alu instid0(VALU_DEP_1) | instskip(NEXT) | instid1(VALU_DEP_1)
	v_add_co_u32 v9, s5, s4, v9
	v_add_co_ci_u32_e64 v10, null, s3, 0, s5
	flat_load_b64 v[9:10], v[9:10]
	s_or_b32 exec_lo, exec_lo, s2
	s_delay_alu instid0(SALU_CYCLE_1)
	s_mov_b32 s2, exec_lo
	v_cmpx_gt_u32_e64 s19, v18
	s_cbranch_execnz .LBB539_16
.LBB539_9:
	s_or_b32 exec_lo, exec_lo, s2
	s_delay_alu instid0(SALU_CYCLE_1)
	s_mov_b32 s2, exec_lo
	v_cmpx_gt_u32_e64 s19, v17
	s_cbranch_execz .LBB539_17
.LBB539_10:
	v_lshlrev_b32_e32 v13, 3, v17
	s_delay_alu instid0(VALU_DEP_1) | instskip(NEXT) | instid1(VALU_DEP_1)
	v_add_co_u32 v13, s5, s4, v13
	v_add_co_ci_u32_e64 v14, null, s3, 0, s5
	flat_load_b64 v[13:14], v[13:14]
	s_or_b32 exec_lo, exec_lo, s2
	s_delay_alu instid0(SALU_CYCLE_1)
	s_mov_b32 s2, exec_lo
	v_cmpx_gt_u32_e64 s19, v19
	s_cbranch_execnz .LBB539_18
	s_branch .LBB539_19
.LBB539_11:
	s_or_b32 exec_lo, exec_lo, s5
	s_delay_alu instid0(SALU_CYCLE_1)
	s_mov_b32 s2, exec_lo
	v_cmpx_gt_u32_e64 s19, v21
	s_cbranch_execz .LBB539_5
.LBB539_12:
	v_lshlrev_b32_e32 v3, 3, v21
	s_delay_alu instid0(VALU_DEP_1) | instskip(NEXT) | instid1(VALU_DEP_1)
	v_add_co_u32 v3, s5, s4, v3
	v_add_co_ci_u32_e64 v4, null, s3, 0, s5
	flat_load_b64 v[3:4], v[3:4]
	s_or_b32 exec_lo, exec_lo, s2
	s_delay_alu instid0(SALU_CYCLE_1)
	s_mov_b32 s2, exec_lo
	v_cmpx_gt_u32_e64 s19, v20
	s_cbranch_execnz .LBB539_6
.LBB539_13:
	s_or_b32 exec_lo, exec_lo, s2
	s_delay_alu instid0(SALU_CYCLE_1)
	s_mov_b32 s2, exec_lo
	v_cmpx_gt_u32_e64 s19, v23
	s_cbranch_execz .LBB539_7
.LBB539_14:
	v_lshlrev_b32_e32 v7, 3, v23
	s_delay_alu instid0(VALU_DEP_1) | instskip(NEXT) | instid1(VALU_DEP_1)
	v_add_co_u32 v7, s5, s4, v7
	v_add_co_ci_u32_e64 v8, null, s3, 0, s5
	flat_load_b64 v[7:8], v[7:8]
	s_or_b32 exec_lo, exec_lo, s2
	s_delay_alu instid0(SALU_CYCLE_1)
	s_mov_b32 s2, exec_lo
	v_cmpx_gt_u32_e64 s19, v22
	s_cbranch_execnz .LBB539_8
.LBB539_15:
	s_or_b32 exec_lo, exec_lo, s2
	s_delay_alu instid0(SALU_CYCLE_1)
	s_mov_b32 s2, exec_lo
	v_cmpx_gt_u32_e64 s19, v18
	s_cbranch_execz .LBB539_9
.LBB539_16:
	v_lshlrev_b32_e32 v11, 3, v18
	s_delay_alu instid0(VALU_DEP_1) | instskip(NEXT) | instid1(VALU_DEP_1)
	v_add_co_u32 v11, s5, s4, v11
	v_add_co_ci_u32_e64 v12, null, s3, 0, s5
	flat_load_b64 v[11:12], v[11:12]
	s_or_b32 exec_lo, exec_lo, s2
	s_delay_alu instid0(SALU_CYCLE_1)
	s_mov_b32 s2, exec_lo
	v_cmpx_gt_u32_e64 s19, v17
	s_cbranch_execnz .LBB539_10
.LBB539_17:
	s_or_b32 exec_lo, exec_lo, s2
	s_delay_alu instid0(SALU_CYCLE_1)
	s_mov_b32 s2, exec_lo
	v_cmpx_gt_u32_e64 s19, v19
	s_cbranch_execz .LBB539_19
.LBB539_18:
	v_lshlrev_b32_e32 v15, 3, v19
	s_delay_alu instid0(VALU_DEP_1) | instskip(NEXT) | instid1(VALU_DEP_1)
	v_add_co_u32 v15, s5, s4, v15
	v_add_co_ci_u32_e64 v16, null, s3, 0, s5
	flat_load_b64 v[15:16], v[15:16]
.LBB539_19:
	s_or_b32 exec_lo, exec_lo, s2
	v_lshrrev_b32_e32 v25, 2, v21
	v_lshrrev_b32_e32 v26, 2, v20
	;; [unrolled: 1-line block ×4, first 2 shown]
	v_and_b32_e32 v27, 0x78, v24
	v_lshrrev_b32_e32 v30, 2, v18
	v_lshrrev_b32_e32 v31, 2, v17
	;; [unrolled: 1-line block ×3, first 2 shown]
	v_and_b32_e32 v25, 0xf8, v25
	v_and_b32_e32 v26, 0x1f8, v26
	;; [unrolled: 1-line block ×4, first 2 shown]
	v_add_nc_u32_e32 v27, v27, v47
	v_and_b32_e32 v30, 0x3f8, v30
	v_and_b32_e32 v31, 0x3f8, v31
	;; [unrolled: 1-line block ×3, first 2 shown]
	v_add_nc_u32_e32 v25, v25, v47
	v_add_nc_u32_e32 v26, v26, v47
	;; [unrolled: 1-line block ×7, first 2 shown]
	s_waitcnt vmcnt(0) lgkmcnt(0)
	ds_store_b64 v27, v[1:2]
	ds_store_b64 v25, v[3:4] offset:4096
	ds_store_b64 v26, v[5:6] offset:8192
	;; [unrolled: 1-line block ×7, first 2 shown]
	s_waitcnt lgkmcnt(0)
	s_barrier
.LBB539_20:
	v_add_nc_u32_e32 v24, v24, v47
	s_waitcnt lgkmcnt(0)
	buffer_gl0_inv
	s_lshl_b64 s[22:23], s[6:7], 2
	v_lshrrev_b32_e32 v26, 3, v0
	s_add_u32 s2, s12, s22
	v_lshlrev_b32_e32 v25, 3, v24
	s_addc_u32 s5, s13, s23
	s_lshl_b64 s[8:9], s[8:9], 2
	ds_load_2addr_b64 v[13:16], v25 offset1:1
	ds_load_2addr_b64 v[9:12], v25 offset0:2 offset1:3
	ds_load_2addr_b64 v[5:8], v25 offset0:4 offset1:5
	;; [unrolled: 1-line block ×3, first 2 shown]
	s_add_u32 s2, s2, s8
	s_addc_u32 s5, s5, s9
	s_and_b32 vcc_lo, exec_lo, s18
	s_mov_b32 s8, -1
	s_waitcnt lgkmcnt(0)
	s_barrier
	buffer_gl0_inv
	s_cbranch_vccz .LBB539_22
; %bb.21:
	v_lshlrev_b32_e32 v35, 2, v0
	v_lshrrev_b32_e32 v37, 3, v21
	v_lshrrev_b32_e32 v38, 3, v20
	;; [unrolled: 1-line block ×4, first 2 shown]
	v_add_co_u32 v27, s8, s2, v35
	s_delay_alu instid0(VALU_DEP_1) | instskip(SKIP_1) | instid1(VALU_DEP_3)
	v_add_co_ci_u32_e64 v28, null, s5, 0, s8
	v_lshrrev_b32_e32 v41, 3, v18
	v_add_co_u32 v29, vcc_lo, 0x1000, v27
	s_delay_alu instid0(VALU_DEP_3)
	v_add_co_ci_u32_e32 v30, vcc_lo, 0, v28, vcc_lo
	v_add_co_u32 v31, vcc_lo, 0x2000, v27
	v_add_co_ci_u32_e32 v32, vcc_lo, 0, v28, vcc_lo
	v_add_co_u32 v33, vcc_lo, 0x3000, v27
	v_add_co_ci_u32_e32 v34, vcc_lo, 0, v28, vcc_lo
	s_clause 0x7
	flat_load_b32 v36, v[27:28]
	flat_load_b32 v27, v[27:28] offset:2048
	flat_load_b32 v28, v[29:30]
	flat_load_b32 v29, v[29:30] offset:2048
	;; [unrolled: 2-line block ×4, first 2 shown]
	v_and_b32_e32 v34, 60, v26
	v_lshrrev_b32_e32 v42, 3, v17
	v_lshrrev_b32_e32 v43, 3, v19
	v_and_b32_e32 v37, 0x7c, v37
	v_and_b32_e32 v38, 0xbc, v38
	;; [unrolled: 1-line block ×4, first 2 shown]
	v_add_nc_u32_e32 v34, v34, v35
	v_and_b32_e32 v41, 0x17c, v41
	v_and_b32_e32 v42, 0x1bc, v42
	;; [unrolled: 1-line block ×3, first 2 shown]
	v_add_nc_u32_e32 v37, v37, v35
	v_add_nc_u32_e32 v38, v38, v35
	;; [unrolled: 1-line block ×4, first 2 shown]
	s_mov_b32 s8, 0
	v_add_nc_u32_e32 v41, v41, v35
	v_add_nc_u32_e32 v42, v42, v35
	;; [unrolled: 1-line block ×3, first 2 shown]
	s_waitcnt vmcnt(7) lgkmcnt(7)
	ds_store_b32 v34, v36
	s_waitcnt vmcnt(6) lgkmcnt(7)
	ds_store_b32 v37, v27 offset:2048
	s_waitcnt vmcnt(5) lgkmcnt(7)
	ds_store_b32 v38, v28 offset:4096
	;; [unrolled: 2-line block ×7, first 2 shown]
	s_waitcnt lgkmcnt(0)
	s_barrier
.LBB539_22:
	s_and_not1_b32 vcc_lo, exec_lo, s8
	s_cbranch_vccnz .LBB539_40
; %bb.23:
	s_mov_b32 s8, exec_lo
                                        ; implicit-def: $vgpr27
	v_cmpx_gt_u32_e64 s19, v0
	s_cbranch_execz .LBB539_25
; %bb.24:
	v_lshlrev_b32_e32 v27, 2, v0
	s_delay_alu instid0(VALU_DEP_1) | instskip(NEXT) | instid1(VALU_DEP_1)
	v_add_co_u32 v27, s9, s2, v27
	v_add_co_ci_u32_e64 v28, null, s5, 0, s9
	flat_load_b32 v27, v[27:28]
.LBB539_25:
	s_or_b32 exec_lo, exec_lo, s8
	s_delay_alu instid0(SALU_CYCLE_1)
	s_mov_b32 s8, exec_lo
                                        ; implicit-def: $vgpr28
	v_cmpx_gt_u32_e64 s19, v21
	s_cbranch_execz .LBB539_27
; %bb.26:
	v_lshlrev_b32_e32 v28, 2, v0
	s_delay_alu instid0(VALU_DEP_1) | instskip(NEXT) | instid1(VALU_DEP_1)
	v_add_co_u32 v28, s9, s2, v28
	v_add_co_ci_u32_e64 v29, null, s5, 0, s9
	flat_load_b32 v28, v[28:29] offset:2048
.LBB539_27:
	s_or_b32 exec_lo, exec_lo, s8
	s_delay_alu instid0(SALU_CYCLE_1)
	s_mov_b32 s8, exec_lo
                                        ; implicit-def: $vgpr29
	v_cmpx_gt_u32_e64 s19, v20
	s_cbranch_execz .LBB539_29
; %bb.28:
	v_lshlrev_b32_e32 v29, 2, v20
	s_delay_alu instid0(VALU_DEP_1) | instskip(NEXT) | instid1(VALU_DEP_1)
	v_add_co_u32 v29, s9, s2, v29
	v_add_co_ci_u32_e64 v30, null, s5, 0, s9
	flat_load_b32 v29, v[29:30]
.LBB539_29:
	s_or_b32 exec_lo, exec_lo, s8
	s_delay_alu instid0(SALU_CYCLE_1)
	s_mov_b32 s8, exec_lo
                                        ; implicit-def: $vgpr30
	v_cmpx_gt_u32_e64 s19, v23
	s_cbranch_execz .LBB539_31
; %bb.30:
	v_lshlrev_b32_e32 v30, 2, v23
	s_delay_alu instid0(VALU_DEP_1) | instskip(NEXT) | instid1(VALU_DEP_1)
	v_add_co_u32 v30, s9, s2, v30
	v_add_co_ci_u32_e64 v31, null, s5, 0, s9
	flat_load_b32 v30, v[30:31]
.LBB539_31:
	s_or_b32 exec_lo, exec_lo, s8
	s_delay_alu instid0(SALU_CYCLE_1)
	s_mov_b32 s8, exec_lo
                                        ; implicit-def: $vgpr31
	v_cmpx_gt_u32_e64 s19, v22
	s_cbranch_execz .LBB539_33
; %bb.32:
	v_lshlrev_b32_e32 v31, 2, v22
	s_delay_alu instid0(VALU_DEP_1) | instskip(NEXT) | instid1(VALU_DEP_1)
	v_add_co_u32 v31, s9, s2, v31
	v_add_co_ci_u32_e64 v32, null, s5, 0, s9
	flat_load_b32 v31, v[31:32]
.LBB539_33:
	s_or_b32 exec_lo, exec_lo, s8
	s_delay_alu instid0(SALU_CYCLE_1)
	s_mov_b32 s8, exec_lo
                                        ; implicit-def: $vgpr32
	v_cmpx_gt_u32_e64 s19, v18
	s_cbranch_execz .LBB539_35
; %bb.34:
	v_lshlrev_b32_e32 v32, 2, v18
	s_delay_alu instid0(VALU_DEP_1) | instskip(NEXT) | instid1(VALU_DEP_1)
	v_add_co_u32 v32, s9, s2, v32
	v_add_co_ci_u32_e64 v33, null, s5, 0, s9
	flat_load_b32 v32, v[32:33]
.LBB539_35:
	s_or_b32 exec_lo, exec_lo, s8
	s_delay_alu instid0(SALU_CYCLE_1)
	s_mov_b32 s8, exec_lo
                                        ; implicit-def: $vgpr33
	v_cmpx_gt_u32_e64 s19, v17
	s_cbranch_execz .LBB539_37
; %bb.36:
	v_lshlrev_b32_e32 v33, 2, v17
	s_delay_alu instid0(VALU_DEP_1) | instskip(NEXT) | instid1(VALU_DEP_1)
	v_add_co_u32 v33, s9, s2, v33
	v_add_co_ci_u32_e64 v34, null, s5, 0, s9
	flat_load_b32 v33, v[33:34]
.LBB539_37:
	s_or_b32 exec_lo, exec_lo, s8
	s_delay_alu instid0(SALU_CYCLE_1)
	s_mov_b32 s8, exec_lo
                                        ; implicit-def: $vgpr34
	v_cmpx_gt_u32_e64 s19, v19
	s_cbranch_execz .LBB539_39
; %bb.38:
	v_lshlrev_b32_e32 v34, 2, v19
	s_delay_alu instid0(VALU_DEP_1) | instskip(NEXT) | instid1(VALU_DEP_1)
	v_add_co_u32 v34, s2, s2, v34
	v_add_co_ci_u32_e64 v35, null, s5, 0, s2
	flat_load_b32 v34, v[34:35]
.LBB539_39:
	s_or_b32 exec_lo, exec_lo, s8
	v_lshrrev_b32_e32 v21, 3, v21
	v_lshrrev_b32_e32 v20, 3, v20
	;; [unrolled: 1-line block ×4, first 2 shown]
	v_and_b32_e32 v26, 60, v26
	v_lshlrev_b32_e32 v35, 2, v0
	v_lshrrev_b32_e32 v18, 3, v18
	v_lshrrev_b32_e32 v17, 3, v17
	;; [unrolled: 1-line block ×3, first 2 shown]
	v_and_b32_e32 v21, 0x7c, v21
	v_and_b32_e32 v20, 0xfc, v20
	;; [unrolled: 1-line block ×4, first 2 shown]
	v_add_nc_u32_e32 v26, v26, v35
	v_and_b32_e32 v18, 0x1fc, v18
	v_and_b32_e32 v17, 0x1fc, v17
	;; [unrolled: 1-line block ×3, first 2 shown]
	v_add_nc_u32_e32 v21, v21, v35
	v_add_nc_u32_e32 v20, v20, v35
	;; [unrolled: 1-line block ×7, first 2 shown]
	s_waitcnt vmcnt(0) lgkmcnt(0)
	ds_store_b32 v26, v27
	ds_store_b32 v21, v28 offset:2048
	ds_store_b32 v20, v29 offset:4096
	ds_store_b32 v23, v30 offset:6144
	ds_store_b32 v22, v31 offset:8192
	ds_store_b32 v18, v32 offset:10240
	ds_store_b32 v17, v33 offset:12288
	ds_store_b32 v19, v34 offset:14336
	s_waitcnt lgkmcnt(0)
	s_barrier
.LBB539_40:
	v_lshlrev_b32_e32 v17, 2, v24
	buffer_gl0_inv
	s_cmp_lg_u32 s15, 0
	s_mov_b32 s12, 0
	s_cselect_b32 s9, -1, 0
	v_sub_nc_u32_e32 v17, v25, v17
	s_cmp_lg_u64 s[6:7], 0
	ds_load_2addr_b32 v[23:24], v17 offset1:1
	ds_load_2addr_b32 v[21:22], v17 offset0:2 offset1:3
	ds_load_2addr_b32 v[19:20], v17 offset0:4 offset1:5
	ds_load_2addr_b32 v[17:18], v17 offset0:6 offset1:7
	s_cselect_b32 s2, -1, 0
	s_waitcnt lgkmcnt(0)
	s_or_b32 s2, s9, s2
	s_barrier
	s_and_b32 vcc_lo, exec_lo, s2
	buffer_gl0_inv
	s_cbranch_vccz .LBB539_45
; %bb.41:
	v_add_co_u32 v25, s2, -8, s4
	s_delay_alu instid0(VALU_DEP_1)
	v_add_co_ci_u32_e64 v26, null, -1, s3, s2
	s_mov_b32 s3, -1
	s_and_b32 vcc_lo, exec_lo, s18
	flat_load_b64 v[27:28], v[25:26]
	ds_store_b64 v47, v[3:4]
	s_cbranch_vccz .LBB539_46
; %bb.42:
	s_waitcnt vmcnt(0) lgkmcnt(1)
	v_dual_mov_b32 v25, v27 :: v_dual_mov_b32 v26, v28
	s_mov_b32 s3, 0
	s_mov_b32 s2, exec_lo
	s_waitcnt lgkmcnt(0)
	s_barrier
	buffer_gl0_inv
	v_cmpx_ne_u32_e32 0, v0
	s_cbranch_execz .LBB539_44
; %bb.43:
	v_add_nc_u32_e32 v25, -8, v47
	ds_load_b64 v[25:26], v25
.LBB539_44:
	s_or_b32 exec_lo, exec_lo, s2
	v_cmp_ne_u64_e32 vcc_lo, v[1:2], v[3:4]
	s_waitcnt lgkmcnt(0)
	v_cmp_ne_u64_e64 s2, v[25:26], v[13:14]
	v_cndmask_b32_e64 v29, 0, 1, vcc_lo
	v_cmp_ne_u64_e32 vcc_lo, v[7:8], v[1:2]
	s_delay_alu instid0(VALU_DEP_2) | instskip(SKIP_2) | instid1(VALU_DEP_2)
	v_lshlrev_b16 v29, 8, v29
	v_cndmask_b32_e64 v30, 0, 1, vcc_lo
	v_cmp_ne_u64_e32 vcc_lo, v[5:6], v[7:8]
	v_or_b32_e32 v29, v30, v29
	v_cndmask_b32_e64 v31, 0, 1, vcc_lo
	v_cmp_ne_u64_e32 vcc_lo, v[9:10], v[11:12]
	s_delay_alu instid0(VALU_DEP_3) | instskip(NEXT) | instid1(VALU_DEP_3)
	v_lshlrev_b32_e32 v29, 16, v29
	v_lshlrev_b16 v31, 8, v31
	v_cndmask_b32_e64 v32, 0, 1, vcc_lo
	v_cmp_ne_u64_e32 vcc_lo, v[11:12], v[5:6]
	s_delay_alu instid0(VALU_DEP_2) | instskip(SKIP_2) | instid1(VALU_DEP_2)
	v_lshlrev_b16 v32, 8, v32
	v_cndmask_b32_e64 v33, 0, 1, vcc_lo
	v_cmp_ne_u64_e32 vcc_lo, v[15:16], v[9:10]
	v_or_b32_e32 v31, v33, v31
	v_cndmask_b32_e64 v34, 0, 1, vcc_lo
	v_cmp_ne_u64_e32 vcc_lo, v[13:14], v[15:16]
	s_delay_alu instid0(VALU_DEP_3) | instskip(NEXT) | instid1(VALU_DEP_3)
	v_and_b32_e32 v31, 0xffff, v31
	v_or_b32_e32 v32, v34, v32
	v_cndmask_b32_e64 v35, 0, 1, vcc_lo
	s_delay_alu instid0(VALU_DEP_3) | instskip(NEXT) | instid1(VALU_DEP_3)
	v_or_b32_e32 v26, v31, v29
	v_lshlrev_b32_e32 v30, 16, v32
	s_delay_alu instid0(VALU_DEP_3) | instskip(NEXT) | instid1(VALU_DEP_1)
	v_lshlrev_b16 v34, 8, v35
	v_and_b32_e32 v32, 0xffff, v34
	s_delay_alu instid0(VALU_DEP_1)
	v_or_b32_e32 v25, v32, v30
	s_and_b32 vcc_lo, exec_lo, s3
	s_cbranch_vccnz .LBB539_47
	s_branch .LBB539_50
.LBB539_45:
                                        ; implicit-def: $sgpr2
                                        ; implicit-def: $vgpr26
	s_branch .LBB539_51
.LBB539_46:
                                        ; implicit-def: $sgpr2
                                        ; implicit-def: $vgpr26
	s_and_b32 vcc_lo, exec_lo, s3
	s_cbranch_vccz .LBB539_50
.LBB539_47:
	s_mov_b32 s2, exec_lo
	s_waitcnt vmcnt(0) lgkmcnt(0)
	s_barrier
	buffer_gl0_inv
	v_cmpx_ne_u32_e32 0, v0
	s_cbranch_execz .LBB539_49
; %bb.48:
	v_add_nc_u32_e32 v25, -8, v47
	ds_load_b64 v[27:28], v25
.LBB539_49:
	s_or_b32 exec_lo, exec_lo, s2
	v_or_b32_e32 v25, 7, v47
	v_or_b32_e32 v26, 6, v47
	v_cmp_ne_u64_e32 vcc_lo, v[1:2], v[3:4]
	v_or_b32_e32 v29, 5, v47
	v_cmp_ne_u64_e64 s3, v[7:8], v[1:2]
	v_cmp_gt_u32_e64 s2, s19, v25
	v_cmp_gt_u32_e64 s4, s19, v26
	v_cmp_ne_u64_e64 s5, v[5:6], v[7:8]
	v_cmp_gt_u32_e64 s6, s19, v29
	v_or_b32_e32 v29, 3, v47
	s_and_b32 s2, s2, vcc_lo
	v_or_b32_e32 v30, 4, v47
	v_cndmask_b32_e64 v25, 0, 1, s2
	s_and_b32 s2, s4, s3
	v_cmp_ne_u64_e32 vcc_lo, v[9:10], v[11:12]
	v_cndmask_b32_e64 v26, 0, 1, s2
	s_and_b32 s2, s6, s5
	v_cmp_gt_u32_e64 s3, s19, v30
	v_cndmask_b32_e64 v31, 0, 1, s2
	v_cmp_gt_u32_e64 s2, s19, v29
	v_or_b32_e32 v29, 2, v47
	v_or_b32_e32 v30, 1, v47
	v_cmp_ne_u64_e64 s4, v[11:12], v[5:6]
	v_cmp_ne_u64_e64 s6, v[13:14], v[15:16]
	s_and_b32 s2, s2, vcc_lo
	v_cmp_ne_u64_e32 vcc_lo, v[15:16], v[9:10]
	v_cndmask_b32_e64 v32, 0, 1, s2
	v_cmp_gt_u32_e64 s2, s19, v29
	v_cmp_gt_u32_e64 s5, s19, v30
	s_and_b32 s3, s3, s4
	v_lshlrev_b16 v31, 8, v31
	v_cndmask_b32_e64 v29, 0, 1, s3
	s_and_b32 s2, s2, vcc_lo
	v_lshlrev_b16 v32, 8, v32
	v_cndmask_b32_e64 v30, 0, 1, s2
	s_and_b32 s2, s5, s6
	v_lshlrev_b16 v25, 8, v25
	v_cndmask_b32_e64 v33, 0, 1, s2
	v_or_b32_e32 v29, v29, v31
	v_or_b32_e32 v30, v30, v32
	s_waitcnt lgkmcnt(0)
	v_cmp_ne_u64_e32 vcc_lo, v[27:28], v[13:14]
	v_or_b32_e32 v25, v26, v25
	v_lshlrev_b16 v32, 8, v33
	v_and_b32_e32 v29, 0xffff, v29
	v_lshlrev_b32_e32 v26, 16, v30
	v_cmp_gt_u32_e64 s2, s19, v47
	v_lshlrev_b32_e32 v31, 16, v25
	v_and_b32_e32 v30, 0xffff, v32
	s_delay_alu instid0(VALU_DEP_3) | instskip(NEXT) | instid1(VALU_DEP_1)
	s_and_b32 s2, s2, vcc_lo
	v_or_b32_e32 v25, v30, v26
	s_delay_alu instid0(VALU_DEP_3)
	v_or_b32_e32 v26, v29, v31
.LBB539_50:
	s_mov_b32 s12, -1
	s_cbranch_execnz .LBB539_59
.LBB539_51:
	v_cmp_ne_u64_e64 s3, v[1:2], v[3:4]
	v_cmp_ne_u64_e64 s4, v[7:8], v[1:2]
	;; [unrolled: 1-line block ×7, first 2 shown]
	s_and_b32 vcc_lo, exec_lo, s18
	ds_store_b64 v47, v[3:4]
	s_cbranch_vccz .LBB539_55
; %bb.52:
	v_cndmask_b32_e64 v25, 0, 1, s3
	s_waitcnt vmcnt(0) lgkmcnt(2)
	v_cndmask_b32_e64 v27, 0, 1, s5
	v_cndmask_b32_e64 v29, 0, 1, s7
	v_cndmask_b32_e64 v30, 0, 1, s8
	v_cndmask_b32_e64 v26, 0, 1, s4
	v_cndmask_b32_e64 v28, 0, 1, s6
	v_cndmask_b32_e64 v31, 0, 1, s2
	v_lshlrev_b16 v27, 8, v27
	v_lshlrev_b16 v25, 8, v25
	;; [unrolled: 1-line block ×4, first 2 shown]
	s_mov_b32 s3, 0
	v_or_b32_e32 v27, v28, v27
	v_or_b32_e32 v25, v26, v25
	;; [unrolled: 1-line block ×4, first 2 shown]
	s_mov_b32 s4, exec_lo
	v_and_b32_e32 v27, 0xffff, v27
	v_lshlrev_b32_e32 v25, 16, v25
	v_lshlrev_b32_e32 v29, 16, v26
	v_and_b32_e32 v28, 0xffff, v28
	s_waitcnt lgkmcnt(0)
	s_barrier
	v_or_b32_e32 v26, v27, v25
	buffer_gl0_inv
	v_or_b32_e32 v25, v28, v29
                                        ; implicit-def: $sgpr2
	v_cmpx_ne_u32_e32 0, v0
	s_xor_b32 s4, exec_lo, s4
	s_cbranch_execz .LBB539_54
; %bb.53:
	v_add_nc_u32_e32 v27, -8, v47
	s_or_b32 s12, s12, exec_lo
	ds_load_b64 v[27:28], v27
	s_waitcnt lgkmcnt(0)
	v_cmp_ne_u64_e32 vcc_lo, v[27:28], v[13:14]
	s_and_b32 s2, vcc_lo, exec_lo
.LBB539_54:
	s_or_b32 exec_lo, exec_lo, s4
	s_delay_alu instid0(SALU_CYCLE_1)
	s_and_b32 vcc_lo, exec_lo, s3
	s_cbranch_vccnz .LBB539_56
	s_branch .LBB539_59
.LBB539_55:
                                        ; implicit-def: $sgpr2
                                        ; implicit-def: $vgpr26
	s_cbranch_execz .LBB539_59
.LBB539_56:
	v_or_b32_e32 v25, 7, v47
	v_or_b32_e32 v26, 6, v47
	v_cmp_ne_u64_e32 vcc_lo, v[1:2], v[3:4]
	v_cmp_ne_u64_e64 s2, v[7:8], v[1:2]
	s_waitcnt vmcnt(0) lgkmcnt(2)
	v_or_b32_e32 v27, 4, v47
	v_cmp_gt_u32_e64 s3, s19, v25
	v_or_b32_e32 v25, 5, v47
	v_cmp_gt_u32_e64 s5, s19, v26
	v_cmp_ne_u64_e64 s4, v[5:6], v[7:8]
	v_cmp_ne_u64_e64 s6, v[11:12], v[5:6]
	s_and_b32 s3, s3, vcc_lo
	v_cmp_gt_u32_e32 vcc_lo, s19, v25
	v_cndmask_b32_e64 v26, 0, 1, s3
	v_cmp_gt_u32_e64 s3, s19, v27
	s_and_b32 s2, s5, s2
	v_or_b32_e32 v28, 3, v47
	v_cndmask_b32_e64 v25, 0, 1, s2
	s_and_b32 s2, vcc_lo, s4
	v_or_b32_e32 v30, 1, v47
	v_cndmask_b32_e64 v27, 0, 1, s2
	s_and_b32 s2, s3, s6
	v_cmp_ne_u64_e32 vcc_lo, v[9:10], v[11:12]
	v_cndmask_b32_e64 v29, 0, 1, s2
	v_cmp_gt_u32_e64 s2, s19, v28
	v_cmp_ne_u64_e64 s3, v[13:14], v[15:16]
	v_or_b32_e32 v31, 2, v47
	v_cmp_gt_u32_e64 s4, s19, v30
	v_cmp_ne_u64_e64 s5, v[15:16], v[9:10]
	s_and_b32 s2, s2, vcc_lo
	v_lshlrev_b16 v27, 8, v27
	v_cmp_gt_u32_e64 s6, s19, v31
	v_cndmask_b32_e64 v28, 0, 1, s2
	s_and_b32 s2, s4, s3
	v_lshlrev_b16 v26, 8, v26
	v_cndmask_b32_e64 v30, 0, 1, s2
	s_and_b32 s2, s6, s5
	v_lshlrev_b16 v28, 8, v28
	v_cndmask_b32_e64 v31, 0, 1, s2
	v_or_b32_e32 v27, v29, v27
	v_lshlrev_b16 v30, 8, v30
	v_or_b32_e32 v25, v25, v26
	s_mov_b32 s3, exec_lo
	v_or_b32_e32 v26, v31, v28
	v_and_b32_e32 v27, 0xffff, v27
	v_or_b32_e32 v28, 1, v30
	v_lshlrev_b32_e32 v25, 16, v25
	s_waitcnt lgkmcnt(0)
	v_lshlrev_b32_e32 v29, 16, v26
	s_barrier
	v_and_b32_e32 v28, 0xffff, v28
	v_or_b32_e32 v26, v27, v25
	buffer_gl0_inv
                                        ; implicit-def: $sgpr2
	v_or_b32_e32 v25, v28, v29
	v_cmpx_ne_u32_e32 0, v0
	s_cbranch_execz .LBB539_58
; %bb.57:
	v_add_nc_u32_e32 v27, -8, v47
	v_cmp_gt_u32_e64 s2, s19, v47
	s_or_b32 s12, s12, exec_lo
	ds_load_b64 v[27:28], v27
	s_waitcnt lgkmcnt(0)
	v_cmp_ne_u64_e32 vcc_lo, v[27:28], v[13:14]
	s_and_b32 s2, s2, vcc_lo
	s_delay_alu instid0(SALU_CYCLE_1)
	s_and_b32 s2, s2, exec_lo
.LBB539_58:
	s_or_b32 exec_lo, exec_lo, s3
.LBB539_59:
	s_and_saveexec_b32 s3, s12
	s_cbranch_execz .LBB539_61
; %bb.60:
	s_waitcnt vmcnt(0) lgkmcnt(1)
	v_and_b32_e32 v27, 0xffffff00, v25
	v_cndmask_b32_e64 v28, 0, 1, s2
	s_delay_alu instid0(VALU_DEP_1) | instskip(NEXT) | instid1(VALU_DEP_1)
	v_or_b32_e32 v27, v28, v27
	v_and_b32_e32 v27, 0xffff, v27
	s_delay_alu instid0(VALU_DEP_1)
	v_and_or_b32 v25, 0xffff0000, v25, v27
.LBB539_61:
	s_or_b32 exec_lo, exec_lo, s3
	s_load_b64 s[12:13], s[0:1], 0x60
	s_and_not1_b32 vcc_lo, exec_lo, s20
	s_cbranch_vccnz .LBB539_63
; %bb.62:
	v_cmp_gt_u32_e32 vcc_lo, s19, v47
	s_waitcnt vmcnt(0) lgkmcnt(0)
	v_or_b32_e32 v28, 1, v47
	v_and_b32_e32 v29, 0xffffff00, v26
	v_or_b32_e32 v30, 2, v47
	v_cndmask_b32_e32 v27, 0, v25, vcc_lo
	s_delay_alu instid0(VALU_DEP_4) | instskip(SKIP_1) | instid1(VALU_DEP_4)
	v_cmp_gt_u32_e32 vcc_lo, s19, v28
	v_or_b32_e32 v28, 4, v47
	v_cmp_gt_u32_e64 s2, s19, v30
	v_or_b32_e32 v30, 3, v47
	v_and_b32_e32 v27, 0xff, v27
	s_delay_alu instid0(VALU_DEP_2) | instskip(NEXT) | instid1(VALU_DEP_2)
	v_cmp_gt_u32_e64 s3, s19, v30
	v_cndmask_b32_e32 v27, v27, v25, vcc_lo
	v_cmp_gt_u32_e32 vcc_lo, s19, v28
	v_cndmask_b32_e32 v28, v29, v26, vcc_lo
	v_or_b32_e32 v29, 5, v47
	s_delay_alu instid0(VALU_DEP_2) | instskip(SKIP_1) | instid1(VALU_DEP_1)
	v_and_b32_e32 v28, 0xffff00ff, v28
	v_and_b32_e32 v27, 0xffff, v27
	v_cndmask_b32_e64 v27, v27, v25, s2
	s_delay_alu instid0(VALU_DEP_4) | instskip(SKIP_1) | instid1(VALU_DEP_3)
	v_cmp_gt_u32_e64 s2, s19, v29
	v_or_b32_e32 v29, 6, v47
	v_and_b32_e32 v27, 0xffffff, v27
	s_delay_alu instid0(VALU_DEP_3) | instskip(NEXT) | instid1(VALU_DEP_2)
	v_cndmask_b32_e64 v28, v28, v26, s2
	v_cndmask_b32_e64 v27, v27, v25, s3
	s_delay_alu instid0(VALU_DEP_1) | instskip(SKIP_2) | instid1(VALU_DEP_3)
	v_dual_cndmask_b32 v27, v27, v25 :: v_dual_and_b32 v28, 0xff00ffff, v28
	v_cmp_gt_u32_e32 vcc_lo, s19, v29
	v_or_b32_e32 v29, 7, v47
	v_cndmask_b32_e64 v27, v27, v25, s2
	s_delay_alu instid0(VALU_DEP_1) | instskip(NEXT) | instid1(VALU_DEP_1)
	v_dual_cndmask_b32 v28, v28, v26 :: v_dual_cndmask_b32 v27, v27, v25
	v_and_b32_e32 v28, 0xffffff, v28
	s_delay_alu instid0(VALU_DEP_4) | instskip(NEXT) | instid1(VALU_DEP_2)
	v_cmp_gt_u32_e32 vcc_lo, s19, v29
	v_dual_cndmask_b32 v26, v28, v26 :: v_dual_cndmask_b32 v25, v27, v25
.LBB539_63:
	s_delay_alu instid0(VALU_DEP_1) | instskip(SKIP_1) | instid1(VALU_DEP_2)
	v_and_b32_e32 v36, 0xff, v25
	s_waitcnt vmcnt(0) lgkmcnt(0)
	v_alignbit_b32 v27, v26, v25, 24
	v_bfe_u32 v38, v25, 8, 8
	v_bfe_u32 v40, v25, 16, 8
	v_and_b32_e32 v44, 0xff, v26
	v_bfe_u32 v46, v26, 8, 8
	v_and_b32_e32 v42, 0xff, v27
	v_add_nc_u32_e32 v27, v38, v36
	v_mbcnt_lo_u32_b32 v50, -1, 0
	v_bfe_u32 v49, v26, 16, 8
	v_lshrrev_b32_e32 v48, 24, v26
	v_lshrrev_b32_e32 v51, 5, v0
	v_add3_u32 v27, v27, v40, v42
	v_and_b32_e32 v28, 15, v50
	v_and_b32_e32 v29, 16, v50
	s_and_b32 vcc_lo, exec_lo, s9
	s_mov_b32 s9, -1
	v_add3_u32 v27, v27, v44, v46
	v_cmp_eq_u32_e64 s4, 0, v28
	v_cmp_lt_u32_e64 s2, 1, v28
	v_cmp_lt_u32_e64 s5, 3, v28
	;; [unrolled: 1-line block ×3, first 2 shown]
	v_add3_u32 v52, v27, v49, v48
	v_or_b32_e32 v27, 31, v0
	v_cmp_eq_u32_e64 s7, 0, v29
	s_barrier
	buffer_gl0_inv
	v_cmp_eq_u32_e64 s6, v27, v0
	s_cbranch_vccz .LBB539_89
; %bb.64:
	v_mov_b32_dpp v27, v52 row_shr:1 row_mask:0xf bank_mask:0xf
	s_delay_alu instid0(VALU_DEP_1) | instskip(NEXT) | instid1(VALU_DEP_1)
	v_cndmask_b32_e64 v27, v27, 0, s4
	v_add_nc_u32_e32 v27, v27, v52
	s_delay_alu instid0(VALU_DEP_1) | instskip(NEXT) | instid1(VALU_DEP_1)
	v_mov_b32_dpp v28, v27 row_shr:2 row_mask:0xf bank_mask:0xf
	v_cndmask_b32_e64 v28, 0, v28, s2
	s_delay_alu instid0(VALU_DEP_1) | instskip(NEXT) | instid1(VALU_DEP_1)
	v_add_nc_u32_e32 v27, v27, v28
	v_mov_b32_dpp v28, v27 row_shr:4 row_mask:0xf bank_mask:0xf
	s_delay_alu instid0(VALU_DEP_1) | instskip(NEXT) | instid1(VALU_DEP_1)
	v_cndmask_b32_e64 v28, 0, v28, s5
	v_add_nc_u32_e32 v27, v27, v28
	s_delay_alu instid0(VALU_DEP_1) | instskip(NEXT) | instid1(VALU_DEP_1)
	v_mov_b32_dpp v28, v27 row_shr:8 row_mask:0xf bank_mask:0xf
	v_cndmask_b32_e64 v28, 0, v28, s3
	s_delay_alu instid0(VALU_DEP_1) | instskip(SKIP_3) | instid1(VALU_DEP_1)
	v_add_nc_u32_e32 v27, v27, v28
	ds_swizzle_b32 v28, v27 offset:swizzle(BROADCAST,32,15)
	s_waitcnt lgkmcnt(0)
	v_cndmask_b32_e64 v28, v28, 0, s7
	v_add_nc_u32_e32 v27, v27, v28
	s_and_saveexec_b32 s8, s6
	s_cbranch_execz .LBB539_66
; %bb.65:
	v_lshlrev_b32_e32 v28, 2, v51
	ds_store_b32 v28, v27
.LBB539_66:
	s_or_b32 exec_lo, exec_lo, s8
	s_delay_alu instid0(SALU_CYCLE_1)
	s_mov_b32 s8, exec_lo
	s_waitcnt lgkmcnt(0)
	s_barrier
	buffer_gl0_inv
	v_cmpx_gt_u32_e32 16, v0
	s_cbranch_execz .LBB539_68
; %bb.67:
	v_lshlrev_b32_e32 v28, 2, v0
	ds_load_b32 v29, v28
	s_waitcnt lgkmcnt(0)
	v_mov_b32_dpp v30, v29 row_shr:1 row_mask:0xf bank_mask:0xf
	s_delay_alu instid0(VALU_DEP_1) | instskip(NEXT) | instid1(VALU_DEP_1)
	v_cndmask_b32_e64 v30, v30, 0, s4
	v_add_nc_u32_e32 v29, v30, v29
	s_delay_alu instid0(VALU_DEP_1) | instskip(NEXT) | instid1(VALU_DEP_1)
	v_mov_b32_dpp v30, v29 row_shr:2 row_mask:0xf bank_mask:0xf
	v_cndmask_b32_e64 v30, 0, v30, s2
	s_delay_alu instid0(VALU_DEP_1) | instskip(NEXT) | instid1(VALU_DEP_1)
	v_add_nc_u32_e32 v29, v29, v30
	v_mov_b32_dpp v30, v29 row_shr:4 row_mask:0xf bank_mask:0xf
	s_delay_alu instid0(VALU_DEP_1) | instskip(NEXT) | instid1(VALU_DEP_1)
	v_cndmask_b32_e64 v30, 0, v30, s5
	v_add_nc_u32_e32 v29, v29, v30
	s_delay_alu instid0(VALU_DEP_1) | instskip(NEXT) | instid1(VALU_DEP_1)
	v_mov_b32_dpp v30, v29 row_shr:8 row_mask:0xf bank_mask:0xf
	v_cndmask_b32_e64 v30, 0, v30, s3
	s_delay_alu instid0(VALU_DEP_1)
	v_add_nc_u32_e32 v29, v29, v30
	ds_store_b32 v28, v29
.LBB539_68:
	s_or_b32 exec_lo, exec_lo, s8
	v_cmp_gt_u32_e32 vcc_lo, 32, v0
	s_mov_b32 s9, exec_lo
	s_waitcnt lgkmcnt(0)
	s_barrier
	buffer_gl0_inv
                                        ; implicit-def: $vgpr35
	v_cmpx_lt_u32_e32 31, v0
	s_cbranch_execz .LBB539_70
; %bb.69:
	v_lshl_add_u32 v28, v51, 2, -4
	ds_load_b32 v35, v28
	s_waitcnt lgkmcnt(0)
	v_add_nc_u32_e32 v27, v35, v27
.LBB539_70:
	s_or_b32 exec_lo, exec_lo, s9
	v_add_nc_u32_e32 v28, -1, v50
	s_delay_alu instid0(VALU_DEP_1) | instskip(NEXT) | instid1(VALU_DEP_1)
	v_cmp_gt_i32_e64 s8, 0, v28
	v_cndmask_b32_e64 v28, v28, v50, s8
	v_cmp_eq_u32_e64 s8, 0, v50
	s_delay_alu instid0(VALU_DEP_2)
	v_lshlrev_b32_e32 v28, 2, v28
	ds_bpermute_b32 v37, v28, v27
	s_and_saveexec_b32 s9, vcc_lo
	s_cbranch_execz .LBB539_88
; %bb.71:
	v_mov_b32_e32 v31, 0
	ds_load_b32 v27, v31 offset:60
	s_and_saveexec_b32 s19, s8
	s_cbranch_execz .LBB539_73
; %bb.72:
	s_add_i32 s20, s15, 32
	s_mov_b32 s21, 0
	v_mov_b32_e32 v28, 1
	s_lshl_b64 s[20:21], s[20:21], 3
	s_delay_alu instid0(SALU_CYCLE_1)
	s_add_u32 s20, s12, s20
	s_addc_u32 s21, s13, s21
	s_waitcnt lgkmcnt(0)
	global_store_b64 v31, v[27:28], s[20:21]
.LBB539_73:
	s_or_b32 exec_lo, exec_lo, s19
	v_xad_u32 v29, v50, -1, s15
	s_mov_b32 s20, 0
	s_mov_b32 s19, exec_lo
	s_delay_alu instid0(VALU_DEP_1) | instskip(NEXT) | instid1(VALU_DEP_1)
	v_add_nc_u32_e32 v30, 32, v29
	v_lshlrev_b64 v[30:31], 3, v[30:31]
	s_delay_alu instid0(VALU_DEP_1) | instskip(NEXT) | instid1(VALU_DEP_2)
	v_add_co_u32 v33, vcc_lo, s12, v30
	v_add_co_ci_u32_e32 v34, vcc_lo, s13, v31, vcc_lo
	global_load_b64 v[31:32], v[33:34], off glc
	s_waitcnt vmcnt(0)
	v_and_b32_e32 v28, 0xff, v32
	s_delay_alu instid0(VALU_DEP_1)
	v_cmpx_eq_u16_e32 0, v28
	s_cbranch_execz .LBB539_76
.LBB539_74:                             ; =>This Inner Loop Header: Depth=1
	global_load_b64 v[31:32], v[33:34], off glc
	s_waitcnt vmcnt(0)
	v_and_b32_e32 v28, 0xff, v32
	s_delay_alu instid0(VALU_DEP_1) | instskip(SKIP_1) | instid1(SALU_CYCLE_1)
	v_cmp_ne_u16_e32 vcc_lo, 0, v28
	s_or_b32 s20, vcc_lo, s20
	s_and_not1_b32 exec_lo, exec_lo, s20
	s_cbranch_execnz .LBB539_74
; %bb.75:
	s_or_b32 exec_lo, exec_lo, s20
.LBB539_76:
	s_delay_alu instid0(SALU_CYCLE_1)
	s_or_b32 exec_lo, exec_lo, s19
	v_cmp_ne_u32_e32 vcc_lo, 31, v50
	v_lshlrev_b32_e64 v41, v50, -1
	v_add_nc_u32_e32 v45, 2, v50
	v_add_nc_u32_e32 v58, 16, v50
	v_add_co_ci_u32_e32 v28, vcc_lo, 0, v50, vcc_lo
	s_delay_alu instid0(VALU_DEP_1)
	v_lshlrev_b32_e32 v39, 2, v28
	v_and_b32_e32 v28, 0xff, v32
	ds_bpermute_b32 v30, v39, v31
	v_cmp_eq_u16_e32 vcc_lo, 2, v28
	v_and_or_b32 v28, vcc_lo, v41, 0x80000000
	v_cmp_gt_u32_e32 vcc_lo, 30, v50
	s_delay_alu instid0(VALU_DEP_2) | instskip(SKIP_1) | instid1(VALU_DEP_2)
	v_ctz_i32_b32_e32 v28, v28
	v_cndmask_b32_e64 v33, 0, 1, vcc_lo
	v_cmp_lt_u32_e32 vcc_lo, v50, v28
	s_waitcnt lgkmcnt(0)
	s_delay_alu instid0(VALU_DEP_2) | instskip(NEXT) | instid1(VALU_DEP_1)
	v_dual_cndmask_b32 v30, 0, v30 :: v_dual_lshlrev_b32 v33, 1, v33
	v_add_lshl_u32 v43, v33, v50, 2
	v_cmp_gt_u32_e32 vcc_lo, 28, v50
	s_delay_alu instid0(VALU_DEP_3) | instskip(SKIP_4) | instid1(VALU_DEP_1)
	v_add_nc_u32_e32 v30, v30, v31
	v_cndmask_b32_e64 v33, 0, 1, vcc_lo
	v_cmp_le_u32_e32 vcc_lo, v45, v28
	ds_bpermute_b32 v31, v43, v30
	v_lshlrev_b32_e32 v33, 2, v33
	v_add_lshl_u32 v53, v33, v50, 2
	s_waitcnt lgkmcnt(0)
	v_cndmask_b32_e32 v31, 0, v31, vcc_lo
	v_cmp_gt_u32_e32 vcc_lo, 24, v50
	s_delay_alu instid0(VALU_DEP_2) | instskip(SKIP_4) | instid1(VALU_DEP_2)
	v_add_nc_u32_e32 v30, v30, v31
	v_cndmask_b32_e64 v33, 0, 1, vcc_lo
	ds_bpermute_b32 v31, v53, v30
	v_add_nc_u32_e32 v54, 4, v50
	v_lshlrev_b32_e32 v33, 3, v33
	v_cmp_le_u32_e32 vcc_lo, v54, v28
	s_delay_alu instid0(VALU_DEP_2) | instskip(SKIP_3) | instid1(VALU_DEP_2)
	v_add_lshl_u32 v55, v33, v50, 2
	s_waitcnt lgkmcnt(0)
	v_cndmask_b32_e32 v31, 0, v31, vcc_lo
	v_cmp_gt_u32_e32 vcc_lo, 16, v50
	v_add_nc_u32_e32 v30, v30, v31
	v_cndmask_b32_e64 v33, 0, 1, vcc_lo
	ds_bpermute_b32 v31, v55, v30
	v_add_nc_u32_e32 v56, 8, v50
	v_lshlrev_b32_e32 v33, 4, v33
	s_delay_alu instid0(VALU_DEP_2) | instskip(NEXT) | instid1(VALU_DEP_2)
	v_cmp_le_u32_e32 vcc_lo, v56, v28
	v_add_lshl_u32 v57, v33, v50, 2
	s_waitcnt lgkmcnt(0)
	v_cndmask_b32_e32 v31, 0, v31, vcc_lo
	v_cmp_le_u32_e32 vcc_lo, v58, v28
	s_delay_alu instid0(VALU_DEP_2) | instskip(SKIP_3) | instid1(VALU_DEP_1)
	v_add_nc_u32_e32 v30, v30, v31
	ds_bpermute_b32 v31, v57, v30
	s_waitcnt lgkmcnt(0)
	v_cndmask_b32_e32 v28, 0, v31, vcc_lo
	v_dual_mov_b32 v30, 0 :: v_dual_add_nc_u32 v31, v30, v28
	s_branch .LBB539_78
.LBB539_77:                             ;   in Loop: Header=BB539_78 Depth=1
	s_or_b32 exec_lo, exec_lo, s19
	ds_bpermute_b32 v34, v39, v31
	v_and_b32_e32 v33, 0xff, v32
	v_subrev_nc_u32_e32 v29, 32, v29
	s_delay_alu instid0(VALU_DEP_2) | instskip(SKIP_1) | instid1(VALU_DEP_1)
	v_cmp_eq_u16_e32 vcc_lo, 2, v33
	v_and_or_b32 v33, vcc_lo, v41, 0x80000000
	v_ctz_i32_b32_e32 v33, v33
	s_delay_alu instid0(VALU_DEP_1) | instskip(SKIP_3) | instid1(VALU_DEP_2)
	v_cmp_lt_u32_e32 vcc_lo, v50, v33
	s_waitcnt lgkmcnt(0)
	v_cndmask_b32_e32 v34, 0, v34, vcc_lo
	v_cmp_le_u32_e32 vcc_lo, v45, v33
	v_add_nc_u32_e32 v31, v34, v31
	ds_bpermute_b32 v34, v43, v31
	s_waitcnt lgkmcnt(0)
	v_cndmask_b32_e32 v34, 0, v34, vcc_lo
	v_cmp_le_u32_e32 vcc_lo, v54, v33
	s_delay_alu instid0(VALU_DEP_2) | instskip(SKIP_4) | instid1(VALU_DEP_2)
	v_add_nc_u32_e32 v31, v31, v34
	ds_bpermute_b32 v34, v53, v31
	s_waitcnt lgkmcnt(0)
	v_cndmask_b32_e32 v34, 0, v34, vcc_lo
	v_cmp_le_u32_e32 vcc_lo, v56, v33
	v_add_nc_u32_e32 v31, v31, v34
	ds_bpermute_b32 v34, v55, v31
	s_waitcnt lgkmcnt(0)
	v_cndmask_b32_e32 v34, 0, v34, vcc_lo
	v_cmp_le_u32_e32 vcc_lo, v58, v33
	s_delay_alu instid0(VALU_DEP_2) | instskip(SKIP_3) | instid1(VALU_DEP_1)
	v_add_nc_u32_e32 v31, v31, v34
	ds_bpermute_b32 v34, v57, v31
	s_waitcnt lgkmcnt(0)
	v_cndmask_b32_e32 v33, 0, v34, vcc_lo
	v_add3_u32 v31, v33, v28, v31
.LBB539_78:                             ; =>This Loop Header: Depth=1
                                        ;     Child Loop BB539_81 Depth 2
	v_and_b32_e32 v28, 0xff, v32
	s_delay_alu instid0(VALU_DEP_1) | instskip(SKIP_2) | instid1(VALU_DEP_1)
	v_cmp_ne_u16_e32 vcc_lo, 2, v28
	v_cndmask_b32_e64 v28, 0, 1, vcc_lo
	;;#ASMSTART
	;;#ASMEND
	v_cmp_ne_u32_e32 vcc_lo, 0, v28
	v_mov_b32_e32 v28, v31
	s_cmp_lg_u32 vcc_lo, exec_lo
	s_cbranch_scc1 .LBB539_83
; %bb.79:                               ;   in Loop: Header=BB539_78 Depth=1
	v_lshlrev_b64 v[31:32], 3, v[29:30]
	s_mov_b32 s19, exec_lo
	s_delay_alu instid0(VALU_DEP_1) | instskip(NEXT) | instid1(VALU_DEP_2)
	v_add_co_u32 v33, vcc_lo, s12, v31
	v_add_co_ci_u32_e32 v34, vcc_lo, s13, v32, vcc_lo
	global_load_b64 v[31:32], v[33:34], off glc
	s_waitcnt vmcnt(0)
	v_and_b32_e32 v59, 0xff, v32
	s_delay_alu instid0(VALU_DEP_1)
	v_cmpx_eq_u16_e32 0, v59
	s_cbranch_execz .LBB539_77
; %bb.80:                               ;   in Loop: Header=BB539_78 Depth=1
	s_mov_b32 s20, 0
.LBB539_81:                             ;   Parent Loop BB539_78 Depth=1
                                        ; =>  This Inner Loop Header: Depth=2
	global_load_b64 v[31:32], v[33:34], off glc
	s_waitcnt vmcnt(0)
	v_and_b32_e32 v59, 0xff, v32
	s_delay_alu instid0(VALU_DEP_1) | instskip(SKIP_1) | instid1(SALU_CYCLE_1)
	v_cmp_ne_u16_e32 vcc_lo, 0, v59
	s_or_b32 s20, vcc_lo, s20
	s_and_not1_b32 exec_lo, exec_lo, s20
	s_cbranch_execnz .LBB539_81
; %bb.82:                               ;   in Loop: Header=BB539_78 Depth=1
	s_or_b32 exec_lo, exec_lo, s20
	s_branch .LBB539_77
.LBB539_83:                             ;   in Loop: Header=BB539_78 Depth=1
                                        ; implicit-def: $vgpr31
                                        ; implicit-def: $vgpr32
	s_cbranch_execz .LBB539_78
; %bb.84:
	s_and_saveexec_b32 s19, s8
	s_cbranch_execz .LBB539_86
; %bb.85:
	s_add_i32 s20, s15, 32
	s_mov_b32 s21, 0
	v_dual_mov_b32 v30, 2 :: v_dual_add_nc_u32 v29, v28, v27
	s_lshl_b64 s[20:21], s[20:21], 3
	v_mov_b32_e32 v31, 0
	s_add_u32 s20, s12, s20
	s_addc_u32 s21, s13, s21
	global_store_b64 v31, v[29:30], s[20:21]
	ds_store_b64 v31, v[27:28] offset:33792
.LBB539_86:
	s_or_b32 exec_lo, exec_lo, s19
	v_cmp_eq_u32_e32 vcc_lo, 0, v0
	s_and_b32 exec_lo, exec_lo, vcc_lo
	s_cbranch_execz .LBB539_88
; %bb.87:
	v_mov_b32_e32 v27, 0
	ds_store_b32 v27, v28 offset:60
.LBB539_88:
	s_or_b32 exec_lo, exec_lo, s9
	v_mov_b32_e32 v27, 0
	s_waitcnt lgkmcnt(0)
	s_waitcnt_vscnt null, 0x0
	s_barrier
	buffer_gl0_inv
	v_cndmask_b32_e64 v29, v37, v35, s8
	ds_load_b32 v28, v27 offset:60
	v_cmp_ne_u32_e32 vcc_lo, 0, v0
	s_waitcnt lgkmcnt(0)
	s_barrier
	buffer_gl0_inv
	v_cndmask_b32_e32 v29, 0, v29, vcc_lo
	s_delay_alu instid0(VALU_DEP_1) | instskip(SKIP_2) | instid1(VALU_DEP_1)
	v_add_nc_u32_e32 v45, v28, v29
	ds_load_b64 v[27:28], v27 offset:33792
	v_add_nc_u32_e32 v43, v45, v36
	v_add_nc_u32_e32 v41, v43, v38
	s_delay_alu instid0(VALU_DEP_1) | instskip(NEXT) | instid1(VALU_DEP_1)
	v_add_nc_u32_e32 v39, v41, v40
	v_add_nc_u32_e32 v37, v39, v42
	s_waitcnt lgkmcnt(0)
	v_readfirstlane_b32 s8, v28
	s_delay_alu instid0(VALU_DEP_2) | instskip(NEXT) | instid1(VALU_DEP_1)
	v_add_nc_u32_e32 v35, v37, v44
	v_add_nc_u32_e32 v33, v35, v46
	s_delay_alu instid0(VALU_DEP_1)
	v_add_nc_u32_e32 v31, v33, v49
	v_lshrrev_b64 v[29:30], 24, v[25:26]
	s_branch .LBB539_99
.LBB539_89:
                                        ; implicit-def: $vgpr31
                                        ; implicit-def: $vgpr33
                                        ; implicit-def: $vgpr35
                                        ; implicit-def: $vgpr37
                                        ; implicit-def: $vgpr39
                                        ; implicit-def: $vgpr41
                                        ; implicit-def: $vgpr43
                                        ; implicit-def: $vgpr45
                                        ; implicit-def: $sgpr8
                                        ; implicit-def: $vgpr27
	v_lshrrev_b64 v[29:30], 24, v[25:26]
	s_and_b32 vcc_lo, exec_lo, s9
	s_cbranch_vccz .LBB539_99
; %bb.90:
	v_mov_b32_dpp v27, v52 row_shr:1 row_mask:0xf bank_mask:0xf
	s_delay_alu instid0(VALU_DEP_1) | instskip(NEXT) | instid1(VALU_DEP_1)
	v_cndmask_b32_e64 v27, v27, 0, s4
	v_add_nc_u32_e32 v27, v27, v52
	s_delay_alu instid0(VALU_DEP_1) | instskip(NEXT) | instid1(VALU_DEP_1)
	v_mov_b32_dpp v28, v27 row_shr:2 row_mask:0xf bank_mask:0xf
	v_cndmask_b32_e64 v28, 0, v28, s2
	s_delay_alu instid0(VALU_DEP_1) | instskip(NEXT) | instid1(VALU_DEP_1)
	v_add_nc_u32_e32 v27, v27, v28
	v_mov_b32_dpp v28, v27 row_shr:4 row_mask:0xf bank_mask:0xf
	s_delay_alu instid0(VALU_DEP_1) | instskip(NEXT) | instid1(VALU_DEP_1)
	v_cndmask_b32_e64 v28, 0, v28, s5
	v_add_nc_u32_e32 v27, v27, v28
	s_delay_alu instid0(VALU_DEP_1) | instskip(NEXT) | instid1(VALU_DEP_1)
	v_mov_b32_dpp v28, v27 row_shr:8 row_mask:0xf bank_mask:0xf
	v_cndmask_b32_e64 v28, 0, v28, s3
	s_delay_alu instid0(VALU_DEP_1) | instskip(SKIP_3) | instid1(VALU_DEP_1)
	v_add_nc_u32_e32 v27, v27, v28
	ds_swizzle_b32 v28, v27 offset:swizzle(BROADCAST,32,15)
	s_waitcnt lgkmcnt(0)
	v_cndmask_b32_e64 v28, v28, 0, s7
	v_add_nc_u32_e32 v27, v27, v28
	s_and_saveexec_b32 s7, s6
	s_cbranch_execz .LBB539_92
; %bb.91:
	v_lshlrev_b32_e32 v28, 2, v51
	ds_store_b32 v28, v27
.LBB539_92:
	s_or_b32 exec_lo, exec_lo, s7
	s_delay_alu instid0(SALU_CYCLE_1)
	s_mov_b32 s6, exec_lo
	s_waitcnt lgkmcnt(0)
	s_barrier
	buffer_gl0_inv
	v_cmpx_gt_u32_e32 16, v0
	s_cbranch_execz .LBB539_94
; %bb.93:
	v_lshlrev_b32_e32 v28, 2, v0
	ds_load_b32 v30, v28
	s_waitcnt lgkmcnt(0)
	v_mov_b32_dpp v31, v30 row_shr:1 row_mask:0xf bank_mask:0xf
	s_delay_alu instid0(VALU_DEP_1) | instskip(NEXT) | instid1(VALU_DEP_1)
	v_cndmask_b32_e64 v31, v31, 0, s4
	v_add_nc_u32_e32 v30, v31, v30
	s_delay_alu instid0(VALU_DEP_1) | instskip(NEXT) | instid1(VALU_DEP_1)
	v_mov_b32_dpp v31, v30 row_shr:2 row_mask:0xf bank_mask:0xf
	v_cndmask_b32_e64 v31, 0, v31, s2
	s_delay_alu instid0(VALU_DEP_1) | instskip(NEXT) | instid1(VALU_DEP_1)
	v_add_nc_u32_e32 v30, v30, v31
	v_mov_b32_dpp v31, v30 row_shr:4 row_mask:0xf bank_mask:0xf
	s_delay_alu instid0(VALU_DEP_1) | instskip(NEXT) | instid1(VALU_DEP_1)
	v_cndmask_b32_e64 v31, 0, v31, s5
	v_add_nc_u32_e32 v30, v30, v31
	s_delay_alu instid0(VALU_DEP_1) | instskip(NEXT) | instid1(VALU_DEP_1)
	v_mov_b32_dpp v31, v30 row_shr:8 row_mask:0xf bank_mask:0xf
	v_cndmask_b32_e64 v31, 0, v31, s3
	s_delay_alu instid0(VALU_DEP_1)
	v_add_nc_u32_e32 v30, v30, v31
	ds_store_b32 v28, v30
.LBB539_94:
	s_or_b32 exec_lo, exec_lo, s6
	v_mov_b32_e32 v28, 0
	v_mov_b32_e32 v30, 0
	s_mov_b32 s2, exec_lo
	s_waitcnt lgkmcnt(0)
	s_barrier
	buffer_gl0_inv
	v_cmpx_lt_u32_e32 31, v0
	s_cbranch_execz .LBB539_96
; %bb.95:
	v_lshl_add_u32 v30, v51, 2, -4
	ds_load_b32 v30, v30
.LBB539_96:
	s_or_b32 exec_lo, exec_lo, s2
	v_add_nc_u32_e32 v31, -1, v50
	s_waitcnt lgkmcnt(0)
	v_add_nc_u32_e32 v27, v30, v27
	s_mov_b32 s8, 0
	s_delay_alu instid0(VALU_DEP_2) | instskip(SKIP_2) | instid1(VALU_DEP_2)
	v_cmp_gt_i32_e32 vcc_lo, 0, v31
	v_cndmask_b32_e32 v31, v31, v50, vcc_lo
	v_cmp_eq_u32_e32 vcc_lo, 0, v0
	v_lshlrev_b32_e32 v31, 2, v31
	ds_bpermute_b32 v31, v31, v27
	ds_load_b32 v27, v28 offset:60
	s_and_saveexec_b32 s2, vcc_lo
	s_cbranch_execz .LBB539_98
; %bb.97:
	v_mov_b32_e32 v32, 0
	v_mov_b32_e32 v28, 2
	s_waitcnt lgkmcnt(0)
	global_store_b64 v32, v[27:28], s[12:13] offset:256
.LBB539_98:
	s_or_b32 exec_lo, exec_lo, s2
	v_cmp_eq_u32_e64 s2, 0, v50
	s_waitcnt lgkmcnt(0)
	s_waitcnt_vscnt null, 0x0
	s_barrier
	buffer_gl0_inv
	v_cndmask_b32_e64 v28, v31, v30, s2
	s_delay_alu instid0(VALU_DEP_1) | instskip(NEXT) | instid1(VALU_DEP_1)
	v_cndmask_b32_e64 v45, v28, 0, vcc_lo
	v_add_nc_u32_e32 v43, v45, v36
	s_delay_alu instid0(VALU_DEP_1) | instskip(NEXT) | instid1(VALU_DEP_1)
	v_add_nc_u32_e32 v41, v43, v38
	v_add_nc_u32_e32 v39, v41, v40
	s_delay_alu instid0(VALU_DEP_1) | instskip(NEXT) | instid1(VALU_DEP_1)
	v_add_nc_u32_e32 v37, v39, v42
	;; [unrolled: 3-line block ×3, first 2 shown]
	v_add_nc_u32_e32 v31, v33, v49
.LBB539_99:
	s_load_b128 s[4:7], s[0:1], 0x28
	v_add_nc_u32_e32 v51, s8, v27
	v_cmp_gt_u32_e64 s0, 0x201, v27
	v_lshrrev_b32_e32 v50, 8, v25
	v_lshrrev_b32_e32 v49, 16, v25
	;; [unrolled: 1-line block ×4, first 2 shown]
	v_cmp_lt_u32_e64 s1, v45, v51
	s_and_b32 vcc_lo, exec_lo, s0
	s_mov_b32 s2, -1
	s_cbranch_vccz .LBB539_125
; %bb.100:
	s_lshl_b64 s[2:3], s[10:11], 3
	s_waitcnt lgkmcnt(0)
	s_add_u32 s2, s4, s2
	s_addc_u32 s3, s5, s3
	s_or_b32 s9, s18, s1
	s_delay_alu instid0(SALU_CYCLE_1)
	s_and_saveexec_b32 s1, s9
	s_cbranch_execz .LBB539_103
; %bb.101:
	v_and_b32_e32 v32, 1, v25
	s_delay_alu instid0(VALU_DEP_1)
	v_cmp_eq_u32_e32 vcc_lo, 1, v32
	s_and_b32 exec_lo, exec_lo, vcc_lo
	s_cbranch_execz .LBB539_103
; %bb.102:
	v_mov_b32_e32 v46, 0
	s_delay_alu instid0(VALU_DEP_1) | instskip(NEXT) | instid1(VALU_DEP_1)
	v_lshlrev_b64 v[52:53], 3, v[45:46]
	v_add_co_u32 v52, vcc_lo, s2, v52
	s_delay_alu instid0(VALU_DEP_2)
	v_add_co_ci_u32_e32 v53, vcc_lo, s3, v53, vcc_lo
	global_store_b64 v[52:53], v[13:14], off
.LBB539_103:
	s_or_b32 exec_lo, exec_lo, s1
	v_cmp_lt_u32_e32 vcc_lo, v43, v51
	s_or_b32 s9, s18, vcc_lo
	s_delay_alu instid0(SALU_CYCLE_1)
	s_and_saveexec_b32 s1, s9
	s_cbranch_execz .LBB539_106
; %bb.104:
	v_and_b32_e32 v32, 1, v50
	s_delay_alu instid0(VALU_DEP_1)
	v_cmp_eq_u32_e32 vcc_lo, 1, v32
	s_and_b32 exec_lo, exec_lo, vcc_lo
	s_cbranch_execz .LBB539_106
; %bb.105:
	v_mov_b32_e32 v44, 0
	s_delay_alu instid0(VALU_DEP_1) | instskip(NEXT) | instid1(VALU_DEP_1)
	v_lshlrev_b64 v[52:53], 3, v[43:44]
	v_add_co_u32 v52, vcc_lo, s2, v52
	s_delay_alu instid0(VALU_DEP_2)
	v_add_co_ci_u32_e32 v53, vcc_lo, s3, v53, vcc_lo
	global_store_b64 v[52:53], v[15:16], off
.LBB539_106:
	s_or_b32 exec_lo, exec_lo, s1
	v_cmp_lt_u32_e32 vcc_lo, v41, v51
	s_or_b32 s9, s18, vcc_lo
	s_delay_alu instid0(SALU_CYCLE_1)
	s_and_saveexec_b32 s1, s9
	s_cbranch_execz .LBB539_109
; %bb.107:
	v_and_b32_e32 v32, 1, v49
	s_delay_alu instid0(VALU_DEP_1)
	v_cmp_eq_u32_e32 vcc_lo, 1, v32
	s_and_b32 exec_lo, exec_lo, vcc_lo
	s_cbranch_execz .LBB539_109
; %bb.108:
	v_mov_b32_e32 v42, 0
	s_delay_alu instid0(VALU_DEP_1) | instskip(NEXT) | instid1(VALU_DEP_1)
	v_lshlrev_b64 v[52:53], 3, v[41:42]
	v_add_co_u32 v52, vcc_lo, s2, v52
	s_delay_alu instid0(VALU_DEP_2)
	v_add_co_ci_u32_e32 v53, vcc_lo, s3, v53, vcc_lo
	global_store_b64 v[52:53], v[9:10], off
.LBB539_109:
	s_or_b32 exec_lo, exec_lo, s1
	v_cmp_lt_u32_e32 vcc_lo, v39, v51
	s_or_b32 s9, s18, vcc_lo
	s_delay_alu instid0(SALU_CYCLE_1)
	s_and_saveexec_b32 s1, s9
	s_cbranch_execz .LBB539_112
; %bb.110:
	v_and_b32_e32 v32, 1, v29
	s_delay_alu instid0(VALU_DEP_1)
	v_cmp_eq_u32_e32 vcc_lo, 1, v32
	s_and_b32 exec_lo, exec_lo, vcc_lo
	s_cbranch_execz .LBB539_112
; %bb.111:
	v_mov_b32_e32 v40, 0
	s_delay_alu instid0(VALU_DEP_1) | instskip(NEXT) | instid1(VALU_DEP_1)
	v_lshlrev_b64 v[52:53], 3, v[39:40]
	v_add_co_u32 v52, vcc_lo, s2, v52
	s_delay_alu instid0(VALU_DEP_2)
	v_add_co_ci_u32_e32 v53, vcc_lo, s3, v53, vcc_lo
	global_store_b64 v[52:53], v[11:12], off
.LBB539_112:
	s_or_b32 exec_lo, exec_lo, s1
	v_cmp_lt_u32_e32 vcc_lo, v37, v51
	s_or_b32 s9, s18, vcc_lo
	s_delay_alu instid0(SALU_CYCLE_1)
	s_and_saveexec_b32 s1, s9
	s_cbranch_execz .LBB539_115
; %bb.113:
	v_and_b32_e32 v32, 1, v26
	s_delay_alu instid0(VALU_DEP_1)
	v_cmp_eq_u32_e32 vcc_lo, 1, v32
	s_and_b32 exec_lo, exec_lo, vcc_lo
	s_cbranch_execz .LBB539_115
; %bb.114:
	v_mov_b32_e32 v38, 0
	s_delay_alu instid0(VALU_DEP_1) | instskip(NEXT) | instid1(VALU_DEP_1)
	v_lshlrev_b64 v[52:53], 3, v[37:38]
	v_add_co_u32 v52, vcc_lo, s2, v52
	s_delay_alu instid0(VALU_DEP_2)
	v_add_co_ci_u32_e32 v53, vcc_lo, s3, v53, vcc_lo
	global_store_b64 v[52:53], v[5:6], off
.LBB539_115:
	s_or_b32 exec_lo, exec_lo, s1
	v_cmp_lt_u32_e32 vcc_lo, v35, v51
	s_or_b32 s9, s18, vcc_lo
	s_delay_alu instid0(SALU_CYCLE_1)
	s_and_saveexec_b32 s1, s9
	s_cbranch_execz .LBB539_118
; %bb.116:
	v_and_b32_e32 v32, 1, v30
	s_delay_alu instid0(VALU_DEP_1)
	v_cmp_eq_u32_e32 vcc_lo, 1, v32
	s_and_b32 exec_lo, exec_lo, vcc_lo
	s_cbranch_execz .LBB539_118
; %bb.117:
	v_mov_b32_e32 v36, 0
	s_delay_alu instid0(VALU_DEP_1) | instskip(NEXT) | instid1(VALU_DEP_1)
	v_lshlrev_b64 v[52:53], 3, v[35:36]
	v_add_co_u32 v52, vcc_lo, s2, v52
	s_delay_alu instid0(VALU_DEP_2)
	v_add_co_ci_u32_e32 v53, vcc_lo, s3, v53, vcc_lo
	global_store_b64 v[52:53], v[7:8], off
.LBB539_118:
	s_or_b32 exec_lo, exec_lo, s1
	v_cmp_lt_u32_e32 vcc_lo, v33, v51
	s_or_b32 s9, s18, vcc_lo
	s_delay_alu instid0(SALU_CYCLE_1)
	s_and_saveexec_b32 s1, s9
	s_cbranch_execz .LBB539_121
; %bb.119:
	v_and_b32_e32 v32, 1, v28
	s_delay_alu instid0(VALU_DEP_1)
	v_cmp_eq_u32_e32 vcc_lo, 1, v32
	s_and_b32 exec_lo, exec_lo, vcc_lo
	s_cbranch_execz .LBB539_121
; %bb.120:
	v_mov_b32_e32 v34, 0
	s_delay_alu instid0(VALU_DEP_1) | instskip(NEXT) | instid1(VALU_DEP_1)
	v_lshlrev_b64 v[52:53], 3, v[33:34]
	v_add_co_u32 v52, vcc_lo, s2, v52
	s_delay_alu instid0(VALU_DEP_2)
	v_add_co_ci_u32_e32 v53, vcc_lo, s3, v53, vcc_lo
	global_store_b64 v[52:53], v[1:2], off
.LBB539_121:
	s_or_b32 exec_lo, exec_lo, s1
	v_cmp_lt_u32_e32 vcc_lo, v31, v51
	s_or_b32 s9, s18, vcc_lo
	s_delay_alu instid0(SALU_CYCLE_1)
	s_and_saveexec_b32 s1, s9
	s_cbranch_execz .LBB539_124
; %bb.122:
	v_and_b32_e32 v32, 1, v48
	s_delay_alu instid0(VALU_DEP_1)
	v_cmp_eq_u32_e32 vcc_lo, 1, v32
	s_and_b32 exec_lo, exec_lo, vcc_lo
	s_cbranch_execz .LBB539_124
; %bb.123:
	v_mov_b32_e32 v32, 0
	s_delay_alu instid0(VALU_DEP_1) | instskip(NEXT) | instid1(VALU_DEP_1)
	v_lshlrev_b64 v[52:53], 3, v[31:32]
	v_add_co_u32 v52, vcc_lo, s2, v52
	s_delay_alu instid0(VALU_DEP_2)
	v_add_co_ci_u32_e32 v53, vcc_lo, s3, v53, vcc_lo
	global_store_b64 v[52:53], v[3:4], off
.LBB539_124:
	s_or_b32 exec_lo, exec_lo, s1
	s_mov_b32 s2, 0
.LBB539_125:
	v_and_b32_e32 v25, 1, v25
	s_and_b32 vcc_lo, exec_lo, s2
	s_delay_alu instid0(VALU_DEP_1)
	v_cmp_eq_u32_e64 s1, 1, v25
	s_cbranch_vccz .LBB539_146
; %bb.126:
	s_delay_alu instid0(VALU_DEP_1)
	s_and_saveexec_b32 s2, s1
	s_cbranch_execz .LBB539_128
; %bb.127:
	v_subrev_nc_u32_e32 v32, s8, v45
	s_delay_alu instid0(VALU_DEP_1)
	v_lshlrev_b32_e32 v32, 3, v32
	ds_store_b64 v32, v[13:14]
.LBB539_128:
	s_or_b32 exec_lo, exec_lo, s2
	v_and_b32_e32 v13, 1, v50
	s_mov_b32 s1, exec_lo
	s_delay_alu instid0(VALU_DEP_1)
	v_cmpx_eq_u32_e32 1, v13
	s_cbranch_execz .LBB539_130
; %bb.129:
	v_subrev_nc_u32_e32 v13, s8, v43
	s_delay_alu instid0(VALU_DEP_1)
	v_lshlrev_b32_e32 v13, 3, v13
	ds_store_b64 v13, v[15:16]
.LBB539_130:
	s_or_b32 exec_lo, exec_lo, s1
	v_and_b32_e32 v13, 1, v49
	s_mov_b32 s1, exec_lo
	s_delay_alu instid0(VALU_DEP_1)
	v_cmpx_eq_u32_e32 1, v13
	;; [unrolled: 12-line block ×7, first 2 shown]
	s_cbranch_execz .LBB539_142
; %bb.141:
	v_subrev_nc_u32_e32 v1, s8, v31
	s_delay_alu instid0(VALU_DEP_1)
	v_lshlrev_b32_e32 v1, 3, v1
	ds_store_b64 v1, v[3:4]
.LBB539_142:
	s_or_b32 exec_lo, exec_lo, s1
	s_delay_alu instid0(SALU_CYCLE_1)
	s_mov_b32 s2, exec_lo
	s_waitcnt lgkmcnt(0)
	s_waitcnt_vscnt null, 0x0
	s_barrier
	buffer_gl0_inv
	v_cmpx_lt_u32_e64 v0, v27
	s_cbranch_execz .LBB539_145
; %bb.143:
	s_mov_b32 s9, 0
	s_lshl_b64 s[12:13], s[10:11], 3
	s_lshl_b64 s[20:21], s[8:9], 3
	v_mov_b32_e32 v3, v0
	s_add_u32 s1, s12, s20
	s_addc_u32 s3, s13, s21
	s_add_u32 s1, s4, s1
	s_addc_u32 s3, s5, s3
	v_add_co_u32 v1, s1, s1, v47
	s_delay_alu instid0(VALU_DEP_1)
	v_add_co_ci_u32_e64 v2, null, s3, 0, s1
	.p2align	6
.LBB539_144:                            ; =>This Inner Loop Header: Depth=1
	ds_load_b64 v[4:5], v47
	v_add_nc_u32_e32 v3, 0x200, v3
	v_add_nc_u32_e32 v47, 0x1000, v47
	s_delay_alu instid0(VALU_DEP_2) | instskip(SKIP_4) | instid1(VALU_DEP_1)
	v_cmp_ge_u32_e32 vcc_lo, v3, v27
	s_or_b32 s9, vcc_lo, s9
	s_waitcnt lgkmcnt(0)
	global_store_b64 v[1:2], v[4:5], off
	v_add_co_u32 v1, s1, 0x1000, v1
	v_add_co_ci_u32_e64 v2, s1, 0, v2, s1
	s_and_not1_b32 exec_lo, exec_lo, s9
	s_cbranch_execnz .LBB539_144
.LBB539_145:
	s_or_b32 exec_lo, exec_lo, s2
.LBB539_146:
	s_delay_alu instid0(SALU_CYCLE_1)
	s_and_b32 vcc_lo, exec_lo, s0
	s_mov_b32 s0, -1
	s_waitcnt lgkmcnt(0)
	s_waitcnt_vscnt null, 0x0
	s_barrier
	buffer_gl0_inv
	s_cbranch_vccz .LBB539_174
; %bb.147:
	v_cmp_lt_u32_e32 vcc_lo, v45, v51
	s_lshl_b64 s[0:1], s[10:11], 2
	s_delay_alu instid0(SALU_CYCLE_1) | instskip(SKIP_2) | instid1(SALU_CYCLE_1)
	s_add_u32 s0, s6, s0
	s_addc_u32 s1, s7, s1
	s_or_b32 s3, s18, vcc_lo
	s_and_saveexec_b32 s2, s3
	s_cbranch_execz .LBB539_150
; %bb.148:
	v_cmp_eq_u32_e32 vcc_lo, 1, v25
	s_and_b32 exec_lo, exec_lo, vcc_lo
	s_cbranch_execz .LBB539_150
; %bb.149:
	v_mov_b32_e32 v46, 0
	s_delay_alu instid0(VALU_DEP_1) | instskip(NEXT) | instid1(VALU_DEP_1)
	v_lshlrev_b64 v[1:2], 2, v[45:46]
	v_add_co_u32 v1, vcc_lo, s0, v1
	s_delay_alu instid0(VALU_DEP_2)
	v_add_co_ci_u32_e32 v2, vcc_lo, s1, v2, vcc_lo
	global_store_b32 v[1:2], v23, off
.LBB539_150:
	s_or_b32 exec_lo, exec_lo, s2
	v_cmp_lt_u32_e32 vcc_lo, v43, v51
	s_or_b32 s3, s18, vcc_lo
	s_delay_alu instid0(SALU_CYCLE_1)
	s_and_saveexec_b32 s2, s3
	s_cbranch_execz .LBB539_153
; %bb.151:
	v_and_b32_e32 v1, 1, v50
	s_delay_alu instid0(VALU_DEP_1)
	v_cmp_eq_u32_e32 vcc_lo, 1, v1
	s_and_b32 exec_lo, exec_lo, vcc_lo
	s_cbranch_execz .LBB539_153
; %bb.152:
	v_mov_b32_e32 v44, 0
	s_delay_alu instid0(VALU_DEP_1) | instskip(NEXT) | instid1(VALU_DEP_1)
	v_lshlrev_b64 v[1:2], 2, v[43:44]
	v_add_co_u32 v1, vcc_lo, s0, v1
	s_delay_alu instid0(VALU_DEP_2)
	v_add_co_ci_u32_e32 v2, vcc_lo, s1, v2, vcc_lo
	global_store_b32 v[1:2], v24, off
.LBB539_153:
	s_or_b32 exec_lo, exec_lo, s2
	v_cmp_lt_u32_e32 vcc_lo, v41, v51
	s_or_b32 s3, s18, vcc_lo
	s_delay_alu instid0(SALU_CYCLE_1)
	s_and_saveexec_b32 s2, s3
	s_cbranch_execz .LBB539_156
; %bb.154:
	v_and_b32_e32 v1, 1, v49
	s_delay_alu instid0(VALU_DEP_1)
	v_cmp_eq_u32_e32 vcc_lo, 1, v1
	s_and_b32 exec_lo, exec_lo, vcc_lo
	s_cbranch_execz .LBB539_156
; %bb.155:
	v_mov_b32_e32 v42, 0
	s_delay_alu instid0(VALU_DEP_1) | instskip(NEXT) | instid1(VALU_DEP_1)
	v_lshlrev_b64 v[1:2], 2, v[41:42]
	v_add_co_u32 v1, vcc_lo, s0, v1
	s_delay_alu instid0(VALU_DEP_2)
	v_add_co_ci_u32_e32 v2, vcc_lo, s1, v2, vcc_lo
	global_store_b32 v[1:2], v21, off
.LBB539_156:
	;; [unrolled: 21-line block ×7, first 2 shown]
	s_or_b32 exec_lo, exec_lo, s2
.LBB539_172:
	v_cmp_eq_u32_e32 vcc_lo, 0, v0
	s_and_b32 s0, vcc_lo, s14
	s_delay_alu instid0(SALU_CYCLE_1)
	s_and_saveexec_b32 s1, s0
	s_cbranch_execz .LBB539_195
.LBB539_173:
	v_add_co_u32 v0, s0, s10, v27
	s_delay_alu instid0(VALU_DEP_1) | instskip(SKIP_1) | instid1(VALU_DEP_3)
	v_add_co_ci_u32_e64 v1, null, s11, 0, s0
	v_mov_b32_e32 v2, 0
	v_add_co_u32 v0, vcc_lo, v0, s8
	s_delay_alu instid0(VALU_DEP_3)
	v_add_co_ci_u32_e32 v1, vcc_lo, 0, v1, vcc_lo
	global_store_b64 v2, v[0:1], s[16:17]
	s_nop 0
	s_sendmsg sendmsg(MSG_DEALLOC_VGPRS)
	s_endpgm
.LBB539_174:
	s_and_b32 vcc_lo, exec_lo, s0
	s_cbranch_vccz .LBB539_172
; %bb.175:
	s_mov_b32 s0, exec_lo
	v_cmpx_eq_u32_e32 1, v25
	s_cbranch_execz .LBB539_177
; %bb.176:
	v_subrev_nc_u32_e32 v1, s8, v45
	s_delay_alu instid0(VALU_DEP_1)
	v_lshlrev_b32_e32 v1, 2, v1
	ds_store_b32 v1, v23
.LBB539_177:
	s_or_b32 exec_lo, exec_lo, s0
	v_and_b32_e32 v1, 1, v50
	s_mov_b32 s0, exec_lo
	s_delay_alu instid0(VALU_DEP_1)
	v_cmpx_eq_u32_e32 1, v1
	s_cbranch_execz .LBB539_179
; %bb.178:
	v_subrev_nc_u32_e32 v1, s8, v43
	s_delay_alu instid0(VALU_DEP_1)
	v_lshlrev_b32_e32 v1, 2, v1
	ds_store_b32 v1, v24
.LBB539_179:
	s_or_b32 exec_lo, exec_lo, s0
	v_and_b32_e32 v1, 1, v49
	s_mov_b32 s0, exec_lo
	s_delay_alu instid0(VALU_DEP_1)
	;; [unrolled: 12-line block ×7, first 2 shown]
	v_cmpx_eq_u32_e32 1, v1
	s_cbranch_execz .LBB539_191
; %bb.190:
	v_subrev_nc_u32_e32 v1, s8, v31
	s_delay_alu instid0(VALU_DEP_1)
	v_lshlrev_b32_e32 v1, 2, v1
	ds_store_b32 v1, v18
.LBB539_191:
	s_or_b32 exec_lo, exec_lo, s0
	s_delay_alu instid0(SALU_CYCLE_1)
	s_mov_b32 s1, exec_lo
	s_waitcnt lgkmcnt(0)
	s_waitcnt_vscnt null, 0x0
	s_barrier
	buffer_gl0_inv
	v_cmpx_lt_u32_e64 v0, v27
	s_cbranch_execz .LBB539_194
; %bb.192:
	s_mov_b32 s9, 0
	s_lshl_b64 s[2:3], s[10:11], 2
	s_lshl_b64 s[4:5], s[8:9], 2
	v_dual_mov_b32 v4, v0 :: v_dual_lshlrev_b32 v3, 2, v0
	s_add_u32 s0, s2, s4
	s_addc_u32 s2, s3, s5
	s_add_u32 s0, s6, s0
	s_addc_u32 s2, s7, s2
	v_add_co_u32 v1, s0, s0, v3
	s_delay_alu instid0(VALU_DEP_1)
	v_add_co_ci_u32_e64 v2, null, s2, 0, s0
	.p2align	6
.LBB539_193:                            ; =>This Inner Loop Header: Depth=1
	ds_load_b32 v5, v3
	v_add_nc_u32_e32 v4, 0x200, v4
	v_add_nc_u32_e32 v3, 0x800, v3
	s_delay_alu instid0(VALU_DEP_2) | instskip(SKIP_4) | instid1(VALU_DEP_1)
	v_cmp_ge_u32_e32 vcc_lo, v4, v27
	s_or_b32 s9, vcc_lo, s9
	s_waitcnt lgkmcnt(0)
	global_store_b32 v[1:2], v5, off
	v_add_co_u32 v1, s0, 0x800, v1
	v_add_co_ci_u32_e64 v2, s0, 0, v2, s0
	s_and_not1_b32 exec_lo, exec_lo, s9
	s_cbranch_execnz .LBB539_193
.LBB539_194:
	s_or_b32 exec_lo, exec_lo, s1
	v_cmp_eq_u32_e32 vcc_lo, 0, v0
	s_and_b32 s0, vcc_lo, s14
	s_delay_alu instid0(SALU_CYCLE_1)
	s_and_saveexec_b32 s1, s0
	s_cbranch_execnz .LBB539_173
.LBB539_195:
	s_nop 0
	s_sendmsg sendmsg(MSG_DEALLOC_VGPRS)
	s_endpgm
	.section	.rodata,"a",@progbits
	.p2align	6, 0x0
	.amdhsa_kernel _ZN7rocprim17ROCPRIM_400000_NS6detail17trampoline_kernelINS0_14default_configENS1_25partition_config_selectorILNS1_17partition_subalgoE9EyjbEEZZNS1_14partition_implILS5_9ELb0ES3_jN6thrust23THRUST_200600_302600_NS6detail15normal_iteratorINS9_10device_ptrIyEEEENSB_INSC_IjEEEEPNS0_10empty_typeENS0_5tupleIJSE_SH_EEENSJ_IJSG_SI_EEENS0_18inequality_wrapperINS9_8equal_toIyEEEEPmJSH_EEE10hipError_tPvRmT3_T4_T5_T6_T7_T9_mT8_P12ihipStream_tbDpT10_ENKUlT_T0_E_clISt17integral_constantIbLb0EES1A_EEDaS15_S16_EUlS15_E_NS1_11comp_targetILNS1_3genE9ELNS1_11target_archE1100ELNS1_3gpuE3ELNS1_3repE0EEENS1_30default_config_static_selectorELNS0_4arch9wavefront6targetE0EEEvT1_
		.amdhsa_group_segment_fixed_size 33800
		.amdhsa_private_segment_fixed_size 0
		.amdhsa_kernarg_size 112
		.amdhsa_user_sgpr_count 15
		.amdhsa_user_sgpr_dispatch_ptr 0
		.amdhsa_user_sgpr_queue_ptr 0
		.amdhsa_user_sgpr_kernarg_segment_ptr 1
		.amdhsa_user_sgpr_dispatch_id 0
		.amdhsa_user_sgpr_private_segment_size 0
		.amdhsa_wavefront_size32 1
		.amdhsa_uses_dynamic_stack 0
		.amdhsa_enable_private_segment 0
		.amdhsa_system_sgpr_workgroup_id_x 1
		.amdhsa_system_sgpr_workgroup_id_y 0
		.amdhsa_system_sgpr_workgroup_id_z 0
		.amdhsa_system_sgpr_workgroup_info 0
		.amdhsa_system_vgpr_workitem_id 0
		.amdhsa_next_free_vgpr 60
		.amdhsa_next_free_sgpr 24
		.amdhsa_reserve_vcc 1
		.amdhsa_float_round_mode_32 0
		.amdhsa_float_round_mode_16_64 0
		.amdhsa_float_denorm_mode_32 3
		.amdhsa_float_denorm_mode_16_64 3
		.amdhsa_dx10_clamp 1
		.amdhsa_ieee_mode 1
		.amdhsa_fp16_overflow 0
		.amdhsa_workgroup_processor_mode 1
		.amdhsa_memory_ordered 1
		.amdhsa_forward_progress 0
		.amdhsa_shared_vgpr_count 0
		.amdhsa_exception_fp_ieee_invalid_op 0
		.amdhsa_exception_fp_denorm_src 0
		.amdhsa_exception_fp_ieee_div_zero 0
		.amdhsa_exception_fp_ieee_overflow 0
		.amdhsa_exception_fp_ieee_underflow 0
		.amdhsa_exception_fp_ieee_inexact 0
		.amdhsa_exception_int_div_zero 0
	.end_amdhsa_kernel
	.section	.text._ZN7rocprim17ROCPRIM_400000_NS6detail17trampoline_kernelINS0_14default_configENS1_25partition_config_selectorILNS1_17partition_subalgoE9EyjbEEZZNS1_14partition_implILS5_9ELb0ES3_jN6thrust23THRUST_200600_302600_NS6detail15normal_iteratorINS9_10device_ptrIyEEEENSB_INSC_IjEEEEPNS0_10empty_typeENS0_5tupleIJSE_SH_EEENSJ_IJSG_SI_EEENS0_18inequality_wrapperINS9_8equal_toIyEEEEPmJSH_EEE10hipError_tPvRmT3_T4_T5_T6_T7_T9_mT8_P12ihipStream_tbDpT10_ENKUlT_T0_E_clISt17integral_constantIbLb0EES1A_EEDaS15_S16_EUlS15_E_NS1_11comp_targetILNS1_3genE9ELNS1_11target_archE1100ELNS1_3gpuE3ELNS1_3repE0EEENS1_30default_config_static_selectorELNS0_4arch9wavefront6targetE0EEEvT1_,"axG",@progbits,_ZN7rocprim17ROCPRIM_400000_NS6detail17trampoline_kernelINS0_14default_configENS1_25partition_config_selectorILNS1_17partition_subalgoE9EyjbEEZZNS1_14partition_implILS5_9ELb0ES3_jN6thrust23THRUST_200600_302600_NS6detail15normal_iteratorINS9_10device_ptrIyEEEENSB_INSC_IjEEEEPNS0_10empty_typeENS0_5tupleIJSE_SH_EEENSJ_IJSG_SI_EEENS0_18inequality_wrapperINS9_8equal_toIyEEEEPmJSH_EEE10hipError_tPvRmT3_T4_T5_T6_T7_T9_mT8_P12ihipStream_tbDpT10_ENKUlT_T0_E_clISt17integral_constantIbLb0EES1A_EEDaS15_S16_EUlS15_E_NS1_11comp_targetILNS1_3genE9ELNS1_11target_archE1100ELNS1_3gpuE3ELNS1_3repE0EEENS1_30default_config_static_selectorELNS0_4arch9wavefront6targetE0EEEvT1_,comdat
.Lfunc_end539:
	.size	_ZN7rocprim17ROCPRIM_400000_NS6detail17trampoline_kernelINS0_14default_configENS1_25partition_config_selectorILNS1_17partition_subalgoE9EyjbEEZZNS1_14partition_implILS5_9ELb0ES3_jN6thrust23THRUST_200600_302600_NS6detail15normal_iteratorINS9_10device_ptrIyEEEENSB_INSC_IjEEEEPNS0_10empty_typeENS0_5tupleIJSE_SH_EEENSJ_IJSG_SI_EEENS0_18inequality_wrapperINS9_8equal_toIyEEEEPmJSH_EEE10hipError_tPvRmT3_T4_T5_T6_T7_T9_mT8_P12ihipStream_tbDpT10_ENKUlT_T0_E_clISt17integral_constantIbLb0EES1A_EEDaS15_S16_EUlS15_E_NS1_11comp_targetILNS1_3genE9ELNS1_11target_archE1100ELNS1_3gpuE3ELNS1_3repE0EEENS1_30default_config_static_selectorELNS0_4arch9wavefront6targetE0EEEvT1_, .Lfunc_end539-_ZN7rocprim17ROCPRIM_400000_NS6detail17trampoline_kernelINS0_14default_configENS1_25partition_config_selectorILNS1_17partition_subalgoE9EyjbEEZZNS1_14partition_implILS5_9ELb0ES3_jN6thrust23THRUST_200600_302600_NS6detail15normal_iteratorINS9_10device_ptrIyEEEENSB_INSC_IjEEEEPNS0_10empty_typeENS0_5tupleIJSE_SH_EEENSJ_IJSG_SI_EEENS0_18inequality_wrapperINS9_8equal_toIyEEEEPmJSH_EEE10hipError_tPvRmT3_T4_T5_T6_T7_T9_mT8_P12ihipStream_tbDpT10_ENKUlT_T0_E_clISt17integral_constantIbLb0EES1A_EEDaS15_S16_EUlS15_E_NS1_11comp_targetILNS1_3genE9ELNS1_11target_archE1100ELNS1_3gpuE3ELNS1_3repE0EEENS1_30default_config_static_selectorELNS0_4arch9wavefront6targetE0EEEvT1_
                                        ; -- End function
	.section	.AMDGPU.csdata,"",@progbits
; Kernel info:
; codeLenInByte = 9296
; NumSgprs: 26
; NumVgprs: 60
; ScratchSize: 0
; MemoryBound: 0
; FloatMode: 240
; IeeeMode: 1
; LDSByteSize: 33800 bytes/workgroup (compile time only)
; SGPRBlocks: 3
; VGPRBlocks: 7
; NumSGPRsForWavesPerEU: 26
; NumVGPRsForWavesPerEU: 60
; Occupancy: 12
; WaveLimiterHint : 1
; COMPUTE_PGM_RSRC2:SCRATCH_EN: 0
; COMPUTE_PGM_RSRC2:USER_SGPR: 15
; COMPUTE_PGM_RSRC2:TRAP_HANDLER: 0
; COMPUTE_PGM_RSRC2:TGID_X_EN: 1
; COMPUTE_PGM_RSRC2:TGID_Y_EN: 0
; COMPUTE_PGM_RSRC2:TGID_Z_EN: 0
; COMPUTE_PGM_RSRC2:TIDIG_COMP_CNT: 0
	.section	.text._ZN7rocprim17ROCPRIM_400000_NS6detail17trampoline_kernelINS0_14default_configENS1_25partition_config_selectorILNS1_17partition_subalgoE9EyjbEEZZNS1_14partition_implILS5_9ELb0ES3_jN6thrust23THRUST_200600_302600_NS6detail15normal_iteratorINS9_10device_ptrIyEEEENSB_INSC_IjEEEEPNS0_10empty_typeENS0_5tupleIJSE_SH_EEENSJ_IJSG_SI_EEENS0_18inequality_wrapperINS9_8equal_toIyEEEEPmJSH_EEE10hipError_tPvRmT3_T4_T5_T6_T7_T9_mT8_P12ihipStream_tbDpT10_ENKUlT_T0_E_clISt17integral_constantIbLb0EES1A_EEDaS15_S16_EUlS15_E_NS1_11comp_targetILNS1_3genE8ELNS1_11target_archE1030ELNS1_3gpuE2ELNS1_3repE0EEENS1_30default_config_static_selectorELNS0_4arch9wavefront6targetE0EEEvT1_,"axG",@progbits,_ZN7rocprim17ROCPRIM_400000_NS6detail17trampoline_kernelINS0_14default_configENS1_25partition_config_selectorILNS1_17partition_subalgoE9EyjbEEZZNS1_14partition_implILS5_9ELb0ES3_jN6thrust23THRUST_200600_302600_NS6detail15normal_iteratorINS9_10device_ptrIyEEEENSB_INSC_IjEEEEPNS0_10empty_typeENS0_5tupleIJSE_SH_EEENSJ_IJSG_SI_EEENS0_18inequality_wrapperINS9_8equal_toIyEEEEPmJSH_EEE10hipError_tPvRmT3_T4_T5_T6_T7_T9_mT8_P12ihipStream_tbDpT10_ENKUlT_T0_E_clISt17integral_constantIbLb0EES1A_EEDaS15_S16_EUlS15_E_NS1_11comp_targetILNS1_3genE8ELNS1_11target_archE1030ELNS1_3gpuE2ELNS1_3repE0EEENS1_30default_config_static_selectorELNS0_4arch9wavefront6targetE0EEEvT1_,comdat
	.protected	_ZN7rocprim17ROCPRIM_400000_NS6detail17trampoline_kernelINS0_14default_configENS1_25partition_config_selectorILNS1_17partition_subalgoE9EyjbEEZZNS1_14partition_implILS5_9ELb0ES3_jN6thrust23THRUST_200600_302600_NS6detail15normal_iteratorINS9_10device_ptrIyEEEENSB_INSC_IjEEEEPNS0_10empty_typeENS0_5tupleIJSE_SH_EEENSJ_IJSG_SI_EEENS0_18inequality_wrapperINS9_8equal_toIyEEEEPmJSH_EEE10hipError_tPvRmT3_T4_T5_T6_T7_T9_mT8_P12ihipStream_tbDpT10_ENKUlT_T0_E_clISt17integral_constantIbLb0EES1A_EEDaS15_S16_EUlS15_E_NS1_11comp_targetILNS1_3genE8ELNS1_11target_archE1030ELNS1_3gpuE2ELNS1_3repE0EEENS1_30default_config_static_selectorELNS0_4arch9wavefront6targetE0EEEvT1_ ; -- Begin function _ZN7rocprim17ROCPRIM_400000_NS6detail17trampoline_kernelINS0_14default_configENS1_25partition_config_selectorILNS1_17partition_subalgoE9EyjbEEZZNS1_14partition_implILS5_9ELb0ES3_jN6thrust23THRUST_200600_302600_NS6detail15normal_iteratorINS9_10device_ptrIyEEEENSB_INSC_IjEEEEPNS0_10empty_typeENS0_5tupleIJSE_SH_EEENSJ_IJSG_SI_EEENS0_18inequality_wrapperINS9_8equal_toIyEEEEPmJSH_EEE10hipError_tPvRmT3_T4_T5_T6_T7_T9_mT8_P12ihipStream_tbDpT10_ENKUlT_T0_E_clISt17integral_constantIbLb0EES1A_EEDaS15_S16_EUlS15_E_NS1_11comp_targetILNS1_3genE8ELNS1_11target_archE1030ELNS1_3gpuE2ELNS1_3repE0EEENS1_30default_config_static_selectorELNS0_4arch9wavefront6targetE0EEEvT1_
	.globl	_ZN7rocprim17ROCPRIM_400000_NS6detail17trampoline_kernelINS0_14default_configENS1_25partition_config_selectorILNS1_17partition_subalgoE9EyjbEEZZNS1_14partition_implILS5_9ELb0ES3_jN6thrust23THRUST_200600_302600_NS6detail15normal_iteratorINS9_10device_ptrIyEEEENSB_INSC_IjEEEEPNS0_10empty_typeENS0_5tupleIJSE_SH_EEENSJ_IJSG_SI_EEENS0_18inequality_wrapperINS9_8equal_toIyEEEEPmJSH_EEE10hipError_tPvRmT3_T4_T5_T6_T7_T9_mT8_P12ihipStream_tbDpT10_ENKUlT_T0_E_clISt17integral_constantIbLb0EES1A_EEDaS15_S16_EUlS15_E_NS1_11comp_targetILNS1_3genE8ELNS1_11target_archE1030ELNS1_3gpuE2ELNS1_3repE0EEENS1_30default_config_static_selectorELNS0_4arch9wavefront6targetE0EEEvT1_
	.p2align	8
	.type	_ZN7rocprim17ROCPRIM_400000_NS6detail17trampoline_kernelINS0_14default_configENS1_25partition_config_selectorILNS1_17partition_subalgoE9EyjbEEZZNS1_14partition_implILS5_9ELb0ES3_jN6thrust23THRUST_200600_302600_NS6detail15normal_iteratorINS9_10device_ptrIyEEEENSB_INSC_IjEEEEPNS0_10empty_typeENS0_5tupleIJSE_SH_EEENSJ_IJSG_SI_EEENS0_18inequality_wrapperINS9_8equal_toIyEEEEPmJSH_EEE10hipError_tPvRmT3_T4_T5_T6_T7_T9_mT8_P12ihipStream_tbDpT10_ENKUlT_T0_E_clISt17integral_constantIbLb0EES1A_EEDaS15_S16_EUlS15_E_NS1_11comp_targetILNS1_3genE8ELNS1_11target_archE1030ELNS1_3gpuE2ELNS1_3repE0EEENS1_30default_config_static_selectorELNS0_4arch9wavefront6targetE0EEEvT1_,@function
_ZN7rocprim17ROCPRIM_400000_NS6detail17trampoline_kernelINS0_14default_configENS1_25partition_config_selectorILNS1_17partition_subalgoE9EyjbEEZZNS1_14partition_implILS5_9ELb0ES3_jN6thrust23THRUST_200600_302600_NS6detail15normal_iteratorINS9_10device_ptrIyEEEENSB_INSC_IjEEEEPNS0_10empty_typeENS0_5tupleIJSE_SH_EEENSJ_IJSG_SI_EEENS0_18inequality_wrapperINS9_8equal_toIyEEEEPmJSH_EEE10hipError_tPvRmT3_T4_T5_T6_T7_T9_mT8_P12ihipStream_tbDpT10_ENKUlT_T0_E_clISt17integral_constantIbLb0EES1A_EEDaS15_S16_EUlS15_E_NS1_11comp_targetILNS1_3genE8ELNS1_11target_archE1030ELNS1_3gpuE2ELNS1_3repE0EEENS1_30default_config_static_selectorELNS0_4arch9wavefront6targetE0EEEvT1_: ; @_ZN7rocprim17ROCPRIM_400000_NS6detail17trampoline_kernelINS0_14default_configENS1_25partition_config_selectorILNS1_17partition_subalgoE9EyjbEEZZNS1_14partition_implILS5_9ELb0ES3_jN6thrust23THRUST_200600_302600_NS6detail15normal_iteratorINS9_10device_ptrIyEEEENSB_INSC_IjEEEEPNS0_10empty_typeENS0_5tupleIJSE_SH_EEENSJ_IJSG_SI_EEENS0_18inequality_wrapperINS9_8equal_toIyEEEEPmJSH_EEE10hipError_tPvRmT3_T4_T5_T6_T7_T9_mT8_P12ihipStream_tbDpT10_ENKUlT_T0_E_clISt17integral_constantIbLb0EES1A_EEDaS15_S16_EUlS15_E_NS1_11comp_targetILNS1_3genE8ELNS1_11target_archE1030ELNS1_3gpuE2ELNS1_3repE0EEENS1_30default_config_static_selectorELNS0_4arch9wavefront6targetE0EEEvT1_
; %bb.0:
	.section	.rodata,"a",@progbits
	.p2align	6, 0x0
	.amdhsa_kernel _ZN7rocprim17ROCPRIM_400000_NS6detail17trampoline_kernelINS0_14default_configENS1_25partition_config_selectorILNS1_17partition_subalgoE9EyjbEEZZNS1_14partition_implILS5_9ELb0ES3_jN6thrust23THRUST_200600_302600_NS6detail15normal_iteratorINS9_10device_ptrIyEEEENSB_INSC_IjEEEEPNS0_10empty_typeENS0_5tupleIJSE_SH_EEENSJ_IJSG_SI_EEENS0_18inequality_wrapperINS9_8equal_toIyEEEEPmJSH_EEE10hipError_tPvRmT3_T4_T5_T6_T7_T9_mT8_P12ihipStream_tbDpT10_ENKUlT_T0_E_clISt17integral_constantIbLb0EES1A_EEDaS15_S16_EUlS15_E_NS1_11comp_targetILNS1_3genE8ELNS1_11target_archE1030ELNS1_3gpuE2ELNS1_3repE0EEENS1_30default_config_static_selectorELNS0_4arch9wavefront6targetE0EEEvT1_
		.amdhsa_group_segment_fixed_size 0
		.amdhsa_private_segment_fixed_size 0
		.amdhsa_kernarg_size 112
		.amdhsa_user_sgpr_count 15
		.amdhsa_user_sgpr_dispatch_ptr 0
		.amdhsa_user_sgpr_queue_ptr 0
		.amdhsa_user_sgpr_kernarg_segment_ptr 1
		.amdhsa_user_sgpr_dispatch_id 0
		.amdhsa_user_sgpr_private_segment_size 0
		.amdhsa_wavefront_size32 1
		.amdhsa_uses_dynamic_stack 0
		.amdhsa_enable_private_segment 0
		.amdhsa_system_sgpr_workgroup_id_x 1
		.amdhsa_system_sgpr_workgroup_id_y 0
		.amdhsa_system_sgpr_workgroup_id_z 0
		.amdhsa_system_sgpr_workgroup_info 0
		.amdhsa_system_vgpr_workitem_id 0
		.amdhsa_next_free_vgpr 1
		.amdhsa_next_free_sgpr 1
		.amdhsa_reserve_vcc 0
		.amdhsa_float_round_mode_32 0
		.amdhsa_float_round_mode_16_64 0
		.amdhsa_float_denorm_mode_32 3
		.amdhsa_float_denorm_mode_16_64 3
		.amdhsa_dx10_clamp 1
		.amdhsa_ieee_mode 1
		.amdhsa_fp16_overflow 0
		.amdhsa_workgroup_processor_mode 1
		.amdhsa_memory_ordered 1
		.amdhsa_forward_progress 0
		.amdhsa_shared_vgpr_count 0
		.amdhsa_exception_fp_ieee_invalid_op 0
		.amdhsa_exception_fp_denorm_src 0
		.amdhsa_exception_fp_ieee_div_zero 0
		.amdhsa_exception_fp_ieee_overflow 0
		.amdhsa_exception_fp_ieee_underflow 0
		.amdhsa_exception_fp_ieee_inexact 0
		.amdhsa_exception_int_div_zero 0
	.end_amdhsa_kernel
	.section	.text._ZN7rocprim17ROCPRIM_400000_NS6detail17trampoline_kernelINS0_14default_configENS1_25partition_config_selectorILNS1_17partition_subalgoE9EyjbEEZZNS1_14partition_implILS5_9ELb0ES3_jN6thrust23THRUST_200600_302600_NS6detail15normal_iteratorINS9_10device_ptrIyEEEENSB_INSC_IjEEEEPNS0_10empty_typeENS0_5tupleIJSE_SH_EEENSJ_IJSG_SI_EEENS0_18inequality_wrapperINS9_8equal_toIyEEEEPmJSH_EEE10hipError_tPvRmT3_T4_T5_T6_T7_T9_mT8_P12ihipStream_tbDpT10_ENKUlT_T0_E_clISt17integral_constantIbLb0EES1A_EEDaS15_S16_EUlS15_E_NS1_11comp_targetILNS1_3genE8ELNS1_11target_archE1030ELNS1_3gpuE2ELNS1_3repE0EEENS1_30default_config_static_selectorELNS0_4arch9wavefront6targetE0EEEvT1_,"axG",@progbits,_ZN7rocprim17ROCPRIM_400000_NS6detail17trampoline_kernelINS0_14default_configENS1_25partition_config_selectorILNS1_17partition_subalgoE9EyjbEEZZNS1_14partition_implILS5_9ELb0ES3_jN6thrust23THRUST_200600_302600_NS6detail15normal_iteratorINS9_10device_ptrIyEEEENSB_INSC_IjEEEEPNS0_10empty_typeENS0_5tupleIJSE_SH_EEENSJ_IJSG_SI_EEENS0_18inequality_wrapperINS9_8equal_toIyEEEEPmJSH_EEE10hipError_tPvRmT3_T4_T5_T6_T7_T9_mT8_P12ihipStream_tbDpT10_ENKUlT_T0_E_clISt17integral_constantIbLb0EES1A_EEDaS15_S16_EUlS15_E_NS1_11comp_targetILNS1_3genE8ELNS1_11target_archE1030ELNS1_3gpuE2ELNS1_3repE0EEENS1_30default_config_static_selectorELNS0_4arch9wavefront6targetE0EEEvT1_,comdat
.Lfunc_end540:
	.size	_ZN7rocprim17ROCPRIM_400000_NS6detail17trampoline_kernelINS0_14default_configENS1_25partition_config_selectorILNS1_17partition_subalgoE9EyjbEEZZNS1_14partition_implILS5_9ELb0ES3_jN6thrust23THRUST_200600_302600_NS6detail15normal_iteratorINS9_10device_ptrIyEEEENSB_INSC_IjEEEEPNS0_10empty_typeENS0_5tupleIJSE_SH_EEENSJ_IJSG_SI_EEENS0_18inequality_wrapperINS9_8equal_toIyEEEEPmJSH_EEE10hipError_tPvRmT3_T4_T5_T6_T7_T9_mT8_P12ihipStream_tbDpT10_ENKUlT_T0_E_clISt17integral_constantIbLb0EES1A_EEDaS15_S16_EUlS15_E_NS1_11comp_targetILNS1_3genE8ELNS1_11target_archE1030ELNS1_3gpuE2ELNS1_3repE0EEENS1_30default_config_static_selectorELNS0_4arch9wavefront6targetE0EEEvT1_, .Lfunc_end540-_ZN7rocprim17ROCPRIM_400000_NS6detail17trampoline_kernelINS0_14default_configENS1_25partition_config_selectorILNS1_17partition_subalgoE9EyjbEEZZNS1_14partition_implILS5_9ELb0ES3_jN6thrust23THRUST_200600_302600_NS6detail15normal_iteratorINS9_10device_ptrIyEEEENSB_INSC_IjEEEEPNS0_10empty_typeENS0_5tupleIJSE_SH_EEENSJ_IJSG_SI_EEENS0_18inequality_wrapperINS9_8equal_toIyEEEEPmJSH_EEE10hipError_tPvRmT3_T4_T5_T6_T7_T9_mT8_P12ihipStream_tbDpT10_ENKUlT_T0_E_clISt17integral_constantIbLb0EES1A_EEDaS15_S16_EUlS15_E_NS1_11comp_targetILNS1_3genE8ELNS1_11target_archE1030ELNS1_3gpuE2ELNS1_3repE0EEENS1_30default_config_static_selectorELNS0_4arch9wavefront6targetE0EEEvT1_
                                        ; -- End function
	.section	.AMDGPU.csdata,"",@progbits
; Kernel info:
; codeLenInByte = 0
; NumSgprs: 0
; NumVgprs: 0
; ScratchSize: 0
; MemoryBound: 0
; FloatMode: 240
; IeeeMode: 1
; LDSByteSize: 0 bytes/workgroup (compile time only)
; SGPRBlocks: 0
; VGPRBlocks: 0
; NumSGPRsForWavesPerEU: 1
; NumVGPRsForWavesPerEU: 1
; Occupancy: 16
; WaveLimiterHint : 0
; COMPUTE_PGM_RSRC2:SCRATCH_EN: 0
; COMPUTE_PGM_RSRC2:USER_SGPR: 15
; COMPUTE_PGM_RSRC2:TRAP_HANDLER: 0
; COMPUTE_PGM_RSRC2:TGID_X_EN: 1
; COMPUTE_PGM_RSRC2:TGID_Y_EN: 0
; COMPUTE_PGM_RSRC2:TGID_Z_EN: 0
; COMPUTE_PGM_RSRC2:TIDIG_COMP_CNT: 0
	.section	.text._ZN7rocprim17ROCPRIM_400000_NS6detail17trampoline_kernelINS0_14default_configENS1_25partition_config_selectorILNS1_17partition_subalgoE9EyjbEEZZNS1_14partition_implILS5_9ELb0ES3_jN6thrust23THRUST_200600_302600_NS6detail15normal_iteratorINS9_10device_ptrIyEEEENSB_INSC_IjEEEEPNS0_10empty_typeENS0_5tupleIJSE_SH_EEENSJ_IJSG_SI_EEENS0_18inequality_wrapperINS9_8equal_toIyEEEEPmJSH_EEE10hipError_tPvRmT3_T4_T5_T6_T7_T9_mT8_P12ihipStream_tbDpT10_ENKUlT_T0_E_clISt17integral_constantIbLb1EES1A_EEDaS15_S16_EUlS15_E_NS1_11comp_targetILNS1_3genE0ELNS1_11target_archE4294967295ELNS1_3gpuE0ELNS1_3repE0EEENS1_30default_config_static_selectorELNS0_4arch9wavefront6targetE0EEEvT1_,"axG",@progbits,_ZN7rocprim17ROCPRIM_400000_NS6detail17trampoline_kernelINS0_14default_configENS1_25partition_config_selectorILNS1_17partition_subalgoE9EyjbEEZZNS1_14partition_implILS5_9ELb0ES3_jN6thrust23THRUST_200600_302600_NS6detail15normal_iteratorINS9_10device_ptrIyEEEENSB_INSC_IjEEEEPNS0_10empty_typeENS0_5tupleIJSE_SH_EEENSJ_IJSG_SI_EEENS0_18inequality_wrapperINS9_8equal_toIyEEEEPmJSH_EEE10hipError_tPvRmT3_T4_T5_T6_T7_T9_mT8_P12ihipStream_tbDpT10_ENKUlT_T0_E_clISt17integral_constantIbLb1EES1A_EEDaS15_S16_EUlS15_E_NS1_11comp_targetILNS1_3genE0ELNS1_11target_archE4294967295ELNS1_3gpuE0ELNS1_3repE0EEENS1_30default_config_static_selectorELNS0_4arch9wavefront6targetE0EEEvT1_,comdat
	.protected	_ZN7rocprim17ROCPRIM_400000_NS6detail17trampoline_kernelINS0_14default_configENS1_25partition_config_selectorILNS1_17partition_subalgoE9EyjbEEZZNS1_14partition_implILS5_9ELb0ES3_jN6thrust23THRUST_200600_302600_NS6detail15normal_iteratorINS9_10device_ptrIyEEEENSB_INSC_IjEEEEPNS0_10empty_typeENS0_5tupleIJSE_SH_EEENSJ_IJSG_SI_EEENS0_18inequality_wrapperINS9_8equal_toIyEEEEPmJSH_EEE10hipError_tPvRmT3_T4_T5_T6_T7_T9_mT8_P12ihipStream_tbDpT10_ENKUlT_T0_E_clISt17integral_constantIbLb1EES1A_EEDaS15_S16_EUlS15_E_NS1_11comp_targetILNS1_3genE0ELNS1_11target_archE4294967295ELNS1_3gpuE0ELNS1_3repE0EEENS1_30default_config_static_selectorELNS0_4arch9wavefront6targetE0EEEvT1_ ; -- Begin function _ZN7rocprim17ROCPRIM_400000_NS6detail17trampoline_kernelINS0_14default_configENS1_25partition_config_selectorILNS1_17partition_subalgoE9EyjbEEZZNS1_14partition_implILS5_9ELb0ES3_jN6thrust23THRUST_200600_302600_NS6detail15normal_iteratorINS9_10device_ptrIyEEEENSB_INSC_IjEEEEPNS0_10empty_typeENS0_5tupleIJSE_SH_EEENSJ_IJSG_SI_EEENS0_18inequality_wrapperINS9_8equal_toIyEEEEPmJSH_EEE10hipError_tPvRmT3_T4_T5_T6_T7_T9_mT8_P12ihipStream_tbDpT10_ENKUlT_T0_E_clISt17integral_constantIbLb1EES1A_EEDaS15_S16_EUlS15_E_NS1_11comp_targetILNS1_3genE0ELNS1_11target_archE4294967295ELNS1_3gpuE0ELNS1_3repE0EEENS1_30default_config_static_selectorELNS0_4arch9wavefront6targetE0EEEvT1_
	.globl	_ZN7rocprim17ROCPRIM_400000_NS6detail17trampoline_kernelINS0_14default_configENS1_25partition_config_selectorILNS1_17partition_subalgoE9EyjbEEZZNS1_14partition_implILS5_9ELb0ES3_jN6thrust23THRUST_200600_302600_NS6detail15normal_iteratorINS9_10device_ptrIyEEEENSB_INSC_IjEEEEPNS0_10empty_typeENS0_5tupleIJSE_SH_EEENSJ_IJSG_SI_EEENS0_18inequality_wrapperINS9_8equal_toIyEEEEPmJSH_EEE10hipError_tPvRmT3_T4_T5_T6_T7_T9_mT8_P12ihipStream_tbDpT10_ENKUlT_T0_E_clISt17integral_constantIbLb1EES1A_EEDaS15_S16_EUlS15_E_NS1_11comp_targetILNS1_3genE0ELNS1_11target_archE4294967295ELNS1_3gpuE0ELNS1_3repE0EEENS1_30default_config_static_selectorELNS0_4arch9wavefront6targetE0EEEvT1_
	.p2align	8
	.type	_ZN7rocprim17ROCPRIM_400000_NS6detail17trampoline_kernelINS0_14default_configENS1_25partition_config_selectorILNS1_17partition_subalgoE9EyjbEEZZNS1_14partition_implILS5_9ELb0ES3_jN6thrust23THRUST_200600_302600_NS6detail15normal_iteratorINS9_10device_ptrIyEEEENSB_INSC_IjEEEEPNS0_10empty_typeENS0_5tupleIJSE_SH_EEENSJ_IJSG_SI_EEENS0_18inequality_wrapperINS9_8equal_toIyEEEEPmJSH_EEE10hipError_tPvRmT3_T4_T5_T6_T7_T9_mT8_P12ihipStream_tbDpT10_ENKUlT_T0_E_clISt17integral_constantIbLb1EES1A_EEDaS15_S16_EUlS15_E_NS1_11comp_targetILNS1_3genE0ELNS1_11target_archE4294967295ELNS1_3gpuE0ELNS1_3repE0EEENS1_30default_config_static_selectorELNS0_4arch9wavefront6targetE0EEEvT1_,@function
_ZN7rocprim17ROCPRIM_400000_NS6detail17trampoline_kernelINS0_14default_configENS1_25partition_config_selectorILNS1_17partition_subalgoE9EyjbEEZZNS1_14partition_implILS5_9ELb0ES3_jN6thrust23THRUST_200600_302600_NS6detail15normal_iteratorINS9_10device_ptrIyEEEENSB_INSC_IjEEEEPNS0_10empty_typeENS0_5tupleIJSE_SH_EEENSJ_IJSG_SI_EEENS0_18inequality_wrapperINS9_8equal_toIyEEEEPmJSH_EEE10hipError_tPvRmT3_T4_T5_T6_T7_T9_mT8_P12ihipStream_tbDpT10_ENKUlT_T0_E_clISt17integral_constantIbLb1EES1A_EEDaS15_S16_EUlS15_E_NS1_11comp_targetILNS1_3genE0ELNS1_11target_archE4294967295ELNS1_3gpuE0ELNS1_3repE0EEENS1_30default_config_static_selectorELNS0_4arch9wavefront6targetE0EEEvT1_: ; @_ZN7rocprim17ROCPRIM_400000_NS6detail17trampoline_kernelINS0_14default_configENS1_25partition_config_selectorILNS1_17partition_subalgoE9EyjbEEZZNS1_14partition_implILS5_9ELb0ES3_jN6thrust23THRUST_200600_302600_NS6detail15normal_iteratorINS9_10device_ptrIyEEEENSB_INSC_IjEEEEPNS0_10empty_typeENS0_5tupleIJSE_SH_EEENSJ_IJSG_SI_EEENS0_18inequality_wrapperINS9_8equal_toIyEEEEPmJSH_EEE10hipError_tPvRmT3_T4_T5_T6_T7_T9_mT8_P12ihipStream_tbDpT10_ENKUlT_T0_E_clISt17integral_constantIbLb1EES1A_EEDaS15_S16_EUlS15_E_NS1_11comp_targetILNS1_3genE0ELNS1_11target_archE4294967295ELNS1_3gpuE0ELNS1_3repE0EEENS1_30default_config_static_selectorELNS0_4arch9wavefront6targetE0EEEvT1_
; %bb.0:
	.section	.rodata,"a",@progbits
	.p2align	6, 0x0
	.amdhsa_kernel _ZN7rocprim17ROCPRIM_400000_NS6detail17trampoline_kernelINS0_14default_configENS1_25partition_config_selectorILNS1_17partition_subalgoE9EyjbEEZZNS1_14partition_implILS5_9ELb0ES3_jN6thrust23THRUST_200600_302600_NS6detail15normal_iteratorINS9_10device_ptrIyEEEENSB_INSC_IjEEEEPNS0_10empty_typeENS0_5tupleIJSE_SH_EEENSJ_IJSG_SI_EEENS0_18inequality_wrapperINS9_8equal_toIyEEEEPmJSH_EEE10hipError_tPvRmT3_T4_T5_T6_T7_T9_mT8_P12ihipStream_tbDpT10_ENKUlT_T0_E_clISt17integral_constantIbLb1EES1A_EEDaS15_S16_EUlS15_E_NS1_11comp_targetILNS1_3genE0ELNS1_11target_archE4294967295ELNS1_3gpuE0ELNS1_3repE0EEENS1_30default_config_static_selectorELNS0_4arch9wavefront6targetE0EEEvT1_
		.amdhsa_group_segment_fixed_size 0
		.amdhsa_private_segment_fixed_size 0
		.amdhsa_kernarg_size 128
		.amdhsa_user_sgpr_count 15
		.amdhsa_user_sgpr_dispatch_ptr 0
		.amdhsa_user_sgpr_queue_ptr 0
		.amdhsa_user_sgpr_kernarg_segment_ptr 1
		.amdhsa_user_sgpr_dispatch_id 0
		.amdhsa_user_sgpr_private_segment_size 0
		.amdhsa_wavefront_size32 1
		.amdhsa_uses_dynamic_stack 0
		.amdhsa_enable_private_segment 0
		.amdhsa_system_sgpr_workgroup_id_x 1
		.amdhsa_system_sgpr_workgroup_id_y 0
		.amdhsa_system_sgpr_workgroup_id_z 0
		.amdhsa_system_sgpr_workgroup_info 0
		.amdhsa_system_vgpr_workitem_id 0
		.amdhsa_next_free_vgpr 1
		.amdhsa_next_free_sgpr 1
		.amdhsa_reserve_vcc 0
		.amdhsa_float_round_mode_32 0
		.amdhsa_float_round_mode_16_64 0
		.amdhsa_float_denorm_mode_32 3
		.amdhsa_float_denorm_mode_16_64 3
		.amdhsa_dx10_clamp 1
		.amdhsa_ieee_mode 1
		.amdhsa_fp16_overflow 0
		.amdhsa_workgroup_processor_mode 1
		.amdhsa_memory_ordered 1
		.amdhsa_forward_progress 0
		.amdhsa_shared_vgpr_count 0
		.amdhsa_exception_fp_ieee_invalid_op 0
		.amdhsa_exception_fp_denorm_src 0
		.amdhsa_exception_fp_ieee_div_zero 0
		.amdhsa_exception_fp_ieee_overflow 0
		.amdhsa_exception_fp_ieee_underflow 0
		.amdhsa_exception_fp_ieee_inexact 0
		.amdhsa_exception_int_div_zero 0
	.end_amdhsa_kernel
	.section	.text._ZN7rocprim17ROCPRIM_400000_NS6detail17trampoline_kernelINS0_14default_configENS1_25partition_config_selectorILNS1_17partition_subalgoE9EyjbEEZZNS1_14partition_implILS5_9ELb0ES3_jN6thrust23THRUST_200600_302600_NS6detail15normal_iteratorINS9_10device_ptrIyEEEENSB_INSC_IjEEEEPNS0_10empty_typeENS0_5tupleIJSE_SH_EEENSJ_IJSG_SI_EEENS0_18inequality_wrapperINS9_8equal_toIyEEEEPmJSH_EEE10hipError_tPvRmT3_T4_T5_T6_T7_T9_mT8_P12ihipStream_tbDpT10_ENKUlT_T0_E_clISt17integral_constantIbLb1EES1A_EEDaS15_S16_EUlS15_E_NS1_11comp_targetILNS1_3genE0ELNS1_11target_archE4294967295ELNS1_3gpuE0ELNS1_3repE0EEENS1_30default_config_static_selectorELNS0_4arch9wavefront6targetE0EEEvT1_,"axG",@progbits,_ZN7rocprim17ROCPRIM_400000_NS6detail17trampoline_kernelINS0_14default_configENS1_25partition_config_selectorILNS1_17partition_subalgoE9EyjbEEZZNS1_14partition_implILS5_9ELb0ES3_jN6thrust23THRUST_200600_302600_NS6detail15normal_iteratorINS9_10device_ptrIyEEEENSB_INSC_IjEEEEPNS0_10empty_typeENS0_5tupleIJSE_SH_EEENSJ_IJSG_SI_EEENS0_18inequality_wrapperINS9_8equal_toIyEEEEPmJSH_EEE10hipError_tPvRmT3_T4_T5_T6_T7_T9_mT8_P12ihipStream_tbDpT10_ENKUlT_T0_E_clISt17integral_constantIbLb1EES1A_EEDaS15_S16_EUlS15_E_NS1_11comp_targetILNS1_3genE0ELNS1_11target_archE4294967295ELNS1_3gpuE0ELNS1_3repE0EEENS1_30default_config_static_selectorELNS0_4arch9wavefront6targetE0EEEvT1_,comdat
.Lfunc_end541:
	.size	_ZN7rocprim17ROCPRIM_400000_NS6detail17trampoline_kernelINS0_14default_configENS1_25partition_config_selectorILNS1_17partition_subalgoE9EyjbEEZZNS1_14partition_implILS5_9ELb0ES3_jN6thrust23THRUST_200600_302600_NS6detail15normal_iteratorINS9_10device_ptrIyEEEENSB_INSC_IjEEEEPNS0_10empty_typeENS0_5tupleIJSE_SH_EEENSJ_IJSG_SI_EEENS0_18inequality_wrapperINS9_8equal_toIyEEEEPmJSH_EEE10hipError_tPvRmT3_T4_T5_T6_T7_T9_mT8_P12ihipStream_tbDpT10_ENKUlT_T0_E_clISt17integral_constantIbLb1EES1A_EEDaS15_S16_EUlS15_E_NS1_11comp_targetILNS1_3genE0ELNS1_11target_archE4294967295ELNS1_3gpuE0ELNS1_3repE0EEENS1_30default_config_static_selectorELNS0_4arch9wavefront6targetE0EEEvT1_, .Lfunc_end541-_ZN7rocprim17ROCPRIM_400000_NS6detail17trampoline_kernelINS0_14default_configENS1_25partition_config_selectorILNS1_17partition_subalgoE9EyjbEEZZNS1_14partition_implILS5_9ELb0ES3_jN6thrust23THRUST_200600_302600_NS6detail15normal_iteratorINS9_10device_ptrIyEEEENSB_INSC_IjEEEEPNS0_10empty_typeENS0_5tupleIJSE_SH_EEENSJ_IJSG_SI_EEENS0_18inequality_wrapperINS9_8equal_toIyEEEEPmJSH_EEE10hipError_tPvRmT3_T4_T5_T6_T7_T9_mT8_P12ihipStream_tbDpT10_ENKUlT_T0_E_clISt17integral_constantIbLb1EES1A_EEDaS15_S16_EUlS15_E_NS1_11comp_targetILNS1_3genE0ELNS1_11target_archE4294967295ELNS1_3gpuE0ELNS1_3repE0EEENS1_30default_config_static_selectorELNS0_4arch9wavefront6targetE0EEEvT1_
                                        ; -- End function
	.section	.AMDGPU.csdata,"",@progbits
; Kernel info:
; codeLenInByte = 0
; NumSgprs: 0
; NumVgprs: 0
; ScratchSize: 0
; MemoryBound: 0
; FloatMode: 240
; IeeeMode: 1
; LDSByteSize: 0 bytes/workgroup (compile time only)
; SGPRBlocks: 0
; VGPRBlocks: 0
; NumSGPRsForWavesPerEU: 1
; NumVGPRsForWavesPerEU: 1
; Occupancy: 16
; WaveLimiterHint : 0
; COMPUTE_PGM_RSRC2:SCRATCH_EN: 0
; COMPUTE_PGM_RSRC2:USER_SGPR: 15
; COMPUTE_PGM_RSRC2:TRAP_HANDLER: 0
; COMPUTE_PGM_RSRC2:TGID_X_EN: 1
; COMPUTE_PGM_RSRC2:TGID_Y_EN: 0
; COMPUTE_PGM_RSRC2:TGID_Z_EN: 0
; COMPUTE_PGM_RSRC2:TIDIG_COMP_CNT: 0
	.section	.text._ZN7rocprim17ROCPRIM_400000_NS6detail17trampoline_kernelINS0_14default_configENS1_25partition_config_selectorILNS1_17partition_subalgoE9EyjbEEZZNS1_14partition_implILS5_9ELb0ES3_jN6thrust23THRUST_200600_302600_NS6detail15normal_iteratorINS9_10device_ptrIyEEEENSB_INSC_IjEEEEPNS0_10empty_typeENS0_5tupleIJSE_SH_EEENSJ_IJSG_SI_EEENS0_18inequality_wrapperINS9_8equal_toIyEEEEPmJSH_EEE10hipError_tPvRmT3_T4_T5_T6_T7_T9_mT8_P12ihipStream_tbDpT10_ENKUlT_T0_E_clISt17integral_constantIbLb1EES1A_EEDaS15_S16_EUlS15_E_NS1_11comp_targetILNS1_3genE5ELNS1_11target_archE942ELNS1_3gpuE9ELNS1_3repE0EEENS1_30default_config_static_selectorELNS0_4arch9wavefront6targetE0EEEvT1_,"axG",@progbits,_ZN7rocprim17ROCPRIM_400000_NS6detail17trampoline_kernelINS0_14default_configENS1_25partition_config_selectorILNS1_17partition_subalgoE9EyjbEEZZNS1_14partition_implILS5_9ELb0ES3_jN6thrust23THRUST_200600_302600_NS6detail15normal_iteratorINS9_10device_ptrIyEEEENSB_INSC_IjEEEEPNS0_10empty_typeENS0_5tupleIJSE_SH_EEENSJ_IJSG_SI_EEENS0_18inequality_wrapperINS9_8equal_toIyEEEEPmJSH_EEE10hipError_tPvRmT3_T4_T5_T6_T7_T9_mT8_P12ihipStream_tbDpT10_ENKUlT_T0_E_clISt17integral_constantIbLb1EES1A_EEDaS15_S16_EUlS15_E_NS1_11comp_targetILNS1_3genE5ELNS1_11target_archE942ELNS1_3gpuE9ELNS1_3repE0EEENS1_30default_config_static_selectorELNS0_4arch9wavefront6targetE0EEEvT1_,comdat
	.protected	_ZN7rocprim17ROCPRIM_400000_NS6detail17trampoline_kernelINS0_14default_configENS1_25partition_config_selectorILNS1_17partition_subalgoE9EyjbEEZZNS1_14partition_implILS5_9ELb0ES3_jN6thrust23THRUST_200600_302600_NS6detail15normal_iteratorINS9_10device_ptrIyEEEENSB_INSC_IjEEEEPNS0_10empty_typeENS0_5tupleIJSE_SH_EEENSJ_IJSG_SI_EEENS0_18inequality_wrapperINS9_8equal_toIyEEEEPmJSH_EEE10hipError_tPvRmT3_T4_T5_T6_T7_T9_mT8_P12ihipStream_tbDpT10_ENKUlT_T0_E_clISt17integral_constantIbLb1EES1A_EEDaS15_S16_EUlS15_E_NS1_11comp_targetILNS1_3genE5ELNS1_11target_archE942ELNS1_3gpuE9ELNS1_3repE0EEENS1_30default_config_static_selectorELNS0_4arch9wavefront6targetE0EEEvT1_ ; -- Begin function _ZN7rocprim17ROCPRIM_400000_NS6detail17trampoline_kernelINS0_14default_configENS1_25partition_config_selectorILNS1_17partition_subalgoE9EyjbEEZZNS1_14partition_implILS5_9ELb0ES3_jN6thrust23THRUST_200600_302600_NS6detail15normal_iteratorINS9_10device_ptrIyEEEENSB_INSC_IjEEEEPNS0_10empty_typeENS0_5tupleIJSE_SH_EEENSJ_IJSG_SI_EEENS0_18inequality_wrapperINS9_8equal_toIyEEEEPmJSH_EEE10hipError_tPvRmT3_T4_T5_T6_T7_T9_mT8_P12ihipStream_tbDpT10_ENKUlT_T0_E_clISt17integral_constantIbLb1EES1A_EEDaS15_S16_EUlS15_E_NS1_11comp_targetILNS1_3genE5ELNS1_11target_archE942ELNS1_3gpuE9ELNS1_3repE0EEENS1_30default_config_static_selectorELNS0_4arch9wavefront6targetE0EEEvT1_
	.globl	_ZN7rocprim17ROCPRIM_400000_NS6detail17trampoline_kernelINS0_14default_configENS1_25partition_config_selectorILNS1_17partition_subalgoE9EyjbEEZZNS1_14partition_implILS5_9ELb0ES3_jN6thrust23THRUST_200600_302600_NS6detail15normal_iteratorINS9_10device_ptrIyEEEENSB_INSC_IjEEEEPNS0_10empty_typeENS0_5tupleIJSE_SH_EEENSJ_IJSG_SI_EEENS0_18inequality_wrapperINS9_8equal_toIyEEEEPmJSH_EEE10hipError_tPvRmT3_T4_T5_T6_T7_T9_mT8_P12ihipStream_tbDpT10_ENKUlT_T0_E_clISt17integral_constantIbLb1EES1A_EEDaS15_S16_EUlS15_E_NS1_11comp_targetILNS1_3genE5ELNS1_11target_archE942ELNS1_3gpuE9ELNS1_3repE0EEENS1_30default_config_static_selectorELNS0_4arch9wavefront6targetE0EEEvT1_
	.p2align	8
	.type	_ZN7rocprim17ROCPRIM_400000_NS6detail17trampoline_kernelINS0_14default_configENS1_25partition_config_selectorILNS1_17partition_subalgoE9EyjbEEZZNS1_14partition_implILS5_9ELb0ES3_jN6thrust23THRUST_200600_302600_NS6detail15normal_iteratorINS9_10device_ptrIyEEEENSB_INSC_IjEEEEPNS0_10empty_typeENS0_5tupleIJSE_SH_EEENSJ_IJSG_SI_EEENS0_18inequality_wrapperINS9_8equal_toIyEEEEPmJSH_EEE10hipError_tPvRmT3_T4_T5_T6_T7_T9_mT8_P12ihipStream_tbDpT10_ENKUlT_T0_E_clISt17integral_constantIbLb1EES1A_EEDaS15_S16_EUlS15_E_NS1_11comp_targetILNS1_3genE5ELNS1_11target_archE942ELNS1_3gpuE9ELNS1_3repE0EEENS1_30default_config_static_selectorELNS0_4arch9wavefront6targetE0EEEvT1_,@function
_ZN7rocprim17ROCPRIM_400000_NS6detail17trampoline_kernelINS0_14default_configENS1_25partition_config_selectorILNS1_17partition_subalgoE9EyjbEEZZNS1_14partition_implILS5_9ELb0ES3_jN6thrust23THRUST_200600_302600_NS6detail15normal_iteratorINS9_10device_ptrIyEEEENSB_INSC_IjEEEEPNS0_10empty_typeENS0_5tupleIJSE_SH_EEENSJ_IJSG_SI_EEENS0_18inequality_wrapperINS9_8equal_toIyEEEEPmJSH_EEE10hipError_tPvRmT3_T4_T5_T6_T7_T9_mT8_P12ihipStream_tbDpT10_ENKUlT_T0_E_clISt17integral_constantIbLb1EES1A_EEDaS15_S16_EUlS15_E_NS1_11comp_targetILNS1_3genE5ELNS1_11target_archE942ELNS1_3gpuE9ELNS1_3repE0EEENS1_30default_config_static_selectorELNS0_4arch9wavefront6targetE0EEEvT1_: ; @_ZN7rocprim17ROCPRIM_400000_NS6detail17trampoline_kernelINS0_14default_configENS1_25partition_config_selectorILNS1_17partition_subalgoE9EyjbEEZZNS1_14partition_implILS5_9ELb0ES3_jN6thrust23THRUST_200600_302600_NS6detail15normal_iteratorINS9_10device_ptrIyEEEENSB_INSC_IjEEEEPNS0_10empty_typeENS0_5tupleIJSE_SH_EEENSJ_IJSG_SI_EEENS0_18inequality_wrapperINS9_8equal_toIyEEEEPmJSH_EEE10hipError_tPvRmT3_T4_T5_T6_T7_T9_mT8_P12ihipStream_tbDpT10_ENKUlT_T0_E_clISt17integral_constantIbLb1EES1A_EEDaS15_S16_EUlS15_E_NS1_11comp_targetILNS1_3genE5ELNS1_11target_archE942ELNS1_3gpuE9ELNS1_3repE0EEENS1_30default_config_static_selectorELNS0_4arch9wavefront6targetE0EEEvT1_
; %bb.0:
	.section	.rodata,"a",@progbits
	.p2align	6, 0x0
	.amdhsa_kernel _ZN7rocprim17ROCPRIM_400000_NS6detail17trampoline_kernelINS0_14default_configENS1_25partition_config_selectorILNS1_17partition_subalgoE9EyjbEEZZNS1_14partition_implILS5_9ELb0ES3_jN6thrust23THRUST_200600_302600_NS6detail15normal_iteratorINS9_10device_ptrIyEEEENSB_INSC_IjEEEEPNS0_10empty_typeENS0_5tupleIJSE_SH_EEENSJ_IJSG_SI_EEENS0_18inequality_wrapperINS9_8equal_toIyEEEEPmJSH_EEE10hipError_tPvRmT3_T4_T5_T6_T7_T9_mT8_P12ihipStream_tbDpT10_ENKUlT_T0_E_clISt17integral_constantIbLb1EES1A_EEDaS15_S16_EUlS15_E_NS1_11comp_targetILNS1_3genE5ELNS1_11target_archE942ELNS1_3gpuE9ELNS1_3repE0EEENS1_30default_config_static_selectorELNS0_4arch9wavefront6targetE0EEEvT1_
		.amdhsa_group_segment_fixed_size 0
		.amdhsa_private_segment_fixed_size 0
		.amdhsa_kernarg_size 128
		.amdhsa_user_sgpr_count 15
		.amdhsa_user_sgpr_dispatch_ptr 0
		.amdhsa_user_sgpr_queue_ptr 0
		.amdhsa_user_sgpr_kernarg_segment_ptr 1
		.amdhsa_user_sgpr_dispatch_id 0
		.amdhsa_user_sgpr_private_segment_size 0
		.amdhsa_wavefront_size32 1
		.amdhsa_uses_dynamic_stack 0
		.amdhsa_enable_private_segment 0
		.amdhsa_system_sgpr_workgroup_id_x 1
		.amdhsa_system_sgpr_workgroup_id_y 0
		.amdhsa_system_sgpr_workgroup_id_z 0
		.amdhsa_system_sgpr_workgroup_info 0
		.amdhsa_system_vgpr_workitem_id 0
		.amdhsa_next_free_vgpr 1
		.amdhsa_next_free_sgpr 1
		.amdhsa_reserve_vcc 0
		.amdhsa_float_round_mode_32 0
		.amdhsa_float_round_mode_16_64 0
		.amdhsa_float_denorm_mode_32 3
		.amdhsa_float_denorm_mode_16_64 3
		.amdhsa_dx10_clamp 1
		.amdhsa_ieee_mode 1
		.amdhsa_fp16_overflow 0
		.amdhsa_workgroup_processor_mode 1
		.amdhsa_memory_ordered 1
		.amdhsa_forward_progress 0
		.amdhsa_shared_vgpr_count 0
		.amdhsa_exception_fp_ieee_invalid_op 0
		.amdhsa_exception_fp_denorm_src 0
		.amdhsa_exception_fp_ieee_div_zero 0
		.amdhsa_exception_fp_ieee_overflow 0
		.amdhsa_exception_fp_ieee_underflow 0
		.amdhsa_exception_fp_ieee_inexact 0
		.amdhsa_exception_int_div_zero 0
	.end_amdhsa_kernel
	.section	.text._ZN7rocprim17ROCPRIM_400000_NS6detail17trampoline_kernelINS0_14default_configENS1_25partition_config_selectorILNS1_17partition_subalgoE9EyjbEEZZNS1_14partition_implILS5_9ELb0ES3_jN6thrust23THRUST_200600_302600_NS6detail15normal_iteratorINS9_10device_ptrIyEEEENSB_INSC_IjEEEEPNS0_10empty_typeENS0_5tupleIJSE_SH_EEENSJ_IJSG_SI_EEENS0_18inequality_wrapperINS9_8equal_toIyEEEEPmJSH_EEE10hipError_tPvRmT3_T4_T5_T6_T7_T9_mT8_P12ihipStream_tbDpT10_ENKUlT_T0_E_clISt17integral_constantIbLb1EES1A_EEDaS15_S16_EUlS15_E_NS1_11comp_targetILNS1_3genE5ELNS1_11target_archE942ELNS1_3gpuE9ELNS1_3repE0EEENS1_30default_config_static_selectorELNS0_4arch9wavefront6targetE0EEEvT1_,"axG",@progbits,_ZN7rocprim17ROCPRIM_400000_NS6detail17trampoline_kernelINS0_14default_configENS1_25partition_config_selectorILNS1_17partition_subalgoE9EyjbEEZZNS1_14partition_implILS5_9ELb0ES3_jN6thrust23THRUST_200600_302600_NS6detail15normal_iteratorINS9_10device_ptrIyEEEENSB_INSC_IjEEEEPNS0_10empty_typeENS0_5tupleIJSE_SH_EEENSJ_IJSG_SI_EEENS0_18inequality_wrapperINS9_8equal_toIyEEEEPmJSH_EEE10hipError_tPvRmT3_T4_T5_T6_T7_T9_mT8_P12ihipStream_tbDpT10_ENKUlT_T0_E_clISt17integral_constantIbLb1EES1A_EEDaS15_S16_EUlS15_E_NS1_11comp_targetILNS1_3genE5ELNS1_11target_archE942ELNS1_3gpuE9ELNS1_3repE0EEENS1_30default_config_static_selectorELNS0_4arch9wavefront6targetE0EEEvT1_,comdat
.Lfunc_end542:
	.size	_ZN7rocprim17ROCPRIM_400000_NS6detail17trampoline_kernelINS0_14default_configENS1_25partition_config_selectorILNS1_17partition_subalgoE9EyjbEEZZNS1_14partition_implILS5_9ELb0ES3_jN6thrust23THRUST_200600_302600_NS6detail15normal_iteratorINS9_10device_ptrIyEEEENSB_INSC_IjEEEEPNS0_10empty_typeENS0_5tupleIJSE_SH_EEENSJ_IJSG_SI_EEENS0_18inequality_wrapperINS9_8equal_toIyEEEEPmJSH_EEE10hipError_tPvRmT3_T4_T5_T6_T7_T9_mT8_P12ihipStream_tbDpT10_ENKUlT_T0_E_clISt17integral_constantIbLb1EES1A_EEDaS15_S16_EUlS15_E_NS1_11comp_targetILNS1_3genE5ELNS1_11target_archE942ELNS1_3gpuE9ELNS1_3repE0EEENS1_30default_config_static_selectorELNS0_4arch9wavefront6targetE0EEEvT1_, .Lfunc_end542-_ZN7rocprim17ROCPRIM_400000_NS6detail17trampoline_kernelINS0_14default_configENS1_25partition_config_selectorILNS1_17partition_subalgoE9EyjbEEZZNS1_14partition_implILS5_9ELb0ES3_jN6thrust23THRUST_200600_302600_NS6detail15normal_iteratorINS9_10device_ptrIyEEEENSB_INSC_IjEEEEPNS0_10empty_typeENS0_5tupleIJSE_SH_EEENSJ_IJSG_SI_EEENS0_18inequality_wrapperINS9_8equal_toIyEEEEPmJSH_EEE10hipError_tPvRmT3_T4_T5_T6_T7_T9_mT8_P12ihipStream_tbDpT10_ENKUlT_T0_E_clISt17integral_constantIbLb1EES1A_EEDaS15_S16_EUlS15_E_NS1_11comp_targetILNS1_3genE5ELNS1_11target_archE942ELNS1_3gpuE9ELNS1_3repE0EEENS1_30default_config_static_selectorELNS0_4arch9wavefront6targetE0EEEvT1_
                                        ; -- End function
	.section	.AMDGPU.csdata,"",@progbits
; Kernel info:
; codeLenInByte = 0
; NumSgprs: 0
; NumVgprs: 0
; ScratchSize: 0
; MemoryBound: 0
; FloatMode: 240
; IeeeMode: 1
; LDSByteSize: 0 bytes/workgroup (compile time only)
; SGPRBlocks: 0
; VGPRBlocks: 0
; NumSGPRsForWavesPerEU: 1
; NumVGPRsForWavesPerEU: 1
; Occupancy: 16
; WaveLimiterHint : 0
; COMPUTE_PGM_RSRC2:SCRATCH_EN: 0
; COMPUTE_PGM_RSRC2:USER_SGPR: 15
; COMPUTE_PGM_RSRC2:TRAP_HANDLER: 0
; COMPUTE_PGM_RSRC2:TGID_X_EN: 1
; COMPUTE_PGM_RSRC2:TGID_Y_EN: 0
; COMPUTE_PGM_RSRC2:TGID_Z_EN: 0
; COMPUTE_PGM_RSRC2:TIDIG_COMP_CNT: 0
	.section	.text._ZN7rocprim17ROCPRIM_400000_NS6detail17trampoline_kernelINS0_14default_configENS1_25partition_config_selectorILNS1_17partition_subalgoE9EyjbEEZZNS1_14partition_implILS5_9ELb0ES3_jN6thrust23THRUST_200600_302600_NS6detail15normal_iteratorINS9_10device_ptrIyEEEENSB_INSC_IjEEEEPNS0_10empty_typeENS0_5tupleIJSE_SH_EEENSJ_IJSG_SI_EEENS0_18inequality_wrapperINS9_8equal_toIyEEEEPmJSH_EEE10hipError_tPvRmT3_T4_T5_T6_T7_T9_mT8_P12ihipStream_tbDpT10_ENKUlT_T0_E_clISt17integral_constantIbLb1EES1A_EEDaS15_S16_EUlS15_E_NS1_11comp_targetILNS1_3genE4ELNS1_11target_archE910ELNS1_3gpuE8ELNS1_3repE0EEENS1_30default_config_static_selectorELNS0_4arch9wavefront6targetE0EEEvT1_,"axG",@progbits,_ZN7rocprim17ROCPRIM_400000_NS6detail17trampoline_kernelINS0_14default_configENS1_25partition_config_selectorILNS1_17partition_subalgoE9EyjbEEZZNS1_14partition_implILS5_9ELb0ES3_jN6thrust23THRUST_200600_302600_NS6detail15normal_iteratorINS9_10device_ptrIyEEEENSB_INSC_IjEEEEPNS0_10empty_typeENS0_5tupleIJSE_SH_EEENSJ_IJSG_SI_EEENS0_18inequality_wrapperINS9_8equal_toIyEEEEPmJSH_EEE10hipError_tPvRmT3_T4_T5_T6_T7_T9_mT8_P12ihipStream_tbDpT10_ENKUlT_T0_E_clISt17integral_constantIbLb1EES1A_EEDaS15_S16_EUlS15_E_NS1_11comp_targetILNS1_3genE4ELNS1_11target_archE910ELNS1_3gpuE8ELNS1_3repE0EEENS1_30default_config_static_selectorELNS0_4arch9wavefront6targetE0EEEvT1_,comdat
	.protected	_ZN7rocprim17ROCPRIM_400000_NS6detail17trampoline_kernelINS0_14default_configENS1_25partition_config_selectorILNS1_17partition_subalgoE9EyjbEEZZNS1_14partition_implILS5_9ELb0ES3_jN6thrust23THRUST_200600_302600_NS6detail15normal_iteratorINS9_10device_ptrIyEEEENSB_INSC_IjEEEEPNS0_10empty_typeENS0_5tupleIJSE_SH_EEENSJ_IJSG_SI_EEENS0_18inequality_wrapperINS9_8equal_toIyEEEEPmJSH_EEE10hipError_tPvRmT3_T4_T5_T6_T7_T9_mT8_P12ihipStream_tbDpT10_ENKUlT_T0_E_clISt17integral_constantIbLb1EES1A_EEDaS15_S16_EUlS15_E_NS1_11comp_targetILNS1_3genE4ELNS1_11target_archE910ELNS1_3gpuE8ELNS1_3repE0EEENS1_30default_config_static_selectorELNS0_4arch9wavefront6targetE0EEEvT1_ ; -- Begin function _ZN7rocprim17ROCPRIM_400000_NS6detail17trampoline_kernelINS0_14default_configENS1_25partition_config_selectorILNS1_17partition_subalgoE9EyjbEEZZNS1_14partition_implILS5_9ELb0ES3_jN6thrust23THRUST_200600_302600_NS6detail15normal_iteratorINS9_10device_ptrIyEEEENSB_INSC_IjEEEEPNS0_10empty_typeENS0_5tupleIJSE_SH_EEENSJ_IJSG_SI_EEENS0_18inequality_wrapperINS9_8equal_toIyEEEEPmJSH_EEE10hipError_tPvRmT3_T4_T5_T6_T7_T9_mT8_P12ihipStream_tbDpT10_ENKUlT_T0_E_clISt17integral_constantIbLb1EES1A_EEDaS15_S16_EUlS15_E_NS1_11comp_targetILNS1_3genE4ELNS1_11target_archE910ELNS1_3gpuE8ELNS1_3repE0EEENS1_30default_config_static_selectorELNS0_4arch9wavefront6targetE0EEEvT1_
	.globl	_ZN7rocprim17ROCPRIM_400000_NS6detail17trampoline_kernelINS0_14default_configENS1_25partition_config_selectorILNS1_17partition_subalgoE9EyjbEEZZNS1_14partition_implILS5_9ELb0ES3_jN6thrust23THRUST_200600_302600_NS6detail15normal_iteratorINS9_10device_ptrIyEEEENSB_INSC_IjEEEEPNS0_10empty_typeENS0_5tupleIJSE_SH_EEENSJ_IJSG_SI_EEENS0_18inequality_wrapperINS9_8equal_toIyEEEEPmJSH_EEE10hipError_tPvRmT3_T4_T5_T6_T7_T9_mT8_P12ihipStream_tbDpT10_ENKUlT_T0_E_clISt17integral_constantIbLb1EES1A_EEDaS15_S16_EUlS15_E_NS1_11comp_targetILNS1_3genE4ELNS1_11target_archE910ELNS1_3gpuE8ELNS1_3repE0EEENS1_30default_config_static_selectorELNS0_4arch9wavefront6targetE0EEEvT1_
	.p2align	8
	.type	_ZN7rocprim17ROCPRIM_400000_NS6detail17trampoline_kernelINS0_14default_configENS1_25partition_config_selectorILNS1_17partition_subalgoE9EyjbEEZZNS1_14partition_implILS5_9ELb0ES3_jN6thrust23THRUST_200600_302600_NS6detail15normal_iteratorINS9_10device_ptrIyEEEENSB_INSC_IjEEEEPNS0_10empty_typeENS0_5tupleIJSE_SH_EEENSJ_IJSG_SI_EEENS0_18inequality_wrapperINS9_8equal_toIyEEEEPmJSH_EEE10hipError_tPvRmT3_T4_T5_T6_T7_T9_mT8_P12ihipStream_tbDpT10_ENKUlT_T0_E_clISt17integral_constantIbLb1EES1A_EEDaS15_S16_EUlS15_E_NS1_11comp_targetILNS1_3genE4ELNS1_11target_archE910ELNS1_3gpuE8ELNS1_3repE0EEENS1_30default_config_static_selectorELNS0_4arch9wavefront6targetE0EEEvT1_,@function
_ZN7rocprim17ROCPRIM_400000_NS6detail17trampoline_kernelINS0_14default_configENS1_25partition_config_selectorILNS1_17partition_subalgoE9EyjbEEZZNS1_14partition_implILS5_9ELb0ES3_jN6thrust23THRUST_200600_302600_NS6detail15normal_iteratorINS9_10device_ptrIyEEEENSB_INSC_IjEEEEPNS0_10empty_typeENS0_5tupleIJSE_SH_EEENSJ_IJSG_SI_EEENS0_18inequality_wrapperINS9_8equal_toIyEEEEPmJSH_EEE10hipError_tPvRmT3_T4_T5_T6_T7_T9_mT8_P12ihipStream_tbDpT10_ENKUlT_T0_E_clISt17integral_constantIbLb1EES1A_EEDaS15_S16_EUlS15_E_NS1_11comp_targetILNS1_3genE4ELNS1_11target_archE910ELNS1_3gpuE8ELNS1_3repE0EEENS1_30default_config_static_selectorELNS0_4arch9wavefront6targetE0EEEvT1_: ; @_ZN7rocprim17ROCPRIM_400000_NS6detail17trampoline_kernelINS0_14default_configENS1_25partition_config_selectorILNS1_17partition_subalgoE9EyjbEEZZNS1_14partition_implILS5_9ELb0ES3_jN6thrust23THRUST_200600_302600_NS6detail15normal_iteratorINS9_10device_ptrIyEEEENSB_INSC_IjEEEEPNS0_10empty_typeENS0_5tupleIJSE_SH_EEENSJ_IJSG_SI_EEENS0_18inequality_wrapperINS9_8equal_toIyEEEEPmJSH_EEE10hipError_tPvRmT3_T4_T5_T6_T7_T9_mT8_P12ihipStream_tbDpT10_ENKUlT_T0_E_clISt17integral_constantIbLb1EES1A_EEDaS15_S16_EUlS15_E_NS1_11comp_targetILNS1_3genE4ELNS1_11target_archE910ELNS1_3gpuE8ELNS1_3repE0EEENS1_30default_config_static_selectorELNS0_4arch9wavefront6targetE0EEEvT1_
; %bb.0:
	.section	.rodata,"a",@progbits
	.p2align	6, 0x0
	.amdhsa_kernel _ZN7rocprim17ROCPRIM_400000_NS6detail17trampoline_kernelINS0_14default_configENS1_25partition_config_selectorILNS1_17partition_subalgoE9EyjbEEZZNS1_14partition_implILS5_9ELb0ES3_jN6thrust23THRUST_200600_302600_NS6detail15normal_iteratorINS9_10device_ptrIyEEEENSB_INSC_IjEEEEPNS0_10empty_typeENS0_5tupleIJSE_SH_EEENSJ_IJSG_SI_EEENS0_18inequality_wrapperINS9_8equal_toIyEEEEPmJSH_EEE10hipError_tPvRmT3_T4_T5_T6_T7_T9_mT8_P12ihipStream_tbDpT10_ENKUlT_T0_E_clISt17integral_constantIbLb1EES1A_EEDaS15_S16_EUlS15_E_NS1_11comp_targetILNS1_3genE4ELNS1_11target_archE910ELNS1_3gpuE8ELNS1_3repE0EEENS1_30default_config_static_selectorELNS0_4arch9wavefront6targetE0EEEvT1_
		.amdhsa_group_segment_fixed_size 0
		.amdhsa_private_segment_fixed_size 0
		.amdhsa_kernarg_size 128
		.amdhsa_user_sgpr_count 15
		.amdhsa_user_sgpr_dispatch_ptr 0
		.amdhsa_user_sgpr_queue_ptr 0
		.amdhsa_user_sgpr_kernarg_segment_ptr 1
		.amdhsa_user_sgpr_dispatch_id 0
		.amdhsa_user_sgpr_private_segment_size 0
		.amdhsa_wavefront_size32 1
		.amdhsa_uses_dynamic_stack 0
		.amdhsa_enable_private_segment 0
		.amdhsa_system_sgpr_workgroup_id_x 1
		.amdhsa_system_sgpr_workgroup_id_y 0
		.amdhsa_system_sgpr_workgroup_id_z 0
		.amdhsa_system_sgpr_workgroup_info 0
		.amdhsa_system_vgpr_workitem_id 0
		.amdhsa_next_free_vgpr 1
		.amdhsa_next_free_sgpr 1
		.amdhsa_reserve_vcc 0
		.amdhsa_float_round_mode_32 0
		.amdhsa_float_round_mode_16_64 0
		.amdhsa_float_denorm_mode_32 3
		.amdhsa_float_denorm_mode_16_64 3
		.amdhsa_dx10_clamp 1
		.amdhsa_ieee_mode 1
		.amdhsa_fp16_overflow 0
		.amdhsa_workgroup_processor_mode 1
		.amdhsa_memory_ordered 1
		.amdhsa_forward_progress 0
		.amdhsa_shared_vgpr_count 0
		.amdhsa_exception_fp_ieee_invalid_op 0
		.amdhsa_exception_fp_denorm_src 0
		.amdhsa_exception_fp_ieee_div_zero 0
		.amdhsa_exception_fp_ieee_overflow 0
		.amdhsa_exception_fp_ieee_underflow 0
		.amdhsa_exception_fp_ieee_inexact 0
		.amdhsa_exception_int_div_zero 0
	.end_amdhsa_kernel
	.section	.text._ZN7rocprim17ROCPRIM_400000_NS6detail17trampoline_kernelINS0_14default_configENS1_25partition_config_selectorILNS1_17partition_subalgoE9EyjbEEZZNS1_14partition_implILS5_9ELb0ES3_jN6thrust23THRUST_200600_302600_NS6detail15normal_iteratorINS9_10device_ptrIyEEEENSB_INSC_IjEEEEPNS0_10empty_typeENS0_5tupleIJSE_SH_EEENSJ_IJSG_SI_EEENS0_18inequality_wrapperINS9_8equal_toIyEEEEPmJSH_EEE10hipError_tPvRmT3_T4_T5_T6_T7_T9_mT8_P12ihipStream_tbDpT10_ENKUlT_T0_E_clISt17integral_constantIbLb1EES1A_EEDaS15_S16_EUlS15_E_NS1_11comp_targetILNS1_3genE4ELNS1_11target_archE910ELNS1_3gpuE8ELNS1_3repE0EEENS1_30default_config_static_selectorELNS0_4arch9wavefront6targetE0EEEvT1_,"axG",@progbits,_ZN7rocprim17ROCPRIM_400000_NS6detail17trampoline_kernelINS0_14default_configENS1_25partition_config_selectorILNS1_17partition_subalgoE9EyjbEEZZNS1_14partition_implILS5_9ELb0ES3_jN6thrust23THRUST_200600_302600_NS6detail15normal_iteratorINS9_10device_ptrIyEEEENSB_INSC_IjEEEEPNS0_10empty_typeENS0_5tupleIJSE_SH_EEENSJ_IJSG_SI_EEENS0_18inequality_wrapperINS9_8equal_toIyEEEEPmJSH_EEE10hipError_tPvRmT3_T4_T5_T6_T7_T9_mT8_P12ihipStream_tbDpT10_ENKUlT_T0_E_clISt17integral_constantIbLb1EES1A_EEDaS15_S16_EUlS15_E_NS1_11comp_targetILNS1_3genE4ELNS1_11target_archE910ELNS1_3gpuE8ELNS1_3repE0EEENS1_30default_config_static_selectorELNS0_4arch9wavefront6targetE0EEEvT1_,comdat
.Lfunc_end543:
	.size	_ZN7rocprim17ROCPRIM_400000_NS6detail17trampoline_kernelINS0_14default_configENS1_25partition_config_selectorILNS1_17partition_subalgoE9EyjbEEZZNS1_14partition_implILS5_9ELb0ES3_jN6thrust23THRUST_200600_302600_NS6detail15normal_iteratorINS9_10device_ptrIyEEEENSB_INSC_IjEEEEPNS0_10empty_typeENS0_5tupleIJSE_SH_EEENSJ_IJSG_SI_EEENS0_18inequality_wrapperINS9_8equal_toIyEEEEPmJSH_EEE10hipError_tPvRmT3_T4_T5_T6_T7_T9_mT8_P12ihipStream_tbDpT10_ENKUlT_T0_E_clISt17integral_constantIbLb1EES1A_EEDaS15_S16_EUlS15_E_NS1_11comp_targetILNS1_3genE4ELNS1_11target_archE910ELNS1_3gpuE8ELNS1_3repE0EEENS1_30default_config_static_selectorELNS0_4arch9wavefront6targetE0EEEvT1_, .Lfunc_end543-_ZN7rocprim17ROCPRIM_400000_NS6detail17trampoline_kernelINS0_14default_configENS1_25partition_config_selectorILNS1_17partition_subalgoE9EyjbEEZZNS1_14partition_implILS5_9ELb0ES3_jN6thrust23THRUST_200600_302600_NS6detail15normal_iteratorINS9_10device_ptrIyEEEENSB_INSC_IjEEEEPNS0_10empty_typeENS0_5tupleIJSE_SH_EEENSJ_IJSG_SI_EEENS0_18inequality_wrapperINS9_8equal_toIyEEEEPmJSH_EEE10hipError_tPvRmT3_T4_T5_T6_T7_T9_mT8_P12ihipStream_tbDpT10_ENKUlT_T0_E_clISt17integral_constantIbLb1EES1A_EEDaS15_S16_EUlS15_E_NS1_11comp_targetILNS1_3genE4ELNS1_11target_archE910ELNS1_3gpuE8ELNS1_3repE0EEENS1_30default_config_static_selectorELNS0_4arch9wavefront6targetE0EEEvT1_
                                        ; -- End function
	.section	.AMDGPU.csdata,"",@progbits
; Kernel info:
; codeLenInByte = 0
; NumSgprs: 0
; NumVgprs: 0
; ScratchSize: 0
; MemoryBound: 0
; FloatMode: 240
; IeeeMode: 1
; LDSByteSize: 0 bytes/workgroup (compile time only)
; SGPRBlocks: 0
; VGPRBlocks: 0
; NumSGPRsForWavesPerEU: 1
; NumVGPRsForWavesPerEU: 1
; Occupancy: 15
; WaveLimiterHint : 0
; COMPUTE_PGM_RSRC2:SCRATCH_EN: 0
; COMPUTE_PGM_RSRC2:USER_SGPR: 15
; COMPUTE_PGM_RSRC2:TRAP_HANDLER: 0
; COMPUTE_PGM_RSRC2:TGID_X_EN: 1
; COMPUTE_PGM_RSRC2:TGID_Y_EN: 0
; COMPUTE_PGM_RSRC2:TGID_Z_EN: 0
; COMPUTE_PGM_RSRC2:TIDIG_COMP_CNT: 0
	.section	.text._ZN7rocprim17ROCPRIM_400000_NS6detail17trampoline_kernelINS0_14default_configENS1_25partition_config_selectorILNS1_17partition_subalgoE9EyjbEEZZNS1_14partition_implILS5_9ELb0ES3_jN6thrust23THRUST_200600_302600_NS6detail15normal_iteratorINS9_10device_ptrIyEEEENSB_INSC_IjEEEEPNS0_10empty_typeENS0_5tupleIJSE_SH_EEENSJ_IJSG_SI_EEENS0_18inequality_wrapperINS9_8equal_toIyEEEEPmJSH_EEE10hipError_tPvRmT3_T4_T5_T6_T7_T9_mT8_P12ihipStream_tbDpT10_ENKUlT_T0_E_clISt17integral_constantIbLb1EES1A_EEDaS15_S16_EUlS15_E_NS1_11comp_targetILNS1_3genE3ELNS1_11target_archE908ELNS1_3gpuE7ELNS1_3repE0EEENS1_30default_config_static_selectorELNS0_4arch9wavefront6targetE0EEEvT1_,"axG",@progbits,_ZN7rocprim17ROCPRIM_400000_NS6detail17trampoline_kernelINS0_14default_configENS1_25partition_config_selectorILNS1_17partition_subalgoE9EyjbEEZZNS1_14partition_implILS5_9ELb0ES3_jN6thrust23THRUST_200600_302600_NS6detail15normal_iteratorINS9_10device_ptrIyEEEENSB_INSC_IjEEEEPNS0_10empty_typeENS0_5tupleIJSE_SH_EEENSJ_IJSG_SI_EEENS0_18inequality_wrapperINS9_8equal_toIyEEEEPmJSH_EEE10hipError_tPvRmT3_T4_T5_T6_T7_T9_mT8_P12ihipStream_tbDpT10_ENKUlT_T0_E_clISt17integral_constantIbLb1EES1A_EEDaS15_S16_EUlS15_E_NS1_11comp_targetILNS1_3genE3ELNS1_11target_archE908ELNS1_3gpuE7ELNS1_3repE0EEENS1_30default_config_static_selectorELNS0_4arch9wavefront6targetE0EEEvT1_,comdat
	.protected	_ZN7rocprim17ROCPRIM_400000_NS6detail17trampoline_kernelINS0_14default_configENS1_25partition_config_selectorILNS1_17partition_subalgoE9EyjbEEZZNS1_14partition_implILS5_9ELb0ES3_jN6thrust23THRUST_200600_302600_NS6detail15normal_iteratorINS9_10device_ptrIyEEEENSB_INSC_IjEEEEPNS0_10empty_typeENS0_5tupleIJSE_SH_EEENSJ_IJSG_SI_EEENS0_18inequality_wrapperINS9_8equal_toIyEEEEPmJSH_EEE10hipError_tPvRmT3_T4_T5_T6_T7_T9_mT8_P12ihipStream_tbDpT10_ENKUlT_T0_E_clISt17integral_constantIbLb1EES1A_EEDaS15_S16_EUlS15_E_NS1_11comp_targetILNS1_3genE3ELNS1_11target_archE908ELNS1_3gpuE7ELNS1_3repE0EEENS1_30default_config_static_selectorELNS0_4arch9wavefront6targetE0EEEvT1_ ; -- Begin function _ZN7rocprim17ROCPRIM_400000_NS6detail17trampoline_kernelINS0_14default_configENS1_25partition_config_selectorILNS1_17partition_subalgoE9EyjbEEZZNS1_14partition_implILS5_9ELb0ES3_jN6thrust23THRUST_200600_302600_NS6detail15normal_iteratorINS9_10device_ptrIyEEEENSB_INSC_IjEEEEPNS0_10empty_typeENS0_5tupleIJSE_SH_EEENSJ_IJSG_SI_EEENS0_18inequality_wrapperINS9_8equal_toIyEEEEPmJSH_EEE10hipError_tPvRmT3_T4_T5_T6_T7_T9_mT8_P12ihipStream_tbDpT10_ENKUlT_T0_E_clISt17integral_constantIbLb1EES1A_EEDaS15_S16_EUlS15_E_NS1_11comp_targetILNS1_3genE3ELNS1_11target_archE908ELNS1_3gpuE7ELNS1_3repE0EEENS1_30default_config_static_selectorELNS0_4arch9wavefront6targetE0EEEvT1_
	.globl	_ZN7rocprim17ROCPRIM_400000_NS6detail17trampoline_kernelINS0_14default_configENS1_25partition_config_selectorILNS1_17partition_subalgoE9EyjbEEZZNS1_14partition_implILS5_9ELb0ES3_jN6thrust23THRUST_200600_302600_NS6detail15normal_iteratorINS9_10device_ptrIyEEEENSB_INSC_IjEEEEPNS0_10empty_typeENS0_5tupleIJSE_SH_EEENSJ_IJSG_SI_EEENS0_18inequality_wrapperINS9_8equal_toIyEEEEPmJSH_EEE10hipError_tPvRmT3_T4_T5_T6_T7_T9_mT8_P12ihipStream_tbDpT10_ENKUlT_T0_E_clISt17integral_constantIbLb1EES1A_EEDaS15_S16_EUlS15_E_NS1_11comp_targetILNS1_3genE3ELNS1_11target_archE908ELNS1_3gpuE7ELNS1_3repE0EEENS1_30default_config_static_selectorELNS0_4arch9wavefront6targetE0EEEvT1_
	.p2align	8
	.type	_ZN7rocprim17ROCPRIM_400000_NS6detail17trampoline_kernelINS0_14default_configENS1_25partition_config_selectorILNS1_17partition_subalgoE9EyjbEEZZNS1_14partition_implILS5_9ELb0ES3_jN6thrust23THRUST_200600_302600_NS6detail15normal_iteratorINS9_10device_ptrIyEEEENSB_INSC_IjEEEEPNS0_10empty_typeENS0_5tupleIJSE_SH_EEENSJ_IJSG_SI_EEENS0_18inequality_wrapperINS9_8equal_toIyEEEEPmJSH_EEE10hipError_tPvRmT3_T4_T5_T6_T7_T9_mT8_P12ihipStream_tbDpT10_ENKUlT_T0_E_clISt17integral_constantIbLb1EES1A_EEDaS15_S16_EUlS15_E_NS1_11comp_targetILNS1_3genE3ELNS1_11target_archE908ELNS1_3gpuE7ELNS1_3repE0EEENS1_30default_config_static_selectorELNS0_4arch9wavefront6targetE0EEEvT1_,@function
_ZN7rocprim17ROCPRIM_400000_NS6detail17trampoline_kernelINS0_14default_configENS1_25partition_config_selectorILNS1_17partition_subalgoE9EyjbEEZZNS1_14partition_implILS5_9ELb0ES3_jN6thrust23THRUST_200600_302600_NS6detail15normal_iteratorINS9_10device_ptrIyEEEENSB_INSC_IjEEEEPNS0_10empty_typeENS0_5tupleIJSE_SH_EEENSJ_IJSG_SI_EEENS0_18inequality_wrapperINS9_8equal_toIyEEEEPmJSH_EEE10hipError_tPvRmT3_T4_T5_T6_T7_T9_mT8_P12ihipStream_tbDpT10_ENKUlT_T0_E_clISt17integral_constantIbLb1EES1A_EEDaS15_S16_EUlS15_E_NS1_11comp_targetILNS1_3genE3ELNS1_11target_archE908ELNS1_3gpuE7ELNS1_3repE0EEENS1_30default_config_static_selectorELNS0_4arch9wavefront6targetE0EEEvT1_: ; @_ZN7rocprim17ROCPRIM_400000_NS6detail17trampoline_kernelINS0_14default_configENS1_25partition_config_selectorILNS1_17partition_subalgoE9EyjbEEZZNS1_14partition_implILS5_9ELb0ES3_jN6thrust23THRUST_200600_302600_NS6detail15normal_iteratorINS9_10device_ptrIyEEEENSB_INSC_IjEEEEPNS0_10empty_typeENS0_5tupleIJSE_SH_EEENSJ_IJSG_SI_EEENS0_18inequality_wrapperINS9_8equal_toIyEEEEPmJSH_EEE10hipError_tPvRmT3_T4_T5_T6_T7_T9_mT8_P12ihipStream_tbDpT10_ENKUlT_T0_E_clISt17integral_constantIbLb1EES1A_EEDaS15_S16_EUlS15_E_NS1_11comp_targetILNS1_3genE3ELNS1_11target_archE908ELNS1_3gpuE7ELNS1_3repE0EEENS1_30default_config_static_selectorELNS0_4arch9wavefront6targetE0EEEvT1_
; %bb.0:
	.section	.rodata,"a",@progbits
	.p2align	6, 0x0
	.amdhsa_kernel _ZN7rocprim17ROCPRIM_400000_NS6detail17trampoline_kernelINS0_14default_configENS1_25partition_config_selectorILNS1_17partition_subalgoE9EyjbEEZZNS1_14partition_implILS5_9ELb0ES3_jN6thrust23THRUST_200600_302600_NS6detail15normal_iteratorINS9_10device_ptrIyEEEENSB_INSC_IjEEEEPNS0_10empty_typeENS0_5tupleIJSE_SH_EEENSJ_IJSG_SI_EEENS0_18inequality_wrapperINS9_8equal_toIyEEEEPmJSH_EEE10hipError_tPvRmT3_T4_T5_T6_T7_T9_mT8_P12ihipStream_tbDpT10_ENKUlT_T0_E_clISt17integral_constantIbLb1EES1A_EEDaS15_S16_EUlS15_E_NS1_11comp_targetILNS1_3genE3ELNS1_11target_archE908ELNS1_3gpuE7ELNS1_3repE0EEENS1_30default_config_static_selectorELNS0_4arch9wavefront6targetE0EEEvT1_
		.amdhsa_group_segment_fixed_size 0
		.amdhsa_private_segment_fixed_size 0
		.amdhsa_kernarg_size 128
		.amdhsa_user_sgpr_count 15
		.amdhsa_user_sgpr_dispatch_ptr 0
		.amdhsa_user_sgpr_queue_ptr 0
		.amdhsa_user_sgpr_kernarg_segment_ptr 1
		.amdhsa_user_sgpr_dispatch_id 0
		.amdhsa_user_sgpr_private_segment_size 0
		.amdhsa_wavefront_size32 1
		.amdhsa_uses_dynamic_stack 0
		.amdhsa_enable_private_segment 0
		.amdhsa_system_sgpr_workgroup_id_x 1
		.amdhsa_system_sgpr_workgroup_id_y 0
		.amdhsa_system_sgpr_workgroup_id_z 0
		.amdhsa_system_sgpr_workgroup_info 0
		.amdhsa_system_vgpr_workitem_id 0
		.amdhsa_next_free_vgpr 1
		.amdhsa_next_free_sgpr 1
		.amdhsa_reserve_vcc 0
		.amdhsa_float_round_mode_32 0
		.amdhsa_float_round_mode_16_64 0
		.amdhsa_float_denorm_mode_32 3
		.amdhsa_float_denorm_mode_16_64 3
		.amdhsa_dx10_clamp 1
		.amdhsa_ieee_mode 1
		.amdhsa_fp16_overflow 0
		.amdhsa_workgroup_processor_mode 1
		.amdhsa_memory_ordered 1
		.amdhsa_forward_progress 0
		.amdhsa_shared_vgpr_count 0
		.amdhsa_exception_fp_ieee_invalid_op 0
		.amdhsa_exception_fp_denorm_src 0
		.amdhsa_exception_fp_ieee_div_zero 0
		.amdhsa_exception_fp_ieee_overflow 0
		.amdhsa_exception_fp_ieee_underflow 0
		.amdhsa_exception_fp_ieee_inexact 0
		.amdhsa_exception_int_div_zero 0
	.end_amdhsa_kernel
	.section	.text._ZN7rocprim17ROCPRIM_400000_NS6detail17trampoline_kernelINS0_14default_configENS1_25partition_config_selectorILNS1_17partition_subalgoE9EyjbEEZZNS1_14partition_implILS5_9ELb0ES3_jN6thrust23THRUST_200600_302600_NS6detail15normal_iteratorINS9_10device_ptrIyEEEENSB_INSC_IjEEEEPNS0_10empty_typeENS0_5tupleIJSE_SH_EEENSJ_IJSG_SI_EEENS0_18inequality_wrapperINS9_8equal_toIyEEEEPmJSH_EEE10hipError_tPvRmT3_T4_T5_T6_T7_T9_mT8_P12ihipStream_tbDpT10_ENKUlT_T0_E_clISt17integral_constantIbLb1EES1A_EEDaS15_S16_EUlS15_E_NS1_11comp_targetILNS1_3genE3ELNS1_11target_archE908ELNS1_3gpuE7ELNS1_3repE0EEENS1_30default_config_static_selectorELNS0_4arch9wavefront6targetE0EEEvT1_,"axG",@progbits,_ZN7rocprim17ROCPRIM_400000_NS6detail17trampoline_kernelINS0_14default_configENS1_25partition_config_selectorILNS1_17partition_subalgoE9EyjbEEZZNS1_14partition_implILS5_9ELb0ES3_jN6thrust23THRUST_200600_302600_NS6detail15normal_iteratorINS9_10device_ptrIyEEEENSB_INSC_IjEEEEPNS0_10empty_typeENS0_5tupleIJSE_SH_EEENSJ_IJSG_SI_EEENS0_18inequality_wrapperINS9_8equal_toIyEEEEPmJSH_EEE10hipError_tPvRmT3_T4_T5_T6_T7_T9_mT8_P12ihipStream_tbDpT10_ENKUlT_T0_E_clISt17integral_constantIbLb1EES1A_EEDaS15_S16_EUlS15_E_NS1_11comp_targetILNS1_3genE3ELNS1_11target_archE908ELNS1_3gpuE7ELNS1_3repE0EEENS1_30default_config_static_selectorELNS0_4arch9wavefront6targetE0EEEvT1_,comdat
.Lfunc_end544:
	.size	_ZN7rocprim17ROCPRIM_400000_NS6detail17trampoline_kernelINS0_14default_configENS1_25partition_config_selectorILNS1_17partition_subalgoE9EyjbEEZZNS1_14partition_implILS5_9ELb0ES3_jN6thrust23THRUST_200600_302600_NS6detail15normal_iteratorINS9_10device_ptrIyEEEENSB_INSC_IjEEEEPNS0_10empty_typeENS0_5tupleIJSE_SH_EEENSJ_IJSG_SI_EEENS0_18inequality_wrapperINS9_8equal_toIyEEEEPmJSH_EEE10hipError_tPvRmT3_T4_T5_T6_T7_T9_mT8_P12ihipStream_tbDpT10_ENKUlT_T0_E_clISt17integral_constantIbLb1EES1A_EEDaS15_S16_EUlS15_E_NS1_11comp_targetILNS1_3genE3ELNS1_11target_archE908ELNS1_3gpuE7ELNS1_3repE0EEENS1_30default_config_static_selectorELNS0_4arch9wavefront6targetE0EEEvT1_, .Lfunc_end544-_ZN7rocprim17ROCPRIM_400000_NS6detail17trampoline_kernelINS0_14default_configENS1_25partition_config_selectorILNS1_17partition_subalgoE9EyjbEEZZNS1_14partition_implILS5_9ELb0ES3_jN6thrust23THRUST_200600_302600_NS6detail15normal_iteratorINS9_10device_ptrIyEEEENSB_INSC_IjEEEEPNS0_10empty_typeENS0_5tupleIJSE_SH_EEENSJ_IJSG_SI_EEENS0_18inequality_wrapperINS9_8equal_toIyEEEEPmJSH_EEE10hipError_tPvRmT3_T4_T5_T6_T7_T9_mT8_P12ihipStream_tbDpT10_ENKUlT_T0_E_clISt17integral_constantIbLb1EES1A_EEDaS15_S16_EUlS15_E_NS1_11comp_targetILNS1_3genE3ELNS1_11target_archE908ELNS1_3gpuE7ELNS1_3repE0EEENS1_30default_config_static_selectorELNS0_4arch9wavefront6targetE0EEEvT1_
                                        ; -- End function
	.section	.AMDGPU.csdata,"",@progbits
; Kernel info:
; codeLenInByte = 0
; NumSgprs: 0
; NumVgprs: 0
; ScratchSize: 0
; MemoryBound: 0
; FloatMode: 240
; IeeeMode: 1
; LDSByteSize: 0 bytes/workgroup (compile time only)
; SGPRBlocks: 0
; VGPRBlocks: 0
; NumSGPRsForWavesPerEU: 1
; NumVGPRsForWavesPerEU: 1
; Occupancy: 16
; WaveLimiterHint : 0
; COMPUTE_PGM_RSRC2:SCRATCH_EN: 0
; COMPUTE_PGM_RSRC2:USER_SGPR: 15
; COMPUTE_PGM_RSRC2:TRAP_HANDLER: 0
; COMPUTE_PGM_RSRC2:TGID_X_EN: 1
; COMPUTE_PGM_RSRC2:TGID_Y_EN: 0
; COMPUTE_PGM_RSRC2:TGID_Z_EN: 0
; COMPUTE_PGM_RSRC2:TIDIG_COMP_CNT: 0
	.section	.text._ZN7rocprim17ROCPRIM_400000_NS6detail17trampoline_kernelINS0_14default_configENS1_25partition_config_selectorILNS1_17partition_subalgoE9EyjbEEZZNS1_14partition_implILS5_9ELb0ES3_jN6thrust23THRUST_200600_302600_NS6detail15normal_iteratorINS9_10device_ptrIyEEEENSB_INSC_IjEEEEPNS0_10empty_typeENS0_5tupleIJSE_SH_EEENSJ_IJSG_SI_EEENS0_18inequality_wrapperINS9_8equal_toIyEEEEPmJSH_EEE10hipError_tPvRmT3_T4_T5_T6_T7_T9_mT8_P12ihipStream_tbDpT10_ENKUlT_T0_E_clISt17integral_constantIbLb1EES1A_EEDaS15_S16_EUlS15_E_NS1_11comp_targetILNS1_3genE2ELNS1_11target_archE906ELNS1_3gpuE6ELNS1_3repE0EEENS1_30default_config_static_selectorELNS0_4arch9wavefront6targetE0EEEvT1_,"axG",@progbits,_ZN7rocprim17ROCPRIM_400000_NS6detail17trampoline_kernelINS0_14default_configENS1_25partition_config_selectorILNS1_17partition_subalgoE9EyjbEEZZNS1_14partition_implILS5_9ELb0ES3_jN6thrust23THRUST_200600_302600_NS6detail15normal_iteratorINS9_10device_ptrIyEEEENSB_INSC_IjEEEEPNS0_10empty_typeENS0_5tupleIJSE_SH_EEENSJ_IJSG_SI_EEENS0_18inequality_wrapperINS9_8equal_toIyEEEEPmJSH_EEE10hipError_tPvRmT3_T4_T5_T6_T7_T9_mT8_P12ihipStream_tbDpT10_ENKUlT_T0_E_clISt17integral_constantIbLb1EES1A_EEDaS15_S16_EUlS15_E_NS1_11comp_targetILNS1_3genE2ELNS1_11target_archE906ELNS1_3gpuE6ELNS1_3repE0EEENS1_30default_config_static_selectorELNS0_4arch9wavefront6targetE0EEEvT1_,comdat
	.protected	_ZN7rocprim17ROCPRIM_400000_NS6detail17trampoline_kernelINS0_14default_configENS1_25partition_config_selectorILNS1_17partition_subalgoE9EyjbEEZZNS1_14partition_implILS5_9ELb0ES3_jN6thrust23THRUST_200600_302600_NS6detail15normal_iteratorINS9_10device_ptrIyEEEENSB_INSC_IjEEEEPNS0_10empty_typeENS0_5tupleIJSE_SH_EEENSJ_IJSG_SI_EEENS0_18inequality_wrapperINS9_8equal_toIyEEEEPmJSH_EEE10hipError_tPvRmT3_T4_T5_T6_T7_T9_mT8_P12ihipStream_tbDpT10_ENKUlT_T0_E_clISt17integral_constantIbLb1EES1A_EEDaS15_S16_EUlS15_E_NS1_11comp_targetILNS1_3genE2ELNS1_11target_archE906ELNS1_3gpuE6ELNS1_3repE0EEENS1_30default_config_static_selectorELNS0_4arch9wavefront6targetE0EEEvT1_ ; -- Begin function _ZN7rocprim17ROCPRIM_400000_NS6detail17trampoline_kernelINS0_14default_configENS1_25partition_config_selectorILNS1_17partition_subalgoE9EyjbEEZZNS1_14partition_implILS5_9ELb0ES3_jN6thrust23THRUST_200600_302600_NS6detail15normal_iteratorINS9_10device_ptrIyEEEENSB_INSC_IjEEEEPNS0_10empty_typeENS0_5tupleIJSE_SH_EEENSJ_IJSG_SI_EEENS0_18inequality_wrapperINS9_8equal_toIyEEEEPmJSH_EEE10hipError_tPvRmT3_T4_T5_T6_T7_T9_mT8_P12ihipStream_tbDpT10_ENKUlT_T0_E_clISt17integral_constantIbLb1EES1A_EEDaS15_S16_EUlS15_E_NS1_11comp_targetILNS1_3genE2ELNS1_11target_archE906ELNS1_3gpuE6ELNS1_3repE0EEENS1_30default_config_static_selectorELNS0_4arch9wavefront6targetE0EEEvT1_
	.globl	_ZN7rocprim17ROCPRIM_400000_NS6detail17trampoline_kernelINS0_14default_configENS1_25partition_config_selectorILNS1_17partition_subalgoE9EyjbEEZZNS1_14partition_implILS5_9ELb0ES3_jN6thrust23THRUST_200600_302600_NS6detail15normal_iteratorINS9_10device_ptrIyEEEENSB_INSC_IjEEEEPNS0_10empty_typeENS0_5tupleIJSE_SH_EEENSJ_IJSG_SI_EEENS0_18inequality_wrapperINS9_8equal_toIyEEEEPmJSH_EEE10hipError_tPvRmT3_T4_T5_T6_T7_T9_mT8_P12ihipStream_tbDpT10_ENKUlT_T0_E_clISt17integral_constantIbLb1EES1A_EEDaS15_S16_EUlS15_E_NS1_11comp_targetILNS1_3genE2ELNS1_11target_archE906ELNS1_3gpuE6ELNS1_3repE0EEENS1_30default_config_static_selectorELNS0_4arch9wavefront6targetE0EEEvT1_
	.p2align	8
	.type	_ZN7rocprim17ROCPRIM_400000_NS6detail17trampoline_kernelINS0_14default_configENS1_25partition_config_selectorILNS1_17partition_subalgoE9EyjbEEZZNS1_14partition_implILS5_9ELb0ES3_jN6thrust23THRUST_200600_302600_NS6detail15normal_iteratorINS9_10device_ptrIyEEEENSB_INSC_IjEEEEPNS0_10empty_typeENS0_5tupleIJSE_SH_EEENSJ_IJSG_SI_EEENS0_18inequality_wrapperINS9_8equal_toIyEEEEPmJSH_EEE10hipError_tPvRmT3_T4_T5_T6_T7_T9_mT8_P12ihipStream_tbDpT10_ENKUlT_T0_E_clISt17integral_constantIbLb1EES1A_EEDaS15_S16_EUlS15_E_NS1_11comp_targetILNS1_3genE2ELNS1_11target_archE906ELNS1_3gpuE6ELNS1_3repE0EEENS1_30default_config_static_selectorELNS0_4arch9wavefront6targetE0EEEvT1_,@function
_ZN7rocprim17ROCPRIM_400000_NS6detail17trampoline_kernelINS0_14default_configENS1_25partition_config_selectorILNS1_17partition_subalgoE9EyjbEEZZNS1_14partition_implILS5_9ELb0ES3_jN6thrust23THRUST_200600_302600_NS6detail15normal_iteratorINS9_10device_ptrIyEEEENSB_INSC_IjEEEEPNS0_10empty_typeENS0_5tupleIJSE_SH_EEENSJ_IJSG_SI_EEENS0_18inequality_wrapperINS9_8equal_toIyEEEEPmJSH_EEE10hipError_tPvRmT3_T4_T5_T6_T7_T9_mT8_P12ihipStream_tbDpT10_ENKUlT_T0_E_clISt17integral_constantIbLb1EES1A_EEDaS15_S16_EUlS15_E_NS1_11comp_targetILNS1_3genE2ELNS1_11target_archE906ELNS1_3gpuE6ELNS1_3repE0EEENS1_30default_config_static_selectorELNS0_4arch9wavefront6targetE0EEEvT1_: ; @_ZN7rocprim17ROCPRIM_400000_NS6detail17trampoline_kernelINS0_14default_configENS1_25partition_config_selectorILNS1_17partition_subalgoE9EyjbEEZZNS1_14partition_implILS5_9ELb0ES3_jN6thrust23THRUST_200600_302600_NS6detail15normal_iteratorINS9_10device_ptrIyEEEENSB_INSC_IjEEEEPNS0_10empty_typeENS0_5tupleIJSE_SH_EEENSJ_IJSG_SI_EEENS0_18inequality_wrapperINS9_8equal_toIyEEEEPmJSH_EEE10hipError_tPvRmT3_T4_T5_T6_T7_T9_mT8_P12ihipStream_tbDpT10_ENKUlT_T0_E_clISt17integral_constantIbLb1EES1A_EEDaS15_S16_EUlS15_E_NS1_11comp_targetILNS1_3genE2ELNS1_11target_archE906ELNS1_3gpuE6ELNS1_3repE0EEENS1_30default_config_static_selectorELNS0_4arch9wavefront6targetE0EEEvT1_
; %bb.0:
	.section	.rodata,"a",@progbits
	.p2align	6, 0x0
	.amdhsa_kernel _ZN7rocprim17ROCPRIM_400000_NS6detail17trampoline_kernelINS0_14default_configENS1_25partition_config_selectorILNS1_17partition_subalgoE9EyjbEEZZNS1_14partition_implILS5_9ELb0ES3_jN6thrust23THRUST_200600_302600_NS6detail15normal_iteratorINS9_10device_ptrIyEEEENSB_INSC_IjEEEEPNS0_10empty_typeENS0_5tupleIJSE_SH_EEENSJ_IJSG_SI_EEENS0_18inequality_wrapperINS9_8equal_toIyEEEEPmJSH_EEE10hipError_tPvRmT3_T4_T5_T6_T7_T9_mT8_P12ihipStream_tbDpT10_ENKUlT_T0_E_clISt17integral_constantIbLb1EES1A_EEDaS15_S16_EUlS15_E_NS1_11comp_targetILNS1_3genE2ELNS1_11target_archE906ELNS1_3gpuE6ELNS1_3repE0EEENS1_30default_config_static_selectorELNS0_4arch9wavefront6targetE0EEEvT1_
		.amdhsa_group_segment_fixed_size 0
		.amdhsa_private_segment_fixed_size 0
		.amdhsa_kernarg_size 128
		.amdhsa_user_sgpr_count 15
		.amdhsa_user_sgpr_dispatch_ptr 0
		.amdhsa_user_sgpr_queue_ptr 0
		.amdhsa_user_sgpr_kernarg_segment_ptr 1
		.amdhsa_user_sgpr_dispatch_id 0
		.amdhsa_user_sgpr_private_segment_size 0
		.amdhsa_wavefront_size32 1
		.amdhsa_uses_dynamic_stack 0
		.amdhsa_enable_private_segment 0
		.amdhsa_system_sgpr_workgroup_id_x 1
		.amdhsa_system_sgpr_workgroup_id_y 0
		.amdhsa_system_sgpr_workgroup_id_z 0
		.amdhsa_system_sgpr_workgroup_info 0
		.amdhsa_system_vgpr_workitem_id 0
		.amdhsa_next_free_vgpr 1
		.amdhsa_next_free_sgpr 1
		.amdhsa_reserve_vcc 0
		.amdhsa_float_round_mode_32 0
		.amdhsa_float_round_mode_16_64 0
		.amdhsa_float_denorm_mode_32 3
		.amdhsa_float_denorm_mode_16_64 3
		.amdhsa_dx10_clamp 1
		.amdhsa_ieee_mode 1
		.amdhsa_fp16_overflow 0
		.amdhsa_workgroup_processor_mode 1
		.amdhsa_memory_ordered 1
		.amdhsa_forward_progress 0
		.amdhsa_shared_vgpr_count 0
		.amdhsa_exception_fp_ieee_invalid_op 0
		.amdhsa_exception_fp_denorm_src 0
		.amdhsa_exception_fp_ieee_div_zero 0
		.amdhsa_exception_fp_ieee_overflow 0
		.amdhsa_exception_fp_ieee_underflow 0
		.amdhsa_exception_fp_ieee_inexact 0
		.amdhsa_exception_int_div_zero 0
	.end_amdhsa_kernel
	.section	.text._ZN7rocprim17ROCPRIM_400000_NS6detail17trampoline_kernelINS0_14default_configENS1_25partition_config_selectorILNS1_17partition_subalgoE9EyjbEEZZNS1_14partition_implILS5_9ELb0ES3_jN6thrust23THRUST_200600_302600_NS6detail15normal_iteratorINS9_10device_ptrIyEEEENSB_INSC_IjEEEEPNS0_10empty_typeENS0_5tupleIJSE_SH_EEENSJ_IJSG_SI_EEENS0_18inequality_wrapperINS9_8equal_toIyEEEEPmJSH_EEE10hipError_tPvRmT3_T4_T5_T6_T7_T9_mT8_P12ihipStream_tbDpT10_ENKUlT_T0_E_clISt17integral_constantIbLb1EES1A_EEDaS15_S16_EUlS15_E_NS1_11comp_targetILNS1_3genE2ELNS1_11target_archE906ELNS1_3gpuE6ELNS1_3repE0EEENS1_30default_config_static_selectorELNS0_4arch9wavefront6targetE0EEEvT1_,"axG",@progbits,_ZN7rocprim17ROCPRIM_400000_NS6detail17trampoline_kernelINS0_14default_configENS1_25partition_config_selectorILNS1_17partition_subalgoE9EyjbEEZZNS1_14partition_implILS5_9ELb0ES3_jN6thrust23THRUST_200600_302600_NS6detail15normal_iteratorINS9_10device_ptrIyEEEENSB_INSC_IjEEEEPNS0_10empty_typeENS0_5tupleIJSE_SH_EEENSJ_IJSG_SI_EEENS0_18inequality_wrapperINS9_8equal_toIyEEEEPmJSH_EEE10hipError_tPvRmT3_T4_T5_T6_T7_T9_mT8_P12ihipStream_tbDpT10_ENKUlT_T0_E_clISt17integral_constantIbLb1EES1A_EEDaS15_S16_EUlS15_E_NS1_11comp_targetILNS1_3genE2ELNS1_11target_archE906ELNS1_3gpuE6ELNS1_3repE0EEENS1_30default_config_static_selectorELNS0_4arch9wavefront6targetE0EEEvT1_,comdat
.Lfunc_end545:
	.size	_ZN7rocprim17ROCPRIM_400000_NS6detail17trampoline_kernelINS0_14default_configENS1_25partition_config_selectorILNS1_17partition_subalgoE9EyjbEEZZNS1_14partition_implILS5_9ELb0ES3_jN6thrust23THRUST_200600_302600_NS6detail15normal_iteratorINS9_10device_ptrIyEEEENSB_INSC_IjEEEEPNS0_10empty_typeENS0_5tupleIJSE_SH_EEENSJ_IJSG_SI_EEENS0_18inequality_wrapperINS9_8equal_toIyEEEEPmJSH_EEE10hipError_tPvRmT3_T4_T5_T6_T7_T9_mT8_P12ihipStream_tbDpT10_ENKUlT_T0_E_clISt17integral_constantIbLb1EES1A_EEDaS15_S16_EUlS15_E_NS1_11comp_targetILNS1_3genE2ELNS1_11target_archE906ELNS1_3gpuE6ELNS1_3repE0EEENS1_30default_config_static_selectorELNS0_4arch9wavefront6targetE0EEEvT1_, .Lfunc_end545-_ZN7rocprim17ROCPRIM_400000_NS6detail17trampoline_kernelINS0_14default_configENS1_25partition_config_selectorILNS1_17partition_subalgoE9EyjbEEZZNS1_14partition_implILS5_9ELb0ES3_jN6thrust23THRUST_200600_302600_NS6detail15normal_iteratorINS9_10device_ptrIyEEEENSB_INSC_IjEEEEPNS0_10empty_typeENS0_5tupleIJSE_SH_EEENSJ_IJSG_SI_EEENS0_18inequality_wrapperINS9_8equal_toIyEEEEPmJSH_EEE10hipError_tPvRmT3_T4_T5_T6_T7_T9_mT8_P12ihipStream_tbDpT10_ENKUlT_T0_E_clISt17integral_constantIbLb1EES1A_EEDaS15_S16_EUlS15_E_NS1_11comp_targetILNS1_3genE2ELNS1_11target_archE906ELNS1_3gpuE6ELNS1_3repE0EEENS1_30default_config_static_selectorELNS0_4arch9wavefront6targetE0EEEvT1_
                                        ; -- End function
	.section	.AMDGPU.csdata,"",@progbits
; Kernel info:
; codeLenInByte = 0
; NumSgprs: 0
; NumVgprs: 0
; ScratchSize: 0
; MemoryBound: 0
; FloatMode: 240
; IeeeMode: 1
; LDSByteSize: 0 bytes/workgroup (compile time only)
; SGPRBlocks: 0
; VGPRBlocks: 0
; NumSGPRsForWavesPerEU: 1
; NumVGPRsForWavesPerEU: 1
; Occupancy: 16
; WaveLimiterHint : 0
; COMPUTE_PGM_RSRC2:SCRATCH_EN: 0
; COMPUTE_PGM_RSRC2:USER_SGPR: 15
; COMPUTE_PGM_RSRC2:TRAP_HANDLER: 0
; COMPUTE_PGM_RSRC2:TGID_X_EN: 1
; COMPUTE_PGM_RSRC2:TGID_Y_EN: 0
; COMPUTE_PGM_RSRC2:TGID_Z_EN: 0
; COMPUTE_PGM_RSRC2:TIDIG_COMP_CNT: 0
	.section	.text._ZN7rocprim17ROCPRIM_400000_NS6detail17trampoline_kernelINS0_14default_configENS1_25partition_config_selectorILNS1_17partition_subalgoE9EyjbEEZZNS1_14partition_implILS5_9ELb0ES3_jN6thrust23THRUST_200600_302600_NS6detail15normal_iteratorINS9_10device_ptrIyEEEENSB_INSC_IjEEEEPNS0_10empty_typeENS0_5tupleIJSE_SH_EEENSJ_IJSG_SI_EEENS0_18inequality_wrapperINS9_8equal_toIyEEEEPmJSH_EEE10hipError_tPvRmT3_T4_T5_T6_T7_T9_mT8_P12ihipStream_tbDpT10_ENKUlT_T0_E_clISt17integral_constantIbLb1EES1A_EEDaS15_S16_EUlS15_E_NS1_11comp_targetILNS1_3genE10ELNS1_11target_archE1200ELNS1_3gpuE4ELNS1_3repE0EEENS1_30default_config_static_selectorELNS0_4arch9wavefront6targetE0EEEvT1_,"axG",@progbits,_ZN7rocprim17ROCPRIM_400000_NS6detail17trampoline_kernelINS0_14default_configENS1_25partition_config_selectorILNS1_17partition_subalgoE9EyjbEEZZNS1_14partition_implILS5_9ELb0ES3_jN6thrust23THRUST_200600_302600_NS6detail15normal_iteratorINS9_10device_ptrIyEEEENSB_INSC_IjEEEEPNS0_10empty_typeENS0_5tupleIJSE_SH_EEENSJ_IJSG_SI_EEENS0_18inequality_wrapperINS9_8equal_toIyEEEEPmJSH_EEE10hipError_tPvRmT3_T4_T5_T6_T7_T9_mT8_P12ihipStream_tbDpT10_ENKUlT_T0_E_clISt17integral_constantIbLb1EES1A_EEDaS15_S16_EUlS15_E_NS1_11comp_targetILNS1_3genE10ELNS1_11target_archE1200ELNS1_3gpuE4ELNS1_3repE0EEENS1_30default_config_static_selectorELNS0_4arch9wavefront6targetE0EEEvT1_,comdat
	.protected	_ZN7rocprim17ROCPRIM_400000_NS6detail17trampoline_kernelINS0_14default_configENS1_25partition_config_selectorILNS1_17partition_subalgoE9EyjbEEZZNS1_14partition_implILS5_9ELb0ES3_jN6thrust23THRUST_200600_302600_NS6detail15normal_iteratorINS9_10device_ptrIyEEEENSB_INSC_IjEEEEPNS0_10empty_typeENS0_5tupleIJSE_SH_EEENSJ_IJSG_SI_EEENS0_18inequality_wrapperINS9_8equal_toIyEEEEPmJSH_EEE10hipError_tPvRmT3_T4_T5_T6_T7_T9_mT8_P12ihipStream_tbDpT10_ENKUlT_T0_E_clISt17integral_constantIbLb1EES1A_EEDaS15_S16_EUlS15_E_NS1_11comp_targetILNS1_3genE10ELNS1_11target_archE1200ELNS1_3gpuE4ELNS1_3repE0EEENS1_30default_config_static_selectorELNS0_4arch9wavefront6targetE0EEEvT1_ ; -- Begin function _ZN7rocprim17ROCPRIM_400000_NS6detail17trampoline_kernelINS0_14default_configENS1_25partition_config_selectorILNS1_17partition_subalgoE9EyjbEEZZNS1_14partition_implILS5_9ELb0ES3_jN6thrust23THRUST_200600_302600_NS6detail15normal_iteratorINS9_10device_ptrIyEEEENSB_INSC_IjEEEEPNS0_10empty_typeENS0_5tupleIJSE_SH_EEENSJ_IJSG_SI_EEENS0_18inequality_wrapperINS9_8equal_toIyEEEEPmJSH_EEE10hipError_tPvRmT3_T4_T5_T6_T7_T9_mT8_P12ihipStream_tbDpT10_ENKUlT_T0_E_clISt17integral_constantIbLb1EES1A_EEDaS15_S16_EUlS15_E_NS1_11comp_targetILNS1_3genE10ELNS1_11target_archE1200ELNS1_3gpuE4ELNS1_3repE0EEENS1_30default_config_static_selectorELNS0_4arch9wavefront6targetE0EEEvT1_
	.globl	_ZN7rocprim17ROCPRIM_400000_NS6detail17trampoline_kernelINS0_14default_configENS1_25partition_config_selectorILNS1_17partition_subalgoE9EyjbEEZZNS1_14partition_implILS5_9ELb0ES3_jN6thrust23THRUST_200600_302600_NS6detail15normal_iteratorINS9_10device_ptrIyEEEENSB_INSC_IjEEEEPNS0_10empty_typeENS0_5tupleIJSE_SH_EEENSJ_IJSG_SI_EEENS0_18inequality_wrapperINS9_8equal_toIyEEEEPmJSH_EEE10hipError_tPvRmT3_T4_T5_T6_T7_T9_mT8_P12ihipStream_tbDpT10_ENKUlT_T0_E_clISt17integral_constantIbLb1EES1A_EEDaS15_S16_EUlS15_E_NS1_11comp_targetILNS1_3genE10ELNS1_11target_archE1200ELNS1_3gpuE4ELNS1_3repE0EEENS1_30default_config_static_selectorELNS0_4arch9wavefront6targetE0EEEvT1_
	.p2align	8
	.type	_ZN7rocprim17ROCPRIM_400000_NS6detail17trampoline_kernelINS0_14default_configENS1_25partition_config_selectorILNS1_17partition_subalgoE9EyjbEEZZNS1_14partition_implILS5_9ELb0ES3_jN6thrust23THRUST_200600_302600_NS6detail15normal_iteratorINS9_10device_ptrIyEEEENSB_INSC_IjEEEEPNS0_10empty_typeENS0_5tupleIJSE_SH_EEENSJ_IJSG_SI_EEENS0_18inequality_wrapperINS9_8equal_toIyEEEEPmJSH_EEE10hipError_tPvRmT3_T4_T5_T6_T7_T9_mT8_P12ihipStream_tbDpT10_ENKUlT_T0_E_clISt17integral_constantIbLb1EES1A_EEDaS15_S16_EUlS15_E_NS1_11comp_targetILNS1_3genE10ELNS1_11target_archE1200ELNS1_3gpuE4ELNS1_3repE0EEENS1_30default_config_static_selectorELNS0_4arch9wavefront6targetE0EEEvT1_,@function
_ZN7rocprim17ROCPRIM_400000_NS6detail17trampoline_kernelINS0_14default_configENS1_25partition_config_selectorILNS1_17partition_subalgoE9EyjbEEZZNS1_14partition_implILS5_9ELb0ES3_jN6thrust23THRUST_200600_302600_NS6detail15normal_iteratorINS9_10device_ptrIyEEEENSB_INSC_IjEEEEPNS0_10empty_typeENS0_5tupleIJSE_SH_EEENSJ_IJSG_SI_EEENS0_18inequality_wrapperINS9_8equal_toIyEEEEPmJSH_EEE10hipError_tPvRmT3_T4_T5_T6_T7_T9_mT8_P12ihipStream_tbDpT10_ENKUlT_T0_E_clISt17integral_constantIbLb1EES1A_EEDaS15_S16_EUlS15_E_NS1_11comp_targetILNS1_3genE10ELNS1_11target_archE1200ELNS1_3gpuE4ELNS1_3repE0EEENS1_30default_config_static_selectorELNS0_4arch9wavefront6targetE0EEEvT1_: ; @_ZN7rocprim17ROCPRIM_400000_NS6detail17trampoline_kernelINS0_14default_configENS1_25partition_config_selectorILNS1_17partition_subalgoE9EyjbEEZZNS1_14partition_implILS5_9ELb0ES3_jN6thrust23THRUST_200600_302600_NS6detail15normal_iteratorINS9_10device_ptrIyEEEENSB_INSC_IjEEEEPNS0_10empty_typeENS0_5tupleIJSE_SH_EEENSJ_IJSG_SI_EEENS0_18inequality_wrapperINS9_8equal_toIyEEEEPmJSH_EEE10hipError_tPvRmT3_T4_T5_T6_T7_T9_mT8_P12ihipStream_tbDpT10_ENKUlT_T0_E_clISt17integral_constantIbLb1EES1A_EEDaS15_S16_EUlS15_E_NS1_11comp_targetILNS1_3genE10ELNS1_11target_archE1200ELNS1_3gpuE4ELNS1_3repE0EEENS1_30default_config_static_selectorELNS0_4arch9wavefront6targetE0EEEvT1_
; %bb.0:
	.section	.rodata,"a",@progbits
	.p2align	6, 0x0
	.amdhsa_kernel _ZN7rocprim17ROCPRIM_400000_NS6detail17trampoline_kernelINS0_14default_configENS1_25partition_config_selectorILNS1_17partition_subalgoE9EyjbEEZZNS1_14partition_implILS5_9ELb0ES3_jN6thrust23THRUST_200600_302600_NS6detail15normal_iteratorINS9_10device_ptrIyEEEENSB_INSC_IjEEEEPNS0_10empty_typeENS0_5tupleIJSE_SH_EEENSJ_IJSG_SI_EEENS0_18inequality_wrapperINS9_8equal_toIyEEEEPmJSH_EEE10hipError_tPvRmT3_T4_T5_T6_T7_T9_mT8_P12ihipStream_tbDpT10_ENKUlT_T0_E_clISt17integral_constantIbLb1EES1A_EEDaS15_S16_EUlS15_E_NS1_11comp_targetILNS1_3genE10ELNS1_11target_archE1200ELNS1_3gpuE4ELNS1_3repE0EEENS1_30default_config_static_selectorELNS0_4arch9wavefront6targetE0EEEvT1_
		.amdhsa_group_segment_fixed_size 0
		.amdhsa_private_segment_fixed_size 0
		.amdhsa_kernarg_size 128
		.amdhsa_user_sgpr_count 15
		.amdhsa_user_sgpr_dispatch_ptr 0
		.amdhsa_user_sgpr_queue_ptr 0
		.amdhsa_user_sgpr_kernarg_segment_ptr 1
		.amdhsa_user_sgpr_dispatch_id 0
		.amdhsa_user_sgpr_private_segment_size 0
		.amdhsa_wavefront_size32 1
		.amdhsa_uses_dynamic_stack 0
		.amdhsa_enable_private_segment 0
		.amdhsa_system_sgpr_workgroup_id_x 1
		.amdhsa_system_sgpr_workgroup_id_y 0
		.amdhsa_system_sgpr_workgroup_id_z 0
		.amdhsa_system_sgpr_workgroup_info 0
		.amdhsa_system_vgpr_workitem_id 0
		.amdhsa_next_free_vgpr 1
		.amdhsa_next_free_sgpr 1
		.amdhsa_reserve_vcc 0
		.amdhsa_float_round_mode_32 0
		.amdhsa_float_round_mode_16_64 0
		.amdhsa_float_denorm_mode_32 3
		.amdhsa_float_denorm_mode_16_64 3
		.amdhsa_dx10_clamp 1
		.amdhsa_ieee_mode 1
		.amdhsa_fp16_overflow 0
		.amdhsa_workgroup_processor_mode 1
		.amdhsa_memory_ordered 1
		.amdhsa_forward_progress 0
		.amdhsa_shared_vgpr_count 0
		.amdhsa_exception_fp_ieee_invalid_op 0
		.amdhsa_exception_fp_denorm_src 0
		.amdhsa_exception_fp_ieee_div_zero 0
		.amdhsa_exception_fp_ieee_overflow 0
		.amdhsa_exception_fp_ieee_underflow 0
		.amdhsa_exception_fp_ieee_inexact 0
		.amdhsa_exception_int_div_zero 0
	.end_amdhsa_kernel
	.section	.text._ZN7rocprim17ROCPRIM_400000_NS6detail17trampoline_kernelINS0_14default_configENS1_25partition_config_selectorILNS1_17partition_subalgoE9EyjbEEZZNS1_14partition_implILS5_9ELb0ES3_jN6thrust23THRUST_200600_302600_NS6detail15normal_iteratorINS9_10device_ptrIyEEEENSB_INSC_IjEEEEPNS0_10empty_typeENS0_5tupleIJSE_SH_EEENSJ_IJSG_SI_EEENS0_18inequality_wrapperINS9_8equal_toIyEEEEPmJSH_EEE10hipError_tPvRmT3_T4_T5_T6_T7_T9_mT8_P12ihipStream_tbDpT10_ENKUlT_T0_E_clISt17integral_constantIbLb1EES1A_EEDaS15_S16_EUlS15_E_NS1_11comp_targetILNS1_3genE10ELNS1_11target_archE1200ELNS1_3gpuE4ELNS1_3repE0EEENS1_30default_config_static_selectorELNS0_4arch9wavefront6targetE0EEEvT1_,"axG",@progbits,_ZN7rocprim17ROCPRIM_400000_NS6detail17trampoline_kernelINS0_14default_configENS1_25partition_config_selectorILNS1_17partition_subalgoE9EyjbEEZZNS1_14partition_implILS5_9ELb0ES3_jN6thrust23THRUST_200600_302600_NS6detail15normal_iteratorINS9_10device_ptrIyEEEENSB_INSC_IjEEEEPNS0_10empty_typeENS0_5tupleIJSE_SH_EEENSJ_IJSG_SI_EEENS0_18inequality_wrapperINS9_8equal_toIyEEEEPmJSH_EEE10hipError_tPvRmT3_T4_T5_T6_T7_T9_mT8_P12ihipStream_tbDpT10_ENKUlT_T0_E_clISt17integral_constantIbLb1EES1A_EEDaS15_S16_EUlS15_E_NS1_11comp_targetILNS1_3genE10ELNS1_11target_archE1200ELNS1_3gpuE4ELNS1_3repE0EEENS1_30default_config_static_selectorELNS0_4arch9wavefront6targetE0EEEvT1_,comdat
.Lfunc_end546:
	.size	_ZN7rocprim17ROCPRIM_400000_NS6detail17trampoline_kernelINS0_14default_configENS1_25partition_config_selectorILNS1_17partition_subalgoE9EyjbEEZZNS1_14partition_implILS5_9ELb0ES3_jN6thrust23THRUST_200600_302600_NS6detail15normal_iteratorINS9_10device_ptrIyEEEENSB_INSC_IjEEEEPNS0_10empty_typeENS0_5tupleIJSE_SH_EEENSJ_IJSG_SI_EEENS0_18inequality_wrapperINS9_8equal_toIyEEEEPmJSH_EEE10hipError_tPvRmT3_T4_T5_T6_T7_T9_mT8_P12ihipStream_tbDpT10_ENKUlT_T0_E_clISt17integral_constantIbLb1EES1A_EEDaS15_S16_EUlS15_E_NS1_11comp_targetILNS1_3genE10ELNS1_11target_archE1200ELNS1_3gpuE4ELNS1_3repE0EEENS1_30default_config_static_selectorELNS0_4arch9wavefront6targetE0EEEvT1_, .Lfunc_end546-_ZN7rocprim17ROCPRIM_400000_NS6detail17trampoline_kernelINS0_14default_configENS1_25partition_config_selectorILNS1_17partition_subalgoE9EyjbEEZZNS1_14partition_implILS5_9ELb0ES3_jN6thrust23THRUST_200600_302600_NS6detail15normal_iteratorINS9_10device_ptrIyEEEENSB_INSC_IjEEEEPNS0_10empty_typeENS0_5tupleIJSE_SH_EEENSJ_IJSG_SI_EEENS0_18inequality_wrapperINS9_8equal_toIyEEEEPmJSH_EEE10hipError_tPvRmT3_T4_T5_T6_T7_T9_mT8_P12ihipStream_tbDpT10_ENKUlT_T0_E_clISt17integral_constantIbLb1EES1A_EEDaS15_S16_EUlS15_E_NS1_11comp_targetILNS1_3genE10ELNS1_11target_archE1200ELNS1_3gpuE4ELNS1_3repE0EEENS1_30default_config_static_selectorELNS0_4arch9wavefront6targetE0EEEvT1_
                                        ; -- End function
	.section	.AMDGPU.csdata,"",@progbits
; Kernel info:
; codeLenInByte = 0
; NumSgprs: 0
; NumVgprs: 0
; ScratchSize: 0
; MemoryBound: 0
; FloatMode: 240
; IeeeMode: 1
; LDSByteSize: 0 bytes/workgroup (compile time only)
; SGPRBlocks: 0
; VGPRBlocks: 0
; NumSGPRsForWavesPerEU: 1
; NumVGPRsForWavesPerEU: 1
; Occupancy: 15
; WaveLimiterHint : 0
; COMPUTE_PGM_RSRC2:SCRATCH_EN: 0
; COMPUTE_PGM_RSRC2:USER_SGPR: 15
; COMPUTE_PGM_RSRC2:TRAP_HANDLER: 0
; COMPUTE_PGM_RSRC2:TGID_X_EN: 1
; COMPUTE_PGM_RSRC2:TGID_Y_EN: 0
; COMPUTE_PGM_RSRC2:TGID_Z_EN: 0
; COMPUTE_PGM_RSRC2:TIDIG_COMP_CNT: 0
	.section	.text._ZN7rocprim17ROCPRIM_400000_NS6detail17trampoline_kernelINS0_14default_configENS1_25partition_config_selectorILNS1_17partition_subalgoE9EyjbEEZZNS1_14partition_implILS5_9ELb0ES3_jN6thrust23THRUST_200600_302600_NS6detail15normal_iteratorINS9_10device_ptrIyEEEENSB_INSC_IjEEEEPNS0_10empty_typeENS0_5tupleIJSE_SH_EEENSJ_IJSG_SI_EEENS0_18inequality_wrapperINS9_8equal_toIyEEEEPmJSH_EEE10hipError_tPvRmT3_T4_T5_T6_T7_T9_mT8_P12ihipStream_tbDpT10_ENKUlT_T0_E_clISt17integral_constantIbLb1EES1A_EEDaS15_S16_EUlS15_E_NS1_11comp_targetILNS1_3genE9ELNS1_11target_archE1100ELNS1_3gpuE3ELNS1_3repE0EEENS1_30default_config_static_selectorELNS0_4arch9wavefront6targetE0EEEvT1_,"axG",@progbits,_ZN7rocprim17ROCPRIM_400000_NS6detail17trampoline_kernelINS0_14default_configENS1_25partition_config_selectorILNS1_17partition_subalgoE9EyjbEEZZNS1_14partition_implILS5_9ELb0ES3_jN6thrust23THRUST_200600_302600_NS6detail15normal_iteratorINS9_10device_ptrIyEEEENSB_INSC_IjEEEEPNS0_10empty_typeENS0_5tupleIJSE_SH_EEENSJ_IJSG_SI_EEENS0_18inequality_wrapperINS9_8equal_toIyEEEEPmJSH_EEE10hipError_tPvRmT3_T4_T5_T6_T7_T9_mT8_P12ihipStream_tbDpT10_ENKUlT_T0_E_clISt17integral_constantIbLb1EES1A_EEDaS15_S16_EUlS15_E_NS1_11comp_targetILNS1_3genE9ELNS1_11target_archE1100ELNS1_3gpuE3ELNS1_3repE0EEENS1_30default_config_static_selectorELNS0_4arch9wavefront6targetE0EEEvT1_,comdat
	.protected	_ZN7rocprim17ROCPRIM_400000_NS6detail17trampoline_kernelINS0_14default_configENS1_25partition_config_selectorILNS1_17partition_subalgoE9EyjbEEZZNS1_14partition_implILS5_9ELb0ES3_jN6thrust23THRUST_200600_302600_NS6detail15normal_iteratorINS9_10device_ptrIyEEEENSB_INSC_IjEEEEPNS0_10empty_typeENS0_5tupleIJSE_SH_EEENSJ_IJSG_SI_EEENS0_18inequality_wrapperINS9_8equal_toIyEEEEPmJSH_EEE10hipError_tPvRmT3_T4_T5_T6_T7_T9_mT8_P12ihipStream_tbDpT10_ENKUlT_T0_E_clISt17integral_constantIbLb1EES1A_EEDaS15_S16_EUlS15_E_NS1_11comp_targetILNS1_3genE9ELNS1_11target_archE1100ELNS1_3gpuE3ELNS1_3repE0EEENS1_30default_config_static_selectorELNS0_4arch9wavefront6targetE0EEEvT1_ ; -- Begin function _ZN7rocprim17ROCPRIM_400000_NS6detail17trampoline_kernelINS0_14default_configENS1_25partition_config_selectorILNS1_17partition_subalgoE9EyjbEEZZNS1_14partition_implILS5_9ELb0ES3_jN6thrust23THRUST_200600_302600_NS6detail15normal_iteratorINS9_10device_ptrIyEEEENSB_INSC_IjEEEEPNS0_10empty_typeENS0_5tupleIJSE_SH_EEENSJ_IJSG_SI_EEENS0_18inequality_wrapperINS9_8equal_toIyEEEEPmJSH_EEE10hipError_tPvRmT3_T4_T5_T6_T7_T9_mT8_P12ihipStream_tbDpT10_ENKUlT_T0_E_clISt17integral_constantIbLb1EES1A_EEDaS15_S16_EUlS15_E_NS1_11comp_targetILNS1_3genE9ELNS1_11target_archE1100ELNS1_3gpuE3ELNS1_3repE0EEENS1_30default_config_static_selectorELNS0_4arch9wavefront6targetE0EEEvT1_
	.globl	_ZN7rocprim17ROCPRIM_400000_NS6detail17trampoline_kernelINS0_14default_configENS1_25partition_config_selectorILNS1_17partition_subalgoE9EyjbEEZZNS1_14partition_implILS5_9ELb0ES3_jN6thrust23THRUST_200600_302600_NS6detail15normal_iteratorINS9_10device_ptrIyEEEENSB_INSC_IjEEEEPNS0_10empty_typeENS0_5tupleIJSE_SH_EEENSJ_IJSG_SI_EEENS0_18inequality_wrapperINS9_8equal_toIyEEEEPmJSH_EEE10hipError_tPvRmT3_T4_T5_T6_T7_T9_mT8_P12ihipStream_tbDpT10_ENKUlT_T0_E_clISt17integral_constantIbLb1EES1A_EEDaS15_S16_EUlS15_E_NS1_11comp_targetILNS1_3genE9ELNS1_11target_archE1100ELNS1_3gpuE3ELNS1_3repE0EEENS1_30default_config_static_selectorELNS0_4arch9wavefront6targetE0EEEvT1_
	.p2align	8
	.type	_ZN7rocprim17ROCPRIM_400000_NS6detail17trampoline_kernelINS0_14default_configENS1_25partition_config_selectorILNS1_17partition_subalgoE9EyjbEEZZNS1_14partition_implILS5_9ELb0ES3_jN6thrust23THRUST_200600_302600_NS6detail15normal_iteratorINS9_10device_ptrIyEEEENSB_INSC_IjEEEEPNS0_10empty_typeENS0_5tupleIJSE_SH_EEENSJ_IJSG_SI_EEENS0_18inequality_wrapperINS9_8equal_toIyEEEEPmJSH_EEE10hipError_tPvRmT3_T4_T5_T6_T7_T9_mT8_P12ihipStream_tbDpT10_ENKUlT_T0_E_clISt17integral_constantIbLb1EES1A_EEDaS15_S16_EUlS15_E_NS1_11comp_targetILNS1_3genE9ELNS1_11target_archE1100ELNS1_3gpuE3ELNS1_3repE0EEENS1_30default_config_static_selectorELNS0_4arch9wavefront6targetE0EEEvT1_,@function
_ZN7rocprim17ROCPRIM_400000_NS6detail17trampoline_kernelINS0_14default_configENS1_25partition_config_selectorILNS1_17partition_subalgoE9EyjbEEZZNS1_14partition_implILS5_9ELb0ES3_jN6thrust23THRUST_200600_302600_NS6detail15normal_iteratorINS9_10device_ptrIyEEEENSB_INSC_IjEEEEPNS0_10empty_typeENS0_5tupleIJSE_SH_EEENSJ_IJSG_SI_EEENS0_18inequality_wrapperINS9_8equal_toIyEEEEPmJSH_EEE10hipError_tPvRmT3_T4_T5_T6_T7_T9_mT8_P12ihipStream_tbDpT10_ENKUlT_T0_E_clISt17integral_constantIbLb1EES1A_EEDaS15_S16_EUlS15_E_NS1_11comp_targetILNS1_3genE9ELNS1_11target_archE1100ELNS1_3gpuE3ELNS1_3repE0EEENS1_30default_config_static_selectorELNS0_4arch9wavefront6targetE0EEEvT1_: ; @_ZN7rocprim17ROCPRIM_400000_NS6detail17trampoline_kernelINS0_14default_configENS1_25partition_config_selectorILNS1_17partition_subalgoE9EyjbEEZZNS1_14partition_implILS5_9ELb0ES3_jN6thrust23THRUST_200600_302600_NS6detail15normal_iteratorINS9_10device_ptrIyEEEENSB_INSC_IjEEEEPNS0_10empty_typeENS0_5tupleIJSE_SH_EEENSJ_IJSG_SI_EEENS0_18inequality_wrapperINS9_8equal_toIyEEEEPmJSH_EEE10hipError_tPvRmT3_T4_T5_T6_T7_T9_mT8_P12ihipStream_tbDpT10_ENKUlT_T0_E_clISt17integral_constantIbLb1EES1A_EEDaS15_S16_EUlS15_E_NS1_11comp_targetILNS1_3genE9ELNS1_11target_archE1100ELNS1_3gpuE3ELNS1_3repE0EEENS1_30default_config_static_selectorELNS0_4arch9wavefront6targetE0EEEvT1_
; %bb.0:
	s_clause 0x4
	s_load_b128 s[4:7], s[0:1], 0x8
	s_load_b64 s[8:9], s[0:1], 0x18
	s_load_b128 s[12:15], s[0:1], 0x40
	s_load_b64 s[10:11], s[0:1], 0x50
	s_load_b64 s[20:21], s[0:1], 0x60
	v_cmp_ne_u32_e64 s3, 0, v0
	v_cmp_eq_u32_e64 s2, 0, v0
	s_delay_alu instid0(VALU_DEP_1)
	s_and_saveexec_b32 s16, s2
	s_cbranch_execz .LBB547_4
; %bb.1:
	s_mov_b32 s18, exec_lo
	s_mov_b32 s17, exec_lo
	v_mbcnt_lo_u32_b32 v1, s18, 0
                                        ; implicit-def: $vgpr2
	s_delay_alu instid0(VALU_DEP_1)
	v_cmpx_eq_u32_e32 0, v1
	s_cbranch_execz .LBB547_3
; %bb.2:
	s_load_b64 s[22:23], s[0:1], 0x70
	s_bcnt1_i32_b32 s18, s18
	s_delay_alu instid0(SALU_CYCLE_1)
	v_dual_mov_b32 v2, 0 :: v_dual_mov_b32 v3, s18
	s_waitcnt lgkmcnt(0)
	global_atomic_add_u32 v2, v2, v3, s[22:23] glc
.LBB547_3:
	s_or_b32 exec_lo, exec_lo, s17
	s_waitcnt vmcnt(0)
	v_readfirstlane_b32 s17, v2
	s_delay_alu instid0(VALU_DEP_1)
	v_dual_mov_b32 v2, 0 :: v_dual_add_nc_u32 v1, s17, v1
	ds_store_b32 v2, v1
.LBB547_4:
	s_or_b32 exec_lo, exec_lo, s16
	v_mov_b32_e32 v1, 0
	s_clause 0x1
	s_load_b128 s[16:19], s[0:1], 0x28
	s_load_b32 s0, s[0:1], 0x68
	s_waitcnt lgkmcnt(0)
	s_barrier
	buffer_gl0_inv
	ds_load_b32 v3, v1
	s_waitcnt lgkmcnt(0)
	s_barrier
	buffer_gl0_inv
	global_load_b64 v[1:2], v1, s[14:15]
	s_lshl_b64 s[22:23], s[6:7], 3
	s_mov_b32 s15, 0
	s_add_u32 s4, s4, s22
	s_addc_u32 s5, s5, s23
	v_lshlrev_b32_e32 v47, 3, v0
	v_lshrrev_b32_e32 v24, 2, v0
	v_or_b32_e32 v23, 0x200, v0
	v_or_b32_e32 v21, 0x400, v0
	;; [unrolled: 1-line block ×5, first 2 shown]
	s_add_i32 s22, s0, -1
	s_lshl_b32 s0, s0, 12
	s_lshl_b32 s1, s22, 12
	v_or_b32_e32 v17, 0xc00, v0
	v_readfirstlane_b32 s24, v3
	s_add_i32 s1, s6, s1
	v_or_b32_e32 v19, 0xe00, v0
	s_sub_i32 s25, s10, s1
	s_delay_alu instid0(VALU_DEP_2)
	s_lshl_b32 s14, s24, 12
	s_add_u32 s0, s6, s0
	s_addc_u32 s1, s7, 0
	s_cmp_eq_u32 s24, s22
	v_cmp_ge_u64_e64 s0, s[0:1], s[10:11]
	s_cselect_b32 s22, -1, 0
	s_delay_alu instid0(VALU_DEP_1) | instid1(SALU_CYCLE_1)
	s_and_b32 s26, s0, s22
	s_lshl_b64 s[0:1], s[14:15], 3
	s_xor_b32 s23, s26, -1
	s_add_u32 s4, s4, s0
	s_addc_u32 s1, s5, s1
	s_and_b32 vcc_lo, exec_lo, s23
	s_mov_b32 s5, -1
	s_waitcnt vmcnt(0)
	v_readfirstlane_b32 s10, v1
	v_readfirstlane_b32 s11, v2
	s_cbranch_vccz .LBB547_6
; %bb.5:
	v_add_co_u32 v1, s0, s4, v47
	s_delay_alu instid0(VALU_DEP_1) | instskip(SKIP_1) | instid1(VALU_DEP_3)
	v_add_co_ci_u32_e64 v2, null, s1, 0, s0
	v_lshrrev_b32_e32 v26, 2, v23
	v_add_co_u32 v3, vcc_lo, 0x1000, v1
	s_delay_alu instid0(VALU_DEP_3)
	v_add_co_ci_u32_e32 v4, vcc_lo, 0, v2, vcc_lo
	v_add_co_u32 v5, vcc_lo, 0x2000, v1
	v_add_co_ci_u32_e32 v6, vcc_lo, 0, v2, vcc_lo
	v_add_co_u32 v7, vcc_lo, 0x3000, v1
	v_add_co_ci_u32_e32 v8, vcc_lo, 0, v2, vcc_lo
	v_add_co_u32 v9, vcc_lo, 0x4000, v1
	v_add_co_ci_u32_e32 v10, vcc_lo, 0, v2, vcc_lo
	v_add_co_u32 v11, vcc_lo, 0x5000, v1
	v_add_co_ci_u32_e32 v12, vcc_lo, 0, v2, vcc_lo
	v_add_co_u32 v13, vcc_lo, 0x6000, v1
	v_add_co_ci_u32_e32 v14, vcc_lo, 0, v2, vcc_lo
	v_add_co_u32 v15, vcc_lo, 0x7000, v1
	v_add_co_ci_u32_e32 v16, vcc_lo, 0, v2, vcc_lo
	s_clause 0x7
	flat_load_b64 v[1:2], v[1:2]
	flat_load_b64 v[3:4], v[3:4]
	;; [unrolled: 1-line block ×8, first 2 shown]
	v_lshrrev_b32_e32 v27, 2, v21
	v_lshrrev_b32_e32 v28, 2, v22
	;; [unrolled: 1-line block ×3, first 2 shown]
	v_and_b32_e32 v25, 0x78, v24
	v_lshrrev_b32_e32 v30, 2, v18
	v_lshrrev_b32_e32 v31, 2, v17
	;; [unrolled: 1-line block ×3, first 2 shown]
	v_and_b32_e32 v26, 0xf8, v26
	v_and_b32_e32 v27, 0x178, v27
	v_and_b32_e32 v28, 0x1f8, v28
	v_and_b32_e32 v29, 0x278, v29
	v_add_nc_u32_e32 v25, v25, v47
	v_and_b32_e32 v30, 0x2f8, v30
	v_and_b32_e32 v31, 0x378, v31
	v_and_b32_e32 v32, 0x3f8, v32
	v_add_nc_u32_e32 v26, v26, v47
	v_add_nc_u32_e32 v27, v27, v47
	;; [unrolled: 1-line block ×4, first 2 shown]
	s_mov_b32 s5, s15
	v_add_nc_u32_e32 v30, v30, v47
	v_add_nc_u32_e32 v31, v31, v47
	;; [unrolled: 1-line block ×3, first 2 shown]
	s_waitcnt vmcnt(7) lgkmcnt(7)
	ds_store_b64 v25, v[1:2]
	s_waitcnt vmcnt(6) lgkmcnt(7)
	ds_store_b64 v26, v[3:4] offset:4096
	s_waitcnt vmcnt(5) lgkmcnt(7)
	ds_store_b64 v27, v[5:6] offset:8192
	;; [unrolled: 2-line block ×7, first 2 shown]
	s_waitcnt lgkmcnt(0)
	s_barrier
.LBB547_6:
	v_cmp_gt_u32_e64 s0, s25, v0
	s_and_not1_b32 vcc_lo, exec_lo, s5
	s_cbranch_vccnz .LBB547_24
; %bb.7:
                                        ; implicit-def: $vgpr1_vgpr2_vgpr3_vgpr4_vgpr5_vgpr6_vgpr7_vgpr8_vgpr9_vgpr10_vgpr11_vgpr12_vgpr13_vgpr14_vgpr15_vgpr16
	s_delay_alu instid0(VALU_DEP_1)
	s_and_saveexec_b32 s5, s0
	s_cbranch_execz .LBB547_15
; %bb.8:
	v_add_co_u32 v1, s0, s4, v47
	s_delay_alu instid0(VALU_DEP_1) | instskip(SKIP_2) | instid1(SALU_CYCLE_1)
	v_add_co_ci_u32_e64 v2, null, s1, 0, s0
	flat_load_b64 v[1:2], v[1:2]
	s_or_b32 exec_lo, exec_lo, s5
	s_mov_b32 s0, exec_lo
	v_cmpx_gt_u32_e64 s25, v23
	s_cbranch_execnz .LBB547_16
.LBB547_9:
	s_or_b32 exec_lo, exec_lo, s0
	s_delay_alu instid0(SALU_CYCLE_1)
	s_mov_b32 s0, exec_lo
	v_cmpx_gt_u32_e64 s25, v21
	s_cbranch_execz .LBB547_17
.LBB547_10:
	v_lshlrev_b32_e32 v5, 3, v21
	s_delay_alu instid0(VALU_DEP_1) | instskip(NEXT) | instid1(VALU_DEP_1)
	v_add_co_u32 v5, s5, s4, v5
	v_add_co_ci_u32_e64 v6, null, s1, 0, s5
	flat_load_b64 v[5:6], v[5:6]
	s_or_b32 exec_lo, exec_lo, s0
	s_delay_alu instid0(SALU_CYCLE_1)
	s_mov_b32 s0, exec_lo
	v_cmpx_gt_u32_e64 s25, v22
	s_cbranch_execnz .LBB547_18
.LBB547_11:
	s_or_b32 exec_lo, exec_lo, s0
	s_delay_alu instid0(SALU_CYCLE_1)
	s_mov_b32 s0, exec_lo
	v_cmpx_gt_u32_e64 s25, v20
	s_cbranch_execz .LBB547_19
.LBB547_12:
	v_lshlrev_b32_e32 v9, 3, v20
	s_delay_alu instid0(VALU_DEP_1) | instskip(NEXT) | instid1(VALU_DEP_1)
	v_add_co_u32 v9, s5, s4, v9
	v_add_co_ci_u32_e64 v10, null, s1, 0, s5
	flat_load_b64 v[9:10], v[9:10]
	s_or_b32 exec_lo, exec_lo, s0
	s_delay_alu instid0(SALU_CYCLE_1)
	s_mov_b32 s0, exec_lo
	v_cmpx_gt_u32_e64 s25, v18
	s_cbranch_execnz .LBB547_20
.LBB547_13:
	s_or_b32 exec_lo, exec_lo, s0
	s_delay_alu instid0(SALU_CYCLE_1)
	s_mov_b32 s0, exec_lo
	v_cmpx_gt_u32_e64 s25, v17
	s_cbranch_execz .LBB547_21
.LBB547_14:
	v_lshlrev_b32_e32 v13, 3, v17
	s_delay_alu instid0(VALU_DEP_1) | instskip(NEXT) | instid1(VALU_DEP_1)
	v_add_co_u32 v13, s5, s4, v13
	v_add_co_ci_u32_e64 v14, null, s1, 0, s5
	flat_load_b64 v[13:14], v[13:14]
	s_or_b32 exec_lo, exec_lo, s0
	s_delay_alu instid0(SALU_CYCLE_1)
	s_mov_b32 s0, exec_lo
	v_cmpx_gt_u32_e64 s25, v19
	s_cbranch_execnz .LBB547_22
	s_branch .LBB547_23
.LBB547_15:
	s_or_b32 exec_lo, exec_lo, s5
	s_delay_alu instid0(SALU_CYCLE_1)
	s_mov_b32 s0, exec_lo
	v_cmpx_gt_u32_e64 s25, v23
	s_cbranch_execz .LBB547_9
.LBB547_16:
	v_lshlrev_b32_e32 v3, 3, v23
	s_delay_alu instid0(VALU_DEP_1) | instskip(NEXT) | instid1(VALU_DEP_1)
	v_add_co_u32 v3, s5, s4, v3
	v_add_co_ci_u32_e64 v4, null, s1, 0, s5
	flat_load_b64 v[3:4], v[3:4]
	s_or_b32 exec_lo, exec_lo, s0
	s_delay_alu instid0(SALU_CYCLE_1)
	s_mov_b32 s0, exec_lo
	v_cmpx_gt_u32_e64 s25, v21
	s_cbranch_execnz .LBB547_10
.LBB547_17:
	s_or_b32 exec_lo, exec_lo, s0
	s_delay_alu instid0(SALU_CYCLE_1)
	s_mov_b32 s0, exec_lo
	v_cmpx_gt_u32_e64 s25, v22
	s_cbranch_execz .LBB547_11
.LBB547_18:
	v_lshlrev_b32_e32 v7, 3, v22
	s_delay_alu instid0(VALU_DEP_1) | instskip(NEXT) | instid1(VALU_DEP_1)
	v_add_co_u32 v7, s5, s4, v7
	v_add_co_ci_u32_e64 v8, null, s1, 0, s5
	flat_load_b64 v[7:8], v[7:8]
	s_or_b32 exec_lo, exec_lo, s0
	s_delay_alu instid0(SALU_CYCLE_1)
	s_mov_b32 s0, exec_lo
	v_cmpx_gt_u32_e64 s25, v20
	s_cbranch_execnz .LBB547_12
.LBB547_19:
	s_or_b32 exec_lo, exec_lo, s0
	s_delay_alu instid0(SALU_CYCLE_1)
	s_mov_b32 s0, exec_lo
	v_cmpx_gt_u32_e64 s25, v18
	s_cbranch_execz .LBB547_13
.LBB547_20:
	v_lshlrev_b32_e32 v11, 3, v18
	s_delay_alu instid0(VALU_DEP_1) | instskip(NEXT) | instid1(VALU_DEP_1)
	v_add_co_u32 v11, s5, s4, v11
	v_add_co_ci_u32_e64 v12, null, s1, 0, s5
	flat_load_b64 v[11:12], v[11:12]
	s_or_b32 exec_lo, exec_lo, s0
	s_delay_alu instid0(SALU_CYCLE_1)
	s_mov_b32 s0, exec_lo
	v_cmpx_gt_u32_e64 s25, v17
	s_cbranch_execnz .LBB547_14
.LBB547_21:
	s_or_b32 exec_lo, exec_lo, s0
	s_delay_alu instid0(SALU_CYCLE_1)
	s_mov_b32 s0, exec_lo
	v_cmpx_gt_u32_e64 s25, v19
	s_cbranch_execz .LBB547_23
.LBB547_22:
	v_lshlrev_b32_e32 v15, 3, v19
	s_delay_alu instid0(VALU_DEP_1) | instskip(NEXT) | instid1(VALU_DEP_1)
	v_add_co_u32 v15, s5, s4, v15
	v_add_co_ci_u32_e64 v16, null, s1, 0, s5
	flat_load_b64 v[15:16], v[15:16]
.LBB547_23:
	s_or_b32 exec_lo, exec_lo, s0
	v_lshrrev_b32_e32 v25, 2, v23
	v_lshrrev_b32_e32 v26, 2, v21
	;; [unrolled: 1-line block ×4, first 2 shown]
	v_and_b32_e32 v27, 0x78, v24
	v_lshrrev_b32_e32 v30, 2, v18
	v_lshrrev_b32_e32 v31, 2, v17
	;; [unrolled: 1-line block ×3, first 2 shown]
	v_and_b32_e32 v25, 0xf8, v25
	v_and_b32_e32 v26, 0x1f8, v26
	;; [unrolled: 1-line block ×4, first 2 shown]
	v_add_nc_u32_e32 v27, v27, v47
	v_and_b32_e32 v30, 0x3f8, v30
	v_and_b32_e32 v31, 0x3f8, v31
	;; [unrolled: 1-line block ×3, first 2 shown]
	v_add_nc_u32_e32 v25, v25, v47
	v_add_nc_u32_e32 v26, v26, v47
	;; [unrolled: 1-line block ×7, first 2 shown]
	s_waitcnt vmcnt(0) lgkmcnt(0)
	ds_store_b64 v27, v[1:2]
	ds_store_b64 v25, v[3:4] offset:4096
	ds_store_b64 v26, v[5:6] offset:8192
	;; [unrolled: 1-line block ×7, first 2 shown]
	s_waitcnt lgkmcnt(0)
	s_barrier
.LBB547_24:
	v_add_nc_u32_e32 v24, v24, v47
	buffer_gl0_inv
	s_lshl_b64 s[28:29], s[6:7], 2
	v_lshrrev_b32_e32 v26, 3, v0
	s_add_u32 s0, s8, s28
	v_lshlrev_b32_e32 v25, 3, v24
	s_addc_u32 s5, s9, s29
	s_lshl_b64 s[8:9], s[14:15], 2
	ds_load_2addr_b64 v[13:16], v25 offset1:1
	ds_load_2addr_b64 v[9:12], v25 offset0:2 offset1:3
	ds_load_2addr_b64 v[5:8], v25 offset0:4 offset1:5
	;; [unrolled: 1-line block ×3, first 2 shown]
	s_add_u32 s0, s0, s8
	s_addc_u32 s5, s5, s9
	s_and_b32 vcc_lo, exec_lo, s23
	s_mov_b32 s8, -1
	s_waitcnt lgkmcnt(0)
	s_barrier
	buffer_gl0_inv
	s_cbranch_vccz .LBB547_26
; %bb.25:
	v_lshlrev_b32_e32 v35, 2, v0
	v_lshrrev_b32_e32 v37, 3, v23
	v_lshrrev_b32_e32 v38, 3, v21
	;; [unrolled: 1-line block ×4, first 2 shown]
	v_add_co_u32 v27, s8, s0, v35
	s_delay_alu instid0(VALU_DEP_1) | instskip(SKIP_1) | instid1(VALU_DEP_3)
	v_add_co_ci_u32_e64 v28, null, s5, 0, s8
	v_lshrrev_b32_e32 v41, 3, v18
	v_add_co_u32 v29, vcc_lo, 0x1000, v27
	s_delay_alu instid0(VALU_DEP_3)
	v_add_co_ci_u32_e32 v30, vcc_lo, 0, v28, vcc_lo
	v_add_co_u32 v31, vcc_lo, 0x2000, v27
	v_add_co_ci_u32_e32 v32, vcc_lo, 0, v28, vcc_lo
	v_add_co_u32 v33, vcc_lo, 0x3000, v27
	v_add_co_ci_u32_e32 v34, vcc_lo, 0, v28, vcc_lo
	s_clause 0x7
	flat_load_b32 v36, v[27:28]
	flat_load_b32 v27, v[27:28] offset:2048
	flat_load_b32 v28, v[29:30]
	flat_load_b32 v29, v[29:30] offset:2048
	;; [unrolled: 2-line block ×4, first 2 shown]
	v_and_b32_e32 v34, 60, v26
	v_lshrrev_b32_e32 v42, 3, v17
	v_lshrrev_b32_e32 v43, 3, v19
	v_and_b32_e32 v37, 0x7c, v37
	v_and_b32_e32 v38, 0xbc, v38
	;; [unrolled: 1-line block ×4, first 2 shown]
	v_add_nc_u32_e32 v34, v34, v35
	v_and_b32_e32 v41, 0x17c, v41
	v_and_b32_e32 v42, 0x1bc, v42
	;; [unrolled: 1-line block ×3, first 2 shown]
	v_add_nc_u32_e32 v37, v37, v35
	v_add_nc_u32_e32 v38, v38, v35
	v_add_nc_u32_e32 v39, v39, v35
	v_add_nc_u32_e32 v40, v40, v35
	s_mov_b32 s8, 0
	v_add_nc_u32_e32 v41, v41, v35
	v_add_nc_u32_e32 v42, v42, v35
	;; [unrolled: 1-line block ×3, first 2 shown]
	s_waitcnt vmcnt(7) lgkmcnt(7)
	ds_store_b32 v34, v36
	s_waitcnt vmcnt(6) lgkmcnt(7)
	ds_store_b32 v37, v27 offset:2048
	s_waitcnt vmcnt(5) lgkmcnt(7)
	ds_store_b32 v38, v28 offset:4096
	;; [unrolled: 2-line block ×7, first 2 shown]
	s_waitcnt lgkmcnt(0)
	s_barrier
.LBB547_26:
	s_and_not1_b32 vcc_lo, exec_lo, s8
	s_cbranch_vccnz .LBB547_44
; %bb.27:
	s_mov_b32 s8, exec_lo
                                        ; implicit-def: $vgpr27
	v_cmpx_gt_u32_e64 s25, v0
	s_cbranch_execz .LBB547_29
; %bb.28:
	v_lshlrev_b32_e32 v27, 2, v0
	s_delay_alu instid0(VALU_DEP_1) | instskip(NEXT) | instid1(VALU_DEP_1)
	v_add_co_u32 v27, s9, s0, v27
	v_add_co_ci_u32_e64 v28, null, s5, 0, s9
	flat_load_b32 v27, v[27:28]
.LBB547_29:
	s_or_b32 exec_lo, exec_lo, s8
	s_delay_alu instid0(SALU_CYCLE_1)
	s_mov_b32 s8, exec_lo
                                        ; implicit-def: $vgpr28
	v_cmpx_gt_u32_e64 s25, v23
	s_cbranch_execz .LBB547_31
; %bb.30:
	v_lshlrev_b32_e32 v28, 2, v0
	s_delay_alu instid0(VALU_DEP_1) | instskip(NEXT) | instid1(VALU_DEP_1)
	v_add_co_u32 v28, s9, s0, v28
	v_add_co_ci_u32_e64 v29, null, s5, 0, s9
	flat_load_b32 v28, v[28:29] offset:2048
.LBB547_31:
	s_or_b32 exec_lo, exec_lo, s8
	s_delay_alu instid0(SALU_CYCLE_1)
	s_mov_b32 s8, exec_lo
                                        ; implicit-def: $vgpr29
	v_cmpx_gt_u32_e64 s25, v21
	s_cbranch_execz .LBB547_33
; %bb.32:
	v_lshlrev_b32_e32 v29, 2, v21
	s_delay_alu instid0(VALU_DEP_1) | instskip(NEXT) | instid1(VALU_DEP_1)
	v_add_co_u32 v29, s9, s0, v29
	v_add_co_ci_u32_e64 v30, null, s5, 0, s9
	flat_load_b32 v29, v[29:30]
.LBB547_33:
	s_or_b32 exec_lo, exec_lo, s8
	s_delay_alu instid0(SALU_CYCLE_1)
	s_mov_b32 s8, exec_lo
                                        ; implicit-def: $vgpr30
	v_cmpx_gt_u32_e64 s25, v22
	s_cbranch_execz .LBB547_35
; %bb.34:
	v_lshlrev_b32_e32 v30, 2, v22
	s_delay_alu instid0(VALU_DEP_1) | instskip(NEXT) | instid1(VALU_DEP_1)
	v_add_co_u32 v30, s9, s0, v30
	v_add_co_ci_u32_e64 v31, null, s5, 0, s9
	flat_load_b32 v30, v[30:31]
.LBB547_35:
	s_or_b32 exec_lo, exec_lo, s8
	s_delay_alu instid0(SALU_CYCLE_1)
	s_mov_b32 s8, exec_lo
                                        ; implicit-def: $vgpr31
	v_cmpx_gt_u32_e64 s25, v20
	s_cbranch_execz .LBB547_37
; %bb.36:
	v_lshlrev_b32_e32 v31, 2, v20
	s_delay_alu instid0(VALU_DEP_1) | instskip(NEXT) | instid1(VALU_DEP_1)
	v_add_co_u32 v31, s9, s0, v31
	v_add_co_ci_u32_e64 v32, null, s5, 0, s9
	flat_load_b32 v31, v[31:32]
.LBB547_37:
	s_or_b32 exec_lo, exec_lo, s8
	s_delay_alu instid0(SALU_CYCLE_1)
	s_mov_b32 s8, exec_lo
                                        ; implicit-def: $vgpr32
	v_cmpx_gt_u32_e64 s25, v18
	s_cbranch_execz .LBB547_39
; %bb.38:
	v_lshlrev_b32_e32 v32, 2, v18
	s_delay_alu instid0(VALU_DEP_1) | instskip(NEXT) | instid1(VALU_DEP_1)
	v_add_co_u32 v32, s9, s0, v32
	v_add_co_ci_u32_e64 v33, null, s5, 0, s9
	flat_load_b32 v32, v[32:33]
.LBB547_39:
	s_or_b32 exec_lo, exec_lo, s8
	s_delay_alu instid0(SALU_CYCLE_1)
	s_mov_b32 s8, exec_lo
                                        ; implicit-def: $vgpr33
	v_cmpx_gt_u32_e64 s25, v17
	s_cbranch_execz .LBB547_41
; %bb.40:
	v_lshlrev_b32_e32 v33, 2, v17
	s_delay_alu instid0(VALU_DEP_1) | instskip(NEXT) | instid1(VALU_DEP_1)
	v_add_co_u32 v33, s9, s0, v33
	v_add_co_ci_u32_e64 v34, null, s5, 0, s9
	flat_load_b32 v33, v[33:34]
.LBB547_41:
	s_or_b32 exec_lo, exec_lo, s8
	s_delay_alu instid0(SALU_CYCLE_1)
	s_mov_b32 s8, exec_lo
                                        ; implicit-def: $vgpr34
	v_cmpx_gt_u32_e64 s25, v19
	s_cbranch_execz .LBB547_43
; %bb.42:
	v_lshlrev_b32_e32 v34, 2, v19
	s_delay_alu instid0(VALU_DEP_1) | instskip(NEXT) | instid1(VALU_DEP_1)
	v_add_co_u32 v34, s0, s0, v34
	v_add_co_ci_u32_e64 v35, null, s5, 0, s0
	flat_load_b32 v34, v[34:35]
.LBB547_43:
	s_or_b32 exec_lo, exec_lo, s8
	v_lshrrev_b32_e32 v23, 3, v23
	v_lshrrev_b32_e32 v21, 3, v21
	v_lshrrev_b32_e32 v22, 3, v22
	v_lshrrev_b32_e32 v20, 3, v20
	v_and_b32_e32 v26, 60, v26
	v_lshlrev_b32_e32 v35, 2, v0
	v_lshrrev_b32_e32 v18, 3, v18
	v_lshrrev_b32_e32 v17, 3, v17
	;; [unrolled: 1-line block ×3, first 2 shown]
	v_and_b32_e32 v23, 0x7c, v23
	v_and_b32_e32 v21, 0xfc, v21
	;; [unrolled: 1-line block ×4, first 2 shown]
	v_add_nc_u32_e32 v26, v26, v35
	v_and_b32_e32 v18, 0x1fc, v18
	v_and_b32_e32 v17, 0x1fc, v17
	;; [unrolled: 1-line block ×3, first 2 shown]
	v_add_nc_u32_e32 v23, v23, v35
	v_add_nc_u32_e32 v21, v21, v35
	;; [unrolled: 1-line block ×7, first 2 shown]
	s_waitcnt vmcnt(0) lgkmcnt(0)
	ds_store_b32 v26, v27
	ds_store_b32 v23, v28 offset:2048
	ds_store_b32 v21, v29 offset:4096
	;; [unrolled: 1-line block ×7, first 2 shown]
	s_waitcnt lgkmcnt(0)
	s_barrier
.LBB547_44:
	v_lshlrev_b32_e32 v17, 2, v24
	buffer_gl0_inv
	s_cmp_lg_u32 s24, 0
	s_mov_b32 s14, 0
	s_cselect_b32 s9, -1, 0
	v_sub_nc_u32_e32 v17, v25, v17
	s_cmp_lg_u64 s[6:7], 0
	ds_load_2addr_b32 v[23:24], v17 offset1:1
	ds_load_2addr_b32 v[21:22], v17 offset0:2 offset1:3
	ds_load_2addr_b32 v[19:20], v17 offset0:4 offset1:5
	;; [unrolled: 1-line block ×3, first 2 shown]
	s_cselect_b32 s0, -1, 0
	s_waitcnt lgkmcnt(0)
	s_or_b32 s0, s0, s9
	s_barrier
	s_and_b32 vcc_lo, exec_lo, s0
	buffer_gl0_inv
	s_cbranch_vccz .LBB547_49
; %bb.45:
	v_add_co_u32 v25, s0, -8, s4
	s_delay_alu instid0(VALU_DEP_1)
	v_add_co_ci_u32_e64 v26, null, -1, s1, s0
	s_mov_b32 s1, -1
	s_and_b32 vcc_lo, exec_lo, s23
	flat_load_b64 v[27:28], v[25:26]
	ds_store_b64 v47, v[3:4]
	s_cbranch_vccz .LBB547_50
; %bb.46:
	s_waitcnt vmcnt(0) lgkmcnt(1)
	v_dual_mov_b32 v25, v27 :: v_dual_mov_b32 v26, v28
	s_waitcnt lgkmcnt(0)
	s_barrier
	buffer_gl0_inv
	s_and_saveexec_b32 s0, s3
	s_cbranch_execz .LBB547_48
; %bb.47:
	v_add_nc_u32_e32 v25, -8, v47
	ds_load_b64 v[25:26], v25
.LBB547_48:
	s_or_b32 exec_lo, exec_lo, s0
	v_cmp_ne_u64_e32 vcc_lo, v[1:2], v[3:4]
	s_waitcnt lgkmcnt(0)
	v_cmp_ne_u64_e64 s0, v[25:26], v[13:14]
	v_cndmask_b32_e64 v29, 0, 1, vcc_lo
	v_cmp_ne_u64_e32 vcc_lo, v[7:8], v[1:2]
	s_delay_alu instid0(VALU_DEP_2) | instskip(SKIP_2) | instid1(VALU_DEP_2)
	v_lshlrev_b16 v29, 8, v29
	v_cndmask_b32_e64 v30, 0, 1, vcc_lo
	v_cmp_ne_u64_e32 vcc_lo, v[5:6], v[7:8]
	v_or_b32_e32 v29, v30, v29
	v_cndmask_b32_e64 v31, 0, 1, vcc_lo
	v_cmp_ne_u64_e32 vcc_lo, v[9:10], v[11:12]
	s_delay_alu instid0(VALU_DEP_3) | instskip(NEXT) | instid1(VALU_DEP_3)
	v_lshlrev_b32_e32 v29, 16, v29
	v_lshlrev_b16 v31, 8, v31
	v_cndmask_b32_e64 v32, 0, 1, vcc_lo
	v_cmp_ne_u64_e32 vcc_lo, v[11:12], v[5:6]
	s_delay_alu instid0(VALU_DEP_2) | instskip(SKIP_2) | instid1(VALU_DEP_2)
	v_lshlrev_b16 v32, 8, v32
	v_cndmask_b32_e64 v33, 0, 1, vcc_lo
	v_cmp_ne_u64_e32 vcc_lo, v[15:16], v[9:10]
	v_or_b32_e32 v31, v33, v31
	v_cndmask_b32_e64 v34, 0, 1, vcc_lo
	v_cmp_ne_u64_e32 vcc_lo, v[13:14], v[15:16]
	s_delay_alu instid0(VALU_DEP_3) | instskip(NEXT) | instid1(VALU_DEP_3)
	v_and_b32_e32 v31, 0xffff, v31
	v_or_b32_e32 v32, v34, v32
	v_cndmask_b32_e64 v35, 0, 1, vcc_lo
	s_delay_alu instid0(VALU_DEP_3) | instskip(NEXT) | instid1(VALU_DEP_3)
	v_or_b32_e32 v26, v31, v29
	v_lshlrev_b32_e32 v30, 16, v32
	s_delay_alu instid0(VALU_DEP_3) | instskip(NEXT) | instid1(VALU_DEP_1)
	v_lshlrev_b16 v34, 8, v35
	v_and_b32_e32 v32, 0xffff, v34
	s_delay_alu instid0(VALU_DEP_1)
	v_or_b32_e32 v25, v32, v30
	s_branch .LBB547_54
.LBB547_49:
                                        ; implicit-def: $sgpr0
                                        ; implicit-def: $vgpr26
	s_branch .LBB547_55
.LBB547_50:
                                        ; implicit-def: $sgpr0
                                        ; implicit-def: $vgpr26
	s_and_b32 vcc_lo, exec_lo, s1
	s_cbranch_vccz .LBB547_54
; %bb.51:
	s_waitcnt vmcnt(0) lgkmcnt(0)
	s_barrier
	buffer_gl0_inv
	s_and_saveexec_b32 s0, s3
	s_cbranch_execz .LBB547_53
; %bb.52:
	v_add_nc_u32_e32 v25, -8, v47
	ds_load_b64 v[27:28], v25
.LBB547_53:
	s_or_b32 exec_lo, exec_lo, s0
	v_or_b32_e32 v25, 7, v47
	v_or_b32_e32 v26, 6, v47
	v_cmp_ne_u64_e32 vcc_lo, v[1:2], v[3:4]
	v_or_b32_e32 v29, 5, v47
	v_cmp_ne_u64_e64 s1, v[7:8], v[1:2]
	v_cmp_gt_u32_e64 s0, s25, v25
	v_cmp_gt_u32_e64 s4, s25, v26
	v_cmp_ne_u64_e64 s5, v[5:6], v[7:8]
	v_cmp_gt_u32_e64 s6, s25, v29
	v_or_b32_e32 v29, 3, v47
	s_and_b32 s0, s0, vcc_lo
	v_or_b32_e32 v30, 4, v47
	v_cndmask_b32_e64 v25, 0, 1, s0
	s_and_b32 s0, s4, s1
	v_cmp_ne_u64_e32 vcc_lo, v[9:10], v[11:12]
	v_cndmask_b32_e64 v26, 0, 1, s0
	s_and_b32 s0, s6, s5
	v_cmp_gt_u32_e64 s1, s25, v30
	v_cndmask_b32_e64 v31, 0, 1, s0
	v_cmp_gt_u32_e64 s0, s25, v29
	v_or_b32_e32 v29, 2, v47
	v_or_b32_e32 v30, 1, v47
	v_cmp_ne_u64_e64 s4, v[11:12], v[5:6]
	v_cmp_ne_u64_e64 s6, v[13:14], v[15:16]
	s_and_b32 s0, s0, vcc_lo
	v_cmp_ne_u64_e32 vcc_lo, v[15:16], v[9:10]
	v_cndmask_b32_e64 v32, 0, 1, s0
	v_cmp_gt_u32_e64 s0, s25, v29
	v_cmp_gt_u32_e64 s5, s25, v30
	s_and_b32 s1, s1, s4
	v_lshlrev_b16 v31, 8, v31
	v_cndmask_b32_e64 v29, 0, 1, s1
	s_and_b32 s0, s0, vcc_lo
	v_lshlrev_b16 v32, 8, v32
	v_cndmask_b32_e64 v30, 0, 1, s0
	s_and_b32 s0, s5, s6
	v_lshlrev_b16 v25, 8, v25
	v_cndmask_b32_e64 v33, 0, 1, s0
	v_or_b32_e32 v29, v29, v31
	v_or_b32_e32 v30, v30, v32
	s_waitcnt lgkmcnt(0)
	v_cmp_ne_u64_e32 vcc_lo, v[27:28], v[13:14]
	v_or_b32_e32 v25, v26, v25
	v_lshlrev_b16 v32, 8, v33
	v_and_b32_e32 v29, 0xffff, v29
	v_lshlrev_b32_e32 v26, 16, v30
	v_cmp_gt_u32_e64 s0, s25, v47
	v_lshlrev_b32_e32 v31, 16, v25
	v_and_b32_e32 v30, 0xffff, v32
	s_delay_alu instid0(VALU_DEP_3) | instskip(NEXT) | instid1(VALU_DEP_1)
	s_and_b32 s0, s0, vcc_lo
	v_or_b32_e32 v25, v30, v26
	s_delay_alu instid0(VALU_DEP_3)
	v_or_b32_e32 v26, v29, v31
.LBB547_54:
	s_mov_b32 s14, -1
	s_cbranch_execnz .LBB547_63
.LBB547_55:
	v_cmp_ne_u64_e64 s1, v[1:2], v[3:4]
	v_cmp_ne_u64_e64 s4, v[7:8], v[1:2]
	;; [unrolled: 1-line block ×7, first 2 shown]
	s_and_b32 vcc_lo, exec_lo, s23
	ds_store_b64 v47, v[3:4]
	s_cbranch_vccz .LBB547_59
; %bb.56:
	v_cndmask_b32_e64 v25, 0, 1, s1
	s_waitcnt vmcnt(0) lgkmcnt(2)
	v_cndmask_b32_e64 v27, 0, 1, s5
	v_cndmask_b32_e64 v29, 0, 1, s7
	v_cndmask_b32_e64 v30, 0, 1, s8
	v_cndmask_b32_e64 v26, 0, 1, s4
	v_cndmask_b32_e64 v28, 0, 1, s6
	v_cndmask_b32_e64 v31, 0, 1, s0
	v_lshlrev_b16 v27, 8, v27
	v_lshlrev_b16 v25, 8, v25
	;; [unrolled: 1-line block ×4, first 2 shown]
	s_waitcnt lgkmcnt(0)
	v_or_b32_e32 v27, v28, v27
	v_or_b32_e32 v25, v26, v25
	;; [unrolled: 1-line block ×4, first 2 shown]
	s_barrier
	v_and_b32_e32 v27, 0xffff, v27
	v_lshlrev_b32_e32 v25, 16, v25
	v_lshlrev_b32_e32 v29, 16, v26
	v_and_b32_e32 v28, 0xffff, v28
	buffer_gl0_inv
                                        ; implicit-def: $sgpr0
	v_or_b32_e32 v26, v27, v25
	v_or_b32_e32 v25, v28, v29
	s_and_saveexec_b32 s1, s3
	s_delay_alu instid0(SALU_CYCLE_1)
	s_xor_b32 s1, exec_lo, s1
	s_cbranch_execz .LBB547_58
; %bb.57:
	v_add_nc_u32_e32 v27, -8, v47
	s_or_b32 s14, s14, exec_lo
	ds_load_b64 v[27:28], v27
	s_waitcnt lgkmcnt(0)
	v_cmp_ne_u64_e32 vcc_lo, v[27:28], v[13:14]
	s_and_b32 s0, vcc_lo, exec_lo
.LBB547_58:
	s_or_b32 exec_lo, exec_lo, s1
	s_branch .LBB547_63
.LBB547_59:
                                        ; implicit-def: $sgpr0
                                        ; implicit-def: $vgpr26
	s_cbranch_execz .LBB547_63
; %bb.60:
	v_or_b32_e32 v25, 7, v47
	v_or_b32_e32 v26, 6, v47
	v_cmp_ne_u64_e32 vcc_lo, v[1:2], v[3:4]
	v_cmp_ne_u64_e64 s0, v[7:8], v[1:2]
	s_waitcnt vmcnt(0) lgkmcnt(2)
	v_or_b32_e32 v27, 4, v47
	v_cmp_gt_u32_e64 s1, s25, v25
	v_or_b32_e32 v25, 5, v47
	v_cmp_gt_u32_e64 s5, s25, v26
	v_cmp_ne_u64_e64 s4, v[5:6], v[7:8]
	v_cmp_ne_u64_e64 s6, v[11:12], v[5:6]
	s_and_b32 s1, s1, vcc_lo
	v_cmp_gt_u32_e32 vcc_lo, s25, v25
	v_cndmask_b32_e64 v26, 0, 1, s1
	v_cmp_gt_u32_e64 s1, s25, v27
	s_and_b32 s0, s5, s0
	v_or_b32_e32 v28, 3, v47
	v_cndmask_b32_e64 v25, 0, 1, s0
	s_and_b32 s0, vcc_lo, s4
	v_or_b32_e32 v30, 1, v47
	v_cndmask_b32_e64 v27, 0, 1, s0
	s_and_b32 s0, s1, s6
	v_cmp_ne_u64_e32 vcc_lo, v[9:10], v[11:12]
	v_cndmask_b32_e64 v29, 0, 1, s0
	v_cmp_gt_u32_e64 s0, s25, v28
	v_cmp_ne_u64_e64 s1, v[13:14], v[15:16]
	v_or_b32_e32 v31, 2, v47
	v_cmp_gt_u32_e64 s4, s25, v30
	v_cmp_ne_u64_e64 s5, v[15:16], v[9:10]
	s_and_b32 s0, s0, vcc_lo
	v_lshlrev_b16 v27, 8, v27
	v_cmp_gt_u32_e64 s6, s25, v31
	v_cndmask_b32_e64 v28, 0, 1, s0
	s_and_b32 s0, s4, s1
	v_lshlrev_b16 v26, 8, v26
	v_cndmask_b32_e64 v30, 0, 1, s0
	s_and_b32 s0, s6, s5
	v_lshlrev_b16 v28, 8, v28
	v_cndmask_b32_e64 v31, 0, 1, s0
	v_or_b32_e32 v27, v29, v27
	v_lshlrev_b16 v30, 8, v30
	v_or_b32_e32 v25, v25, v26
	s_waitcnt lgkmcnt(0)
	v_or_b32_e32 v26, v31, v28
	v_and_b32_e32 v27, 0xffff, v27
	v_or_b32_e32 v28, 1, v30
	v_lshlrev_b32_e32 v25, 16, v25
	s_barrier
	v_lshlrev_b32_e32 v29, 16, v26
	buffer_gl0_inv
	v_and_b32_e32 v28, 0xffff, v28
	v_or_b32_e32 v26, v27, v25
                                        ; implicit-def: $sgpr0
	s_delay_alu instid0(VALU_DEP_2)
	v_or_b32_e32 v25, v28, v29
	s_and_saveexec_b32 s1, s3
	s_cbranch_execz .LBB547_62
; %bb.61:
	v_add_nc_u32_e32 v27, -8, v47
	v_cmp_gt_u32_e64 s0, s25, v47
	s_or_b32 s14, s14, exec_lo
	ds_load_b64 v[27:28], v27
	s_waitcnt lgkmcnt(0)
	v_cmp_ne_u64_e32 vcc_lo, v[27:28], v[13:14]
	s_and_b32 s0, s0, vcc_lo
	s_delay_alu instid0(SALU_CYCLE_1)
	s_and_b32 s0, s0, exec_lo
.LBB547_62:
	s_or_b32 exec_lo, exec_lo, s1
.LBB547_63:
	s_and_saveexec_b32 s1, s14
	s_cbranch_execz .LBB547_65
; %bb.64:
	s_waitcnt vmcnt(0) lgkmcnt(1)
	v_and_b32_e32 v27, 0xffffff00, v25
	v_cndmask_b32_e64 v28, 0, 1, s0
	s_delay_alu instid0(VALU_DEP_1) | instskip(NEXT) | instid1(VALU_DEP_1)
	v_or_b32_e32 v27, v28, v27
	v_and_b32_e32 v27, 0xffff, v27
	s_delay_alu instid0(VALU_DEP_1)
	v_and_or_b32 v25, 0xffff0000, v25, v27
.LBB547_65:
	s_or_b32 exec_lo, exec_lo, s1
	s_delay_alu instid0(SALU_CYCLE_1)
	s_and_not1_b32 vcc_lo, exec_lo, s26
	s_cbranch_vccnz .LBB547_67
; %bb.66:
	v_cmp_gt_u32_e32 vcc_lo, s25, v47
	s_waitcnt vmcnt(0) lgkmcnt(1)
	v_or_b32_e32 v28, 1, v47
	v_and_b32_e32 v29, 0xffffff00, v26
	v_or_b32_e32 v30, 2, v47
	v_cndmask_b32_e32 v27, 0, v25, vcc_lo
	s_delay_alu instid0(VALU_DEP_4) | instskip(SKIP_1) | instid1(VALU_DEP_4)
	v_cmp_gt_u32_e32 vcc_lo, s25, v28
	v_or_b32_e32 v28, 4, v47
	v_cmp_gt_u32_e64 s0, s25, v30
	v_or_b32_e32 v30, 3, v47
	v_and_b32_e32 v27, 0xff, v27
	s_delay_alu instid0(VALU_DEP_2) | instskip(NEXT) | instid1(VALU_DEP_2)
	v_cmp_gt_u32_e64 s1, s25, v30
	v_cndmask_b32_e32 v27, v27, v25, vcc_lo
	v_cmp_gt_u32_e32 vcc_lo, s25, v28
	v_cndmask_b32_e32 v28, v29, v26, vcc_lo
	v_or_b32_e32 v29, 5, v47
	s_delay_alu instid0(VALU_DEP_2) | instskip(SKIP_1) | instid1(VALU_DEP_1)
	v_and_b32_e32 v28, 0xffff00ff, v28
	v_and_b32_e32 v27, 0xffff, v27
	v_cndmask_b32_e64 v27, v27, v25, s0
	s_delay_alu instid0(VALU_DEP_4) | instskip(SKIP_1) | instid1(VALU_DEP_3)
	v_cmp_gt_u32_e64 s0, s25, v29
	v_or_b32_e32 v29, 6, v47
	v_and_b32_e32 v27, 0xffffff, v27
	s_delay_alu instid0(VALU_DEP_3) | instskip(NEXT) | instid1(VALU_DEP_2)
	v_cndmask_b32_e64 v28, v28, v26, s0
	v_cndmask_b32_e64 v27, v27, v25, s1
	s_delay_alu instid0(VALU_DEP_1) | instskip(SKIP_2) | instid1(VALU_DEP_3)
	v_dual_cndmask_b32 v27, v27, v25 :: v_dual_and_b32 v28, 0xff00ffff, v28
	v_cmp_gt_u32_e32 vcc_lo, s25, v29
	v_or_b32_e32 v29, 7, v47
	v_cndmask_b32_e64 v27, v27, v25, s0
	s_delay_alu instid0(VALU_DEP_1) | instskip(NEXT) | instid1(VALU_DEP_1)
	v_dual_cndmask_b32 v28, v28, v26 :: v_dual_cndmask_b32 v27, v27, v25
	v_and_b32_e32 v28, 0xffffff, v28
	s_delay_alu instid0(VALU_DEP_4) | instskip(NEXT) | instid1(VALU_DEP_2)
	v_cmp_gt_u32_e32 vcc_lo, s25, v29
	v_dual_cndmask_b32 v26, v28, v26 :: v_dual_cndmask_b32 v25, v27, v25
.LBB547_67:
	s_delay_alu instid0(VALU_DEP_1) | instskip(SKIP_1) | instid1(VALU_DEP_2)
	v_and_b32_e32 v36, 0xff, v25
	s_waitcnt vmcnt(0) lgkmcnt(1)
	v_alignbit_b32 v27, v26, v25, 24
	v_bfe_u32 v38, v25, 8, 8
	v_bfe_u32 v40, v25, 16, 8
	v_and_b32_e32 v44, 0xff, v26
	v_bfe_u32 v46, v26, 8, 8
	v_and_b32_e32 v42, 0xff, v27
	v_add_nc_u32_e32 v27, v38, v36
	v_mbcnt_lo_u32_b32 v50, -1, 0
	v_bfe_u32 v49, v26, 16, 8
	v_lshrrev_b32_e32 v48, 24, v26
	v_lshrrev_b32_e32 v51, 5, v0
	v_add3_u32 v27, v27, v40, v42
	v_and_b32_e32 v28, 15, v50
	v_and_b32_e32 v29, 16, v50
	s_and_b32 vcc_lo, exec_lo, s9
	s_mov_b32 s7, -1
	v_add3_u32 v27, v27, v44, v46
	v_cmp_eq_u32_e64 s3, 0, v28
	v_cmp_lt_u32_e64 s0, 1, v28
	v_cmp_lt_u32_e64 s4, 3, v28
	;; [unrolled: 1-line block ×3, first 2 shown]
	v_add3_u32 v52, v27, v49, v48
	v_or_b32_e32 v27, 31, v0
	v_cmp_eq_u32_e64 s6, 0, v29
	s_waitcnt lgkmcnt(0)
	s_barrier
	buffer_gl0_inv
	v_cmp_eq_u32_e64 s5, v27, v0
	s_cbranch_vccz .LBB547_98
; %bb.68:
	v_mov_b32_dpp v27, v52 row_shr:1 row_mask:0xf bank_mask:0xf
	s_delay_alu instid0(VALU_DEP_1) | instskip(NEXT) | instid1(VALU_DEP_1)
	v_cndmask_b32_e64 v27, v27, 0, s3
	v_add_nc_u32_e32 v27, v27, v52
	s_delay_alu instid0(VALU_DEP_1) | instskip(NEXT) | instid1(VALU_DEP_1)
	v_mov_b32_dpp v28, v27 row_shr:2 row_mask:0xf bank_mask:0xf
	v_cndmask_b32_e64 v28, 0, v28, s0
	s_delay_alu instid0(VALU_DEP_1) | instskip(NEXT) | instid1(VALU_DEP_1)
	v_add_nc_u32_e32 v27, v27, v28
	v_mov_b32_dpp v28, v27 row_shr:4 row_mask:0xf bank_mask:0xf
	s_delay_alu instid0(VALU_DEP_1) | instskip(NEXT) | instid1(VALU_DEP_1)
	v_cndmask_b32_e64 v28, 0, v28, s4
	v_add_nc_u32_e32 v27, v27, v28
	s_delay_alu instid0(VALU_DEP_1) | instskip(NEXT) | instid1(VALU_DEP_1)
	v_mov_b32_dpp v28, v27 row_shr:8 row_mask:0xf bank_mask:0xf
	v_cndmask_b32_e64 v28, 0, v28, s1
	s_delay_alu instid0(VALU_DEP_1) | instskip(SKIP_3) | instid1(VALU_DEP_1)
	v_add_nc_u32_e32 v27, v27, v28
	ds_swizzle_b32 v28, v27 offset:swizzle(BROADCAST,32,15)
	s_waitcnt lgkmcnt(0)
	v_cndmask_b32_e64 v28, v28, 0, s6
	v_add_nc_u32_e32 v27, v27, v28
	s_and_saveexec_b32 s7, s5
	s_cbranch_execz .LBB547_70
; %bb.69:
	v_lshlrev_b32_e32 v28, 2, v51
	ds_store_b32 v28, v27
.LBB547_70:
	s_or_b32 exec_lo, exec_lo, s7
	s_delay_alu instid0(SALU_CYCLE_1)
	s_mov_b32 s7, exec_lo
	s_waitcnt lgkmcnt(0)
	s_barrier
	buffer_gl0_inv
	v_cmpx_gt_u32_e32 16, v0
	s_cbranch_execz .LBB547_72
; %bb.71:
	v_lshlrev_b32_e32 v28, 2, v0
	ds_load_b32 v29, v28
	s_waitcnt lgkmcnt(0)
	v_mov_b32_dpp v30, v29 row_shr:1 row_mask:0xf bank_mask:0xf
	s_delay_alu instid0(VALU_DEP_1) | instskip(NEXT) | instid1(VALU_DEP_1)
	v_cndmask_b32_e64 v30, v30, 0, s3
	v_add_nc_u32_e32 v29, v30, v29
	s_delay_alu instid0(VALU_DEP_1) | instskip(NEXT) | instid1(VALU_DEP_1)
	v_mov_b32_dpp v30, v29 row_shr:2 row_mask:0xf bank_mask:0xf
	v_cndmask_b32_e64 v30, 0, v30, s0
	s_delay_alu instid0(VALU_DEP_1) | instskip(NEXT) | instid1(VALU_DEP_1)
	v_add_nc_u32_e32 v29, v29, v30
	v_mov_b32_dpp v30, v29 row_shr:4 row_mask:0xf bank_mask:0xf
	s_delay_alu instid0(VALU_DEP_1) | instskip(NEXT) | instid1(VALU_DEP_1)
	v_cndmask_b32_e64 v30, 0, v30, s4
	v_add_nc_u32_e32 v29, v29, v30
	s_delay_alu instid0(VALU_DEP_1) | instskip(NEXT) | instid1(VALU_DEP_1)
	v_mov_b32_dpp v30, v29 row_shr:8 row_mask:0xf bank_mask:0xf
	v_cndmask_b32_e64 v30, 0, v30, s1
	s_delay_alu instid0(VALU_DEP_1)
	v_add_nc_u32_e32 v29, v29, v30
	ds_store_b32 v28, v29
.LBB547_72:
	s_or_b32 exec_lo, exec_lo, s7
	v_cmp_gt_u32_e32 vcc_lo, 32, v0
	s_mov_b32 s8, exec_lo
	s_waitcnt lgkmcnt(0)
	s_barrier
	buffer_gl0_inv
                                        ; implicit-def: $vgpr35
	v_cmpx_lt_u32_e32 31, v0
	s_cbranch_execz .LBB547_74
; %bb.73:
	v_lshl_add_u32 v28, v51, 2, -4
	ds_load_b32 v35, v28
	s_waitcnt lgkmcnt(0)
	v_add_nc_u32_e32 v27, v35, v27
.LBB547_74:
	s_or_b32 exec_lo, exec_lo, s8
	v_add_nc_u32_e32 v28, -1, v50
	s_delay_alu instid0(VALU_DEP_1) | instskip(NEXT) | instid1(VALU_DEP_1)
	v_cmp_gt_i32_e64 s7, 0, v28
	v_cndmask_b32_e64 v28, v28, v50, s7
	v_cmp_eq_u32_e64 s7, 0, v50
	s_delay_alu instid0(VALU_DEP_2)
	v_lshlrev_b32_e32 v28, 2, v28
	ds_bpermute_b32 v37, v28, v27
	s_and_saveexec_b32 s8, vcc_lo
	s_cbranch_execz .LBB547_97
; %bb.75:
	v_mov_b32_e32 v31, 0
	ds_load_b32 v27, v31 offset:60
	s_and_saveexec_b32 s9, s7
	s_cbranch_execz .LBB547_77
; %bb.76:
	s_add_i32 s14, s24, 32
	v_mov_b32_e32 v28, 1
	s_lshl_b64 s[14:15], s[14:15], 3
	s_delay_alu instid0(SALU_CYCLE_1)
	s_add_u32 s14, s20, s14
	s_addc_u32 s15, s21, s15
	s_waitcnt lgkmcnt(0)
	global_store_b64 v31, v[27:28], s[14:15]
.LBB547_77:
	s_or_b32 exec_lo, exec_lo, s9
	v_xad_u32 v29, v50, -1, s24
	s_mov_b32 s14, 0
	s_mov_b32 s9, exec_lo
	s_delay_alu instid0(VALU_DEP_1) | instskip(NEXT) | instid1(VALU_DEP_1)
	v_add_nc_u32_e32 v30, 32, v29
	v_lshlrev_b64 v[30:31], 3, v[30:31]
	s_delay_alu instid0(VALU_DEP_1) | instskip(NEXT) | instid1(VALU_DEP_2)
	v_add_co_u32 v33, vcc_lo, s20, v30
	v_add_co_ci_u32_e32 v34, vcc_lo, s21, v31, vcc_lo
	global_load_b64 v[31:32], v[33:34], off glc
	s_waitcnt vmcnt(0)
	v_and_b32_e32 v28, 0xff, v32
	s_delay_alu instid0(VALU_DEP_1)
	v_cmpx_eq_u16_e32 0, v28
	s_cbranch_execz .LBB547_83
; %bb.78:
	s_mov_b32 s15, 1
	.p2align	6
.LBB547_79:                             ; =>This Loop Header: Depth=1
                                        ;     Child Loop BB547_80 Depth 2
	s_delay_alu instid0(SALU_CYCLE_1)
	s_max_u32 s25, s15, 1
.LBB547_80:                             ;   Parent Loop BB547_79 Depth=1
                                        ; =>  This Inner Loop Header: Depth=2
	s_delay_alu instid0(SALU_CYCLE_1)
	s_add_i32 s25, s25, -1
	s_sleep 1
	s_cmp_eq_u32 s25, 0
	s_cbranch_scc0 .LBB547_80
; %bb.81:                               ;   in Loop: Header=BB547_79 Depth=1
	global_load_b64 v[31:32], v[33:34], off glc
	s_cmp_lt_u32 s15, 32
	s_cselect_b32 s25, -1, 0
	s_delay_alu instid0(SALU_CYCLE_1) | instskip(SKIP_3) | instid1(VALU_DEP_1)
	s_cmp_lg_u32 s25, 0
	s_addc_u32 s15, s15, 0
	s_waitcnt vmcnt(0)
	v_and_b32_e32 v28, 0xff, v32
	v_cmp_ne_u16_e32 vcc_lo, 0, v28
	s_or_b32 s14, vcc_lo, s14
	s_delay_alu instid0(SALU_CYCLE_1)
	s_and_not1_b32 exec_lo, exec_lo, s14
	s_cbranch_execnz .LBB547_79
; %bb.82:
	s_or_b32 exec_lo, exec_lo, s14
.LBB547_83:
	s_delay_alu instid0(SALU_CYCLE_1)
	s_or_b32 exec_lo, exec_lo, s9
	v_cmp_ne_u32_e32 vcc_lo, 31, v50
	v_lshlrev_b32_e64 v41, v50, -1
	v_add_nc_u32_e32 v45, 2, v50
	v_add_nc_u32_e32 v58, 16, v50
	v_add_co_ci_u32_e32 v28, vcc_lo, 0, v50, vcc_lo
	s_delay_alu instid0(VALU_DEP_1)
	v_lshlrev_b32_e32 v39, 2, v28
	v_and_b32_e32 v28, 0xff, v32
	ds_bpermute_b32 v30, v39, v31
	v_cmp_eq_u16_e32 vcc_lo, 2, v28
	v_and_or_b32 v28, vcc_lo, v41, 0x80000000
	v_cmp_gt_u32_e32 vcc_lo, 30, v50
	s_delay_alu instid0(VALU_DEP_2) | instskip(SKIP_1) | instid1(VALU_DEP_2)
	v_ctz_i32_b32_e32 v28, v28
	v_cndmask_b32_e64 v33, 0, 1, vcc_lo
	v_cmp_lt_u32_e32 vcc_lo, v50, v28
	s_waitcnt lgkmcnt(0)
	s_delay_alu instid0(VALU_DEP_2) | instskip(NEXT) | instid1(VALU_DEP_1)
	v_dual_cndmask_b32 v30, 0, v30 :: v_dual_lshlrev_b32 v33, 1, v33
	v_add_lshl_u32 v43, v33, v50, 2
	v_cmp_gt_u32_e32 vcc_lo, 28, v50
	s_delay_alu instid0(VALU_DEP_3) | instskip(SKIP_4) | instid1(VALU_DEP_1)
	v_add_nc_u32_e32 v30, v30, v31
	v_cndmask_b32_e64 v33, 0, 1, vcc_lo
	v_cmp_le_u32_e32 vcc_lo, v45, v28
	ds_bpermute_b32 v31, v43, v30
	v_lshlrev_b32_e32 v33, 2, v33
	v_add_lshl_u32 v53, v33, v50, 2
	s_waitcnt lgkmcnt(0)
	v_cndmask_b32_e32 v31, 0, v31, vcc_lo
	v_cmp_gt_u32_e32 vcc_lo, 24, v50
	s_delay_alu instid0(VALU_DEP_2) | instskip(SKIP_4) | instid1(VALU_DEP_2)
	v_add_nc_u32_e32 v30, v30, v31
	v_cndmask_b32_e64 v33, 0, 1, vcc_lo
	ds_bpermute_b32 v31, v53, v30
	v_add_nc_u32_e32 v54, 4, v50
	v_lshlrev_b32_e32 v33, 3, v33
	v_cmp_le_u32_e32 vcc_lo, v54, v28
	s_delay_alu instid0(VALU_DEP_2) | instskip(SKIP_3) | instid1(VALU_DEP_2)
	v_add_lshl_u32 v55, v33, v50, 2
	s_waitcnt lgkmcnt(0)
	v_cndmask_b32_e32 v31, 0, v31, vcc_lo
	v_cmp_gt_u32_e32 vcc_lo, 16, v50
	v_add_nc_u32_e32 v30, v30, v31
	v_cndmask_b32_e64 v33, 0, 1, vcc_lo
	ds_bpermute_b32 v31, v55, v30
	v_add_nc_u32_e32 v56, 8, v50
	v_lshlrev_b32_e32 v33, 4, v33
	s_delay_alu instid0(VALU_DEP_2) | instskip(NEXT) | instid1(VALU_DEP_2)
	v_cmp_le_u32_e32 vcc_lo, v56, v28
	v_add_lshl_u32 v57, v33, v50, 2
	s_waitcnt lgkmcnt(0)
	v_cndmask_b32_e32 v31, 0, v31, vcc_lo
	v_cmp_le_u32_e32 vcc_lo, v58, v28
	s_delay_alu instid0(VALU_DEP_2) | instskip(SKIP_3) | instid1(VALU_DEP_1)
	v_add_nc_u32_e32 v30, v30, v31
	ds_bpermute_b32 v31, v57, v30
	s_waitcnt lgkmcnt(0)
	v_cndmask_b32_e32 v28, 0, v31, vcc_lo
	v_dual_mov_b32 v30, 0 :: v_dual_add_nc_u32 v31, v30, v28
	s_branch .LBB547_85
.LBB547_84:                             ;   in Loop: Header=BB547_85 Depth=1
	s_or_b32 exec_lo, exec_lo, s9
	ds_bpermute_b32 v34, v39, v31
	v_and_b32_e32 v33, 0xff, v32
	v_subrev_nc_u32_e32 v29, 32, v29
	s_delay_alu instid0(VALU_DEP_2) | instskip(SKIP_1) | instid1(VALU_DEP_1)
	v_cmp_eq_u16_e32 vcc_lo, 2, v33
	v_and_or_b32 v33, vcc_lo, v41, 0x80000000
	v_ctz_i32_b32_e32 v33, v33
	s_delay_alu instid0(VALU_DEP_1) | instskip(SKIP_3) | instid1(VALU_DEP_2)
	v_cmp_lt_u32_e32 vcc_lo, v50, v33
	s_waitcnt lgkmcnt(0)
	v_cndmask_b32_e32 v34, 0, v34, vcc_lo
	v_cmp_le_u32_e32 vcc_lo, v45, v33
	v_add_nc_u32_e32 v31, v34, v31
	ds_bpermute_b32 v34, v43, v31
	s_waitcnt lgkmcnt(0)
	v_cndmask_b32_e32 v34, 0, v34, vcc_lo
	v_cmp_le_u32_e32 vcc_lo, v54, v33
	s_delay_alu instid0(VALU_DEP_2) | instskip(SKIP_4) | instid1(VALU_DEP_2)
	v_add_nc_u32_e32 v31, v31, v34
	ds_bpermute_b32 v34, v53, v31
	s_waitcnt lgkmcnt(0)
	v_cndmask_b32_e32 v34, 0, v34, vcc_lo
	v_cmp_le_u32_e32 vcc_lo, v56, v33
	v_add_nc_u32_e32 v31, v31, v34
	ds_bpermute_b32 v34, v55, v31
	s_waitcnt lgkmcnt(0)
	v_cndmask_b32_e32 v34, 0, v34, vcc_lo
	v_cmp_le_u32_e32 vcc_lo, v58, v33
	s_delay_alu instid0(VALU_DEP_2) | instskip(SKIP_3) | instid1(VALU_DEP_1)
	v_add_nc_u32_e32 v31, v31, v34
	ds_bpermute_b32 v34, v57, v31
	s_waitcnt lgkmcnt(0)
	v_cndmask_b32_e32 v33, 0, v34, vcc_lo
	v_add3_u32 v31, v33, v28, v31
.LBB547_85:                             ; =>This Loop Header: Depth=1
                                        ;     Child Loop BB547_88 Depth 2
                                        ;       Child Loop BB547_89 Depth 3
	v_and_b32_e32 v28, 0xff, v32
	s_delay_alu instid0(VALU_DEP_1) | instskip(SKIP_2) | instid1(VALU_DEP_1)
	v_cmp_ne_u16_e32 vcc_lo, 2, v28
	v_cndmask_b32_e64 v28, 0, 1, vcc_lo
	;;#ASMSTART
	;;#ASMEND
	v_cmp_ne_u32_e32 vcc_lo, 0, v28
	v_mov_b32_e32 v28, v31
	s_cmp_lg_u32 vcc_lo, exec_lo
	s_cbranch_scc1 .LBB547_92
; %bb.86:                               ;   in Loop: Header=BB547_85 Depth=1
	v_lshlrev_b64 v[31:32], 3, v[29:30]
	s_mov_b32 s9, exec_lo
	s_delay_alu instid0(VALU_DEP_1) | instskip(NEXT) | instid1(VALU_DEP_2)
	v_add_co_u32 v33, vcc_lo, s20, v31
	v_add_co_ci_u32_e32 v34, vcc_lo, s21, v32, vcc_lo
	global_load_b64 v[31:32], v[33:34], off glc
	s_waitcnt vmcnt(0)
	v_and_b32_e32 v59, 0xff, v32
	s_delay_alu instid0(VALU_DEP_1)
	v_cmpx_eq_u16_e32 0, v59
	s_cbranch_execz .LBB547_84
; %bb.87:                               ;   in Loop: Header=BB547_85 Depth=1
	s_mov_b32 s15, 1
	s_mov_b32 s14, 0
	.p2align	6
.LBB547_88:                             ;   Parent Loop BB547_85 Depth=1
                                        ; =>  This Loop Header: Depth=2
                                        ;       Child Loop BB547_89 Depth 3
	s_max_u32 s25, s15, 1
.LBB547_89:                             ;   Parent Loop BB547_85 Depth=1
                                        ;     Parent Loop BB547_88 Depth=2
                                        ; =>    This Inner Loop Header: Depth=3
	s_delay_alu instid0(SALU_CYCLE_1)
	s_add_i32 s25, s25, -1
	s_sleep 1
	s_cmp_eq_u32 s25, 0
	s_cbranch_scc0 .LBB547_89
; %bb.90:                               ;   in Loop: Header=BB547_88 Depth=2
	global_load_b64 v[31:32], v[33:34], off glc
	s_cmp_lt_u32 s15, 32
	s_cselect_b32 s25, -1, 0
	s_delay_alu instid0(SALU_CYCLE_1) | instskip(SKIP_3) | instid1(VALU_DEP_1)
	s_cmp_lg_u32 s25, 0
	s_addc_u32 s15, s15, 0
	s_waitcnt vmcnt(0)
	v_and_b32_e32 v59, 0xff, v32
	v_cmp_ne_u16_e32 vcc_lo, 0, v59
	s_or_b32 s14, vcc_lo, s14
	s_delay_alu instid0(SALU_CYCLE_1)
	s_and_not1_b32 exec_lo, exec_lo, s14
	s_cbranch_execnz .LBB547_88
; %bb.91:                               ;   in Loop: Header=BB547_85 Depth=1
	s_or_b32 exec_lo, exec_lo, s14
	s_branch .LBB547_84
.LBB547_92:                             ;   in Loop: Header=BB547_85 Depth=1
                                        ; implicit-def: $vgpr31
                                        ; implicit-def: $vgpr32
	s_cbranch_execz .LBB547_85
; %bb.93:
	s_and_saveexec_b32 s9, s7
	s_cbranch_execz .LBB547_95
; %bb.94:
	s_add_i32 s14, s24, 32
	s_mov_b32 s15, 0
	v_dual_mov_b32 v30, 2 :: v_dual_add_nc_u32 v29, v28, v27
	s_lshl_b64 s[14:15], s[14:15], 3
	v_mov_b32_e32 v31, 0
	s_add_u32 s14, s20, s14
	s_addc_u32 s15, s21, s15
	global_store_b64 v31, v[29:30], s[14:15]
	ds_store_b64 v31, v[27:28] offset:33792
.LBB547_95:
	s_or_b32 exec_lo, exec_lo, s9
	s_delay_alu instid0(SALU_CYCLE_1)
	s_and_b32 exec_lo, exec_lo, s2
	s_cbranch_execz .LBB547_97
; %bb.96:
	v_mov_b32_e32 v27, 0
	ds_store_b32 v27, v28 offset:60
.LBB547_97:
	s_or_b32 exec_lo, exec_lo, s8
	v_mov_b32_e32 v27, 0
	s_waitcnt lgkmcnt(0)
	s_waitcnt_vscnt null, 0x0
	s_barrier
	buffer_gl0_inv
	v_cndmask_b32_e64 v29, v37, v35, s7
	ds_load_b32 v28, v27 offset:60
	s_waitcnt lgkmcnt(0)
	s_barrier
	buffer_gl0_inv
	v_cndmask_b32_e64 v29, v29, 0, s2
	s_delay_alu instid0(VALU_DEP_1) | instskip(SKIP_2) | instid1(VALU_DEP_1)
	v_add_nc_u32_e32 v45, v28, v29
	ds_load_b64 v[27:28], v27 offset:33792
	v_add_nc_u32_e32 v43, v45, v36
	v_add_nc_u32_e32 v41, v43, v38
	s_delay_alu instid0(VALU_DEP_1) | instskip(NEXT) | instid1(VALU_DEP_1)
	v_add_nc_u32_e32 v39, v41, v40
	v_add_nc_u32_e32 v37, v39, v42
	s_waitcnt lgkmcnt(0)
	v_readfirstlane_b32 s8, v28
	s_delay_alu instid0(VALU_DEP_2) | instskip(NEXT) | instid1(VALU_DEP_1)
	v_add_nc_u32_e32 v35, v37, v44
	v_add_nc_u32_e32 v33, v35, v46
	s_delay_alu instid0(VALU_DEP_1)
	v_add_nc_u32_e32 v31, v33, v49
	v_lshrrev_b64 v[29:30], 24, v[25:26]
	s_branch .LBB547_108
.LBB547_98:
                                        ; implicit-def: $vgpr31
                                        ; implicit-def: $vgpr33
                                        ; implicit-def: $vgpr35
                                        ; implicit-def: $vgpr37
                                        ; implicit-def: $vgpr39
                                        ; implicit-def: $vgpr41
                                        ; implicit-def: $vgpr43
                                        ; implicit-def: $vgpr45
                                        ; implicit-def: $sgpr8
                                        ; implicit-def: $vgpr27
	v_lshrrev_b64 v[29:30], 24, v[25:26]
	s_and_b32 vcc_lo, exec_lo, s7
	s_cbranch_vccz .LBB547_108
; %bb.99:
	v_mov_b32_dpp v27, v52 row_shr:1 row_mask:0xf bank_mask:0xf
	s_delay_alu instid0(VALU_DEP_1) | instskip(NEXT) | instid1(VALU_DEP_1)
	v_cndmask_b32_e64 v27, v27, 0, s3
	v_add_nc_u32_e32 v27, v27, v52
	s_delay_alu instid0(VALU_DEP_1) | instskip(NEXT) | instid1(VALU_DEP_1)
	v_mov_b32_dpp v28, v27 row_shr:2 row_mask:0xf bank_mask:0xf
	v_cndmask_b32_e64 v28, 0, v28, s0
	s_delay_alu instid0(VALU_DEP_1) | instskip(NEXT) | instid1(VALU_DEP_1)
	v_add_nc_u32_e32 v27, v27, v28
	v_mov_b32_dpp v28, v27 row_shr:4 row_mask:0xf bank_mask:0xf
	s_delay_alu instid0(VALU_DEP_1) | instskip(NEXT) | instid1(VALU_DEP_1)
	v_cndmask_b32_e64 v28, 0, v28, s4
	v_add_nc_u32_e32 v27, v27, v28
	s_delay_alu instid0(VALU_DEP_1) | instskip(NEXT) | instid1(VALU_DEP_1)
	v_mov_b32_dpp v28, v27 row_shr:8 row_mask:0xf bank_mask:0xf
	v_cndmask_b32_e64 v28, 0, v28, s1
	s_delay_alu instid0(VALU_DEP_1) | instskip(SKIP_3) | instid1(VALU_DEP_1)
	v_add_nc_u32_e32 v27, v27, v28
	ds_swizzle_b32 v28, v27 offset:swizzle(BROADCAST,32,15)
	s_waitcnt lgkmcnt(0)
	v_cndmask_b32_e64 v28, v28, 0, s6
	v_add_nc_u32_e32 v27, v27, v28
	s_and_saveexec_b32 s6, s5
	s_cbranch_execz .LBB547_101
; %bb.100:
	v_lshlrev_b32_e32 v28, 2, v51
	ds_store_b32 v28, v27
.LBB547_101:
	s_or_b32 exec_lo, exec_lo, s6
	s_delay_alu instid0(SALU_CYCLE_1)
	s_mov_b32 s5, exec_lo
	s_waitcnt lgkmcnt(0)
	s_barrier
	buffer_gl0_inv
	v_cmpx_gt_u32_e32 16, v0
	s_cbranch_execz .LBB547_103
; %bb.102:
	v_lshlrev_b32_e32 v28, 2, v0
	ds_load_b32 v30, v28
	s_waitcnt lgkmcnt(0)
	v_mov_b32_dpp v31, v30 row_shr:1 row_mask:0xf bank_mask:0xf
	s_delay_alu instid0(VALU_DEP_1) | instskip(NEXT) | instid1(VALU_DEP_1)
	v_cndmask_b32_e64 v31, v31, 0, s3
	v_add_nc_u32_e32 v30, v31, v30
	s_delay_alu instid0(VALU_DEP_1) | instskip(NEXT) | instid1(VALU_DEP_1)
	v_mov_b32_dpp v31, v30 row_shr:2 row_mask:0xf bank_mask:0xf
	v_cndmask_b32_e64 v31, 0, v31, s0
	s_delay_alu instid0(VALU_DEP_1) | instskip(NEXT) | instid1(VALU_DEP_1)
	v_add_nc_u32_e32 v30, v30, v31
	v_mov_b32_dpp v31, v30 row_shr:4 row_mask:0xf bank_mask:0xf
	s_delay_alu instid0(VALU_DEP_1) | instskip(NEXT) | instid1(VALU_DEP_1)
	v_cndmask_b32_e64 v31, 0, v31, s4
	v_add_nc_u32_e32 v30, v30, v31
	s_delay_alu instid0(VALU_DEP_1) | instskip(NEXT) | instid1(VALU_DEP_1)
	v_mov_b32_dpp v31, v30 row_shr:8 row_mask:0xf bank_mask:0xf
	v_cndmask_b32_e64 v31, 0, v31, s1
	s_delay_alu instid0(VALU_DEP_1)
	v_add_nc_u32_e32 v30, v30, v31
	ds_store_b32 v28, v30
.LBB547_103:
	s_or_b32 exec_lo, exec_lo, s5
	v_mov_b32_e32 v28, 0
	v_mov_b32_e32 v30, 0
	s_mov_b32 s0, exec_lo
	s_waitcnt lgkmcnt(0)
	s_barrier
	buffer_gl0_inv
	v_cmpx_lt_u32_e32 31, v0
	s_cbranch_execz .LBB547_105
; %bb.104:
	v_lshl_add_u32 v30, v51, 2, -4
	ds_load_b32 v30, v30
.LBB547_105:
	s_or_b32 exec_lo, exec_lo, s0
	v_add_nc_u32_e32 v31, -1, v50
	s_waitcnt lgkmcnt(0)
	v_add_nc_u32_e32 v27, v30, v27
	s_mov_b32 s8, 0
	s_delay_alu instid0(VALU_DEP_2) | instskip(SKIP_1) | instid1(VALU_DEP_1)
	v_cmp_gt_i32_e32 vcc_lo, 0, v31
	v_cndmask_b32_e32 v31, v31, v50, vcc_lo
	v_lshlrev_b32_e32 v31, 2, v31
	ds_bpermute_b32 v31, v31, v27
	ds_load_b32 v27, v28 offset:60
	s_and_saveexec_b32 s0, s2
	s_cbranch_execz .LBB547_107
; %bb.106:
	v_mov_b32_e32 v32, 0
	v_mov_b32_e32 v28, 2
	s_waitcnt lgkmcnt(0)
	global_store_b64 v32, v[27:28], s[20:21] offset:256
.LBB547_107:
	s_or_b32 exec_lo, exec_lo, s0
	v_cmp_eq_u32_e32 vcc_lo, 0, v50
	s_waitcnt lgkmcnt(0)
	s_waitcnt_vscnt null, 0x0
	s_barrier
	buffer_gl0_inv
	v_cndmask_b32_e32 v28, v31, v30, vcc_lo
	s_delay_alu instid0(VALU_DEP_1) | instskip(NEXT) | instid1(VALU_DEP_1)
	v_cndmask_b32_e64 v45, v28, 0, s2
	v_add_nc_u32_e32 v43, v45, v36
	s_delay_alu instid0(VALU_DEP_1) | instskip(NEXT) | instid1(VALU_DEP_1)
	v_add_nc_u32_e32 v41, v43, v38
	v_add_nc_u32_e32 v39, v41, v40
	s_delay_alu instid0(VALU_DEP_1) | instskip(NEXT) | instid1(VALU_DEP_1)
	v_add_nc_u32_e32 v37, v39, v42
	;; [unrolled: 3-line block ×3, first 2 shown]
	v_add_nc_u32_e32 v31, v33, v49
.LBB547_108:
	v_add_nc_u32_e32 v51, s8, v27
	v_cmp_gt_u32_e64 s0, 0x201, v27
	v_lshrrev_b32_e32 v50, 8, v25
	v_lshrrev_b32_e32 v49, 16, v25
	;; [unrolled: 1-line block ×4, first 2 shown]
	v_cmp_lt_u32_e64 s1, v45, v51
	s_and_b32 vcc_lo, exec_lo, s0
	s_mov_b32 s3, -1
	s_cbranch_vccz .LBB547_134
; %bb.109:
	s_lshl_b64 s[4:5], s[10:11], 3
	s_delay_alu instid0(SALU_CYCLE_1) | instskip(SKIP_2) | instid1(SALU_CYCLE_1)
	s_add_u32 s3, s16, s4
	s_addc_u32 s4, s17, s5
	s_or_b32 s5, s23, s1
	s_and_saveexec_b32 s1, s5
	s_cbranch_execz .LBB547_112
; %bb.110:
	v_and_b32_e32 v32, 1, v25
	s_delay_alu instid0(VALU_DEP_1)
	v_cmp_eq_u32_e32 vcc_lo, 1, v32
	s_and_b32 exec_lo, exec_lo, vcc_lo
	s_cbranch_execz .LBB547_112
; %bb.111:
	v_mov_b32_e32 v46, 0
	s_delay_alu instid0(VALU_DEP_1) | instskip(NEXT) | instid1(VALU_DEP_1)
	v_lshlrev_b64 v[52:53], 3, v[45:46]
	v_add_co_u32 v52, vcc_lo, s3, v52
	s_delay_alu instid0(VALU_DEP_2)
	v_add_co_ci_u32_e32 v53, vcc_lo, s4, v53, vcc_lo
	global_store_b64 v[52:53], v[13:14], off
.LBB547_112:
	s_or_b32 exec_lo, exec_lo, s1
	v_cmp_lt_u32_e32 vcc_lo, v43, v51
	s_or_b32 s5, s23, vcc_lo
	s_delay_alu instid0(SALU_CYCLE_1)
	s_and_saveexec_b32 s1, s5
	s_cbranch_execz .LBB547_115
; %bb.113:
	v_and_b32_e32 v32, 1, v50
	s_delay_alu instid0(VALU_DEP_1)
	v_cmp_eq_u32_e32 vcc_lo, 1, v32
	s_and_b32 exec_lo, exec_lo, vcc_lo
	s_cbranch_execz .LBB547_115
; %bb.114:
	v_mov_b32_e32 v44, 0
	s_delay_alu instid0(VALU_DEP_1) | instskip(NEXT) | instid1(VALU_DEP_1)
	v_lshlrev_b64 v[52:53], 3, v[43:44]
	v_add_co_u32 v52, vcc_lo, s3, v52
	s_delay_alu instid0(VALU_DEP_2)
	v_add_co_ci_u32_e32 v53, vcc_lo, s4, v53, vcc_lo
	global_store_b64 v[52:53], v[15:16], off
.LBB547_115:
	s_or_b32 exec_lo, exec_lo, s1
	v_cmp_lt_u32_e32 vcc_lo, v41, v51
	s_or_b32 s5, s23, vcc_lo
	s_delay_alu instid0(SALU_CYCLE_1)
	;; [unrolled: 21-line block ×7, first 2 shown]
	s_and_saveexec_b32 s1, s5
	s_cbranch_execz .LBB547_133
; %bb.131:
	v_and_b32_e32 v32, 1, v48
	s_delay_alu instid0(VALU_DEP_1)
	v_cmp_eq_u32_e32 vcc_lo, 1, v32
	s_and_b32 exec_lo, exec_lo, vcc_lo
	s_cbranch_execz .LBB547_133
; %bb.132:
	v_mov_b32_e32 v32, 0
	s_delay_alu instid0(VALU_DEP_1) | instskip(NEXT) | instid1(VALU_DEP_1)
	v_lshlrev_b64 v[52:53], 3, v[31:32]
	v_add_co_u32 v52, vcc_lo, s3, v52
	s_delay_alu instid0(VALU_DEP_2)
	v_add_co_ci_u32_e32 v53, vcc_lo, s4, v53, vcc_lo
	global_store_b64 v[52:53], v[3:4], off
.LBB547_133:
	s_or_b32 exec_lo, exec_lo, s1
	s_mov_b32 s3, 0
.LBB547_134:
	v_and_b32_e32 v25, 1, v25
	s_and_b32 vcc_lo, exec_lo, s3
	s_delay_alu instid0(VALU_DEP_1)
	v_cmp_eq_u32_e64 s1, 1, v25
	s_cbranch_vccz .LBB547_155
; %bb.135:
	s_delay_alu instid0(VALU_DEP_1)
	s_and_saveexec_b32 s3, s1
	s_cbranch_execz .LBB547_137
; %bb.136:
	v_subrev_nc_u32_e32 v32, s8, v45
	s_delay_alu instid0(VALU_DEP_1)
	v_lshlrev_b32_e32 v32, 3, v32
	ds_store_b64 v32, v[13:14]
.LBB547_137:
	s_or_b32 exec_lo, exec_lo, s3
	v_and_b32_e32 v13, 1, v50
	s_mov_b32 s1, exec_lo
	s_delay_alu instid0(VALU_DEP_1)
	v_cmpx_eq_u32_e32 1, v13
	s_cbranch_execz .LBB547_139
; %bb.138:
	v_subrev_nc_u32_e32 v13, s8, v43
	s_delay_alu instid0(VALU_DEP_1)
	v_lshlrev_b32_e32 v13, 3, v13
	ds_store_b64 v13, v[15:16]
.LBB547_139:
	s_or_b32 exec_lo, exec_lo, s1
	v_and_b32_e32 v13, 1, v49
	s_mov_b32 s1, exec_lo
	s_delay_alu instid0(VALU_DEP_1)
	v_cmpx_eq_u32_e32 1, v13
	;; [unrolled: 12-line block ×7, first 2 shown]
	s_cbranch_execz .LBB547_151
; %bb.150:
	v_subrev_nc_u32_e32 v1, s8, v31
	s_delay_alu instid0(VALU_DEP_1)
	v_lshlrev_b32_e32 v1, 3, v1
	ds_store_b64 v1, v[3:4]
.LBB547_151:
	s_or_b32 exec_lo, exec_lo, s1
	s_delay_alu instid0(SALU_CYCLE_1)
	s_mov_b32 s3, exec_lo
	s_waitcnt lgkmcnt(0)
	s_waitcnt_vscnt null, 0x0
	s_barrier
	buffer_gl0_inv
	v_cmpx_lt_u32_e64 v0, v27
	s_cbranch_execz .LBB547_154
; %bb.152:
	s_mov_b32 s9, 0
	s_lshl_b64 s[4:5], s[10:11], 3
	s_lshl_b64 s[6:7], s[8:9], 3
	v_mov_b32_e32 v3, v0
	s_add_u32 s1, s4, s6
	s_addc_u32 s4, s5, s7
	s_add_u32 s1, s16, s1
	s_addc_u32 s4, s17, s4
	v_add_co_u32 v1, s1, s1, v47
	s_delay_alu instid0(VALU_DEP_1)
	v_add_co_ci_u32_e64 v2, null, s4, 0, s1
	.p2align	6
.LBB547_153:                            ; =>This Inner Loop Header: Depth=1
	ds_load_b64 v[4:5], v47
	v_add_nc_u32_e32 v3, 0x200, v3
	v_add_nc_u32_e32 v47, 0x1000, v47
	s_delay_alu instid0(VALU_DEP_2) | instskip(SKIP_4) | instid1(VALU_DEP_1)
	v_cmp_ge_u32_e32 vcc_lo, v3, v27
	s_or_b32 s9, vcc_lo, s9
	s_waitcnt lgkmcnt(0)
	global_store_b64 v[1:2], v[4:5], off
	v_add_co_u32 v1, s1, 0x1000, v1
	v_add_co_ci_u32_e64 v2, s1, 0, v2, s1
	s_and_not1_b32 exec_lo, exec_lo, s9
	s_cbranch_execnz .LBB547_153
.LBB547_154:
	s_or_b32 exec_lo, exec_lo, s3
.LBB547_155:
	s_delay_alu instid0(SALU_CYCLE_1)
	s_and_b32 vcc_lo, exec_lo, s0
	s_mov_b32 s0, -1
	s_waitcnt_vscnt null, 0x0
	s_barrier
	buffer_gl0_inv
	s_cbranch_vccz .LBB547_183
; %bb.156:
	v_cmp_lt_u32_e32 vcc_lo, v45, v51
	s_lshl_b64 s[0:1], s[10:11], 2
	s_delay_alu instid0(SALU_CYCLE_1) | instskip(SKIP_2) | instid1(SALU_CYCLE_1)
	s_add_u32 s0, s18, s0
	s_addc_u32 s1, s19, s1
	s_or_b32 s4, s23, vcc_lo
	s_and_saveexec_b32 s3, s4
	s_cbranch_execz .LBB547_159
; %bb.157:
	v_cmp_eq_u32_e32 vcc_lo, 1, v25
	s_and_b32 exec_lo, exec_lo, vcc_lo
	s_cbranch_execz .LBB547_159
; %bb.158:
	v_mov_b32_e32 v46, 0
	s_delay_alu instid0(VALU_DEP_1) | instskip(NEXT) | instid1(VALU_DEP_1)
	v_lshlrev_b64 v[1:2], 2, v[45:46]
	v_add_co_u32 v1, vcc_lo, s0, v1
	s_delay_alu instid0(VALU_DEP_2)
	v_add_co_ci_u32_e32 v2, vcc_lo, s1, v2, vcc_lo
	global_store_b32 v[1:2], v23, off
.LBB547_159:
	s_or_b32 exec_lo, exec_lo, s3
	v_cmp_lt_u32_e32 vcc_lo, v43, v51
	s_or_b32 s4, s23, vcc_lo
	s_delay_alu instid0(SALU_CYCLE_1)
	s_and_saveexec_b32 s3, s4
	s_cbranch_execz .LBB547_162
; %bb.160:
	v_and_b32_e32 v1, 1, v50
	s_delay_alu instid0(VALU_DEP_1)
	v_cmp_eq_u32_e32 vcc_lo, 1, v1
	s_and_b32 exec_lo, exec_lo, vcc_lo
	s_cbranch_execz .LBB547_162
; %bb.161:
	v_mov_b32_e32 v44, 0
	s_delay_alu instid0(VALU_DEP_1) | instskip(NEXT) | instid1(VALU_DEP_1)
	v_lshlrev_b64 v[1:2], 2, v[43:44]
	v_add_co_u32 v1, vcc_lo, s0, v1
	s_delay_alu instid0(VALU_DEP_2)
	v_add_co_ci_u32_e32 v2, vcc_lo, s1, v2, vcc_lo
	global_store_b32 v[1:2], v24, off
.LBB547_162:
	s_or_b32 exec_lo, exec_lo, s3
	v_cmp_lt_u32_e32 vcc_lo, v41, v51
	s_or_b32 s4, s23, vcc_lo
	s_delay_alu instid0(SALU_CYCLE_1)
	s_and_saveexec_b32 s3, s4
	s_cbranch_execz .LBB547_165
; %bb.163:
	v_and_b32_e32 v1, 1, v49
	s_delay_alu instid0(VALU_DEP_1)
	v_cmp_eq_u32_e32 vcc_lo, 1, v1
	s_and_b32 exec_lo, exec_lo, vcc_lo
	s_cbranch_execz .LBB547_165
; %bb.164:
	v_mov_b32_e32 v42, 0
	s_delay_alu instid0(VALU_DEP_1) | instskip(NEXT) | instid1(VALU_DEP_1)
	v_lshlrev_b64 v[1:2], 2, v[41:42]
	v_add_co_u32 v1, vcc_lo, s0, v1
	s_delay_alu instid0(VALU_DEP_2)
	v_add_co_ci_u32_e32 v2, vcc_lo, s1, v2, vcc_lo
	global_store_b32 v[1:2], v21, off
.LBB547_165:
	;; [unrolled: 21-line block ×7, first 2 shown]
	s_or_b32 exec_lo, exec_lo, s3
.LBB547_181:
	s_and_b32 s0, s2, s22
	s_delay_alu instid0(SALU_CYCLE_1)
	s_and_saveexec_b32 s1, s0
	s_cbranch_execz .LBB547_204
.LBB547_182:
	v_add_co_u32 v0, s0, s10, v27
	s_delay_alu instid0(VALU_DEP_1) | instskip(SKIP_1) | instid1(VALU_DEP_3)
	v_add_co_ci_u32_e64 v1, null, s11, 0, s0
	v_mov_b32_e32 v2, 0
	v_add_co_u32 v0, vcc_lo, v0, s8
	s_delay_alu instid0(VALU_DEP_3)
	v_add_co_ci_u32_e32 v1, vcc_lo, 0, v1, vcc_lo
	global_store_b64 v2, v[0:1], s[12:13]
	s_nop 0
	s_sendmsg sendmsg(MSG_DEALLOC_VGPRS)
	s_endpgm
.LBB547_183:
	s_and_b32 vcc_lo, exec_lo, s0
	s_cbranch_vccz .LBB547_181
; %bb.184:
	s_mov_b32 s0, exec_lo
	v_cmpx_eq_u32_e32 1, v25
	s_cbranch_execz .LBB547_186
; %bb.185:
	v_subrev_nc_u32_e32 v1, s8, v45
	s_delay_alu instid0(VALU_DEP_1)
	v_lshlrev_b32_e32 v1, 2, v1
	ds_store_b32 v1, v23
.LBB547_186:
	s_or_b32 exec_lo, exec_lo, s0
	v_and_b32_e32 v1, 1, v50
	s_mov_b32 s0, exec_lo
	s_delay_alu instid0(VALU_DEP_1)
	v_cmpx_eq_u32_e32 1, v1
	s_cbranch_execz .LBB547_188
; %bb.187:
	v_subrev_nc_u32_e32 v1, s8, v43
	s_delay_alu instid0(VALU_DEP_1)
	v_lshlrev_b32_e32 v1, 2, v1
	ds_store_b32 v1, v24
.LBB547_188:
	s_or_b32 exec_lo, exec_lo, s0
	v_and_b32_e32 v1, 1, v49
	s_mov_b32 s0, exec_lo
	s_delay_alu instid0(VALU_DEP_1)
	;; [unrolled: 12-line block ×7, first 2 shown]
	v_cmpx_eq_u32_e32 1, v1
	s_cbranch_execz .LBB547_200
; %bb.199:
	v_subrev_nc_u32_e32 v1, s8, v31
	s_delay_alu instid0(VALU_DEP_1)
	v_lshlrev_b32_e32 v1, 2, v1
	ds_store_b32 v1, v18
.LBB547_200:
	s_or_b32 exec_lo, exec_lo, s0
	s_delay_alu instid0(SALU_CYCLE_1)
	s_mov_b32 s1, exec_lo
	s_waitcnt lgkmcnt(0)
	s_waitcnt_vscnt null, 0x0
	s_barrier
	buffer_gl0_inv
	v_cmpx_lt_u32_e64 v0, v27
	s_cbranch_execz .LBB547_203
; %bb.201:
	s_mov_b32 s9, 0
	s_lshl_b64 s[4:5], s[10:11], 2
	s_lshl_b64 s[6:7], s[8:9], 2
	v_lshlrev_b32_e32 v3, 2, v0
	s_add_u32 s0, s4, s6
	s_addc_u32 s3, s5, s7
	s_add_u32 s0, s18, s0
	s_addc_u32 s3, s19, s3
	v_add_co_u32 v1, s0, s0, v3
	s_delay_alu instid0(VALU_DEP_1)
	v_add_co_ci_u32_e64 v2, null, s3, 0, s0
	.p2align	6
.LBB547_202:                            ; =>This Inner Loop Header: Depth=1
	ds_load_b32 v4, v3
	v_add_nc_u32_e32 v0, 0x200, v0
	v_add_nc_u32_e32 v3, 0x800, v3
	s_delay_alu instid0(VALU_DEP_2) | instskip(SKIP_4) | instid1(VALU_DEP_1)
	v_cmp_ge_u32_e32 vcc_lo, v0, v27
	s_or_b32 s9, vcc_lo, s9
	s_waitcnt lgkmcnt(0)
	global_store_b32 v[1:2], v4, off
	v_add_co_u32 v1, s0, 0x800, v1
	v_add_co_ci_u32_e64 v2, s0, 0, v2, s0
	s_and_not1_b32 exec_lo, exec_lo, s9
	s_cbranch_execnz .LBB547_202
.LBB547_203:
	s_or_b32 exec_lo, exec_lo, s1
	s_and_b32 s0, s2, s22
	s_delay_alu instid0(SALU_CYCLE_1)
	s_and_saveexec_b32 s1, s0
	s_cbranch_execnz .LBB547_182
.LBB547_204:
	s_nop 0
	s_sendmsg sendmsg(MSG_DEALLOC_VGPRS)
	s_endpgm
	.section	.rodata,"a",@progbits
	.p2align	6, 0x0
	.amdhsa_kernel _ZN7rocprim17ROCPRIM_400000_NS6detail17trampoline_kernelINS0_14default_configENS1_25partition_config_selectorILNS1_17partition_subalgoE9EyjbEEZZNS1_14partition_implILS5_9ELb0ES3_jN6thrust23THRUST_200600_302600_NS6detail15normal_iteratorINS9_10device_ptrIyEEEENSB_INSC_IjEEEEPNS0_10empty_typeENS0_5tupleIJSE_SH_EEENSJ_IJSG_SI_EEENS0_18inequality_wrapperINS9_8equal_toIyEEEEPmJSH_EEE10hipError_tPvRmT3_T4_T5_T6_T7_T9_mT8_P12ihipStream_tbDpT10_ENKUlT_T0_E_clISt17integral_constantIbLb1EES1A_EEDaS15_S16_EUlS15_E_NS1_11comp_targetILNS1_3genE9ELNS1_11target_archE1100ELNS1_3gpuE3ELNS1_3repE0EEENS1_30default_config_static_selectorELNS0_4arch9wavefront6targetE0EEEvT1_
		.amdhsa_group_segment_fixed_size 33800
		.amdhsa_private_segment_fixed_size 0
		.amdhsa_kernarg_size 128
		.amdhsa_user_sgpr_count 15
		.amdhsa_user_sgpr_dispatch_ptr 0
		.amdhsa_user_sgpr_queue_ptr 0
		.amdhsa_user_sgpr_kernarg_segment_ptr 1
		.amdhsa_user_sgpr_dispatch_id 0
		.amdhsa_user_sgpr_private_segment_size 0
		.amdhsa_wavefront_size32 1
		.amdhsa_uses_dynamic_stack 0
		.amdhsa_enable_private_segment 0
		.amdhsa_system_sgpr_workgroup_id_x 1
		.amdhsa_system_sgpr_workgroup_id_y 0
		.amdhsa_system_sgpr_workgroup_id_z 0
		.amdhsa_system_sgpr_workgroup_info 0
		.amdhsa_system_vgpr_workitem_id 0
		.amdhsa_next_free_vgpr 60
		.amdhsa_next_free_sgpr 30
		.amdhsa_reserve_vcc 1
		.amdhsa_float_round_mode_32 0
		.amdhsa_float_round_mode_16_64 0
		.amdhsa_float_denorm_mode_32 3
		.amdhsa_float_denorm_mode_16_64 3
		.amdhsa_dx10_clamp 1
		.amdhsa_ieee_mode 1
		.amdhsa_fp16_overflow 0
		.amdhsa_workgroup_processor_mode 1
		.amdhsa_memory_ordered 1
		.amdhsa_forward_progress 0
		.amdhsa_shared_vgpr_count 0
		.amdhsa_exception_fp_ieee_invalid_op 0
		.amdhsa_exception_fp_denorm_src 0
		.amdhsa_exception_fp_ieee_div_zero 0
		.amdhsa_exception_fp_ieee_overflow 0
		.amdhsa_exception_fp_ieee_underflow 0
		.amdhsa_exception_fp_ieee_inexact 0
		.amdhsa_exception_int_div_zero 0
	.end_amdhsa_kernel
	.section	.text._ZN7rocprim17ROCPRIM_400000_NS6detail17trampoline_kernelINS0_14default_configENS1_25partition_config_selectorILNS1_17partition_subalgoE9EyjbEEZZNS1_14partition_implILS5_9ELb0ES3_jN6thrust23THRUST_200600_302600_NS6detail15normal_iteratorINS9_10device_ptrIyEEEENSB_INSC_IjEEEEPNS0_10empty_typeENS0_5tupleIJSE_SH_EEENSJ_IJSG_SI_EEENS0_18inequality_wrapperINS9_8equal_toIyEEEEPmJSH_EEE10hipError_tPvRmT3_T4_T5_T6_T7_T9_mT8_P12ihipStream_tbDpT10_ENKUlT_T0_E_clISt17integral_constantIbLb1EES1A_EEDaS15_S16_EUlS15_E_NS1_11comp_targetILNS1_3genE9ELNS1_11target_archE1100ELNS1_3gpuE3ELNS1_3repE0EEENS1_30default_config_static_selectorELNS0_4arch9wavefront6targetE0EEEvT1_,"axG",@progbits,_ZN7rocprim17ROCPRIM_400000_NS6detail17trampoline_kernelINS0_14default_configENS1_25partition_config_selectorILNS1_17partition_subalgoE9EyjbEEZZNS1_14partition_implILS5_9ELb0ES3_jN6thrust23THRUST_200600_302600_NS6detail15normal_iteratorINS9_10device_ptrIyEEEENSB_INSC_IjEEEEPNS0_10empty_typeENS0_5tupleIJSE_SH_EEENSJ_IJSG_SI_EEENS0_18inequality_wrapperINS9_8equal_toIyEEEEPmJSH_EEE10hipError_tPvRmT3_T4_T5_T6_T7_T9_mT8_P12ihipStream_tbDpT10_ENKUlT_T0_E_clISt17integral_constantIbLb1EES1A_EEDaS15_S16_EUlS15_E_NS1_11comp_targetILNS1_3genE9ELNS1_11target_archE1100ELNS1_3gpuE3ELNS1_3repE0EEENS1_30default_config_static_selectorELNS0_4arch9wavefront6targetE0EEEvT1_,comdat
.Lfunc_end547:
	.size	_ZN7rocprim17ROCPRIM_400000_NS6detail17trampoline_kernelINS0_14default_configENS1_25partition_config_selectorILNS1_17partition_subalgoE9EyjbEEZZNS1_14partition_implILS5_9ELb0ES3_jN6thrust23THRUST_200600_302600_NS6detail15normal_iteratorINS9_10device_ptrIyEEEENSB_INSC_IjEEEEPNS0_10empty_typeENS0_5tupleIJSE_SH_EEENSJ_IJSG_SI_EEENS0_18inequality_wrapperINS9_8equal_toIyEEEEPmJSH_EEE10hipError_tPvRmT3_T4_T5_T6_T7_T9_mT8_P12ihipStream_tbDpT10_ENKUlT_T0_E_clISt17integral_constantIbLb1EES1A_EEDaS15_S16_EUlS15_E_NS1_11comp_targetILNS1_3genE9ELNS1_11target_archE1100ELNS1_3gpuE3ELNS1_3repE0EEENS1_30default_config_static_selectorELNS0_4arch9wavefront6targetE0EEEvT1_, .Lfunc_end547-_ZN7rocprim17ROCPRIM_400000_NS6detail17trampoline_kernelINS0_14default_configENS1_25partition_config_selectorILNS1_17partition_subalgoE9EyjbEEZZNS1_14partition_implILS5_9ELb0ES3_jN6thrust23THRUST_200600_302600_NS6detail15normal_iteratorINS9_10device_ptrIyEEEENSB_INSC_IjEEEEPNS0_10empty_typeENS0_5tupleIJSE_SH_EEENSJ_IJSG_SI_EEENS0_18inequality_wrapperINS9_8equal_toIyEEEEPmJSH_EEE10hipError_tPvRmT3_T4_T5_T6_T7_T9_mT8_P12ihipStream_tbDpT10_ENKUlT_T0_E_clISt17integral_constantIbLb1EES1A_EEDaS15_S16_EUlS15_E_NS1_11comp_targetILNS1_3genE9ELNS1_11target_archE1100ELNS1_3gpuE3ELNS1_3repE0EEENS1_30default_config_static_selectorELNS0_4arch9wavefront6targetE0EEEvT1_
                                        ; -- End function
	.section	.AMDGPU.csdata,"",@progbits
; Kernel info:
; codeLenInByte = 9516
; NumSgprs: 32
; NumVgprs: 60
; ScratchSize: 0
; MemoryBound: 0
; FloatMode: 240
; IeeeMode: 1
; LDSByteSize: 33800 bytes/workgroup (compile time only)
; SGPRBlocks: 3
; VGPRBlocks: 7
; NumSGPRsForWavesPerEU: 32
; NumVGPRsForWavesPerEU: 60
; Occupancy: 12
; WaveLimiterHint : 1
; COMPUTE_PGM_RSRC2:SCRATCH_EN: 0
; COMPUTE_PGM_RSRC2:USER_SGPR: 15
; COMPUTE_PGM_RSRC2:TRAP_HANDLER: 0
; COMPUTE_PGM_RSRC2:TGID_X_EN: 1
; COMPUTE_PGM_RSRC2:TGID_Y_EN: 0
; COMPUTE_PGM_RSRC2:TGID_Z_EN: 0
; COMPUTE_PGM_RSRC2:TIDIG_COMP_CNT: 0
	.section	.text._ZN7rocprim17ROCPRIM_400000_NS6detail17trampoline_kernelINS0_14default_configENS1_25partition_config_selectorILNS1_17partition_subalgoE9EyjbEEZZNS1_14partition_implILS5_9ELb0ES3_jN6thrust23THRUST_200600_302600_NS6detail15normal_iteratorINS9_10device_ptrIyEEEENSB_INSC_IjEEEEPNS0_10empty_typeENS0_5tupleIJSE_SH_EEENSJ_IJSG_SI_EEENS0_18inequality_wrapperINS9_8equal_toIyEEEEPmJSH_EEE10hipError_tPvRmT3_T4_T5_T6_T7_T9_mT8_P12ihipStream_tbDpT10_ENKUlT_T0_E_clISt17integral_constantIbLb1EES1A_EEDaS15_S16_EUlS15_E_NS1_11comp_targetILNS1_3genE8ELNS1_11target_archE1030ELNS1_3gpuE2ELNS1_3repE0EEENS1_30default_config_static_selectorELNS0_4arch9wavefront6targetE0EEEvT1_,"axG",@progbits,_ZN7rocprim17ROCPRIM_400000_NS6detail17trampoline_kernelINS0_14default_configENS1_25partition_config_selectorILNS1_17partition_subalgoE9EyjbEEZZNS1_14partition_implILS5_9ELb0ES3_jN6thrust23THRUST_200600_302600_NS6detail15normal_iteratorINS9_10device_ptrIyEEEENSB_INSC_IjEEEEPNS0_10empty_typeENS0_5tupleIJSE_SH_EEENSJ_IJSG_SI_EEENS0_18inequality_wrapperINS9_8equal_toIyEEEEPmJSH_EEE10hipError_tPvRmT3_T4_T5_T6_T7_T9_mT8_P12ihipStream_tbDpT10_ENKUlT_T0_E_clISt17integral_constantIbLb1EES1A_EEDaS15_S16_EUlS15_E_NS1_11comp_targetILNS1_3genE8ELNS1_11target_archE1030ELNS1_3gpuE2ELNS1_3repE0EEENS1_30default_config_static_selectorELNS0_4arch9wavefront6targetE0EEEvT1_,comdat
	.protected	_ZN7rocprim17ROCPRIM_400000_NS6detail17trampoline_kernelINS0_14default_configENS1_25partition_config_selectorILNS1_17partition_subalgoE9EyjbEEZZNS1_14partition_implILS5_9ELb0ES3_jN6thrust23THRUST_200600_302600_NS6detail15normal_iteratorINS9_10device_ptrIyEEEENSB_INSC_IjEEEEPNS0_10empty_typeENS0_5tupleIJSE_SH_EEENSJ_IJSG_SI_EEENS0_18inequality_wrapperINS9_8equal_toIyEEEEPmJSH_EEE10hipError_tPvRmT3_T4_T5_T6_T7_T9_mT8_P12ihipStream_tbDpT10_ENKUlT_T0_E_clISt17integral_constantIbLb1EES1A_EEDaS15_S16_EUlS15_E_NS1_11comp_targetILNS1_3genE8ELNS1_11target_archE1030ELNS1_3gpuE2ELNS1_3repE0EEENS1_30default_config_static_selectorELNS0_4arch9wavefront6targetE0EEEvT1_ ; -- Begin function _ZN7rocprim17ROCPRIM_400000_NS6detail17trampoline_kernelINS0_14default_configENS1_25partition_config_selectorILNS1_17partition_subalgoE9EyjbEEZZNS1_14partition_implILS5_9ELb0ES3_jN6thrust23THRUST_200600_302600_NS6detail15normal_iteratorINS9_10device_ptrIyEEEENSB_INSC_IjEEEEPNS0_10empty_typeENS0_5tupleIJSE_SH_EEENSJ_IJSG_SI_EEENS0_18inequality_wrapperINS9_8equal_toIyEEEEPmJSH_EEE10hipError_tPvRmT3_T4_T5_T6_T7_T9_mT8_P12ihipStream_tbDpT10_ENKUlT_T0_E_clISt17integral_constantIbLb1EES1A_EEDaS15_S16_EUlS15_E_NS1_11comp_targetILNS1_3genE8ELNS1_11target_archE1030ELNS1_3gpuE2ELNS1_3repE0EEENS1_30default_config_static_selectorELNS0_4arch9wavefront6targetE0EEEvT1_
	.globl	_ZN7rocprim17ROCPRIM_400000_NS6detail17trampoline_kernelINS0_14default_configENS1_25partition_config_selectorILNS1_17partition_subalgoE9EyjbEEZZNS1_14partition_implILS5_9ELb0ES3_jN6thrust23THRUST_200600_302600_NS6detail15normal_iteratorINS9_10device_ptrIyEEEENSB_INSC_IjEEEEPNS0_10empty_typeENS0_5tupleIJSE_SH_EEENSJ_IJSG_SI_EEENS0_18inequality_wrapperINS9_8equal_toIyEEEEPmJSH_EEE10hipError_tPvRmT3_T4_T5_T6_T7_T9_mT8_P12ihipStream_tbDpT10_ENKUlT_T0_E_clISt17integral_constantIbLb1EES1A_EEDaS15_S16_EUlS15_E_NS1_11comp_targetILNS1_3genE8ELNS1_11target_archE1030ELNS1_3gpuE2ELNS1_3repE0EEENS1_30default_config_static_selectorELNS0_4arch9wavefront6targetE0EEEvT1_
	.p2align	8
	.type	_ZN7rocprim17ROCPRIM_400000_NS6detail17trampoline_kernelINS0_14default_configENS1_25partition_config_selectorILNS1_17partition_subalgoE9EyjbEEZZNS1_14partition_implILS5_9ELb0ES3_jN6thrust23THRUST_200600_302600_NS6detail15normal_iteratorINS9_10device_ptrIyEEEENSB_INSC_IjEEEEPNS0_10empty_typeENS0_5tupleIJSE_SH_EEENSJ_IJSG_SI_EEENS0_18inequality_wrapperINS9_8equal_toIyEEEEPmJSH_EEE10hipError_tPvRmT3_T4_T5_T6_T7_T9_mT8_P12ihipStream_tbDpT10_ENKUlT_T0_E_clISt17integral_constantIbLb1EES1A_EEDaS15_S16_EUlS15_E_NS1_11comp_targetILNS1_3genE8ELNS1_11target_archE1030ELNS1_3gpuE2ELNS1_3repE0EEENS1_30default_config_static_selectorELNS0_4arch9wavefront6targetE0EEEvT1_,@function
_ZN7rocprim17ROCPRIM_400000_NS6detail17trampoline_kernelINS0_14default_configENS1_25partition_config_selectorILNS1_17partition_subalgoE9EyjbEEZZNS1_14partition_implILS5_9ELb0ES3_jN6thrust23THRUST_200600_302600_NS6detail15normal_iteratorINS9_10device_ptrIyEEEENSB_INSC_IjEEEEPNS0_10empty_typeENS0_5tupleIJSE_SH_EEENSJ_IJSG_SI_EEENS0_18inequality_wrapperINS9_8equal_toIyEEEEPmJSH_EEE10hipError_tPvRmT3_T4_T5_T6_T7_T9_mT8_P12ihipStream_tbDpT10_ENKUlT_T0_E_clISt17integral_constantIbLb1EES1A_EEDaS15_S16_EUlS15_E_NS1_11comp_targetILNS1_3genE8ELNS1_11target_archE1030ELNS1_3gpuE2ELNS1_3repE0EEENS1_30default_config_static_selectorELNS0_4arch9wavefront6targetE0EEEvT1_: ; @_ZN7rocprim17ROCPRIM_400000_NS6detail17trampoline_kernelINS0_14default_configENS1_25partition_config_selectorILNS1_17partition_subalgoE9EyjbEEZZNS1_14partition_implILS5_9ELb0ES3_jN6thrust23THRUST_200600_302600_NS6detail15normal_iteratorINS9_10device_ptrIyEEEENSB_INSC_IjEEEEPNS0_10empty_typeENS0_5tupleIJSE_SH_EEENSJ_IJSG_SI_EEENS0_18inequality_wrapperINS9_8equal_toIyEEEEPmJSH_EEE10hipError_tPvRmT3_T4_T5_T6_T7_T9_mT8_P12ihipStream_tbDpT10_ENKUlT_T0_E_clISt17integral_constantIbLb1EES1A_EEDaS15_S16_EUlS15_E_NS1_11comp_targetILNS1_3genE8ELNS1_11target_archE1030ELNS1_3gpuE2ELNS1_3repE0EEENS1_30default_config_static_selectorELNS0_4arch9wavefront6targetE0EEEvT1_
; %bb.0:
	.section	.rodata,"a",@progbits
	.p2align	6, 0x0
	.amdhsa_kernel _ZN7rocprim17ROCPRIM_400000_NS6detail17trampoline_kernelINS0_14default_configENS1_25partition_config_selectorILNS1_17partition_subalgoE9EyjbEEZZNS1_14partition_implILS5_9ELb0ES3_jN6thrust23THRUST_200600_302600_NS6detail15normal_iteratorINS9_10device_ptrIyEEEENSB_INSC_IjEEEEPNS0_10empty_typeENS0_5tupleIJSE_SH_EEENSJ_IJSG_SI_EEENS0_18inequality_wrapperINS9_8equal_toIyEEEEPmJSH_EEE10hipError_tPvRmT3_T4_T5_T6_T7_T9_mT8_P12ihipStream_tbDpT10_ENKUlT_T0_E_clISt17integral_constantIbLb1EES1A_EEDaS15_S16_EUlS15_E_NS1_11comp_targetILNS1_3genE8ELNS1_11target_archE1030ELNS1_3gpuE2ELNS1_3repE0EEENS1_30default_config_static_selectorELNS0_4arch9wavefront6targetE0EEEvT1_
		.amdhsa_group_segment_fixed_size 0
		.amdhsa_private_segment_fixed_size 0
		.amdhsa_kernarg_size 128
		.amdhsa_user_sgpr_count 15
		.amdhsa_user_sgpr_dispatch_ptr 0
		.amdhsa_user_sgpr_queue_ptr 0
		.amdhsa_user_sgpr_kernarg_segment_ptr 1
		.amdhsa_user_sgpr_dispatch_id 0
		.amdhsa_user_sgpr_private_segment_size 0
		.amdhsa_wavefront_size32 1
		.amdhsa_uses_dynamic_stack 0
		.amdhsa_enable_private_segment 0
		.amdhsa_system_sgpr_workgroup_id_x 1
		.amdhsa_system_sgpr_workgroup_id_y 0
		.amdhsa_system_sgpr_workgroup_id_z 0
		.amdhsa_system_sgpr_workgroup_info 0
		.amdhsa_system_vgpr_workitem_id 0
		.amdhsa_next_free_vgpr 1
		.amdhsa_next_free_sgpr 1
		.amdhsa_reserve_vcc 0
		.amdhsa_float_round_mode_32 0
		.amdhsa_float_round_mode_16_64 0
		.amdhsa_float_denorm_mode_32 3
		.amdhsa_float_denorm_mode_16_64 3
		.amdhsa_dx10_clamp 1
		.amdhsa_ieee_mode 1
		.amdhsa_fp16_overflow 0
		.amdhsa_workgroup_processor_mode 1
		.amdhsa_memory_ordered 1
		.amdhsa_forward_progress 0
		.amdhsa_shared_vgpr_count 0
		.amdhsa_exception_fp_ieee_invalid_op 0
		.amdhsa_exception_fp_denorm_src 0
		.amdhsa_exception_fp_ieee_div_zero 0
		.amdhsa_exception_fp_ieee_overflow 0
		.amdhsa_exception_fp_ieee_underflow 0
		.amdhsa_exception_fp_ieee_inexact 0
		.amdhsa_exception_int_div_zero 0
	.end_amdhsa_kernel
	.section	.text._ZN7rocprim17ROCPRIM_400000_NS6detail17trampoline_kernelINS0_14default_configENS1_25partition_config_selectorILNS1_17partition_subalgoE9EyjbEEZZNS1_14partition_implILS5_9ELb0ES3_jN6thrust23THRUST_200600_302600_NS6detail15normal_iteratorINS9_10device_ptrIyEEEENSB_INSC_IjEEEEPNS0_10empty_typeENS0_5tupleIJSE_SH_EEENSJ_IJSG_SI_EEENS0_18inequality_wrapperINS9_8equal_toIyEEEEPmJSH_EEE10hipError_tPvRmT3_T4_T5_T6_T7_T9_mT8_P12ihipStream_tbDpT10_ENKUlT_T0_E_clISt17integral_constantIbLb1EES1A_EEDaS15_S16_EUlS15_E_NS1_11comp_targetILNS1_3genE8ELNS1_11target_archE1030ELNS1_3gpuE2ELNS1_3repE0EEENS1_30default_config_static_selectorELNS0_4arch9wavefront6targetE0EEEvT1_,"axG",@progbits,_ZN7rocprim17ROCPRIM_400000_NS6detail17trampoline_kernelINS0_14default_configENS1_25partition_config_selectorILNS1_17partition_subalgoE9EyjbEEZZNS1_14partition_implILS5_9ELb0ES3_jN6thrust23THRUST_200600_302600_NS6detail15normal_iteratorINS9_10device_ptrIyEEEENSB_INSC_IjEEEEPNS0_10empty_typeENS0_5tupleIJSE_SH_EEENSJ_IJSG_SI_EEENS0_18inequality_wrapperINS9_8equal_toIyEEEEPmJSH_EEE10hipError_tPvRmT3_T4_T5_T6_T7_T9_mT8_P12ihipStream_tbDpT10_ENKUlT_T0_E_clISt17integral_constantIbLb1EES1A_EEDaS15_S16_EUlS15_E_NS1_11comp_targetILNS1_3genE8ELNS1_11target_archE1030ELNS1_3gpuE2ELNS1_3repE0EEENS1_30default_config_static_selectorELNS0_4arch9wavefront6targetE0EEEvT1_,comdat
.Lfunc_end548:
	.size	_ZN7rocprim17ROCPRIM_400000_NS6detail17trampoline_kernelINS0_14default_configENS1_25partition_config_selectorILNS1_17partition_subalgoE9EyjbEEZZNS1_14partition_implILS5_9ELb0ES3_jN6thrust23THRUST_200600_302600_NS6detail15normal_iteratorINS9_10device_ptrIyEEEENSB_INSC_IjEEEEPNS0_10empty_typeENS0_5tupleIJSE_SH_EEENSJ_IJSG_SI_EEENS0_18inequality_wrapperINS9_8equal_toIyEEEEPmJSH_EEE10hipError_tPvRmT3_T4_T5_T6_T7_T9_mT8_P12ihipStream_tbDpT10_ENKUlT_T0_E_clISt17integral_constantIbLb1EES1A_EEDaS15_S16_EUlS15_E_NS1_11comp_targetILNS1_3genE8ELNS1_11target_archE1030ELNS1_3gpuE2ELNS1_3repE0EEENS1_30default_config_static_selectorELNS0_4arch9wavefront6targetE0EEEvT1_, .Lfunc_end548-_ZN7rocprim17ROCPRIM_400000_NS6detail17trampoline_kernelINS0_14default_configENS1_25partition_config_selectorILNS1_17partition_subalgoE9EyjbEEZZNS1_14partition_implILS5_9ELb0ES3_jN6thrust23THRUST_200600_302600_NS6detail15normal_iteratorINS9_10device_ptrIyEEEENSB_INSC_IjEEEEPNS0_10empty_typeENS0_5tupleIJSE_SH_EEENSJ_IJSG_SI_EEENS0_18inequality_wrapperINS9_8equal_toIyEEEEPmJSH_EEE10hipError_tPvRmT3_T4_T5_T6_T7_T9_mT8_P12ihipStream_tbDpT10_ENKUlT_T0_E_clISt17integral_constantIbLb1EES1A_EEDaS15_S16_EUlS15_E_NS1_11comp_targetILNS1_3genE8ELNS1_11target_archE1030ELNS1_3gpuE2ELNS1_3repE0EEENS1_30default_config_static_selectorELNS0_4arch9wavefront6targetE0EEEvT1_
                                        ; -- End function
	.section	.AMDGPU.csdata,"",@progbits
; Kernel info:
; codeLenInByte = 0
; NumSgprs: 0
; NumVgprs: 0
; ScratchSize: 0
; MemoryBound: 0
; FloatMode: 240
; IeeeMode: 1
; LDSByteSize: 0 bytes/workgroup (compile time only)
; SGPRBlocks: 0
; VGPRBlocks: 0
; NumSGPRsForWavesPerEU: 1
; NumVGPRsForWavesPerEU: 1
; Occupancy: 16
; WaveLimiterHint : 0
; COMPUTE_PGM_RSRC2:SCRATCH_EN: 0
; COMPUTE_PGM_RSRC2:USER_SGPR: 15
; COMPUTE_PGM_RSRC2:TRAP_HANDLER: 0
; COMPUTE_PGM_RSRC2:TGID_X_EN: 1
; COMPUTE_PGM_RSRC2:TGID_Y_EN: 0
; COMPUTE_PGM_RSRC2:TGID_Z_EN: 0
; COMPUTE_PGM_RSRC2:TIDIG_COMP_CNT: 0
	.section	.text._ZN7rocprim17ROCPRIM_400000_NS6detail17trampoline_kernelINS0_14default_configENS1_25partition_config_selectorILNS1_17partition_subalgoE9EyjbEEZZNS1_14partition_implILS5_9ELb0ES3_jN6thrust23THRUST_200600_302600_NS6detail15normal_iteratorINS9_10device_ptrIyEEEENSB_INSC_IjEEEEPNS0_10empty_typeENS0_5tupleIJSE_SH_EEENSJ_IJSG_SI_EEENS0_18inequality_wrapperINS9_8equal_toIyEEEEPmJSH_EEE10hipError_tPvRmT3_T4_T5_T6_T7_T9_mT8_P12ihipStream_tbDpT10_ENKUlT_T0_E_clISt17integral_constantIbLb1EES19_IbLb0EEEEDaS15_S16_EUlS15_E_NS1_11comp_targetILNS1_3genE0ELNS1_11target_archE4294967295ELNS1_3gpuE0ELNS1_3repE0EEENS1_30default_config_static_selectorELNS0_4arch9wavefront6targetE0EEEvT1_,"axG",@progbits,_ZN7rocprim17ROCPRIM_400000_NS6detail17trampoline_kernelINS0_14default_configENS1_25partition_config_selectorILNS1_17partition_subalgoE9EyjbEEZZNS1_14partition_implILS5_9ELb0ES3_jN6thrust23THRUST_200600_302600_NS6detail15normal_iteratorINS9_10device_ptrIyEEEENSB_INSC_IjEEEEPNS0_10empty_typeENS0_5tupleIJSE_SH_EEENSJ_IJSG_SI_EEENS0_18inequality_wrapperINS9_8equal_toIyEEEEPmJSH_EEE10hipError_tPvRmT3_T4_T5_T6_T7_T9_mT8_P12ihipStream_tbDpT10_ENKUlT_T0_E_clISt17integral_constantIbLb1EES19_IbLb0EEEEDaS15_S16_EUlS15_E_NS1_11comp_targetILNS1_3genE0ELNS1_11target_archE4294967295ELNS1_3gpuE0ELNS1_3repE0EEENS1_30default_config_static_selectorELNS0_4arch9wavefront6targetE0EEEvT1_,comdat
	.protected	_ZN7rocprim17ROCPRIM_400000_NS6detail17trampoline_kernelINS0_14default_configENS1_25partition_config_selectorILNS1_17partition_subalgoE9EyjbEEZZNS1_14partition_implILS5_9ELb0ES3_jN6thrust23THRUST_200600_302600_NS6detail15normal_iteratorINS9_10device_ptrIyEEEENSB_INSC_IjEEEEPNS0_10empty_typeENS0_5tupleIJSE_SH_EEENSJ_IJSG_SI_EEENS0_18inequality_wrapperINS9_8equal_toIyEEEEPmJSH_EEE10hipError_tPvRmT3_T4_T5_T6_T7_T9_mT8_P12ihipStream_tbDpT10_ENKUlT_T0_E_clISt17integral_constantIbLb1EES19_IbLb0EEEEDaS15_S16_EUlS15_E_NS1_11comp_targetILNS1_3genE0ELNS1_11target_archE4294967295ELNS1_3gpuE0ELNS1_3repE0EEENS1_30default_config_static_selectorELNS0_4arch9wavefront6targetE0EEEvT1_ ; -- Begin function _ZN7rocprim17ROCPRIM_400000_NS6detail17trampoline_kernelINS0_14default_configENS1_25partition_config_selectorILNS1_17partition_subalgoE9EyjbEEZZNS1_14partition_implILS5_9ELb0ES3_jN6thrust23THRUST_200600_302600_NS6detail15normal_iteratorINS9_10device_ptrIyEEEENSB_INSC_IjEEEEPNS0_10empty_typeENS0_5tupleIJSE_SH_EEENSJ_IJSG_SI_EEENS0_18inequality_wrapperINS9_8equal_toIyEEEEPmJSH_EEE10hipError_tPvRmT3_T4_T5_T6_T7_T9_mT8_P12ihipStream_tbDpT10_ENKUlT_T0_E_clISt17integral_constantIbLb1EES19_IbLb0EEEEDaS15_S16_EUlS15_E_NS1_11comp_targetILNS1_3genE0ELNS1_11target_archE4294967295ELNS1_3gpuE0ELNS1_3repE0EEENS1_30default_config_static_selectorELNS0_4arch9wavefront6targetE0EEEvT1_
	.globl	_ZN7rocprim17ROCPRIM_400000_NS6detail17trampoline_kernelINS0_14default_configENS1_25partition_config_selectorILNS1_17partition_subalgoE9EyjbEEZZNS1_14partition_implILS5_9ELb0ES3_jN6thrust23THRUST_200600_302600_NS6detail15normal_iteratorINS9_10device_ptrIyEEEENSB_INSC_IjEEEEPNS0_10empty_typeENS0_5tupleIJSE_SH_EEENSJ_IJSG_SI_EEENS0_18inequality_wrapperINS9_8equal_toIyEEEEPmJSH_EEE10hipError_tPvRmT3_T4_T5_T6_T7_T9_mT8_P12ihipStream_tbDpT10_ENKUlT_T0_E_clISt17integral_constantIbLb1EES19_IbLb0EEEEDaS15_S16_EUlS15_E_NS1_11comp_targetILNS1_3genE0ELNS1_11target_archE4294967295ELNS1_3gpuE0ELNS1_3repE0EEENS1_30default_config_static_selectorELNS0_4arch9wavefront6targetE0EEEvT1_
	.p2align	8
	.type	_ZN7rocprim17ROCPRIM_400000_NS6detail17trampoline_kernelINS0_14default_configENS1_25partition_config_selectorILNS1_17partition_subalgoE9EyjbEEZZNS1_14partition_implILS5_9ELb0ES3_jN6thrust23THRUST_200600_302600_NS6detail15normal_iteratorINS9_10device_ptrIyEEEENSB_INSC_IjEEEEPNS0_10empty_typeENS0_5tupleIJSE_SH_EEENSJ_IJSG_SI_EEENS0_18inequality_wrapperINS9_8equal_toIyEEEEPmJSH_EEE10hipError_tPvRmT3_T4_T5_T6_T7_T9_mT8_P12ihipStream_tbDpT10_ENKUlT_T0_E_clISt17integral_constantIbLb1EES19_IbLb0EEEEDaS15_S16_EUlS15_E_NS1_11comp_targetILNS1_3genE0ELNS1_11target_archE4294967295ELNS1_3gpuE0ELNS1_3repE0EEENS1_30default_config_static_selectorELNS0_4arch9wavefront6targetE0EEEvT1_,@function
_ZN7rocprim17ROCPRIM_400000_NS6detail17trampoline_kernelINS0_14default_configENS1_25partition_config_selectorILNS1_17partition_subalgoE9EyjbEEZZNS1_14partition_implILS5_9ELb0ES3_jN6thrust23THRUST_200600_302600_NS6detail15normal_iteratorINS9_10device_ptrIyEEEENSB_INSC_IjEEEEPNS0_10empty_typeENS0_5tupleIJSE_SH_EEENSJ_IJSG_SI_EEENS0_18inequality_wrapperINS9_8equal_toIyEEEEPmJSH_EEE10hipError_tPvRmT3_T4_T5_T6_T7_T9_mT8_P12ihipStream_tbDpT10_ENKUlT_T0_E_clISt17integral_constantIbLb1EES19_IbLb0EEEEDaS15_S16_EUlS15_E_NS1_11comp_targetILNS1_3genE0ELNS1_11target_archE4294967295ELNS1_3gpuE0ELNS1_3repE0EEENS1_30default_config_static_selectorELNS0_4arch9wavefront6targetE0EEEvT1_: ; @_ZN7rocprim17ROCPRIM_400000_NS6detail17trampoline_kernelINS0_14default_configENS1_25partition_config_selectorILNS1_17partition_subalgoE9EyjbEEZZNS1_14partition_implILS5_9ELb0ES3_jN6thrust23THRUST_200600_302600_NS6detail15normal_iteratorINS9_10device_ptrIyEEEENSB_INSC_IjEEEEPNS0_10empty_typeENS0_5tupleIJSE_SH_EEENSJ_IJSG_SI_EEENS0_18inequality_wrapperINS9_8equal_toIyEEEEPmJSH_EEE10hipError_tPvRmT3_T4_T5_T6_T7_T9_mT8_P12ihipStream_tbDpT10_ENKUlT_T0_E_clISt17integral_constantIbLb1EES19_IbLb0EEEEDaS15_S16_EUlS15_E_NS1_11comp_targetILNS1_3genE0ELNS1_11target_archE4294967295ELNS1_3gpuE0ELNS1_3repE0EEENS1_30default_config_static_selectorELNS0_4arch9wavefront6targetE0EEEvT1_
; %bb.0:
	.section	.rodata,"a",@progbits
	.p2align	6, 0x0
	.amdhsa_kernel _ZN7rocprim17ROCPRIM_400000_NS6detail17trampoline_kernelINS0_14default_configENS1_25partition_config_selectorILNS1_17partition_subalgoE9EyjbEEZZNS1_14partition_implILS5_9ELb0ES3_jN6thrust23THRUST_200600_302600_NS6detail15normal_iteratorINS9_10device_ptrIyEEEENSB_INSC_IjEEEEPNS0_10empty_typeENS0_5tupleIJSE_SH_EEENSJ_IJSG_SI_EEENS0_18inequality_wrapperINS9_8equal_toIyEEEEPmJSH_EEE10hipError_tPvRmT3_T4_T5_T6_T7_T9_mT8_P12ihipStream_tbDpT10_ENKUlT_T0_E_clISt17integral_constantIbLb1EES19_IbLb0EEEEDaS15_S16_EUlS15_E_NS1_11comp_targetILNS1_3genE0ELNS1_11target_archE4294967295ELNS1_3gpuE0ELNS1_3repE0EEENS1_30default_config_static_selectorELNS0_4arch9wavefront6targetE0EEEvT1_
		.amdhsa_group_segment_fixed_size 0
		.amdhsa_private_segment_fixed_size 0
		.amdhsa_kernarg_size 112
		.amdhsa_user_sgpr_count 15
		.amdhsa_user_sgpr_dispatch_ptr 0
		.amdhsa_user_sgpr_queue_ptr 0
		.amdhsa_user_sgpr_kernarg_segment_ptr 1
		.amdhsa_user_sgpr_dispatch_id 0
		.amdhsa_user_sgpr_private_segment_size 0
		.amdhsa_wavefront_size32 1
		.amdhsa_uses_dynamic_stack 0
		.amdhsa_enable_private_segment 0
		.amdhsa_system_sgpr_workgroup_id_x 1
		.amdhsa_system_sgpr_workgroup_id_y 0
		.amdhsa_system_sgpr_workgroup_id_z 0
		.amdhsa_system_sgpr_workgroup_info 0
		.amdhsa_system_vgpr_workitem_id 0
		.amdhsa_next_free_vgpr 1
		.amdhsa_next_free_sgpr 1
		.amdhsa_reserve_vcc 0
		.amdhsa_float_round_mode_32 0
		.amdhsa_float_round_mode_16_64 0
		.amdhsa_float_denorm_mode_32 3
		.amdhsa_float_denorm_mode_16_64 3
		.amdhsa_dx10_clamp 1
		.amdhsa_ieee_mode 1
		.amdhsa_fp16_overflow 0
		.amdhsa_workgroup_processor_mode 1
		.amdhsa_memory_ordered 1
		.amdhsa_forward_progress 0
		.amdhsa_shared_vgpr_count 0
		.amdhsa_exception_fp_ieee_invalid_op 0
		.amdhsa_exception_fp_denorm_src 0
		.amdhsa_exception_fp_ieee_div_zero 0
		.amdhsa_exception_fp_ieee_overflow 0
		.amdhsa_exception_fp_ieee_underflow 0
		.amdhsa_exception_fp_ieee_inexact 0
		.amdhsa_exception_int_div_zero 0
	.end_amdhsa_kernel
	.section	.text._ZN7rocprim17ROCPRIM_400000_NS6detail17trampoline_kernelINS0_14default_configENS1_25partition_config_selectorILNS1_17partition_subalgoE9EyjbEEZZNS1_14partition_implILS5_9ELb0ES3_jN6thrust23THRUST_200600_302600_NS6detail15normal_iteratorINS9_10device_ptrIyEEEENSB_INSC_IjEEEEPNS0_10empty_typeENS0_5tupleIJSE_SH_EEENSJ_IJSG_SI_EEENS0_18inequality_wrapperINS9_8equal_toIyEEEEPmJSH_EEE10hipError_tPvRmT3_T4_T5_T6_T7_T9_mT8_P12ihipStream_tbDpT10_ENKUlT_T0_E_clISt17integral_constantIbLb1EES19_IbLb0EEEEDaS15_S16_EUlS15_E_NS1_11comp_targetILNS1_3genE0ELNS1_11target_archE4294967295ELNS1_3gpuE0ELNS1_3repE0EEENS1_30default_config_static_selectorELNS0_4arch9wavefront6targetE0EEEvT1_,"axG",@progbits,_ZN7rocprim17ROCPRIM_400000_NS6detail17trampoline_kernelINS0_14default_configENS1_25partition_config_selectorILNS1_17partition_subalgoE9EyjbEEZZNS1_14partition_implILS5_9ELb0ES3_jN6thrust23THRUST_200600_302600_NS6detail15normal_iteratorINS9_10device_ptrIyEEEENSB_INSC_IjEEEEPNS0_10empty_typeENS0_5tupleIJSE_SH_EEENSJ_IJSG_SI_EEENS0_18inequality_wrapperINS9_8equal_toIyEEEEPmJSH_EEE10hipError_tPvRmT3_T4_T5_T6_T7_T9_mT8_P12ihipStream_tbDpT10_ENKUlT_T0_E_clISt17integral_constantIbLb1EES19_IbLb0EEEEDaS15_S16_EUlS15_E_NS1_11comp_targetILNS1_3genE0ELNS1_11target_archE4294967295ELNS1_3gpuE0ELNS1_3repE0EEENS1_30default_config_static_selectorELNS0_4arch9wavefront6targetE0EEEvT1_,comdat
.Lfunc_end549:
	.size	_ZN7rocprim17ROCPRIM_400000_NS6detail17trampoline_kernelINS0_14default_configENS1_25partition_config_selectorILNS1_17partition_subalgoE9EyjbEEZZNS1_14partition_implILS5_9ELb0ES3_jN6thrust23THRUST_200600_302600_NS6detail15normal_iteratorINS9_10device_ptrIyEEEENSB_INSC_IjEEEEPNS0_10empty_typeENS0_5tupleIJSE_SH_EEENSJ_IJSG_SI_EEENS0_18inequality_wrapperINS9_8equal_toIyEEEEPmJSH_EEE10hipError_tPvRmT3_T4_T5_T6_T7_T9_mT8_P12ihipStream_tbDpT10_ENKUlT_T0_E_clISt17integral_constantIbLb1EES19_IbLb0EEEEDaS15_S16_EUlS15_E_NS1_11comp_targetILNS1_3genE0ELNS1_11target_archE4294967295ELNS1_3gpuE0ELNS1_3repE0EEENS1_30default_config_static_selectorELNS0_4arch9wavefront6targetE0EEEvT1_, .Lfunc_end549-_ZN7rocprim17ROCPRIM_400000_NS6detail17trampoline_kernelINS0_14default_configENS1_25partition_config_selectorILNS1_17partition_subalgoE9EyjbEEZZNS1_14partition_implILS5_9ELb0ES3_jN6thrust23THRUST_200600_302600_NS6detail15normal_iteratorINS9_10device_ptrIyEEEENSB_INSC_IjEEEEPNS0_10empty_typeENS0_5tupleIJSE_SH_EEENSJ_IJSG_SI_EEENS0_18inequality_wrapperINS9_8equal_toIyEEEEPmJSH_EEE10hipError_tPvRmT3_T4_T5_T6_T7_T9_mT8_P12ihipStream_tbDpT10_ENKUlT_T0_E_clISt17integral_constantIbLb1EES19_IbLb0EEEEDaS15_S16_EUlS15_E_NS1_11comp_targetILNS1_3genE0ELNS1_11target_archE4294967295ELNS1_3gpuE0ELNS1_3repE0EEENS1_30default_config_static_selectorELNS0_4arch9wavefront6targetE0EEEvT1_
                                        ; -- End function
	.section	.AMDGPU.csdata,"",@progbits
; Kernel info:
; codeLenInByte = 0
; NumSgprs: 0
; NumVgprs: 0
; ScratchSize: 0
; MemoryBound: 0
; FloatMode: 240
; IeeeMode: 1
; LDSByteSize: 0 bytes/workgroup (compile time only)
; SGPRBlocks: 0
; VGPRBlocks: 0
; NumSGPRsForWavesPerEU: 1
; NumVGPRsForWavesPerEU: 1
; Occupancy: 16
; WaveLimiterHint : 0
; COMPUTE_PGM_RSRC2:SCRATCH_EN: 0
; COMPUTE_PGM_RSRC2:USER_SGPR: 15
; COMPUTE_PGM_RSRC2:TRAP_HANDLER: 0
; COMPUTE_PGM_RSRC2:TGID_X_EN: 1
; COMPUTE_PGM_RSRC2:TGID_Y_EN: 0
; COMPUTE_PGM_RSRC2:TGID_Z_EN: 0
; COMPUTE_PGM_RSRC2:TIDIG_COMP_CNT: 0
	.section	.text._ZN7rocprim17ROCPRIM_400000_NS6detail17trampoline_kernelINS0_14default_configENS1_25partition_config_selectorILNS1_17partition_subalgoE9EyjbEEZZNS1_14partition_implILS5_9ELb0ES3_jN6thrust23THRUST_200600_302600_NS6detail15normal_iteratorINS9_10device_ptrIyEEEENSB_INSC_IjEEEEPNS0_10empty_typeENS0_5tupleIJSE_SH_EEENSJ_IJSG_SI_EEENS0_18inequality_wrapperINS9_8equal_toIyEEEEPmJSH_EEE10hipError_tPvRmT3_T4_T5_T6_T7_T9_mT8_P12ihipStream_tbDpT10_ENKUlT_T0_E_clISt17integral_constantIbLb1EES19_IbLb0EEEEDaS15_S16_EUlS15_E_NS1_11comp_targetILNS1_3genE5ELNS1_11target_archE942ELNS1_3gpuE9ELNS1_3repE0EEENS1_30default_config_static_selectorELNS0_4arch9wavefront6targetE0EEEvT1_,"axG",@progbits,_ZN7rocprim17ROCPRIM_400000_NS6detail17trampoline_kernelINS0_14default_configENS1_25partition_config_selectorILNS1_17partition_subalgoE9EyjbEEZZNS1_14partition_implILS5_9ELb0ES3_jN6thrust23THRUST_200600_302600_NS6detail15normal_iteratorINS9_10device_ptrIyEEEENSB_INSC_IjEEEEPNS0_10empty_typeENS0_5tupleIJSE_SH_EEENSJ_IJSG_SI_EEENS0_18inequality_wrapperINS9_8equal_toIyEEEEPmJSH_EEE10hipError_tPvRmT3_T4_T5_T6_T7_T9_mT8_P12ihipStream_tbDpT10_ENKUlT_T0_E_clISt17integral_constantIbLb1EES19_IbLb0EEEEDaS15_S16_EUlS15_E_NS1_11comp_targetILNS1_3genE5ELNS1_11target_archE942ELNS1_3gpuE9ELNS1_3repE0EEENS1_30default_config_static_selectorELNS0_4arch9wavefront6targetE0EEEvT1_,comdat
	.protected	_ZN7rocprim17ROCPRIM_400000_NS6detail17trampoline_kernelINS0_14default_configENS1_25partition_config_selectorILNS1_17partition_subalgoE9EyjbEEZZNS1_14partition_implILS5_9ELb0ES3_jN6thrust23THRUST_200600_302600_NS6detail15normal_iteratorINS9_10device_ptrIyEEEENSB_INSC_IjEEEEPNS0_10empty_typeENS0_5tupleIJSE_SH_EEENSJ_IJSG_SI_EEENS0_18inequality_wrapperINS9_8equal_toIyEEEEPmJSH_EEE10hipError_tPvRmT3_T4_T5_T6_T7_T9_mT8_P12ihipStream_tbDpT10_ENKUlT_T0_E_clISt17integral_constantIbLb1EES19_IbLb0EEEEDaS15_S16_EUlS15_E_NS1_11comp_targetILNS1_3genE5ELNS1_11target_archE942ELNS1_3gpuE9ELNS1_3repE0EEENS1_30default_config_static_selectorELNS0_4arch9wavefront6targetE0EEEvT1_ ; -- Begin function _ZN7rocprim17ROCPRIM_400000_NS6detail17trampoline_kernelINS0_14default_configENS1_25partition_config_selectorILNS1_17partition_subalgoE9EyjbEEZZNS1_14partition_implILS5_9ELb0ES3_jN6thrust23THRUST_200600_302600_NS6detail15normal_iteratorINS9_10device_ptrIyEEEENSB_INSC_IjEEEEPNS0_10empty_typeENS0_5tupleIJSE_SH_EEENSJ_IJSG_SI_EEENS0_18inequality_wrapperINS9_8equal_toIyEEEEPmJSH_EEE10hipError_tPvRmT3_T4_T5_T6_T7_T9_mT8_P12ihipStream_tbDpT10_ENKUlT_T0_E_clISt17integral_constantIbLb1EES19_IbLb0EEEEDaS15_S16_EUlS15_E_NS1_11comp_targetILNS1_3genE5ELNS1_11target_archE942ELNS1_3gpuE9ELNS1_3repE0EEENS1_30default_config_static_selectorELNS0_4arch9wavefront6targetE0EEEvT1_
	.globl	_ZN7rocprim17ROCPRIM_400000_NS6detail17trampoline_kernelINS0_14default_configENS1_25partition_config_selectorILNS1_17partition_subalgoE9EyjbEEZZNS1_14partition_implILS5_9ELb0ES3_jN6thrust23THRUST_200600_302600_NS6detail15normal_iteratorINS9_10device_ptrIyEEEENSB_INSC_IjEEEEPNS0_10empty_typeENS0_5tupleIJSE_SH_EEENSJ_IJSG_SI_EEENS0_18inequality_wrapperINS9_8equal_toIyEEEEPmJSH_EEE10hipError_tPvRmT3_T4_T5_T6_T7_T9_mT8_P12ihipStream_tbDpT10_ENKUlT_T0_E_clISt17integral_constantIbLb1EES19_IbLb0EEEEDaS15_S16_EUlS15_E_NS1_11comp_targetILNS1_3genE5ELNS1_11target_archE942ELNS1_3gpuE9ELNS1_3repE0EEENS1_30default_config_static_selectorELNS0_4arch9wavefront6targetE0EEEvT1_
	.p2align	8
	.type	_ZN7rocprim17ROCPRIM_400000_NS6detail17trampoline_kernelINS0_14default_configENS1_25partition_config_selectorILNS1_17partition_subalgoE9EyjbEEZZNS1_14partition_implILS5_9ELb0ES3_jN6thrust23THRUST_200600_302600_NS6detail15normal_iteratorINS9_10device_ptrIyEEEENSB_INSC_IjEEEEPNS0_10empty_typeENS0_5tupleIJSE_SH_EEENSJ_IJSG_SI_EEENS0_18inequality_wrapperINS9_8equal_toIyEEEEPmJSH_EEE10hipError_tPvRmT3_T4_T5_T6_T7_T9_mT8_P12ihipStream_tbDpT10_ENKUlT_T0_E_clISt17integral_constantIbLb1EES19_IbLb0EEEEDaS15_S16_EUlS15_E_NS1_11comp_targetILNS1_3genE5ELNS1_11target_archE942ELNS1_3gpuE9ELNS1_3repE0EEENS1_30default_config_static_selectorELNS0_4arch9wavefront6targetE0EEEvT1_,@function
_ZN7rocprim17ROCPRIM_400000_NS6detail17trampoline_kernelINS0_14default_configENS1_25partition_config_selectorILNS1_17partition_subalgoE9EyjbEEZZNS1_14partition_implILS5_9ELb0ES3_jN6thrust23THRUST_200600_302600_NS6detail15normal_iteratorINS9_10device_ptrIyEEEENSB_INSC_IjEEEEPNS0_10empty_typeENS0_5tupleIJSE_SH_EEENSJ_IJSG_SI_EEENS0_18inequality_wrapperINS9_8equal_toIyEEEEPmJSH_EEE10hipError_tPvRmT3_T4_T5_T6_T7_T9_mT8_P12ihipStream_tbDpT10_ENKUlT_T0_E_clISt17integral_constantIbLb1EES19_IbLb0EEEEDaS15_S16_EUlS15_E_NS1_11comp_targetILNS1_3genE5ELNS1_11target_archE942ELNS1_3gpuE9ELNS1_3repE0EEENS1_30default_config_static_selectorELNS0_4arch9wavefront6targetE0EEEvT1_: ; @_ZN7rocprim17ROCPRIM_400000_NS6detail17trampoline_kernelINS0_14default_configENS1_25partition_config_selectorILNS1_17partition_subalgoE9EyjbEEZZNS1_14partition_implILS5_9ELb0ES3_jN6thrust23THRUST_200600_302600_NS6detail15normal_iteratorINS9_10device_ptrIyEEEENSB_INSC_IjEEEEPNS0_10empty_typeENS0_5tupleIJSE_SH_EEENSJ_IJSG_SI_EEENS0_18inequality_wrapperINS9_8equal_toIyEEEEPmJSH_EEE10hipError_tPvRmT3_T4_T5_T6_T7_T9_mT8_P12ihipStream_tbDpT10_ENKUlT_T0_E_clISt17integral_constantIbLb1EES19_IbLb0EEEEDaS15_S16_EUlS15_E_NS1_11comp_targetILNS1_3genE5ELNS1_11target_archE942ELNS1_3gpuE9ELNS1_3repE0EEENS1_30default_config_static_selectorELNS0_4arch9wavefront6targetE0EEEvT1_
; %bb.0:
	.section	.rodata,"a",@progbits
	.p2align	6, 0x0
	.amdhsa_kernel _ZN7rocprim17ROCPRIM_400000_NS6detail17trampoline_kernelINS0_14default_configENS1_25partition_config_selectorILNS1_17partition_subalgoE9EyjbEEZZNS1_14partition_implILS5_9ELb0ES3_jN6thrust23THRUST_200600_302600_NS6detail15normal_iteratorINS9_10device_ptrIyEEEENSB_INSC_IjEEEEPNS0_10empty_typeENS0_5tupleIJSE_SH_EEENSJ_IJSG_SI_EEENS0_18inequality_wrapperINS9_8equal_toIyEEEEPmJSH_EEE10hipError_tPvRmT3_T4_T5_T6_T7_T9_mT8_P12ihipStream_tbDpT10_ENKUlT_T0_E_clISt17integral_constantIbLb1EES19_IbLb0EEEEDaS15_S16_EUlS15_E_NS1_11comp_targetILNS1_3genE5ELNS1_11target_archE942ELNS1_3gpuE9ELNS1_3repE0EEENS1_30default_config_static_selectorELNS0_4arch9wavefront6targetE0EEEvT1_
		.amdhsa_group_segment_fixed_size 0
		.amdhsa_private_segment_fixed_size 0
		.amdhsa_kernarg_size 112
		.amdhsa_user_sgpr_count 15
		.amdhsa_user_sgpr_dispatch_ptr 0
		.amdhsa_user_sgpr_queue_ptr 0
		.amdhsa_user_sgpr_kernarg_segment_ptr 1
		.amdhsa_user_sgpr_dispatch_id 0
		.amdhsa_user_sgpr_private_segment_size 0
		.amdhsa_wavefront_size32 1
		.amdhsa_uses_dynamic_stack 0
		.amdhsa_enable_private_segment 0
		.amdhsa_system_sgpr_workgroup_id_x 1
		.amdhsa_system_sgpr_workgroup_id_y 0
		.amdhsa_system_sgpr_workgroup_id_z 0
		.amdhsa_system_sgpr_workgroup_info 0
		.amdhsa_system_vgpr_workitem_id 0
		.amdhsa_next_free_vgpr 1
		.amdhsa_next_free_sgpr 1
		.amdhsa_reserve_vcc 0
		.amdhsa_float_round_mode_32 0
		.amdhsa_float_round_mode_16_64 0
		.amdhsa_float_denorm_mode_32 3
		.amdhsa_float_denorm_mode_16_64 3
		.amdhsa_dx10_clamp 1
		.amdhsa_ieee_mode 1
		.amdhsa_fp16_overflow 0
		.amdhsa_workgroup_processor_mode 1
		.amdhsa_memory_ordered 1
		.amdhsa_forward_progress 0
		.amdhsa_shared_vgpr_count 0
		.amdhsa_exception_fp_ieee_invalid_op 0
		.amdhsa_exception_fp_denorm_src 0
		.amdhsa_exception_fp_ieee_div_zero 0
		.amdhsa_exception_fp_ieee_overflow 0
		.amdhsa_exception_fp_ieee_underflow 0
		.amdhsa_exception_fp_ieee_inexact 0
		.amdhsa_exception_int_div_zero 0
	.end_amdhsa_kernel
	.section	.text._ZN7rocprim17ROCPRIM_400000_NS6detail17trampoline_kernelINS0_14default_configENS1_25partition_config_selectorILNS1_17partition_subalgoE9EyjbEEZZNS1_14partition_implILS5_9ELb0ES3_jN6thrust23THRUST_200600_302600_NS6detail15normal_iteratorINS9_10device_ptrIyEEEENSB_INSC_IjEEEEPNS0_10empty_typeENS0_5tupleIJSE_SH_EEENSJ_IJSG_SI_EEENS0_18inequality_wrapperINS9_8equal_toIyEEEEPmJSH_EEE10hipError_tPvRmT3_T4_T5_T6_T7_T9_mT8_P12ihipStream_tbDpT10_ENKUlT_T0_E_clISt17integral_constantIbLb1EES19_IbLb0EEEEDaS15_S16_EUlS15_E_NS1_11comp_targetILNS1_3genE5ELNS1_11target_archE942ELNS1_3gpuE9ELNS1_3repE0EEENS1_30default_config_static_selectorELNS0_4arch9wavefront6targetE0EEEvT1_,"axG",@progbits,_ZN7rocprim17ROCPRIM_400000_NS6detail17trampoline_kernelINS0_14default_configENS1_25partition_config_selectorILNS1_17partition_subalgoE9EyjbEEZZNS1_14partition_implILS5_9ELb0ES3_jN6thrust23THRUST_200600_302600_NS6detail15normal_iteratorINS9_10device_ptrIyEEEENSB_INSC_IjEEEEPNS0_10empty_typeENS0_5tupleIJSE_SH_EEENSJ_IJSG_SI_EEENS0_18inequality_wrapperINS9_8equal_toIyEEEEPmJSH_EEE10hipError_tPvRmT3_T4_T5_T6_T7_T9_mT8_P12ihipStream_tbDpT10_ENKUlT_T0_E_clISt17integral_constantIbLb1EES19_IbLb0EEEEDaS15_S16_EUlS15_E_NS1_11comp_targetILNS1_3genE5ELNS1_11target_archE942ELNS1_3gpuE9ELNS1_3repE0EEENS1_30default_config_static_selectorELNS0_4arch9wavefront6targetE0EEEvT1_,comdat
.Lfunc_end550:
	.size	_ZN7rocprim17ROCPRIM_400000_NS6detail17trampoline_kernelINS0_14default_configENS1_25partition_config_selectorILNS1_17partition_subalgoE9EyjbEEZZNS1_14partition_implILS5_9ELb0ES3_jN6thrust23THRUST_200600_302600_NS6detail15normal_iteratorINS9_10device_ptrIyEEEENSB_INSC_IjEEEEPNS0_10empty_typeENS0_5tupleIJSE_SH_EEENSJ_IJSG_SI_EEENS0_18inequality_wrapperINS9_8equal_toIyEEEEPmJSH_EEE10hipError_tPvRmT3_T4_T5_T6_T7_T9_mT8_P12ihipStream_tbDpT10_ENKUlT_T0_E_clISt17integral_constantIbLb1EES19_IbLb0EEEEDaS15_S16_EUlS15_E_NS1_11comp_targetILNS1_3genE5ELNS1_11target_archE942ELNS1_3gpuE9ELNS1_3repE0EEENS1_30default_config_static_selectorELNS0_4arch9wavefront6targetE0EEEvT1_, .Lfunc_end550-_ZN7rocprim17ROCPRIM_400000_NS6detail17trampoline_kernelINS0_14default_configENS1_25partition_config_selectorILNS1_17partition_subalgoE9EyjbEEZZNS1_14partition_implILS5_9ELb0ES3_jN6thrust23THRUST_200600_302600_NS6detail15normal_iteratorINS9_10device_ptrIyEEEENSB_INSC_IjEEEEPNS0_10empty_typeENS0_5tupleIJSE_SH_EEENSJ_IJSG_SI_EEENS0_18inequality_wrapperINS9_8equal_toIyEEEEPmJSH_EEE10hipError_tPvRmT3_T4_T5_T6_T7_T9_mT8_P12ihipStream_tbDpT10_ENKUlT_T0_E_clISt17integral_constantIbLb1EES19_IbLb0EEEEDaS15_S16_EUlS15_E_NS1_11comp_targetILNS1_3genE5ELNS1_11target_archE942ELNS1_3gpuE9ELNS1_3repE0EEENS1_30default_config_static_selectorELNS0_4arch9wavefront6targetE0EEEvT1_
                                        ; -- End function
	.section	.AMDGPU.csdata,"",@progbits
; Kernel info:
; codeLenInByte = 0
; NumSgprs: 0
; NumVgprs: 0
; ScratchSize: 0
; MemoryBound: 0
; FloatMode: 240
; IeeeMode: 1
; LDSByteSize: 0 bytes/workgroup (compile time only)
; SGPRBlocks: 0
; VGPRBlocks: 0
; NumSGPRsForWavesPerEU: 1
; NumVGPRsForWavesPerEU: 1
; Occupancy: 16
; WaveLimiterHint : 0
; COMPUTE_PGM_RSRC2:SCRATCH_EN: 0
; COMPUTE_PGM_RSRC2:USER_SGPR: 15
; COMPUTE_PGM_RSRC2:TRAP_HANDLER: 0
; COMPUTE_PGM_RSRC2:TGID_X_EN: 1
; COMPUTE_PGM_RSRC2:TGID_Y_EN: 0
; COMPUTE_PGM_RSRC2:TGID_Z_EN: 0
; COMPUTE_PGM_RSRC2:TIDIG_COMP_CNT: 0
	.section	.text._ZN7rocprim17ROCPRIM_400000_NS6detail17trampoline_kernelINS0_14default_configENS1_25partition_config_selectorILNS1_17partition_subalgoE9EyjbEEZZNS1_14partition_implILS5_9ELb0ES3_jN6thrust23THRUST_200600_302600_NS6detail15normal_iteratorINS9_10device_ptrIyEEEENSB_INSC_IjEEEEPNS0_10empty_typeENS0_5tupleIJSE_SH_EEENSJ_IJSG_SI_EEENS0_18inequality_wrapperINS9_8equal_toIyEEEEPmJSH_EEE10hipError_tPvRmT3_T4_T5_T6_T7_T9_mT8_P12ihipStream_tbDpT10_ENKUlT_T0_E_clISt17integral_constantIbLb1EES19_IbLb0EEEEDaS15_S16_EUlS15_E_NS1_11comp_targetILNS1_3genE4ELNS1_11target_archE910ELNS1_3gpuE8ELNS1_3repE0EEENS1_30default_config_static_selectorELNS0_4arch9wavefront6targetE0EEEvT1_,"axG",@progbits,_ZN7rocprim17ROCPRIM_400000_NS6detail17trampoline_kernelINS0_14default_configENS1_25partition_config_selectorILNS1_17partition_subalgoE9EyjbEEZZNS1_14partition_implILS5_9ELb0ES3_jN6thrust23THRUST_200600_302600_NS6detail15normal_iteratorINS9_10device_ptrIyEEEENSB_INSC_IjEEEEPNS0_10empty_typeENS0_5tupleIJSE_SH_EEENSJ_IJSG_SI_EEENS0_18inequality_wrapperINS9_8equal_toIyEEEEPmJSH_EEE10hipError_tPvRmT3_T4_T5_T6_T7_T9_mT8_P12ihipStream_tbDpT10_ENKUlT_T0_E_clISt17integral_constantIbLb1EES19_IbLb0EEEEDaS15_S16_EUlS15_E_NS1_11comp_targetILNS1_3genE4ELNS1_11target_archE910ELNS1_3gpuE8ELNS1_3repE0EEENS1_30default_config_static_selectorELNS0_4arch9wavefront6targetE0EEEvT1_,comdat
	.protected	_ZN7rocprim17ROCPRIM_400000_NS6detail17trampoline_kernelINS0_14default_configENS1_25partition_config_selectorILNS1_17partition_subalgoE9EyjbEEZZNS1_14partition_implILS5_9ELb0ES3_jN6thrust23THRUST_200600_302600_NS6detail15normal_iteratorINS9_10device_ptrIyEEEENSB_INSC_IjEEEEPNS0_10empty_typeENS0_5tupleIJSE_SH_EEENSJ_IJSG_SI_EEENS0_18inequality_wrapperINS9_8equal_toIyEEEEPmJSH_EEE10hipError_tPvRmT3_T4_T5_T6_T7_T9_mT8_P12ihipStream_tbDpT10_ENKUlT_T0_E_clISt17integral_constantIbLb1EES19_IbLb0EEEEDaS15_S16_EUlS15_E_NS1_11comp_targetILNS1_3genE4ELNS1_11target_archE910ELNS1_3gpuE8ELNS1_3repE0EEENS1_30default_config_static_selectorELNS0_4arch9wavefront6targetE0EEEvT1_ ; -- Begin function _ZN7rocprim17ROCPRIM_400000_NS6detail17trampoline_kernelINS0_14default_configENS1_25partition_config_selectorILNS1_17partition_subalgoE9EyjbEEZZNS1_14partition_implILS5_9ELb0ES3_jN6thrust23THRUST_200600_302600_NS6detail15normal_iteratorINS9_10device_ptrIyEEEENSB_INSC_IjEEEEPNS0_10empty_typeENS0_5tupleIJSE_SH_EEENSJ_IJSG_SI_EEENS0_18inequality_wrapperINS9_8equal_toIyEEEEPmJSH_EEE10hipError_tPvRmT3_T4_T5_T6_T7_T9_mT8_P12ihipStream_tbDpT10_ENKUlT_T0_E_clISt17integral_constantIbLb1EES19_IbLb0EEEEDaS15_S16_EUlS15_E_NS1_11comp_targetILNS1_3genE4ELNS1_11target_archE910ELNS1_3gpuE8ELNS1_3repE0EEENS1_30default_config_static_selectorELNS0_4arch9wavefront6targetE0EEEvT1_
	.globl	_ZN7rocprim17ROCPRIM_400000_NS6detail17trampoline_kernelINS0_14default_configENS1_25partition_config_selectorILNS1_17partition_subalgoE9EyjbEEZZNS1_14partition_implILS5_9ELb0ES3_jN6thrust23THRUST_200600_302600_NS6detail15normal_iteratorINS9_10device_ptrIyEEEENSB_INSC_IjEEEEPNS0_10empty_typeENS0_5tupleIJSE_SH_EEENSJ_IJSG_SI_EEENS0_18inequality_wrapperINS9_8equal_toIyEEEEPmJSH_EEE10hipError_tPvRmT3_T4_T5_T6_T7_T9_mT8_P12ihipStream_tbDpT10_ENKUlT_T0_E_clISt17integral_constantIbLb1EES19_IbLb0EEEEDaS15_S16_EUlS15_E_NS1_11comp_targetILNS1_3genE4ELNS1_11target_archE910ELNS1_3gpuE8ELNS1_3repE0EEENS1_30default_config_static_selectorELNS0_4arch9wavefront6targetE0EEEvT1_
	.p2align	8
	.type	_ZN7rocprim17ROCPRIM_400000_NS6detail17trampoline_kernelINS0_14default_configENS1_25partition_config_selectorILNS1_17partition_subalgoE9EyjbEEZZNS1_14partition_implILS5_9ELb0ES3_jN6thrust23THRUST_200600_302600_NS6detail15normal_iteratorINS9_10device_ptrIyEEEENSB_INSC_IjEEEEPNS0_10empty_typeENS0_5tupleIJSE_SH_EEENSJ_IJSG_SI_EEENS0_18inequality_wrapperINS9_8equal_toIyEEEEPmJSH_EEE10hipError_tPvRmT3_T4_T5_T6_T7_T9_mT8_P12ihipStream_tbDpT10_ENKUlT_T0_E_clISt17integral_constantIbLb1EES19_IbLb0EEEEDaS15_S16_EUlS15_E_NS1_11comp_targetILNS1_3genE4ELNS1_11target_archE910ELNS1_3gpuE8ELNS1_3repE0EEENS1_30default_config_static_selectorELNS0_4arch9wavefront6targetE0EEEvT1_,@function
_ZN7rocprim17ROCPRIM_400000_NS6detail17trampoline_kernelINS0_14default_configENS1_25partition_config_selectorILNS1_17partition_subalgoE9EyjbEEZZNS1_14partition_implILS5_9ELb0ES3_jN6thrust23THRUST_200600_302600_NS6detail15normal_iteratorINS9_10device_ptrIyEEEENSB_INSC_IjEEEEPNS0_10empty_typeENS0_5tupleIJSE_SH_EEENSJ_IJSG_SI_EEENS0_18inequality_wrapperINS9_8equal_toIyEEEEPmJSH_EEE10hipError_tPvRmT3_T4_T5_T6_T7_T9_mT8_P12ihipStream_tbDpT10_ENKUlT_T0_E_clISt17integral_constantIbLb1EES19_IbLb0EEEEDaS15_S16_EUlS15_E_NS1_11comp_targetILNS1_3genE4ELNS1_11target_archE910ELNS1_3gpuE8ELNS1_3repE0EEENS1_30default_config_static_selectorELNS0_4arch9wavefront6targetE0EEEvT1_: ; @_ZN7rocprim17ROCPRIM_400000_NS6detail17trampoline_kernelINS0_14default_configENS1_25partition_config_selectorILNS1_17partition_subalgoE9EyjbEEZZNS1_14partition_implILS5_9ELb0ES3_jN6thrust23THRUST_200600_302600_NS6detail15normal_iteratorINS9_10device_ptrIyEEEENSB_INSC_IjEEEEPNS0_10empty_typeENS0_5tupleIJSE_SH_EEENSJ_IJSG_SI_EEENS0_18inequality_wrapperINS9_8equal_toIyEEEEPmJSH_EEE10hipError_tPvRmT3_T4_T5_T6_T7_T9_mT8_P12ihipStream_tbDpT10_ENKUlT_T0_E_clISt17integral_constantIbLb1EES19_IbLb0EEEEDaS15_S16_EUlS15_E_NS1_11comp_targetILNS1_3genE4ELNS1_11target_archE910ELNS1_3gpuE8ELNS1_3repE0EEENS1_30default_config_static_selectorELNS0_4arch9wavefront6targetE0EEEvT1_
; %bb.0:
	.section	.rodata,"a",@progbits
	.p2align	6, 0x0
	.amdhsa_kernel _ZN7rocprim17ROCPRIM_400000_NS6detail17trampoline_kernelINS0_14default_configENS1_25partition_config_selectorILNS1_17partition_subalgoE9EyjbEEZZNS1_14partition_implILS5_9ELb0ES3_jN6thrust23THRUST_200600_302600_NS6detail15normal_iteratorINS9_10device_ptrIyEEEENSB_INSC_IjEEEEPNS0_10empty_typeENS0_5tupleIJSE_SH_EEENSJ_IJSG_SI_EEENS0_18inequality_wrapperINS9_8equal_toIyEEEEPmJSH_EEE10hipError_tPvRmT3_T4_T5_T6_T7_T9_mT8_P12ihipStream_tbDpT10_ENKUlT_T0_E_clISt17integral_constantIbLb1EES19_IbLb0EEEEDaS15_S16_EUlS15_E_NS1_11comp_targetILNS1_3genE4ELNS1_11target_archE910ELNS1_3gpuE8ELNS1_3repE0EEENS1_30default_config_static_selectorELNS0_4arch9wavefront6targetE0EEEvT1_
		.amdhsa_group_segment_fixed_size 0
		.amdhsa_private_segment_fixed_size 0
		.amdhsa_kernarg_size 112
		.amdhsa_user_sgpr_count 15
		.amdhsa_user_sgpr_dispatch_ptr 0
		.amdhsa_user_sgpr_queue_ptr 0
		.amdhsa_user_sgpr_kernarg_segment_ptr 1
		.amdhsa_user_sgpr_dispatch_id 0
		.amdhsa_user_sgpr_private_segment_size 0
		.amdhsa_wavefront_size32 1
		.amdhsa_uses_dynamic_stack 0
		.amdhsa_enable_private_segment 0
		.amdhsa_system_sgpr_workgroup_id_x 1
		.amdhsa_system_sgpr_workgroup_id_y 0
		.amdhsa_system_sgpr_workgroup_id_z 0
		.amdhsa_system_sgpr_workgroup_info 0
		.amdhsa_system_vgpr_workitem_id 0
		.amdhsa_next_free_vgpr 1
		.amdhsa_next_free_sgpr 1
		.amdhsa_reserve_vcc 0
		.amdhsa_float_round_mode_32 0
		.amdhsa_float_round_mode_16_64 0
		.amdhsa_float_denorm_mode_32 3
		.amdhsa_float_denorm_mode_16_64 3
		.amdhsa_dx10_clamp 1
		.amdhsa_ieee_mode 1
		.amdhsa_fp16_overflow 0
		.amdhsa_workgroup_processor_mode 1
		.amdhsa_memory_ordered 1
		.amdhsa_forward_progress 0
		.amdhsa_shared_vgpr_count 0
		.amdhsa_exception_fp_ieee_invalid_op 0
		.amdhsa_exception_fp_denorm_src 0
		.amdhsa_exception_fp_ieee_div_zero 0
		.amdhsa_exception_fp_ieee_overflow 0
		.amdhsa_exception_fp_ieee_underflow 0
		.amdhsa_exception_fp_ieee_inexact 0
		.amdhsa_exception_int_div_zero 0
	.end_amdhsa_kernel
	.section	.text._ZN7rocprim17ROCPRIM_400000_NS6detail17trampoline_kernelINS0_14default_configENS1_25partition_config_selectorILNS1_17partition_subalgoE9EyjbEEZZNS1_14partition_implILS5_9ELb0ES3_jN6thrust23THRUST_200600_302600_NS6detail15normal_iteratorINS9_10device_ptrIyEEEENSB_INSC_IjEEEEPNS0_10empty_typeENS0_5tupleIJSE_SH_EEENSJ_IJSG_SI_EEENS0_18inequality_wrapperINS9_8equal_toIyEEEEPmJSH_EEE10hipError_tPvRmT3_T4_T5_T6_T7_T9_mT8_P12ihipStream_tbDpT10_ENKUlT_T0_E_clISt17integral_constantIbLb1EES19_IbLb0EEEEDaS15_S16_EUlS15_E_NS1_11comp_targetILNS1_3genE4ELNS1_11target_archE910ELNS1_3gpuE8ELNS1_3repE0EEENS1_30default_config_static_selectorELNS0_4arch9wavefront6targetE0EEEvT1_,"axG",@progbits,_ZN7rocprim17ROCPRIM_400000_NS6detail17trampoline_kernelINS0_14default_configENS1_25partition_config_selectorILNS1_17partition_subalgoE9EyjbEEZZNS1_14partition_implILS5_9ELb0ES3_jN6thrust23THRUST_200600_302600_NS6detail15normal_iteratorINS9_10device_ptrIyEEEENSB_INSC_IjEEEEPNS0_10empty_typeENS0_5tupleIJSE_SH_EEENSJ_IJSG_SI_EEENS0_18inequality_wrapperINS9_8equal_toIyEEEEPmJSH_EEE10hipError_tPvRmT3_T4_T5_T6_T7_T9_mT8_P12ihipStream_tbDpT10_ENKUlT_T0_E_clISt17integral_constantIbLb1EES19_IbLb0EEEEDaS15_S16_EUlS15_E_NS1_11comp_targetILNS1_3genE4ELNS1_11target_archE910ELNS1_3gpuE8ELNS1_3repE0EEENS1_30default_config_static_selectorELNS0_4arch9wavefront6targetE0EEEvT1_,comdat
.Lfunc_end551:
	.size	_ZN7rocprim17ROCPRIM_400000_NS6detail17trampoline_kernelINS0_14default_configENS1_25partition_config_selectorILNS1_17partition_subalgoE9EyjbEEZZNS1_14partition_implILS5_9ELb0ES3_jN6thrust23THRUST_200600_302600_NS6detail15normal_iteratorINS9_10device_ptrIyEEEENSB_INSC_IjEEEEPNS0_10empty_typeENS0_5tupleIJSE_SH_EEENSJ_IJSG_SI_EEENS0_18inequality_wrapperINS9_8equal_toIyEEEEPmJSH_EEE10hipError_tPvRmT3_T4_T5_T6_T7_T9_mT8_P12ihipStream_tbDpT10_ENKUlT_T0_E_clISt17integral_constantIbLb1EES19_IbLb0EEEEDaS15_S16_EUlS15_E_NS1_11comp_targetILNS1_3genE4ELNS1_11target_archE910ELNS1_3gpuE8ELNS1_3repE0EEENS1_30default_config_static_selectorELNS0_4arch9wavefront6targetE0EEEvT1_, .Lfunc_end551-_ZN7rocprim17ROCPRIM_400000_NS6detail17trampoline_kernelINS0_14default_configENS1_25partition_config_selectorILNS1_17partition_subalgoE9EyjbEEZZNS1_14partition_implILS5_9ELb0ES3_jN6thrust23THRUST_200600_302600_NS6detail15normal_iteratorINS9_10device_ptrIyEEEENSB_INSC_IjEEEEPNS0_10empty_typeENS0_5tupleIJSE_SH_EEENSJ_IJSG_SI_EEENS0_18inequality_wrapperINS9_8equal_toIyEEEEPmJSH_EEE10hipError_tPvRmT3_T4_T5_T6_T7_T9_mT8_P12ihipStream_tbDpT10_ENKUlT_T0_E_clISt17integral_constantIbLb1EES19_IbLb0EEEEDaS15_S16_EUlS15_E_NS1_11comp_targetILNS1_3genE4ELNS1_11target_archE910ELNS1_3gpuE8ELNS1_3repE0EEENS1_30default_config_static_selectorELNS0_4arch9wavefront6targetE0EEEvT1_
                                        ; -- End function
	.section	.AMDGPU.csdata,"",@progbits
; Kernel info:
; codeLenInByte = 0
; NumSgprs: 0
; NumVgprs: 0
; ScratchSize: 0
; MemoryBound: 0
; FloatMode: 240
; IeeeMode: 1
; LDSByteSize: 0 bytes/workgroup (compile time only)
; SGPRBlocks: 0
; VGPRBlocks: 0
; NumSGPRsForWavesPerEU: 1
; NumVGPRsForWavesPerEU: 1
; Occupancy: 15
; WaveLimiterHint : 0
; COMPUTE_PGM_RSRC2:SCRATCH_EN: 0
; COMPUTE_PGM_RSRC2:USER_SGPR: 15
; COMPUTE_PGM_RSRC2:TRAP_HANDLER: 0
; COMPUTE_PGM_RSRC2:TGID_X_EN: 1
; COMPUTE_PGM_RSRC2:TGID_Y_EN: 0
; COMPUTE_PGM_RSRC2:TGID_Z_EN: 0
; COMPUTE_PGM_RSRC2:TIDIG_COMP_CNT: 0
	.section	.text._ZN7rocprim17ROCPRIM_400000_NS6detail17trampoline_kernelINS0_14default_configENS1_25partition_config_selectorILNS1_17partition_subalgoE9EyjbEEZZNS1_14partition_implILS5_9ELb0ES3_jN6thrust23THRUST_200600_302600_NS6detail15normal_iteratorINS9_10device_ptrIyEEEENSB_INSC_IjEEEEPNS0_10empty_typeENS0_5tupleIJSE_SH_EEENSJ_IJSG_SI_EEENS0_18inequality_wrapperINS9_8equal_toIyEEEEPmJSH_EEE10hipError_tPvRmT3_T4_T5_T6_T7_T9_mT8_P12ihipStream_tbDpT10_ENKUlT_T0_E_clISt17integral_constantIbLb1EES19_IbLb0EEEEDaS15_S16_EUlS15_E_NS1_11comp_targetILNS1_3genE3ELNS1_11target_archE908ELNS1_3gpuE7ELNS1_3repE0EEENS1_30default_config_static_selectorELNS0_4arch9wavefront6targetE0EEEvT1_,"axG",@progbits,_ZN7rocprim17ROCPRIM_400000_NS6detail17trampoline_kernelINS0_14default_configENS1_25partition_config_selectorILNS1_17partition_subalgoE9EyjbEEZZNS1_14partition_implILS5_9ELb0ES3_jN6thrust23THRUST_200600_302600_NS6detail15normal_iteratorINS9_10device_ptrIyEEEENSB_INSC_IjEEEEPNS0_10empty_typeENS0_5tupleIJSE_SH_EEENSJ_IJSG_SI_EEENS0_18inequality_wrapperINS9_8equal_toIyEEEEPmJSH_EEE10hipError_tPvRmT3_T4_T5_T6_T7_T9_mT8_P12ihipStream_tbDpT10_ENKUlT_T0_E_clISt17integral_constantIbLb1EES19_IbLb0EEEEDaS15_S16_EUlS15_E_NS1_11comp_targetILNS1_3genE3ELNS1_11target_archE908ELNS1_3gpuE7ELNS1_3repE0EEENS1_30default_config_static_selectorELNS0_4arch9wavefront6targetE0EEEvT1_,comdat
	.protected	_ZN7rocprim17ROCPRIM_400000_NS6detail17trampoline_kernelINS0_14default_configENS1_25partition_config_selectorILNS1_17partition_subalgoE9EyjbEEZZNS1_14partition_implILS5_9ELb0ES3_jN6thrust23THRUST_200600_302600_NS6detail15normal_iteratorINS9_10device_ptrIyEEEENSB_INSC_IjEEEEPNS0_10empty_typeENS0_5tupleIJSE_SH_EEENSJ_IJSG_SI_EEENS0_18inequality_wrapperINS9_8equal_toIyEEEEPmJSH_EEE10hipError_tPvRmT3_T4_T5_T6_T7_T9_mT8_P12ihipStream_tbDpT10_ENKUlT_T0_E_clISt17integral_constantIbLb1EES19_IbLb0EEEEDaS15_S16_EUlS15_E_NS1_11comp_targetILNS1_3genE3ELNS1_11target_archE908ELNS1_3gpuE7ELNS1_3repE0EEENS1_30default_config_static_selectorELNS0_4arch9wavefront6targetE0EEEvT1_ ; -- Begin function _ZN7rocprim17ROCPRIM_400000_NS6detail17trampoline_kernelINS0_14default_configENS1_25partition_config_selectorILNS1_17partition_subalgoE9EyjbEEZZNS1_14partition_implILS5_9ELb0ES3_jN6thrust23THRUST_200600_302600_NS6detail15normal_iteratorINS9_10device_ptrIyEEEENSB_INSC_IjEEEEPNS0_10empty_typeENS0_5tupleIJSE_SH_EEENSJ_IJSG_SI_EEENS0_18inequality_wrapperINS9_8equal_toIyEEEEPmJSH_EEE10hipError_tPvRmT3_T4_T5_T6_T7_T9_mT8_P12ihipStream_tbDpT10_ENKUlT_T0_E_clISt17integral_constantIbLb1EES19_IbLb0EEEEDaS15_S16_EUlS15_E_NS1_11comp_targetILNS1_3genE3ELNS1_11target_archE908ELNS1_3gpuE7ELNS1_3repE0EEENS1_30default_config_static_selectorELNS0_4arch9wavefront6targetE0EEEvT1_
	.globl	_ZN7rocprim17ROCPRIM_400000_NS6detail17trampoline_kernelINS0_14default_configENS1_25partition_config_selectorILNS1_17partition_subalgoE9EyjbEEZZNS1_14partition_implILS5_9ELb0ES3_jN6thrust23THRUST_200600_302600_NS6detail15normal_iteratorINS9_10device_ptrIyEEEENSB_INSC_IjEEEEPNS0_10empty_typeENS0_5tupleIJSE_SH_EEENSJ_IJSG_SI_EEENS0_18inequality_wrapperINS9_8equal_toIyEEEEPmJSH_EEE10hipError_tPvRmT3_T4_T5_T6_T7_T9_mT8_P12ihipStream_tbDpT10_ENKUlT_T0_E_clISt17integral_constantIbLb1EES19_IbLb0EEEEDaS15_S16_EUlS15_E_NS1_11comp_targetILNS1_3genE3ELNS1_11target_archE908ELNS1_3gpuE7ELNS1_3repE0EEENS1_30default_config_static_selectorELNS0_4arch9wavefront6targetE0EEEvT1_
	.p2align	8
	.type	_ZN7rocprim17ROCPRIM_400000_NS6detail17trampoline_kernelINS0_14default_configENS1_25partition_config_selectorILNS1_17partition_subalgoE9EyjbEEZZNS1_14partition_implILS5_9ELb0ES3_jN6thrust23THRUST_200600_302600_NS6detail15normal_iteratorINS9_10device_ptrIyEEEENSB_INSC_IjEEEEPNS0_10empty_typeENS0_5tupleIJSE_SH_EEENSJ_IJSG_SI_EEENS0_18inequality_wrapperINS9_8equal_toIyEEEEPmJSH_EEE10hipError_tPvRmT3_T4_T5_T6_T7_T9_mT8_P12ihipStream_tbDpT10_ENKUlT_T0_E_clISt17integral_constantIbLb1EES19_IbLb0EEEEDaS15_S16_EUlS15_E_NS1_11comp_targetILNS1_3genE3ELNS1_11target_archE908ELNS1_3gpuE7ELNS1_3repE0EEENS1_30default_config_static_selectorELNS0_4arch9wavefront6targetE0EEEvT1_,@function
_ZN7rocprim17ROCPRIM_400000_NS6detail17trampoline_kernelINS0_14default_configENS1_25partition_config_selectorILNS1_17partition_subalgoE9EyjbEEZZNS1_14partition_implILS5_9ELb0ES3_jN6thrust23THRUST_200600_302600_NS6detail15normal_iteratorINS9_10device_ptrIyEEEENSB_INSC_IjEEEEPNS0_10empty_typeENS0_5tupleIJSE_SH_EEENSJ_IJSG_SI_EEENS0_18inequality_wrapperINS9_8equal_toIyEEEEPmJSH_EEE10hipError_tPvRmT3_T4_T5_T6_T7_T9_mT8_P12ihipStream_tbDpT10_ENKUlT_T0_E_clISt17integral_constantIbLb1EES19_IbLb0EEEEDaS15_S16_EUlS15_E_NS1_11comp_targetILNS1_3genE3ELNS1_11target_archE908ELNS1_3gpuE7ELNS1_3repE0EEENS1_30default_config_static_selectorELNS0_4arch9wavefront6targetE0EEEvT1_: ; @_ZN7rocprim17ROCPRIM_400000_NS6detail17trampoline_kernelINS0_14default_configENS1_25partition_config_selectorILNS1_17partition_subalgoE9EyjbEEZZNS1_14partition_implILS5_9ELb0ES3_jN6thrust23THRUST_200600_302600_NS6detail15normal_iteratorINS9_10device_ptrIyEEEENSB_INSC_IjEEEEPNS0_10empty_typeENS0_5tupleIJSE_SH_EEENSJ_IJSG_SI_EEENS0_18inequality_wrapperINS9_8equal_toIyEEEEPmJSH_EEE10hipError_tPvRmT3_T4_T5_T6_T7_T9_mT8_P12ihipStream_tbDpT10_ENKUlT_T0_E_clISt17integral_constantIbLb1EES19_IbLb0EEEEDaS15_S16_EUlS15_E_NS1_11comp_targetILNS1_3genE3ELNS1_11target_archE908ELNS1_3gpuE7ELNS1_3repE0EEENS1_30default_config_static_selectorELNS0_4arch9wavefront6targetE0EEEvT1_
; %bb.0:
	.section	.rodata,"a",@progbits
	.p2align	6, 0x0
	.amdhsa_kernel _ZN7rocprim17ROCPRIM_400000_NS6detail17trampoline_kernelINS0_14default_configENS1_25partition_config_selectorILNS1_17partition_subalgoE9EyjbEEZZNS1_14partition_implILS5_9ELb0ES3_jN6thrust23THRUST_200600_302600_NS6detail15normal_iteratorINS9_10device_ptrIyEEEENSB_INSC_IjEEEEPNS0_10empty_typeENS0_5tupleIJSE_SH_EEENSJ_IJSG_SI_EEENS0_18inequality_wrapperINS9_8equal_toIyEEEEPmJSH_EEE10hipError_tPvRmT3_T4_T5_T6_T7_T9_mT8_P12ihipStream_tbDpT10_ENKUlT_T0_E_clISt17integral_constantIbLb1EES19_IbLb0EEEEDaS15_S16_EUlS15_E_NS1_11comp_targetILNS1_3genE3ELNS1_11target_archE908ELNS1_3gpuE7ELNS1_3repE0EEENS1_30default_config_static_selectorELNS0_4arch9wavefront6targetE0EEEvT1_
		.amdhsa_group_segment_fixed_size 0
		.amdhsa_private_segment_fixed_size 0
		.amdhsa_kernarg_size 112
		.amdhsa_user_sgpr_count 15
		.amdhsa_user_sgpr_dispatch_ptr 0
		.amdhsa_user_sgpr_queue_ptr 0
		.amdhsa_user_sgpr_kernarg_segment_ptr 1
		.amdhsa_user_sgpr_dispatch_id 0
		.amdhsa_user_sgpr_private_segment_size 0
		.amdhsa_wavefront_size32 1
		.amdhsa_uses_dynamic_stack 0
		.amdhsa_enable_private_segment 0
		.amdhsa_system_sgpr_workgroup_id_x 1
		.amdhsa_system_sgpr_workgroup_id_y 0
		.amdhsa_system_sgpr_workgroup_id_z 0
		.amdhsa_system_sgpr_workgroup_info 0
		.amdhsa_system_vgpr_workitem_id 0
		.amdhsa_next_free_vgpr 1
		.amdhsa_next_free_sgpr 1
		.amdhsa_reserve_vcc 0
		.amdhsa_float_round_mode_32 0
		.amdhsa_float_round_mode_16_64 0
		.amdhsa_float_denorm_mode_32 3
		.amdhsa_float_denorm_mode_16_64 3
		.amdhsa_dx10_clamp 1
		.amdhsa_ieee_mode 1
		.amdhsa_fp16_overflow 0
		.amdhsa_workgroup_processor_mode 1
		.amdhsa_memory_ordered 1
		.amdhsa_forward_progress 0
		.amdhsa_shared_vgpr_count 0
		.amdhsa_exception_fp_ieee_invalid_op 0
		.amdhsa_exception_fp_denorm_src 0
		.amdhsa_exception_fp_ieee_div_zero 0
		.amdhsa_exception_fp_ieee_overflow 0
		.amdhsa_exception_fp_ieee_underflow 0
		.amdhsa_exception_fp_ieee_inexact 0
		.amdhsa_exception_int_div_zero 0
	.end_amdhsa_kernel
	.section	.text._ZN7rocprim17ROCPRIM_400000_NS6detail17trampoline_kernelINS0_14default_configENS1_25partition_config_selectorILNS1_17partition_subalgoE9EyjbEEZZNS1_14partition_implILS5_9ELb0ES3_jN6thrust23THRUST_200600_302600_NS6detail15normal_iteratorINS9_10device_ptrIyEEEENSB_INSC_IjEEEEPNS0_10empty_typeENS0_5tupleIJSE_SH_EEENSJ_IJSG_SI_EEENS0_18inequality_wrapperINS9_8equal_toIyEEEEPmJSH_EEE10hipError_tPvRmT3_T4_T5_T6_T7_T9_mT8_P12ihipStream_tbDpT10_ENKUlT_T0_E_clISt17integral_constantIbLb1EES19_IbLb0EEEEDaS15_S16_EUlS15_E_NS1_11comp_targetILNS1_3genE3ELNS1_11target_archE908ELNS1_3gpuE7ELNS1_3repE0EEENS1_30default_config_static_selectorELNS0_4arch9wavefront6targetE0EEEvT1_,"axG",@progbits,_ZN7rocprim17ROCPRIM_400000_NS6detail17trampoline_kernelINS0_14default_configENS1_25partition_config_selectorILNS1_17partition_subalgoE9EyjbEEZZNS1_14partition_implILS5_9ELb0ES3_jN6thrust23THRUST_200600_302600_NS6detail15normal_iteratorINS9_10device_ptrIyEEEENSB_INSC_IjEEEEPNS0_10empty_typeENS0_5tupleIJSE_SH_EEENSJ_IJSG_SI_EEENS0_18inequality_wrapperINS9_8equal_toIyEEEEPmJSH_EEE10hipError_tPvRmT3_T4_T5_T6_T7_T9_mT8_P12ihipStream_tbDpT10_ENKUlT_T0_E_clISt17integral_constantIbLb1EES19_IbLb0EEEEDaS15_S16_EUlS15_E_NS1_11comp_targetILNS1_3genE3ELNS1_11target_archE908ELNS1_3gpuE7ELNS1_3repE0EEENS1_30default_config_static_selectorELNS0_4arch9wavefront6targetE0EEEvT1_,comdat
.Lfunc_end552:
	.size	_ZN7rocprim17ROCPRIM_400000_NS6detail17trampoline_kernelINS0_14default_configENS1_25partition_config_selectorILNS1_17partition_subalgoE9EyjbEEZZNS1_14partition_implILS5_9ELb0ES3_jN6thrust23THRUST_200600_302600_NS6detail15normal_iteratorINS9_10device_ptrIyEEEENSB_INSC_IjEEEEPNS0_10empty_typeENS0_5tupleIJSE_SH_EEENSJ_IJSG_SI_EEENS0_18inequality_wrapperINS9_8equal_toIyEEEEPmJSH_EEE10hipError_tPvRmT3_T4_T5_T6_T7_T9_mT8_P12ihipStream_tbDpT10_ENKUlT_T0_E_clISt17integral_constantIbLb1EES19_IbLb0EEEEDaS15_S16_EUlS15_E_NS1_11comp_targetILNS1_3genE3ELNS1_11target_archE908ELNS1_3gpuE7ELNS1_3repE0EEENS1_30default_config_static_selectorELNS0_4arch9wavefront6targetE0EEEvT1_, .Lfunc_end552-_ZN7rocprim17ROCPRIM_400000_NS6detail17trampoline_kernelINS0_14default_configENS1_25partition_config_selectorILNS1_17partition_subalgoE9EyjbEEZZNS1_14partition_implILS5_9ELb0ES3_jN6thrust23THRUST_200600_302600_NS6detail15normal_iteratorINS9_10device_ptrIyEEEENSB_INSC_IjEEEEPNS0_10empty_typeENS0_5tupleIJSE_SH_EEENSJ_IJSG_SI_EEENS0_18inequality_wrapperINS9_8equal_toIyEEEEPmJSH_EEE10hipError_tPvRmT3_T4_T5_T6_T7_T9_mT8_P12ihipStream_tbDpT10_ENKUlT_T0_E_clISt17integral_constantIbLb1EES19_IbLb0EEEEDaS15_S16_EUlS15_E_NS1_11comp_targetILNS1_3genE3ELNS1_11target_archE908ELNS1_3gpuE7ELNS1_3repE0EEENS1_30default_config_static_selectorELNS0_4arch9wavefront6targetE0EEEvT1_
                                        ; -- End function
	.section	.AMDGPU.csdata,"",@progbits
; Kernel info:
; codeLenInByte = 0
; NumSgprs: 0
; NumVgprs: 0
; ScratchSize: 0
; MemoryBound: 0
; FloatMode: 240
; IeeeMode: 1
; LDSByteSize: 0 bytes/workgroup (compile time only)
; SGPRBlocks: 0
; VGPRBlocks: 0
; NumSGPRsForWavesPerEU: 1
; NumVGPRsForWavesPerEU: 1
; Occupancy: 16
; WaveLimiterHint : 0
; COMPUTE_PGM_RSRC2:SCRATCH_EN: 0
; COMPUTE_PGM_RSRC2:USER_SGPR: 15
; COMPUTE_PGM_RSRC2:TRAP_HANDLER: 0
; COMPUTE_PGM_RSRC2:TGID_X_EN: 1
; COMPUTE_PGM_RSRC2:TGID_Y_EN: 0
; COMPUTE_PGM_RSRC2:TGID_Z_EN: 0
; COMPUTE_PGM_RSRC2:TIDIG_COMP_CNT: 0
	.section	.text._ZN7rocprim17ROCPRIM_400000_NS6detail17trampoline_kernelINS0_14default_configENS1_25partition_config_selectorILNS1_17partition_subalgoE9EyjbEEZZNS1_14partition_implILS5_9ELb0ES3_jN6thrust23THRUST_200600_302600_NS6detail15normal_iteratorINS9_10device_ptrIyEEEENSB_INSC_IjEEEEPNS0_10empty_typeENS0_5tupleIJSE_SH_EEENSJ_IJSG_SI_EEENS0_18inequality_wrapperINS9_8equal_toIyEEEEPmJSH_EEE10hipError_tPvRmT3_T4_T5_T6_T7_T9_mT8_P12ihipStream_tbDpT10_ENKUlT_T0_E_clISt17integral_constantIbLb1EES19_IbLb0EEEEDaS15_S16_EUlS15_E_NS1_11comp_targetILNS1_3genE2ELNS1_11target_archE906ELNS1_3gpuE6ELNS1_3repE0EEENS1_30default_config_static_selectorELNS0_4arch9wavefront6targetE0EEEvT1_,"axG",@progbits,_ZN7rocprim17ROCPRIM_400000_NS6detail17trampoline_kernelINS0_14default_configENS1_25partition_config_selectorILNS1_17partition_subalgoE9EyjbEEZZNS1_14partition_implILS5_9ELb0ES3_jN6thrust23THRUST_200600_302600_NS6detail15normal_iteratorINS9_10device_ptrIyEEEENSB_INSC_IjEEEEPNS0_10empty_typeENS0_5tupleIJSE_SH_EEENSJ_IJSG_SI_EEENS0_18inequality_wrapperINS9_8equal_toIyEEEEPmJSH_EEE10hipError_tPvRmT3_T4_T5_T6_T7_T9_mT8_P12ihipStream_tbDpT10_ENKUlT_T0_E_clISt17integral_constantIbLb1EES19_IbLb0EEEEDaS15_S16_EUlS15_E_NS1_11comp_targetILNS1_3genE2ELNS1_11target_archE906ELNS1_3gpuE6ELNS1_3repE0EEENS1_30default_config_static_selectorELNS0_4arch9wavefront6targetE0EEEvT1_,comdat
	.protected	_ZN7rocprim17ROCPRIM_400000_NS6detail17trampoline_kernelINS0_14default_configENS1_25partition_config_selectorILNS1_17partition_subalgoE9EyjbEEZZNS1_14partition_implILS5_9ELb0ES3_jN6thrust23THRUST_200600_302600_NS6detail15normal_iteratorINS9_10device_ptrIyEEEENSB_INSC_IjEEEEPNS0_10empty_typeENS0_5tupleIJSE_SH_EEENSJ_IJSG_SI_EEENS0_18inequality_wrapperINS9_8equal_toIyEEEEPmJSH_EEE10hipError_tPvRmT3_T4_T5_T6_T7_T9_mT8_P12ihipStream_tbDpT10_ENKUlT_T0_E_clISt17integral_constantIbLb1EES19_IbLb0EEEEDaS15_S16_EUlS15_E_NS1_11comp_targetILNS1_3genE2ELNS1_11target_archE906ELNS1_3gpuE6ELNS1_3repE0EEENS1_30default_config_static_selectorELNS0_4arch9wavefront6targetE0EEEvT1_ ; -- Begin function _ZN7rocprim17ROCPRIM_400000_NS6detail17trampoline_kernelINS0_14default_configENS1_25partition_config_selectorILNS1_17partition_subalgoE9EyjbEEZZNS1_14partition_implILS5_9ELb0ES3_jN6thrust23THRUST_200600_302600_NS6detail15normal_iteratorINS9_10device_ptrIyEEEENSB_INSC_IjEEEEPNS0_10empty_typeENS0_5tupleIJSE_SH_EEENSJ_IJSG_SI_EEENS0_18inequality_wrapperINS9_8equal_toIyEEEEPmJSH_EEE10hipError_tPvRmT3_T4_T5_T6_T7_T9_mT8_P12ihipStream_tbDpT10_ENKUlT_T0_E_clISt17integral_constantIbLb1EES19_IbLb0EEEEDaS15_S16_EUlS15_E_NS1_11comp_targetILNS1_3genE2ELNS1_11target_archE906ELNS1_3gpuE6ELNS1_3repE0EEENS1_30default_config_static_selectorELNS0_4arch9wavefront6targetE0EEEvT1_
	.globl	_ZN7rocprim17ROCPRIM_400000_NS6detail17trampoline_kernelINS0_14default_configENS1_25partition_config_selectorILNS1_17partition_subalgoE9EyjbEEZZNS1_14partition_implILS5_9ELb0ES3_jN6thrust23THRUST_200600_302600_NS6detail15normal_iteratorINS9_10device_ptrIyEEEENSB_INSC_IjEEEEPNS0_10empty_typeENS0_5tupleIJSE_SH_EEENSJ_IJSG_SI_EEENS0_18inequality_wrapperINS9_8equal_toIyEEEEPmJSH_EEE10hipError_tPvRmT3_T4_T5_T6_T7_T9_mT8_P12ihipStream_tbDpT10_ENKUlT_T0_E_clISt17integral_constantIbLb1EES19_IbLb0EEEEDaS15_S16_EUlS15_E_NS1_11comp_targetILNS1_3genE2ELNS1_11target_archE906ELNS1_3gpuE6ELNS1_3repE0EEENS1_30default_config_static_selectorELNS0_4arch9wavefront6targetE0EEEvT1_
	.p2align	8
	.type	_ZN7rocprim17ROCPRIM_400000_NS6detail17trampoline_kernelINS0_14default_configENS1_25partition_config_selectorILNS1_17partition_subalgoE9EyjbEEZZNS1_14partition_implILS5_9ELb0ES3_jN6thrust23THRUST_200600_302600_NS6detail15normal_iteratorINS9_10device_ptrIyEEEENSB_INSC_IjEEEEPNS0_10empty_typeENS0_5tupleIJSE_SH_EEENSJ_IJSG_SI_EEENS0_18inequality_wrapperINS9_8equal_toIyEEEEPmJSH_EEE10hipError_tPvRmT3_T4_T5_T6_T7_T9_mT8_P12ihipStream_tbDpT10_ENKUlT_T0_E_clISt17integral_constantIbLb1EES19_IbLb0EEEEDaS15_S16_EUlS15_E_NS1_11comp_targetILNS1_3genE2ELNS1_11target_archE906ELNS1_3gpuE6ELNS1_3repE0EEENS1_30default_config_static_selectorELNS0_4arch9wavefront6targetE0EEEvT1_,@function
_ZN7rocprim17ROCPRIM_400000_NS6detail17trampoline_kernelINS0_14default_configENS1_25partition_config_selectorILNS1_17partition_subalgoE9EyjbEEZZNS1_14partition_implILS5_9ELb0ES3_jN6thrust23THRUST_200600_302600_NS6detail15normal_iteratorINS9_10device_ptrIyEEEENSB_INSC_IjEEEEPNS0_10empty_typeENS0_5tupleIJSE_SH_EEENSJ_IJSG_SI_EEENS0_18inequality_wrapperINS9_8equal_toIyEEEEPmJSH_EEE10hipError_tPvRmT3_T4_T5_T6_T7_T9_mT8_P12ihipStream_tbDpT10_ENKUlT_T0_E_clISt17integral_constantIbLb1EES19_IbLb0EEEEDaS15_S16_EUlS15_E_NS1_11comp_targetILNS1_3genE2ELNS1_11target_archE906ELNS1_3gpuE6ELNS1_3repE0EEENS1_30default_config_static_selectorELNS0_4arch9wavefront6targetE0EEEvT1_: ; @_ZN7rocprim17ROCPRIM_400000_NS6detail17trampoline_kernelINS0_14default_configENS1_25partition_config_selectorILNS1_17partition_subalgoE9EyjbEEZZNS1_14partition_implILS5_9ELb0ES3_jN6thrust23THRUST_200600_302600_NS6detail15normal_iteratorINS9_10device_ptrIyEEEENSB_INSC_IjEEEEPNS0_10empty_typeENS0_5tupleIJSE_SH_EEENSJ_IJSG_SI_EEENS0_18inequality_wrapperINS9_8equal_toIyEEEEPmJSH_EEE10hipError_tPvRmT3_T4_T5_T6_T7_T9_mT8_P12ihipStream_tbDpT10_ENKUlT_T0_E_clISt17integral_constantIbLb1EES19_IbLb0EEEEDaS15_S16_EUlS15_E_NS1_11comp_targetILNS1_3genE2ELNS1_11target_archE906ELNS1_3gpuE6ELNS1_3repE0EEENS1_30default_config_static_selectorELNS0_4arch9wavefront6targetE0EEEvT1_
; %bb.0:
	.section	.rodata,"a",@progbits
	.p2align	6, 0x0
	.amdhsa_kernel _ZN7rocprim17ROCPRIM_400000_NS6detail17trampoline_kernelINS0_14default_configENS1_25partition_config_selectorILNS1_17partition_subalgoE9EyjbEEZZNS1_14partition_implILS5_9ELb0ES3_jN6thrust23THRUST_200600_302600_NS6detail15normal_iteratorINS9_10device_ptrIyEEEENSB_INSC_IjEEEEPNS0_10empty_typeENS0_5tupleIJSE_SH_EEENSJ_IJSG_SI_EEENS0_18inequality_wrapperINS9_8equal_toIyEEEEPmJSH_EEE10hipError_tPvRmT3_T4_T5_T6_T7_T9_mT8_P12ihipStream_tbDpT10_ENKUlT_T0_E_clISt17integral_constantIbLb1EES19_IbLb0EEEEDaS15_S16_EUlS15_E_NS1_11comp_targetILNS1_3genE2ELNS1_11target_archE906ELNS1_3gpuE6ELNS1_3repE0EEENS1_30default_config_static_selectorELNS0_4arch9wavefront6targetE0EEEvT1_
		.amdhsa_group_segment_fixed_size 0
		.amdhsa_private_segment_fixed_size 0
		.amdhsa_kernarg_size 112
		.amdhsa_user_sgpr_count 15
		.amdhsa_user_sgpr_dispatch_ptr 0
		.amdhsa_user_sgpr_queue_ptr 0
		.amdhsa_user_sgpr_kernarg_segment_ptr 1
		.amdhsa_user_sgpr_dispatch_id 0
		.amdhsa_user_sgpr_private_segment_size 0
		.amdhsa_wavefront_size32 1
		.amdhsa_uses_dynamic_stack 0
		.amdhsa_enable_private_segment 0
		.amdhsa_system_sgpr_workgroup_id_x 1
		.amdhsa_system_sgpr_workgroup_id_y 0
		.amdhsa_system_sgpr_workgroup_id_z 0
		.amdhsa_system_sgpr_workgroup_info 0
		.amdhsa_system_vgpr_workitem_id 0
		.amdhsa_next_free_vgpr 1
		.amdhsa_next_free_sgpr 1
		.amdhsa_reserve_vcc 0
		.amdhsa_float_round_mode_32 0
		.amdhsa_float_round_mode_16_64 0
		.amdhsa_float_denorm_mode_32 3
		.amdhsa_float_denorm_mode_16_64 3
		.amdhsa_dx10_clamp 1
		.amdhsa_ieee_mode 1
		.amdhsa_fp16_overflow 0
		.amdhsa_workgroup_processor_mode 1
		.amdhsa_memory_ordered 1
		.amdhsa_forward_progress 0
		.amdhsa_shared_vgpr_count 0
		.amdhsa_exception_fp_ieee_invalid_op 0
		.amdhsa_exception_fp_denorm_src 0
		.amdhsa_exception_fp_ieee_div_zero 0
		.amdhsa_exception_fp_ieee_overflow 0
		.amdhsa_exception_fp_ieee_underflow 0
		.amdhsa_exception_fp_ieee_inexact 0
		.amdhsa_exception_int_div_zero 0
	.end_amdhsa_kernel
	.section	.text._ZN7rocprim17ROCPRIM_400000_NS6detail17trampoline_kernelINS0_14default_configENS1_25partition_config_selectorILNS1_17partition_subalgoE9EyjbEEZZNS1_14partition_implILS5_9ELb0ES3_jN6thrust23THRUST_200600_302600_NS6detail15normal_iteratorINS9_10device_ptrIyEEEENSB_INSC_IjEEEEPNS0_10empty_typeENS0_5tupleIJSE_SH_EEENSJ_IJSG_SI_EEENS0_18inequality_wrapperINS9_8equal_toIyEEEEPmJSH_EEE10hipError_tPvRmT3_T4_T5_T6_T7_T9_mT8_P12ihipStream_tbDpT10_ENKUlT_T0_E_clISt17integral_constantIbLb1EES19_IbLb0EEEEDaS15_S16_EUlS15_E_NS1_11comp_targetILNS1_3genE2ELNS1_11target_archE906ELNS1_3gpuE6ELNS1_3repE0EEENS1_30default_config_static_selectorELNS0_4arch9wavefront6targetE0EEEvT1_,"axG",@progbits,_ZN7rocprim17ROCPRIM_400000_NS6detail17trampoline_kernelINS0_14default_configENS1_25partition_config_selectorILNS1_17partition_subalgoE9EyjbEEZZNS1_14partition_implILS5_9ELb0ES3_jN6thrust23THRUST_200600_302600_NS6detail15normal_iteratorINS9_10device_ptrIyEEEENSB_INSC_IjEEEEPNS0_10empty_typeENS0_5tupleIJSE_SH_EEENSJ_IJSG_SI_EEENS0_18inequality_wrapperINS9_8equal_toIyEEEEPmJSH_EEE10hipError_tPvRmT3_T4_T5_T6_T7_T9_mT8_P12ihipStream_tbDpT10_ENKUlT_T0_E_clISt17integral_constantIbLb1EES19_IbLb0EEEEDaS15_S16_EUlS15_E_NS1_11comp_targetILNS1_3genE2ELNS1_11target_archE906ELNS1_3gpuE6ELNS1_3repE0EEENS1_30default_config_static_selectorELNS0_4arch9wavefront6targetE0EEEvT1_,comdat
.Lfunc_end553:
	.size	_ZN7rocprim17ROCPRIM_400000_NS6detail17trampoline_kernelINS0_14default_configENS1_25partition_config_selectorILNS1_17partition_subalgoE9EyjbEEZZNS1_14partition_implILS5_9ELb0ES3_jN6thrust23THRUST_200600_302600_NS6detail15normal_iteratorINS9_10device_ptrIyEEEENSB_INSC_IjEEEEPNS0_10empty_typeENS0_5tupleIJSE_SH_EEENSJ_IJSG_SI_EEENS0_18inequality_wrapperINS9_8equal_toIyEEEEPmJSH_EEE10hipError_tPvRmT3_T4_T5_T6_T7_T9_mT8_P12ihipStream_tbDpT10_ENKUlT_T0_E_clISt17integral_constantIbLb1EES19_IbLb0EEEEDaS15_S16_EUlS15_E_NS1_11comp_targetILNS1_3genE2ELNS1_11target_archE906ELNS1_3gpuE6ELNS1_3repE0EEENS1_30default_config_static_selectorELNS0_4arch9wavefront6targetE0EEEvT1_, .Lfunc_end553-_ZN7rocprim17ROCPRIM_400000_NS6detail17trampoline_kernelINS0_14default_configENS1_25partition_config_selectorILNS1_17partition_subalgoE9EyjbEEZZNS1_14partition_implILS5_9ELb0ES3_jN6thrust23THRUST_200600_302600_NS6detail15normal_iteratorINS9_10device_ptrIyEEEENSB_INSC_IjEEEEPNS0_10empty_typeENS0_5tupleIJSE_SH_EEENSJ_IJSG_SI_EEENS0_18inequality_wrapperINS9_8equal_toIyEEEEPmJSH_EEE10hipError_tPvRmT3_T4_T5_T6_T7_T9_mT8_P12ihipStream_tbDpT10_ENKUlT_T0_E_clISt17integral_constantIbLb1EES19_IbLb0EEEEDaS15_S16_EUlS15_E_NS1_11comp_targetILNS1_3genE2ELNS1_11target_archE906ELNS1_3gpuE6ELNS1_3repE0EEENS1_30default_config_static_selectorELNS0_4arch9wavefront6targetE0EEEvT1_
                                        ; -- End function
	.section	.AMDGPU.csdata,"",@progbits
; Kernel info:
; codeLenInByte = 0
; NumSgprs: 0
; NumVgprs: 0
; ScratchSize: 0
; MemoryBound: 0
; FloatMode: 240
; IeeeMode: 1
; LDSByteSize: 0 bytes/workgroup (compile time only)
; SGPRBlocks: 0
; VGPRBlocks: 0
; NumSGPRsForWavesPerEU: 1
; NumVGPRsForWavesPerEU: 1
; Occupancy: 16
; WaveLimiterHint : 0
; COMPUTE_PGM_RSRC2:SCRATCH_EN: 0
; COMPUTE_PGM_RSRC2:USER_SGPR: 15
; COMPUTE_PGM_RSRC2:TRAP_HANDLER: 0
; COMPUTE_PGM_RSRC2:TGID_X_EN: 1
; COMPUTE_PGM_RSRC2:TGID_Y_EN: 0
; COMPUTE_PGM_RSRC2:TGID_Z_EN: 0
; COMPUTE_PGM_RSRC2:TIDIG_COMP_CNT: 0
	.section	.text._ZN7rocprim17ROCPRIM_400000_NS6detail17trampoline_kernelINS0_14default_configENS1_25partition_config_selectorILNS1_17partition_subalgoE9EyjbEEZZNS1_14partition_implILS5_9ELb0ES3_jN6thrust23THRUST_200600_302600_NS6detail15normal_iteratorINS9_10device_ptrIyEEEENSB_INSC_IjEEEEPNS0_10empty_typeENS0_5tupleIJSE_SH_EEENSJ_IJSG_SI_EEENS0_18inequality_wrapperINS9_8equal_toIyEEEEPmJSH_EEE10hipError_tPvRmT3_T4_T5_T6_T7_T9_mT8_P12ihipStream_tbDpT10_ENKUlT_T0_E_clISt17integral_constantIbLb1EES19_IbLb0EEEEDaS15_S16_EUlS15_E_NS1_11comp_targetILNS1_3genE10ELNS1_11target_archE1200ELNS1_3gpuE4ELNS1_3repE0EEENS1_30default_config_static_selectorELNS0_4arch9wavefront6targetE0EEEvT1_,"axG",@progbits,_ZN7rocprim17ROCPRIM_400000_NS6detail17trampoline_kernelINS0_14default_configENS1_25partition_config_selectorILNS1_17partition_subalgoE9EyjbEEZZNS1_14partition_implILS5_9ELb0ES3_jN6thrust23THRUST_200600_302600_NS6detail15normal_iteratorINS9_10device_ptrIyEEEENSB_INSC_IjEEEEPNS0_10empty_typeENS0_5tupleIJSE_SH_EEENSJ_IJSG_SI_EEENS0_18inequality_wrapperINS9_8equal_toIyEEEEPmJSH_EEE10hipError_tPvRmT3_T4_T5_T6_T7_T9_mT8_P12ihipStream_tbDpT10_ENKUlT_T0_E_clISt17integral_constantIbLb1EES19_IbLb0EEEEDaS15_S16_EUlS15_E_NS1_11comp_targetILNS1_3genE10ELNS1_11target_archE1200ELNS1_3gpuE4ELNS1_3repE0EEENS1_30default_config_static_selectorELNS0_4arch9wavefront6targetE0EEEvT1_,comdat
	.protected	_ZN7rocprim17ROCPRIM_400000_NS6detail17trampoline_kernelINS0_14default_configENS1_25partition_config_selectorILNS1_17partition_subalgoE9EyjbEEZZNS1_14partition_implILS5_9ELb0ES3_jN6thrust23THRUST_200600_302600_NS6detail15normal_iteratorINS9_10device_ptrIyEEEENSB_INSC_IjEEEEPNS0_10empty_typeENS0_5tupleIJSE_SH_EEENSJ_IJSG_SI_EEENS0_18inequality_wrapperINS9_8equal_toIyEEEEPmJSH_EEE10hipError_tPvRmT3_T4_T5_T6_T7_T9_mT8_P12ihipStream_tbDpT10_ENKUlT_T0_E_clISt17integral_constantIbLb1EES19_IbLb0EEEEDaS15_S16_EUlS15_E_NS1_11comp_targetILNS1_3genE10ELNS1_11target_archE1200ELNS1_3gpuE4ELNS1_3repE0EEENS1_30default_config_static_selectorELNS0_4arch9wavefront6targetE0EEEvT1_ ; -- Begin function _ZN7rocprim17ROCPRIM_400000_NS6detail17trampoline_kernelINS0_14default_configENS1_25partition_config_selectorILNS1_17partition_subalgoE9EyjbEEZZNS1_14partition_implILS5_9ELb0ES3_jN6thrust23THRUST_200600_302600_NS6detail15normal_iteratorINS9_10device_ptrIyEEEENSB_INSC_IjEEEEPNS0_10empty_typeENS0_5tupleIJSE_SH_EEENSJ_IJSG_SI_EEENS0_18inequality_wrapperINS9_8equal_toIyEEEEPmJSH_EEE10hipError_tPvRmT3_T4_T5_T6_T7_T9_mT8_P12ihipStream_tbDpT10_ENKUlT_T0_E_clISt17integral_constantIbLb1EES19_IbLb0EEEEDaS15_S16_EUlS15_E_NS1_11comp_targetILNS1_3genE10ELNS1_11target_archE1200ELNS1_3gpuE4ELNS1_3repE0EEENS1_30default_config_static_selectorELNS0_4arch9wavefront6targetE0EEEvT1_
	.globl	_ZN7rocprim17ROCPRIM_400000_NS6detail17trampoline_kernelINS0_14default_configENS1_25partition_config_selectorILNS1_17partition_subalgoE9EyjbEEZZNS1_14partition_implILS5_9ELb0ES3_jN6thrust23THRUST_200600_302600_NS6detail15normal_iteratorINS9_10device_ptrIyEEEENSB_INSC_IjEEEEPNS0_10empty_typeENS0_5tupleIJSE_SH_EEENSJ_IJSG_SI_EEENS0_18inequality_wrapperINS9_8equal_toIyEEEEPmJSH_EEE10hipError_tPvRmT3_T4_T5_T6_T7_T9_mT8_P12ihipStream_tbDpT10_ENKUlT_T0_E_clISt17integral_constantIbLb1EES19_IbLb0EEEEDaS15_S16_EUlS15_E_NS1_11comp_targetILNS1_3genE10ELNS1_11target_archE1200ELNS1_3gpuE4ELNS1_3repE0EEENS1_30default_config_static_selectorELNS0_4arch9wavefront6targetE0EEEvT1_
	.p2align	8
	.type	_ZN7rocprim17ROCPRIM_400000_NS6detail17trampoline_kernelINS0_14default_configENS1_25partition_config_selectorILNS1_17partition_subalgoE9EyjbEEZZNS1_14partition_implILS5_9ELb0ES3_jN6thrust23THRUST_200600_302600_NS6detail15normal_iteratorINS9_10device_ptrIyEEEENSB_INSC_IjEEEEPNS0_10empty_typeENS0_5tupleIJSE_SH_EEENSJ_IJSG_SI_EEENS0_18inequality_wrapperINS9_8equal_toIyEEEEPmJSH_EEE10hipError_tPvRmT3_T4_T5_T6_T7_T9_mT8_P12ihipStream_tbDpT10_ENKUlT_T0_E_clISt17integral_constantIbLb1EES19_IbLb0EEEEDaS15_S16_EUlS15_E_NS1_11comp_targetILNS1_3genE10ELNS1_11target_archE1200ELNS1_3gpuE4ELNS1_3repE0EEENS1_30default_config_static_selectorELNS0_4arch9wavefront6targetE0EEEvT1_,@function
_ZN7rocprim17ROCPRIM_400000_NS6detail17trampoline_kernelINS0_14default_configENS1_25partition_config_selectorILNS1_17partition_subalgoE9EyjbEEZZNS1_14partition_implILS5_9ELb0ES3_jN6thrust23THRUST_200600_302600_NS6detail15normal_iteratorINS9_10device_ptrIyEEEENSB_INSC_IjEEEEPNS0_10empty_typeENS0_5tupleIJSE_SH_EEENSJ_IJSG_SI_EEENS0_18inequality_wrapperINS9_8equal_toIyEEEEPmJSH_EEE10hipError_tPvRmT3_T4_T5_T6_T7_T9_mT8_P12ihipStream_tbDpT10_ENKUlT_T0_E_clISt17integral_constantIbLb1EES19_IbLb0EEEEDaS15_S16_EUlS15_E_NS1_11comp_targetILNS1_3genE10ELNS1_11target_archE1200ELNS1_3gpuE4ELNS1_3repE0EEENS1_30default_config_static_selectorELNS0_4arch9wavefront6targetE0EEEvT1_: ; @_ZN7rocprim17ROCPRIM_400000_NS6detail17trampoline_kernelINS0_14default_configENS1_25partition_config_selectorILNS1_17partition_subalgoE9EyjbEEZZNS1_14partition_implILS5_9ELb0ES3_jN6thrust23THRUST_200600_302600_NS6detail15normal_iteratorINS9_10device_ptrIyEEEENSB_INSC_IjEEEEPNS0_10empty_typeENS0_5tupleIJSE_SH_EEENSJ_IJSG_SI_EEENS0_18inequality_wrapperINS9_8equal_toIyEEEEPmJSH_EEE10hipError_tPvRmT3_T4_T5_T6_T7_T9_mT8_P12ihipStream_tbDpT10_ENKUlT_T0_E_clISt17integral_constantIbLb1EES19_IbLb0EEEEDaS15_S16_EUlS15_E_NS1_11comp_targetILNS1_3genE10ELNS1_11target_archE1200ELNS1_3gpuE4ELNS1_3repE0EEENS1_30default_config_static_selectorELNS0_4arch9wavefront6targetE0EEEvT1_
; %bb.0:
	.section	.rodata,"a",@progbits
	.p2align	6, 0x0
	.amdhsa_kernel _ZN7rocprim17ROCPRIM_400000_NS6detail17trampoline_kernelINS0_14default_configENS1_25partition_config_selectorILNS1_17partition_subalgoE9EyjbEEZZNS1_14partition_implILS5_9ELb0ES3_jN6thrust23THRUST_200600_302600_NS6detail15normal_iteratorINS9_10device_ptrIyEEEENSB_INSC_IjEEEEPNS0_10empty_typeENS0_5tupleIJSE_SH_EEENSJ_IJSG_SI_EEENS0_18inequality_wrapperINS9_8equal_toIyEEEEPmJSH_EEE10hipError_tPvRmT3_T4_T5_T6_T7_T9_mT8_P12ihipStream_tbDpT10_ENKUlT_T0_E_clISt17integral_constantIbLb1EES19_IbLb0EEEEDaS15_S16_EUlS15_E_NS1_11comp_targetILNS1_3genE10ELNS1_11target_archE1200ELNS1_3gpuE4ELNS1_3repE0EEENS1_30default_config_static_selectorELNS0_4arch9wavefront6targetE0EEEvT1_
		.amdhsa_group_segment_fixed_size 0
		.amdhsa_private_segment_fixed_size 0
		.amdhsa_kernarg_size 112
		.amdhsa_user_sgpr_count 15
		.amdhsa_user_sgpr_dispatch_ptr 0
		.amdhsa_user_sgpr_queue_ptr 0
		.amdhsa_user_sgpr_kernarg_segment_ptr 1
		.amdhsa_user_sgpr_dispatch_id 0
		.amdhsa_user_sgpr_private_segment_size 0
		.amdhsa_wavefront_size32 1
		.amdhsa_uses_dynamic_stack 0
		.amdhsa_enable_private_segment 0
		.amdhsa_system_sgpr_workgroup_id_x 1
		.amdhsa_system_sgpr_workgroup_id_y 0
		.amdhsa_system_sgpr_workgroup_id_z 0
		.amdhsa_system_sgpr_workgroup_info 0
		.amdhsa_system_vgpr_workitem_id 0
		.amdhsa_next_free_vgpr 1
		.amdhsa_next_free_sgpr 1
		.amdhsa_reserve_vcc 0
		.amdhsa_float_round_mode_32 0
		.amdhsa_float_round_mode_16_64 0
		.amdhsa_float_denorm_mode_32 3
		.amdhsa_float_denorm_mode_16_64 3
		.amdhsa_dx10_clamp 1
		.amdhsa_ieee_mode 1
		.amdhsa_fp16_overflow 0
		.amdhsa_workgroup_processor_mode 1
		.amdhsa_memory_ordered 1
		.amdhsa_forward_progress 0
		.amdhsa_shared_vgpr_count 0
		.amdhsa_exception_fp_ieee_invalid_op 0
		.amdhsa_exception_fp_denorm_src 0
		.amdhsa_exception_fp_ieee_div_zero 0
		.amdhsa_exception_fp_ieee_overflow 0
		.amdhsa_exception_fp_ieee_underflow 0
		.amdhsa_exception_fp_ieee_inexact 0
		.amdhsa_exception_int_div_zero 0
	.end_amdhsa_kernel
	.section	.text._ZN7rocprim17ROCPRIM_400000_NS6detail17trampoline_kernelINS0_14default_configENS1_25partition_config_selectorILNS1_17partition_subalgoE9EyjbEEZZNS1_14partition_implILS5_9ELb0ES3_jN6thrust23THRUST_200600_302600_NS6detail15normal_iteratorINS9_10device_ptrIyEEEENSB_INSC_IjEEEEPNS0_10empty_typeENS0_5tupleIJSE_SH_EEENSJ_IJSG_SI_EEENS0_18inequality_wrapperINS9_8equal_toIyEEEEPmJSH_EEE10hipError_tPvRmT3_T4_T5_T6_T7_T9_mT8_P12ihipStream_tbDpT10_ENKUlT_T0_E_clISt17integral_constantIbLb1EES19_IbLb0EEEEDaS15_S16_EUlS15_E_NS1_11comp_targetILNS1_3genE10ELNS1_11target_archE1200ELNS1_3gpuE4ELNS1_3repE0EEENS1_30default_config_static_selectorELNS0_4arch9wavefront6targetE0EEEvT1_,"axG",@progbits,_ZN7rocprim17ROCPRIM_400000_NS6detail17trampoline_kernelINS0_14default_configENS1_25partition_config_selectorILNS1_17partition_subalgoE9EyjbEEZZNS1_14partition_implILS5_9ELb0ES3_jN6thrust23THRUST_200600_302600_NS6detail15normal_iteratorINS9_10device_ptrIyEEEENSB_INSC_IjEEEEPNS0_10empty_typeENS0_5tupleIJSE_SH_EEENSJ_IJSG_SI_EEENS0_18inequality_wrapperINS9_8equal_toIyEEEEPmJSH_EEE10hipError_tPvRmT3_T4_T5_T6_T7_T9_mT8_P12ihipStream_tbDpT10_ENKUlT_T0_E_clISt17integral_constantIbLb1EES19_IbLb0EEEEDaS15_S16_EUlS15_E_NS1_11comp_targetILNS1_3genE10ELNS1_11target_archE1200ELNS1_3gpuE4ELNS1_3repE0EEENS1_30default_config_static_selectorELNS0_4arch9wavefront6targetE0EEEvT1_,comdat
.Lfunc_end554:
	.size	_ZN7rocprim17ROCPRIM_400000_NS6detail17trampoline_kernelINS0_14default_configENS1_25partition_config_selectorILNS1_17partition_subalgoE9EyjbEEZZNS1_14partition_implILS5_9ELb0ES3_jN6thrust23THRUST_200600_302600_NS6detail15normal_iteratorINS9_10device_ptrIyEEEENSB_INSC_IjEEEEPNS0_10empty_typeENS0_5tupleIJSE_SH_EEENSJ_IJSG_SI_EEENS0_18inequality_wrapperINS9_8equal_toIyEEEEPmJSH_EEE10hipError_tPvRmT3_T4_T5_T6_T7_T9_mT8_P12ihipStream_tbDpT10_ENKUlT_T0_E_clISt17integral_constantIbLb1EES19_IbLb0EEEEDaS15_S16_EUlS15_E_NS1_11comp_targetILNS1_3genE10ELNS1_11target_archE1200ELNS1_3gpuE4ELNS1_3repE0EEENS1_30default_config_static_selectorELNS0_4arch9wavefront6targetE0EEEvT1_, .Lfunc_end554-_ZN7rocprim17ROCPRIM_400000_NS6detail17trampoline_kernelINS0_14default_configENS1_25partition_config_selectorILNS1_17partition_subalgoE9EyjbEEZZNS1_14partition_implILS5_9ELb0ES3_jN6thrust23THRUST_200600_302600_NS6detail15normal_iteratorINS9_10device_ptrIyEEEENSB_INSC_IjEEEEPNS0_10empty_typeENS0_5tupleIJSE_SH_EEENSJ_IJSG_SI_EEENS0_18inequality_wrapperINS9_8equal_toIyEEEEPmJSH_EEE10hipError_tPvRmT3_T4_T5_T6_T7_T9_mT8_P12ihipStream_tbDpT10_ENKUlT_T0_E_clISt17integral_constantIbLb1EES19_IbLb0EEEEDaS15_S16_EUlS15_E_NS1_11comp_targetILNS1_3genE10ELNS1_11target_archE1200ELNS1_3gpuE4ELNS1_3repE0EEENS1_30default_config_static_selectorELNS0_4arch9wavefront6targetE0EEEvT1_
                                        ; -- End function
	.section	.AMDGPU.csdata,"",@progbits
; Kernel info:
; codeLenInByte = 0
; NumSgprs: 0
; NumVgprs: 0
; ScratchSize: 0
; MemoryBound: 0
; FloatMode: 240
; IeeeMode: 1
; LDSByteSize: 0 bytes/workgroup (compile time only)
; SGPRBlocks: 0
; VGPRBlocks: 0
; NumSGPRsForWavesPerEU: 1
; NumVGPRsForWavesPerEU: 1
; Occupancy: 15
; WaveLimiterHint : 0
; COMPUTE_PGM_RSRC2:SCRATCH_EN: 0
; COMPUTE_PGM_RSRC2:USER_SGPR: 15
; COMPUTE_PGM_RSRC2:TRAP_HANDLER: 0
; COMPUTE_PGM_RSRC2:TGID_X_EN: 1
; COMPUTE_PGM_RSRC2:TGID_Y_EN: 0
; COMPUTE_PGM_RSRC2:TGID_Z_EN: 0
; COMPUTE_PGM_RSRC2:TIDIG_COMP_CNT: 0
	.section	.text._ZN7rocprim17ROCPRIM_400000_NS6detail17trampoline_kernelINS0_14default_configENS1_25partition_config_selectorILNS1_17partition_subalgoE9EyjbEEZZNS1_14partition_implILS5_9ELb0ES3_jN6thrust23THRUST_200600_302600_NS6detail15normal_iteratorINS9_10device_ptrIyEEEENSB_INSC_IjEEEEPNS0_10empty_typeENS0_5tupleIJSE_SH_EEENSJ_IJSG_SI_EEENS0_18inequality_wrapperINS9_8equal_toIyEEEEPmJSH_EEE10hipError_tPvRmT3_T4_T5_T6_T7_T9_mT8_P12ihipStream_tbDpT10_ENKUlT_T0_E_clISt17integral_constantIbLb1EES19_IbLb0EEEEDaS15_S16_EUlS15_E_NS1_11comp_targetILNS1_3genE9ELNS1_11target_archE1100ELNS1_3gpuE3ELNS1_3repE0EEENS1_30default_config_static_selectorELNS0_4arch9wavefront6targetE0EEEvT1_,"axG",@progbits,_ZN7rocprim17ROCPRIM_400000_NS6detail17trampoline_kernelINS0_14default_configENS1_25partition_config_selectorILNS1_17partition_subalgoE9EyjbEEZZNS1_14partition_implILS5_9ELb0ES3_jN6thrust23THRUST_200600_302600_NS6detail15normal_iteratorINS9_10device_ptrIyEEEENSB_INSC_IjEEEEPNS0_10empty_typeENS0_5tupleIJSE_SH_EEENSJ_IJSG_SI_EEENS0_18inequality_wrapperINS9_8equal_toIyEEEEPmJSH_EEE10hipError_tPvRmT3_T4_T5_T6_T7_T9_mT8_P12ihipStream_tbDpT10_ENKUlT_T0_E_clISt17integral_constantIbLb1EES19_IbLb0EEEEDaS15_S16_EUlS15_E_NS1_11comp_targetILNS1_3genE9ELNS1_11target_archE1100ELNS1_3gpuE3ELNS1_3repE0EEENS1_30default_config_static_selectorELNS0_4arch9wavefront6targetE0EEEvT1_,comdat
	.protected	_ZN7rocprim17ROCPRIM_400000_NS6detail17trampoline_kernelINS0_14default_configENS1_25partition_config_selectorILNS1_17partition_subalgoE9EyjbEEZZNS1_14partition_implILS5_9ELb0ES3_jN6thrust23THRUST_200600_302600_NS6detail15normal_iteratorINS9_10device_ptrIyEEEENSB_INSC_IjEEEEPNS0_10empty_typeENS0_5tupleIJSE_SH_EEENSJ_IJSG_SI_EEENS0_18inequality_wrapperINS9_8equal_toIyEEEEPmJSH_EEE10hipError_tPvRmT3_T4_T5_T6_T7_T9_mT8_P12ihipStream_tbDpT10_ENKUlT_T0_E_clISt17integral_constantIbLb1EES19_IbLb0EEEEDaS15_S16_EUlS15_E_NS1_11comp_targetILNS1_3genE9ELNS1_11target_archE1100ELNS1_3gpuE3ELNS1_3repE0EEENS1_30default_config_static_selectorELNS0_4arch9wavefront6targetE0EEEvT1_ ; -- Begin function _ZN7rocprim17ROCPRIM_400000_NS6detail17trampoline_kernelINS0_14default_configENS1_25partition_config_selectorILNS1_17partition_subalgoE9EyjbEEZZNS1_14partition_implILS5_9ELb0ES3_jN6thrust23THRUST_200600_302600_NS6detail15normal_iteratorINS9_10device_ptrIyEEEENSB_INSC_IjEEEEPNS0_10empty_typeENS0_5tupleIJSE_SH_EEENSJ_IJSG_SI_EEENS0_18inequality_wrapperINS9_8equal_toIyEEEEPmJSH_EEE10hipError_tPvRmT3_T4_T5_T6_T7_T9_mT8_P12ihipStream_tbDpT10_ENKUlT_T0_E_clISt17integral_constantIbLb1EES19_IbLb0EEEEDaS15_S16_EUlS15_E_NS1_11comp_targetILNS1_3genE9ELNS1_11target_archE1100ELNS1_3gpuE3ELNS1_3repE0EEENS1_30default_config_static_selectorELNS0_4arch9wavefront6targetE0EEEvT1_
	.globl	_ZN7rocprim17ROCPRIM_400000_NS6detail17trampoline_kernelINS0_14default_configENS1_25partition_config_selectorILNS1_17partition_subalgoE9EyjbEEZZNS1_14partition_implILS5_9ELb0ES3_jN6thrust23THRUST_200600_302600_NS6detail15normal_iteratorINS9_10device_ptrIyEEEENSB_INSC_IjEEEEPNS0_10empty_typeENS0_5tupleIJSE_SH_EEENSJ_IJSG_SI_EEENS0_18inequality_wrapperINS9_8equal_toIyEEEEPmJSH_EEE10hipError_tPvRmT3_T4_T5_T6_T7_T9_mT8_P12ihipStream_tbDpT10_ENKUlT_T0_E_clISt17integral_constantIbLb1EES19_IbLb0EEEEDaS15_S16_EUlS15_E_NS1_11comp_targetILNS1_3genE9ELNS1_11target_archE1100ELNS1_3gpuE3ELNS1_3repE0EEENS1_30default_config_static_selectorELNS0_4arch9wavefront6targetE0EEEvT1_
	.p2align	8
	.type	_ZN7rocprim17ROCPRIM_400000_NS6detail17trampoline_kernelINS0_14default_configENS1_25partition_config_selectorILNS1_17partition_subalgoE9EyjbEEZZNS1_14partition_implILS5_9ELb0ES3_jN6thrust23THRUST_200600_302600_NS6detail15normal_iteratorINS9_10device_ptrIyEEEENSB_INSC_IjEEEEPNS0_10empty_typeENS0_5tupleIJSE_SH_EEENSJ_IJSG_SI_EEENS0_18inequality_wrapperINS9_8equal_toIyEEEEPmJSH_EEE10hipError_tPvRmT3_T4_T5_T6_T7_T9_mT8_P12ihipStream_tbDpT10_ENKUlT_T0_E_clISt17integral_constantIbLb1EES19_IbLb0EEEEDaS15_S16_EUlS15_E_NS1_11comp_targetILNS1_3genE9ELNS1_11target_archE1100ELNS1_3gpuE3ELNS1_3repE0EEENS1_30default_config_static_selectorELNS0_4arch9wavefront6targetE0EEEvT1_,@function
_ZN7rocprim17ROCPRIM_400000_NS6detail17trampoline_kernelINS0_14default_configENS1_25partition_config_selectorILNS1_17partition_subalgoE9EyjbEEZZNS1_14partition_implILS5_9ELb0ES3_jN6thrust23THRUST_200600_302600_NS6detail15normal_iteratorINS9_10device_ptrIyEEEENSB_INSC_IjEEEEPNS0_10empty_typeENS0_5tupleIJSE_SH_EEENSJ_IJSG_SI_EEENS0_18inequality_wrapperINS9_8equal_toIyEEEEPmJSH_EEE10hipError_tPvRmT3_T4_T5_T6_T7_T9_mT8_P12ihipStream_tbDpT10_ENKUlT_T0_E_clISt17integral_constantIbLb1EES19_IbLb0EEEEDaS15_S16_EUlS15_E_NS1_11comp_targetILNS1_3genE9ELNS1_11target_archE1100ELNS1_3gpuE3ELNS1_3repE0EEENS1_30default_config_static_selectorELNS0_4arch9wavefront6targetE0EEEvT1_: ; @_ZN7rocprim17ROCPRIM_400000_NS6detail17trampoline_kernelINS0_14default_configENS1_25partition_config_selectorILNS1_17partition_subalgoE9EyjbEEZZNS1_14partition_implILS5_9ELb0ES3_jN6thrust23THRUST_200600_302600_NS6detail15normal_iteratorINS9_10device_ptrIyEEEENSB_INSC_IjEEEEPNS0_10empty_typeENS0_5tupleIJSE_SH_EEENSJ_IJSG_SI_EEENS0_18inequality_wrapperINS9_8equal_toIyEEEEPmJSH_EEE10hipError_tPvRmT3_T4_T5_T6_T7_T9_mT8_P12ihipStream_tbDpT10_ENKUlT_T0_E_clISt17integral_constantIbLb1EES19_IbLb0EEEEDaS15_S16_EUlS15_E_NS1_11comp_targetILNS1_3genE9ELNS1_11target_archE1100ELNS1_3gpuE3ELNS1_3repE0EEENS1_30default_config_static_selectorELNS0_4arch9wavefront6targetE0EEEvT1_
; %bb.0:
	s_clause 0x4
	s_load_b128 s[4:7], s[0:1], 0x8
	s_load_b32 s14, s[0:1], 0x68
	s_load_b128 s[16:19], s[0:1], 0x40
	s_load_b64 s[2:3], s[0:1], 0x50
	s_load_b64 s[12:13], s[0:1], 0x18
	s_mov_b32 s9, 0
	v_lshlrev_b32_e32 v47, 3, v0
	v_lshrrev_b32_e32 v24, 2, v0
	v_or_b32_e32 v21, 0x200, v0
	v_or_b32_e32 v20, 0x400, v0
	;; [unrolled: 1-line block ×7, first 2 shown]
	s_waitcnt lgkmcnt(0)
	s_lshl_b64 s[10:11], s[6:7], 3
	s_delay_alu instid0(SALU_CYCLE_1)
	s_add_u32 s21, s4, s10
	s_addc_u32 s22, s5, s11
	s_add_i32 s20, s14, -1
	s_load_b64 s[10:11], s[18:19], 0x0
	s_lshl_b32 s4, s20, 12
	s_lshl_b32 s5, s14, 12
	s_add_i32 s4, s6, s4
	s_lshl_b32 s8, s15, 12
	s_sub_i32 s19, s2, s4
	s_add_u32 s4, s6, s5
	s_addc_u32 s5, s7, 0
	s_cmp_eq_u32 s15, s20
	v_cmp_ge_u64_e64 s2, s[4:5], s[2:3]
	s_cselect_b32 s14, -1, 0
	s_mov_b32 s5, -1
	s_delay_alu instid0(VALU_DEP_1)
	s_and_b32 s20, s14, s2
	s_lshl_b64 s[2:3], s[8:9], 3
	s_xor_b32 s18, s20, -1
	s_add_u32 s4, s21, s2
	s_addc_u32 s3, s22, s3
	s_and_b32 vcc_lo, exec_lo, s18
	s_cbranch_vccz .LBB555_2
; %bb.1:
	v_add_co_u32 v1, s2, s4, v47
	s_delay_alu instid0(VALU_DEP_1) | instskip(SKIP_1) | instid1(VALU_DEP_3)
	v_add_co_ci_u32_e64 v2, null, s3, 0, s2
	v_lshrrev_b32_e32 v26, 2, v21
	v_add_co_u32 v3, vcc_lo, 0x1000, v1
	s_delay_alu instid0(VALU_DEP_3)
	v_add_co_ci_u32_e32 v4, vcc_lo, 0, v2, vcc_lo
	v_add_co_u32 v5, vcc_lo, 0x2000, v1
	v_add_co_ci_u32_e32 v6, vcc_lo, 0, v2, vcc_lo
	v_add_co_u32 v7, vcc_lo, 0x3000, v1
	v_add_co_ci_u32_e32 v8, vcc_lo, 0, v2, vcc_lo
	v_add_co_u32 v9, vcc_lo, 0x4000, v1
	v_add_co_ci_u32_e32 v10, vcc_lo, 0, v2, vcc_lo
	v_add_co_u32 v11, vcc_lo, 0x5000, v1
	v_add_co_ci_u32_e32 v12, vcc_lo, 0, v2, vcc_lo
	v_add_co_u32 v13, vcc_lo, 0x6000, v1
	v_add_co_ci_u32_e32 v14, vcc_lo, 0, v2, vcc_lo
	v_add_co_u32 v15, vcc_lo, 0x7000, v1
	v_add_co_ci_u32_e32 v16, vcc_lo, 0, v2, vcc_lo
	s_clause 0x7
	flat_load_b64 v[1:2], v[1:2]
	flat_load_b64 v[3:4], v[3:4]
	;; [unrolled: 1-line block ×8, first 2 shown]
	v_lshrrev_b32_e32 v27, 2, v20
	v_lshrrev_b32_e32 v28, 2, v23
	;; [unrolled: 1-line block ×3, first 2 shown]
	v_and_b32_e32 v25, 0x78, v24
	v_lshrrev_b32_e32 v30, 2, v18
	v_lshrrev_b32_e32 v31, 2, v17
	;; [unrolled: 1-line block ×3, first 2 shown]
	v_and_b32_e32 v26, 0xf8, v26
	v_and_b32_e32 v27, 0x178, v27
	;; [unrolled: 1-line block ×4, first 2 shown]
	v_add_nc_u32_e32 v25, v25, v47
	v_and_b32_e32 v30, 0x2f8, v30
	v_and_b32_e32 v31, 0x378, v31
	;; [unrolled: 1-line block ×3, first 2 shown]
	v_add_nc_u32_e32 v26, v26, v47
	v_add_nc_u32_e32 v27, v27, v47
	;; [unrolled: 1-line block ×4, first 2 shown]
	s_mov_b32 s5, s9
	v_add_nc_u32_e32 v30, v30, v47
	v_add_nc_u32_e32 v31, v31, v47
	;; [unrolled: 1-line block ×3, first 2 shown]
	s_waitcnt vmcnt(7) lgkmcnt(0)
	ds_store_b64 v25, v[1:2]
	s_waitcnt vmcnt(6)
	ds_store_b64 v26, v[3:4] offset:4096
	s_waitcnt vmcnt(5)
	ds_store_b64 v27, v[5:6] offset:8192
	;; [unrolled: 2-line block ×7, first 2 shown]
	s_waitcnt lgkmcnt(0)
	s_barrier
.LBB555_2:
	v_cmp_gt_u32_e64 s2, s19, v0
	s_and_not1_b32 vcc_lo, exec_lo, s5
	s_cbranch_vccnz .LBB555_20
; %bb.3:
                                        ; implicit-def: $vgpr1_vgpr2_vgpr3_vgpr4_vgpr5_vgpr6_vgpr7_vgpr8_vgpr9_vgpr10_vgpr11_vgpr12_vgpr13_vgpr14_vgpr15_vgpr16
	s_delay_alu instid0(VALU_DEP_1)
	s_and_saveexec_b32 s5, s2
	s_cbranch_execz .LBB555_11
; %bb.4:
	v_add_co_u32 v1, s2, s4, v47
	s_delay_alu instid0(VALU_DEP_1) | instskip(SKIP_2) | instid1(SALU_CYCLE_1)
	v_add_co_ci_u32_e64 v2, null, s3, 0, s2
	flat_load_b64 v[1:2], v[1:2]
	s_or_b32 exec_lo, exec_lo, s5
	s_mov_b32 s2, exec_lo
	v_cmpx_gt_u32_e64 s19, v21
	s_cbranch_execnz .LBB555_12
.LBB555_5:
	s_or_b32 exec_lo, exec_lo, s2
	s_delay_alu instid0(SALU_CYCLE_1)
	s_mov_b32 s2, exec_lo
	v_cmpx_gt_u32_e64 s19, v20
	s_cbranch_execz .LBB555_13
.LBB555_6:
	v_lshlrev_b32_e32 v5, 3, v20
	s_delay_alu instid0(VALU_DEP_1) | instskip(NEXT) | instid1(VALU_DEP_1)
	v_add_co_u32 v5, s5, s4, v5
	v_add_co_ci_u32_e64 v6, null, s3, 0, s5
	flat_load_b64 v[5:6], v[5:6]
	s_or_b32 exec_lo, exec_lo, s2
	s_delay_alu instid0(SALU_CYCLE_1)
	s_mov_b32 s2, exec_lo
	v_cmpx_gt_u32_e64 s19, v23
	s_cbranch_execnz .LBB555_14
.LBB555_7:
	s_or_b32 exec_lo, exec_lo, s2
	s_delay_alu instid0(SALU_CYCLE_1)
	s_mov_b32 s2, exec_lo
	v_cmpx_gt_u32_e64 s19, v22
	s_cbranch_execz .LBB555_15
.LBB555_8:
	v_lshlrev_b32_e32 v9, 3, v22
	s_delay_alu instid0(VALU_DEP_1) | instskip(NEXT) | instid1(VALU_DEP_1)
	v_add_co_u32 v9, s5, s4, v9
	v_add_co_ci_u32_e64 v10, null, s3, 0, s5
	flat_load_b64 v[9:10], v[9:10]
	s_or_b32 exec_lo, exec_lo, s2
	s_delay_alu instid0(SALU_CYCLE_1)
	s_mov_b32 s2, exec_lo
	v_cmpx_gt_u32_e64 s19, v18
	s_cbranch_execnz .LBB555_16
.LBB555_9:
	s_or_b32 exec_lo, exec_lo, s2
	s_delay_alu instid0(SALU_CYCLE_1)
	s_mov_b32 s2, exec_lo
	v_cmpx_gt_u32_e64 s19, v17
	s_cbranch_execz .LBB555_17
.LBB555_10:
	v_lshlrev_b32_e32 v13, 3, v17
	s_delay_alu instid0(VALU_DEP_1) | instskip(NEXT) | instid1(VALU_DEP_1)
	v_add_co_u32 v13, s5, s4, v13
	v_add_co_ci_u32_e64 v14, null, s3, 0, s5
	flat_load_b64 v[13:14], v[13:14]
	s_or_b32 exec_lo, exec_lo, s2
	s_delay_alu instid0(SALU_CYCLE_1)
	s_mov_b32 s2, exec_lo
	v_cmpx_gt_u32_e64 s19, v19
	s_cbranch_execnz .LBB555_18
	s_branch .LBB555_19
.LBB555_11:
	s_or_b32 exec_lo, exec_lo, s5
	s_delay_alu instid0(SALU_CYCLE_1)
	s_mov_b32 s2, exec_lo
	v_cmpx_gt_u32_e64 s19, v21
	s_cbranch_execz .LBB555_5
.LBB555_12:
	v_lshlrev_b32_e32 v3, 3, v21
	s_delay_alu instid0(VALU_DEP_1) | instskip(NEXT) | instid1(VALU_DEP_1)
	v_add_co_u32 v3, s5, s4, v3
	v_add_co_ci_u32_e64 v4, null, s3, 0, s5
	flat_load_b64 v[3:4], v[3:4]
	s_or_b32 exec_lo, exec_lo, s2
	s_delay_alu instid0(SALU_CYCLE_1)
	s_mov_b32 s2, exec_lo
	v_cmpx_gt_u32_e64 s19, v20
	s_cbranch_execnz .LBB555_6
.LBB555_13:
	s_or_b32 exec_lo, exec_lo, s2
	s_delay_alu instid0(SALU_CYCLE_1)
	s_mov_b32 s2, exec_lo
	v_cmpx_gt_u32_e64 s19, v23
	s_cbranch_execz .LBB555_7
.LBB555_14:
	v_lshlrev_b32_e32 v7, 3, v23
	s_delay_alu instid0(VALU_DEP_1) | instskip(NEXT) | instid1(VALU_DEP_1)
	v_add_co_u32 v7, s5, s4, v7
	v_add_co_ci_u32_e64 v8, null, s3, 0, s5
	flat_load_b64 v[7:8], v[7:8]
	s_or_b32 exec_lo, exec_lo, s2
	s_delay_alu instid0(SALU_CYCLE_1)
	s_mov_b32 s2, exec_lo
	v_cmpx_gt_u32_e64 s19, v22
	s_cbranch_execnz .LBB555_8
.LBB555_15:
	s_or_b32 exec_lo, exec_lo, s2
	s_delay_alu instid0(SALU_CYCLE_1)
	s_mov_b32 s2, exec_lo
	v_cmpx_gt_u32_e64 s19, v18
	s_cbranch_execz .LBB555_9
.LBB555_16:
	v_lshlrev_b32_e32 v11, 3, v18
	s_delay_alu instid0(VALU_DEP_1) | instskip(NEXT) | instid1(VALU_DEP_1)
	v_add_co_u32 v11, s5, s4, v11
	v_add_co_ci_u32_e64 v12, null, s3, 0, s5
	flat_load_b64 v[11:12], v[11:12]
	s_or_b32 exec_lo, exec_lo, s2
	s_delay_alu instid0(SALU_CYCLE_1)
	s_mov_b32 s2, exec_lo
	v_cmpx_gt_u32_e64 s19, v17
	s_cbranch_execnz .LBB555_10
.LBB555_17:
	s_or_b32 exec_lo, exec_lo, s2
	s_delay_alu instid0(SALU_CYCLE_1)
	s_mov_b32 s2, exec_lo
	v_cmpx_gt_u32_e64 s19, v19
	s_cbranch_execz .LBB555_19
.LBB555_18:
	v_lshlrev_b32_e32 v15, 3, v19
	s_delay_alu instid0(VALU_DEP_1) | instskip(NEXT) | instid1(VALU_DEP_1)
	v_add_co_u32 v15, s5, s4, v15
	v_add_co_ci_u32_e64 v16, null, s3, 0, s5
	flat_load_b64 v[15:16], v[15:16]
.LBB555_19:
	s_or_b32 exec_lo, exec_lo, s2
	v_lshrrev_b32_e32 v25, 2, v21
	v_lshrrev_b32_e32 v26, 2, v20
	v_lshrrev_b32_e32 v28, 2, v23
	v_lshrrev_b32_e32 v29, 2, v22
	v_and_b32_e32 v27, 0x78, v24
	v_lshrrev_b32_e32 v30, 2, v18
	v_lshrrev_b32_e32 v31, 2, v17
	;; [unrolled: 1-line block ×3, first 2 shown]
	v_and_b32_e32 v25, 0xf8, v25
	v_and_b32_e32 v26, 0x1f8, v26
	;; [unrolled: 1-line block ×4, first 2 shown]
	v_add_nc_u32_e32 v27, v27, v47
	v_and_b32_e32 v30, 0x3f8, v30
	v_and_b32_e32 v31, 0x3f8, v31
	;; [unrolled: 1-line block ×3, first 2 shown]
	v_add_nc_u32_e32 v25, v25, v47
	v_add_nc_u32_e32 v26, v26, v47
	;; [unrolled: 1-line block ×7, first 2 shown]
	s_waitcnt vmcnt(0) lgkmcnt(0)
	ds_store_b64 v27, v[1:2]
	ds_store_b64 v25, v[3:4] offset:4096
	ds_store_b64 v26, v[5:6] offset:8192
	;; [unrolled: 1-line block ×7, first 2 shown]
	s_waitcnt lgkmcnt(0)
	s_barrier
.LBB555_20:
	v_add_nc_u32_e32 v24, v24, v47
	s_waitcnt lgkmcnt(0)
	buffer_gl0_inv
	s_lshl_b64 s[22:23], s[6:7], 2
	v_lshrrev_b32_e32 v26, 3, v0
	s_add_u32 s2, s12, s22
	v_lshlrev_b32_e32 v25, 3, v24
	s_addc_u32 s5, s13, s23
	s_lshl_b64 s[8:9], s[8:9], 2
	ds_load_2addr_b64 v[13:16], v25 offset1:1
	ds_load_2addr_b64 v[9:12], v25 offset0:2 offset1:3
	ds_load_2addr_b64 v[5:8], v25 offset0:4 offset1:5
	;; [unrolled: 1-line block ×3, first 2 shown]
	s_add_u32 s2, s2, s8
	s_addc_u32 s5, s5, s9
	s_and_b32 vcc_lo, exec_lo, s18
	s_mov_b32 s8, -1
	s_waitcnt lgkmcnt(0)
	s_barrier
	buffer_gl0_inv
	s_cbranch_vccz .LBB555_22
; %bb.21:
	v_lshlrev_b32_e32 v35, 2, v0
	v_lshrrev_b32_e32 v37, 3, v21
	v_lshrrev_b32_e32 v38, 3, v20
	v_lshrrev_b32_e32 v39, 3, v23
	v_lshrrev_b32_e32 v40, 3, v22
	v_add_co_u32 v27, s8, s2, v35
	s_delay_alu instid0(VALU_DEP_1) | instskip(SKIP_1) | instid1(VALU_DEP_3)
	v_add_co_ci_u32_e64 v28, null, s5, 0, s8
	v_lshrrev_b32_e32 v41, 3, v18
	v_add_co_u32 v29, vcc_lo, 0x1000, v27
	s_delay_alu instid0(VALU_DEP_3)
	v_add_co_ci_u32_e32 v30, vcc_lo, 0, v28, vcc_lo
	v_add_co_u32 v31, vcc_lo, 0x2000, v27
	v_add_co_ci_u32_e32 v32, vcc_lo, 0, v28, vcc_lo
	v_add_co_u32 v33, vcc_lo, 0x3000, v27
	v_add_co_ci_u32_e32 v34, vcc_lo, 0, v28, vcc_lo
	s_clause 0x7
	flat_load_b32 v36, v[27:28]
	flat_load_b32 v27, v[27:28] offset:2048
	flat_load_b32 v28, v[29:30]
	flat_load_b32 v29, v[29:30] offset:2048
	flat_load_b32 v30, v[31:32]
	flat_load_b32 v31, v[31:32] offset:2048
	flat_load_b32 v32, v[33:34]
	flat_load_b32 v33, v[33:34] offset:2048
	v_and_b32_e32 v34, 60, v26
	v_lshrrev_b32_e32 v42, 3, v17
	v_lshrrev_b32_e32 v43, 3, v19
	v_and_b32_e32 v37, 0x7c, v37
	v_and_b32_e32 v38, 0xbc, v38
	;; [unrolled: 1-line block ×4, first 2 shown]
	v_add_nc_u32_e32 v34, v34, v35
	v_and_b32_e32 v41, 0x17c, v41
	v_and_b32_e32 v42, 0x1bc, v42
	;; [unrolled: 1-line block ×3, first 2 shown]
	v_add_nc_u32_e32 v37, v37, v35
	v_add_nc_u32_e32 v38, v38, v35
	;; [unrolled: 1-line block ×4, first 2 shown]
	s_mov_b32 s8, 0
	v_add_nc_u32_e32 v41, v41, v35
	v_add_nc_u32_e32 v42, v42, v35
	;; [unrolled: 1-line block ×3, first 2 shown]
	s_waitcnt vmcnt(7) lgkmcnt(7)
	ds_store_b32 v34, v36
	s_waitcnt vmcnt(6) lgkmcnt(7)
	ds_store_b32 v37, v27 offset:2048
	s_waitcnt vmcnt(5) lgkmcnt(7)
	ds_store_b32 v38, v28 offset:4096
	;; [unrolled: 2-line block ×7, first 2 shown]
	s_waitcnt lgkmcnt(0)
	s_barrier
.LBB555_22:
	s_and_not1_b32 vcc_lo, exec_lo, s8
	s_cbranch_vccnz .LBB555_40
; %bb.23:
	s_mov_b32 s8, exec_lo
                                        ; implicit-def: $vgpr27
	v_cmpx_gt_u32_e64 s19, v0
	s_cbranch_execz .LBB555_25
; %bb.24:
	v_lshlrev_b32_e32 v27, 2, v0
	s_delay_alu instid0(VALU_DEP_1) | instskip(NEXT) | instid1(VALU_DEP_1)
	v_add_co_u32 v27, s9, s2, v27
	v_add_co_ci_u32_e64 v28, null, s5, 0, s9
	flat_load_b32 v27, v[27:28]
.LBB555_25:
	s_or_b32 exec_lo, exec_lo, s8
	s_delay_alu instid0(SALU_CYCLE_1)
	s_mov_b32 s8, exec_lo
                                        ; implicit-def: $vgpr28
	v_cmpx_gt_u32_e64 s19, v21
	s_cbranch_execz .LBB555_27
; %bb.26:
	v_lshlrev_b32_e32 v28, 2, v0
	s_delay_alu instid0(VALU_DEP_1) | instskip(NEXT) | instid1(VALU_DEP_1)
	v_add_co_u32 v28, s9, s2, v28
	v_add_co_ci_u32_e64 v29, null, s5, 0, s9
	flat_load_b32 v28, v[28:29] offset:2048
.LBB555_27:
	s_or_b32 exec_lo, exec_lo, s8
	s_delay_alu instid0(SALU_CYCLE_1)
	s_mov_b32 s8, exec_lo
                                        ; implicit-def: $vgpr29
	v_cmpx_gt_u32_e64 s19, v20
	s_cbranch_execz .LBB555_29
; %bb.28:
	v_lshlrev_b32_e32 v29, 2, v20
	s_delay_alu instid0(VALU_DEP_1) | instskip(NEXT) | instid1(VALU_DEP_1)
	v_add_co_u32 v29, s9, s2, v29
	v_add_co_ci_u32_e64 v30, null, s5, 0, s9
	flat_load_b32 v29, v[29:30]
.LBB555_29:
	s_or_b32 exec_lo, exec_lo, s8
	s_delay_alu instid0(SALU_CYCLE_1)
	s_mov_b32 s8, exec_lo
                                        ; implicit-def: $vgpr30
	v_cmpx_gt_u32_e64 s19, v23
	s_cbranch_execz .LBB555_31
; %bb.30:
	v_lshlrev_b32_e32 v30, 2, v23
	s_delay_alu instid0(VALU_DEP_1) | instskip(NEXT) | instid1(VALU_DEP_1)
	v_add_co_u32 v30, s9, s2, v30
	v_add_co_ci_u32_e64 v31, null, s5, 0, s9
	flat_load_b32 v30, v[30:31]
.LBB555_31:
	s_or_b32 exec_lo, exec_lo, s8
	s_delay_alu instid0(SALU_CYCLE_1)
	s_mov_b32 s8, exec_lo
                                        ; implicit-def: $vgpr31
	v_cmpx_gt_u32_e64 s19, v22
	s_cbranch_execz .LBB555_33
; %bb.32:
	v_lshlrev_b32_e32 v31, 2, v22
	s_delay_alu instid0(VALU_DEP_1) | instskip(NEXT) | instid1(VALU_DEP_1)
	v_add_co_u32 v31, s9, s2, v31
	v_add_co_ci_u32_e64 v32, null, s5, 0, s9
	flat_load_b32 v31, v[31:32]
.LBB555_33:
	s_or_b32 exec_lo, exec_lo, s8
	s_delay_alu instid0(SALU_CYCLE_1)
	s_mov_b32 s8, exec_lo
                                        ; implicit-def: $vgpr32
	v_cmpx_gt_u32_e64 s19, v18
	s_cbranch_execz .LBB555_35
; %bb.34:
	v_lshlrev_b32_e32 v32, 2, v18
	s_delay_alu instid0(VALU_DEP_1) | instskip(NEXT) | instid1(VALU_DEP_1)
	v_add_co_u32 v32, s9, s2, v32
	v_add_co_ci_u32_e64 v33, null, s5, 0, s9
	flat_load_b32 v32, v[32:33]
.LBB555_35:
	s_or_b32 exec_lo, exec_lo, s8
	s_delay_alu instid0(SALU_CYCLE_1)
	s_mov_b32 s8, exec_lo
                                        ; implicit-def: $vgpr33
	v_cmpx_gt_u32_e64 s19, v17
	s_cbranch_execz .LBB555_37
; %bb.36:
	v_lshlrev_b32_e32 v33, 2, v17
	s_delay_alu instid0(VALU_DEP_1) | instskip(NEXT) | instid1(VALU_DEP_1)
	v_add_co_u32 v33, s9, s2, v33
	v_add_co_ci_u32_e64 v34, null, s5, 0, s9
	flat_load_b32 v33, v[33:34]
.LBB555_37:
	s_or_b32 exec_lo, exec_lo, s8
	s_delay_alu instid0(SALU_CYCLE_1)
	s_mov_b32 s8, exec_lo
                                        ; implicit-def: $vgpr34
	v_cmpx_gt_u32_e64 s19, v19
	s_cbranch_execz .LBB555_39
; %bb.38:
	v_lshlrev_b32_e32 v34, 2, v19
	s_delay_alu instid0(VALU_DEP_1) | instskip(NEXT) | instid1(VALU_DEP_1)
	v_add_co_u32 v34, s2, s2, v34
	v_add_co_ci_u32_e64 v35, null, s5, 0, s2
	flat_load_b32 v34, v[34:35]
.LBB555_39:
	s_or_b32 exec_lo, exec_lo, s8
	v_lshrrev_b32_e32 v21, 3, v21
	v_lshrrev_b32_e32 v20, 3, v20
	;; [unrolled: 1-line block ×4, first 2 shown]
	v_and_b32_e32 v26, 60, v26
	v_lshlrev_b32_e32 v35, 2, v0
	v_lshrrev_b32_e32 v18, 3, v18
	v_lshrrev_b32_e32 v17, 3, v17
	;; [unrolled: 1-line block ×3, first 2 shown]
	v_and_b32_e32 v21, 0x7c, v21
	v_and_b32_e32 v20, 0xfc, v20
	;; [unrolled: 1-line block ×4, first 2 shown]
	v_add_nc_u32_e32 v26, v26, v35
	v_and_b32_e32 v18, 0x1fc, v18
	v_and_b32_e32 v17, 0x1fc, v17
	;; [unrolled: 1-line block ×3, first 2 shown]
	v_add_nc_u32_e32 v21, v21, v35
	v_add_nc_u32_e32 v20, v20, v35
	v_add_nc_u32_e32 v23, v23, v35
	v_add_nc_u32_e32 v22, v22, v35
	v_add_nc_u32_e32 v18, v18, v35
	v_add_nc_u32_e32 v17, v17, v35
	v_add_nc_u32_e32 v19, v19, v35
	s_waitcnt vmcnt(0) lgkmcnt(0)
	ds_store_b32 v26, v27
	ds_store_b32 v21, v28 offset:2048
	ds_store_b32 v20, v29 offset:4096
	ds_store_b32 v23, v30 offset:6144
	ds_store_b32 v22, v31 offset:8192
	ds_store_b32 v18, v32 offset:10240
	ds_store_b32 v17, v33 offset:12288
	ds_store_b32 v19, v34 offset:14336
	s_waitcnt lgkmcnt(0)
	s_barrier
.LBB555_40:
	v_lshlrev_b32_e32 v17, 2, v24
	buffer_gl0_inv
	s_cmp_lg_u32 s15, 0
	s_mov_b32 s12, 0
	s_cselect_b32 s9, -1, 0
	v_sub_nc_u32_e32 v17, v25, v17
	s_cmp_lg_u64 s[6:7], 0
	ds_load_2addr_b32 v[23:24], v17 offset1:1
	ds_load_2addr_b32 v[21:22], v17 offset0:2 offset1:3
	ds_load_2addr_b32 v[19:20], v17 offset0:4 offset1:5
	;; [unrolled: 1-line block ×3, first 2 shown]
	s_cselect_b32 s2, -1, 0
	s_waitcnt lgkmcnt(0)
	s_or_b32 s2, s9, s2
	s_barrier
	s_and_b32 vcc_lo, exec_lo, s2
	buffer_gl0_inv
	s_cbranch_vccz .LBB555_45
; %bb.41:
	v_add_co_u32 v25, s2, -8, s4
	s_delay_alu instid0(VALU_DEP_1)
	v_add_co_ci_u32_e64 v26, null, -1, s3, s2
	s_mov_b32 s3, -1
	s_and_b32 vcc_lo, exec_lo, s18
	flat_load_b64 v[27:28], v[25:26]
	ds_store_b64 v47, v[3:4]
	s_cbranch_vccz .LBB555_46
; %bb.42:
	s_waitcnt vmcnt(0) lgkmcnt(1)
	v_dual_mov_b32 v25, v27 :: v_dual_mov_b32 v26, v28
	s_mov_b32 s3, 0
	s_mov_b32 s2, exec_lo
	s_waitcnt lgkmcnt(0)
	s_barrier
	buffer_gl0_inv
	v_cmpx_ne_u32_e32 0, v0
	s_cbranch_execz .LBB555_44
; %bb.43:
	v_add_nc_u32_e32 v25, -8, v47
	ds_load_b64 v[25:26], v25
.LBB555_44:
	s_or_b32 exec_lo, exec_lo, s2
	v_cmp_ne_u64_e32 vcc_lo, v[1:2], v[3:4]
	s_waitcnt lgkmcnt(0)
	v_cmp_ne_u64_e64 s2, v[25:26], v[13:14]
	v_cndmask_b32_e64 v29, 0, 1, vcc_lo
	v_cmp_ne_u64_e32 vcc_lo, v[7:8], v[1:2]
	s_delay_alu instid0(VALU_DEP_2) | instskip(SKIP_2) | instid1(VALU_DEP_2)
	v_lshlrev_b16 v29, 8, v29
	v_cndmask_b32_e64 v30, 0, 1, vcc_lo
	v_cmp_ne_u64_e32 vcc_lo, v[5:6], v[7:8]
	v_or_b32_e32 v29, v30, v29
	v_cndmask_b32_e64 v31, 0, 1, vcc_lo
	v_cmp_ne_u64_e32 vcc_lo, v[9:10], v[11:12]
	s_delay_alu instid0(VALU_DEP_3) | instskip(NEXT) | instid1(VALU_DEP_3)
	v_lshlrev_b32_e32 v29, 16, v29
	v_lshlrev_b16 v31, 8, v31
	v_cndmask_b32_e64 v32, 0, 1, vcc_lo
	v_cmp_ne_u64_e32 vcc_lo, v[11:12], v[5:6]
	s_delay_alu instid0(VALU_DEP_2) | instskip(SKIP_2) | instid1(VALU_DEP_2)
	v_lshlrev_b16 v32, 8, v32
	v_cndmask_b32_e64 v33, 0, 1, vcc_lo
	v_cmp_ne_u64_e32 vcc_lo, v[15:16], v[9:10]
	v_or_b32_e32 v31, v33, v31
	v_cndmask_b32_e64 v34, 0, 1, vcc_lo
	v_cmp_ne_u64_e32 vcc_lo, v[13:14], v[15:16]
	s_delay_alu instid0(VALU_DEP_3) | instskip(NEXT) | instid1(VALU_DEP_3)
	v_and_b32_e32 v31, 0xffff, v31
	v_or_b32_e32 v32, v34, v32
	v_cndmask_b32_e64 v35, 0, 1, vcc_lo
	s_delay_alu instid0(VALU_DEP_3) | instskip(NEXT) | instid1(VALU_DEP_3)
	v_or_b32_e32 v26, v31, v29
	v_lshlrev_b32_e32 v30, 16, v32
	s_delay_alu instid0(VALU_DEP_3) | instskip(NEXT) | instid1(VALU_DEP_1)
	v_lshlrev_b16 v34, 8, v35
	v_and_b32_e32 v32, 0xffff, v34
	s_delay_alu instid0(VALU_DEP_1)
	v_or_b32_e32 v25, v32, v30
	s_and_b32 vcc_lo, exec_lo, s3
	s_cbranch_vccnz .LBB555_47
	s_branch .LBB555_50
.LBB555_45:
                                        ; implicit-def: $sgpr2
                                        ; implicit-def: $vgpr26
	s_branch .LBB555_51
.LBB555_46:
                                        ; implicit-def: $sgpr2
                                        ; implicit-def: $vgpr26
	s_and_b32 vcc_lo, exec_lo, s3
	s_cbranch_vccz .LBB555_50
.LBB555_47:
	s_mov_b32 s2, exec_lo
	s_waitcnt vmcnt(0) lgkmcnt(0)
	s_barrier
	buffer_gl0_inv
	v_cmpx_ne_u32_e32 0, v0
	s_cbranch_execz .LBB555_49
; %bb.48:
	v_add_nc_u32_e32 v25, -8, v47
	ds_load_b64 v[27:28], v25
.LBB555_49:
	s_or_b32 exec_lo, exec_lo, s2
	v_or_b32_e32 v25, 7, v47
	v_or_b32_e32 v26, 6, v47
	v_cmp_ne_u64_e32 vcc_lo, v[1:2], v[3:4]
	v_or_b32_e32 v29, 5, v47
	v_cmp_ne_u64_e64 s3, v[7:8], v[1:2]
	v_cmp_gt_u32_e64 s2, s19, v25
	v_cmp_gt_u32_e64 s4, s19, v26
	v_cmp_ne_u64_e64 s5, v[5:6], v[7:8]
	v_cmp_gt_u32_e64 s6, s19, v29
	v_or_b32_e32 v29, 3, v47
	s_and_b32 s2, s2, vcc_lo
	v_or_b32_e32 v30, 4, v47
	v_cndmask_b32_e64 v25, 0, 1, s2
	s_and_b32 s2, s4, s3
	v_cmp_ne_u64_e32 vcc_lo, v[9:10], v[11:12]
	v_cndmask_b32_e64 v26, 0, 1, s2
	s_and_b32 s2, s6, s5
	v_cmp_gt_u32_e64 s3, s19, v30
	v_cndmask_b32_e64 v31, 0, 1, s2
	v_cmp_gt_u32_e64 s2, s19, v29
	v_or_b32_e32 v29, 2, v47
	v_or_b32_e32 v30, 1, v47
	v_cmp_ne_u64_e64 s4, v[11:12], v[5:6]
	v_cmp_ne_u64_e64 s6, v[13:14], v[15:16]
	s_and_b32 s2, s2, vcc_lo
	v_cmp_ne_u64_e32 vcc_lo, v[15:16], v[9:10]
	v_cndmask_b32_e64 v32, 0, 1, s2
	v_cmp_gt_u32_e64 s2, s19, v29
	v_cmp_gt_u32_e64 s5, s19, v30
	s_and_b32 s3, s3, s4
	v_lshlrev_b16 v31, 8, v31
	v_cndmask_b32_e64 v29, 0, 1, s3
	s_and_b32 s2, s2, vcc_lo
	v_lshlrev_b16 v32, 8, v32
	v_cndmask_b32_e64 v30, 0, 1, s2
	s_and_b32 s2, s5, s6
	v_lshlrev_b16 v25, 8, v25
	v_cndmask_b32_e64 v33, 0, 1, s2
	v_or_b32_e32 v29, v29, v31
	v_or_b32_e32 v30, v30, v32
	s_waitcnt lgkmcnt(0)
	v_cmp_ne_u64_e32 vcc_lo, v[27:28], v[13:14]
	v_or_b32_e32 v25, v26, v25
	v_lshlrev_b16 v32, 8, v33
	v_and_b32_e32 v29, 0xffff, v29
	v_lshlrev_b32_e32 v26, 16, v30
	v_cmp_gt_u32_e64 s2, s19, v47
	v_lshlrev_b32_e32 v31, 16, v25
	v_and_b32_e32 v30, 0xffff, v32
	s_delay_alu instid0(VALU_DEP_3) | instskip(NEXT) | instid1(VALU_DEP_1)
	s_and_b32 s2, s2, vcc_lo
	v_or_b32_e32 v25, v30, v26
	s_delay_alu instid0(VALU_DEP_3)
	v_or_b32_e32 v26, v29, v31
.LBB555_50:
	s_mov_b32 s12, -1
	s_cbranch_execnz .LBB555_59
.LBB555_51:
	v_cmp_ne_u64_e64 s3, v[1:2], v[3:4]
	v_cmp_ne_u64_e64 s4, v[7:8], v[1:2]
	;; [unrolled: 1-line block ×7, first 2 shown]
	s_and_b32 vcc_lo, exec_lo, s18
	ds_store_b64 v47, v[3:4]
	s_cbranch_vccz .LBB555_55
; %bb.52:
	v_cndmask_b32_e64 v25, 0, 1, s3
	s_waitcnt vmcnt(0) lgkmcnt(2)
	v_cndmask_b32_e64 v27, 0, 1, s5
	v_cndmask_b32_e64 v29, 0, 1, s7
	;; [unrolled: 1-line block ×6, first 2 shown]
	v_lshlrev_b16 v27, 8, v27
	v_lshlrev_b16 v25, 8, v25
	;; [unrolled: 1-line block ×4, first 2 shown]
	s_mov_b32 s3, 0
	v_or_b32_e32 v27, v28, v27
	v_or_b32_e32 v25, v26, v25
	;; [unrolled: 1-line block ×4, first 2 shown]
	s_mov_b32 s4, exec_lo
	v_and_b32_e32 v27, 0xffff, v27
	v_lshlrev_b32_e32 v25, 16, v25
	v_lshlrev_b32_e32 v29, 16, v26
	v_and_b32_e32 v28, 0xffff, v28
	s_waitcnt lgkmcnt(0)
	s_barrier
	v_or_b32_e32 v26, v27, v25
	buffer_gl0_inv
	v_or_b32_e32 v25, v28, v29
                                        ; implicit-def: $sgpr2
	v_cmpx_ne_u32_e32 0, v0
	s_xor_b32 s4, exec_lo, s4
	s_cbranch_execz .LBB555_54
; %bb.53:
	v_add_nc_u32_e32 v27, -8, v47
	s_or_b32 s12, s12, exec_lo
	ds_load_b64 v[27:28], v27
	s_waitcnt lgkmcnt(0)
	v_cmp_ne_u64_e32 vcc_lo, v[27:28], v[13:14]
	s_and_b32 s2, vcc_lo, exec_lo
.LBB555_54:
	s_or_b32 exec_lo, exec_lo, s4
	s_delay_alu instid0(SALU_CYCLE_1)
	s_and_b32 vcc_lo, exec_lo, s3
	s_cbranch_vccnz .LBB555_56
	s_branch .LBB555_59
.LBB555_55:
                                        ; implicit-def: $sgpr2
                                        ; implicit-def: $vgpr26
	s_cbranch_execz .LBB555_59
.LBB555_56:
	v_or_b32_e32 v25, 7, v47
	v_or_b32_e32 v26, 6, v47
	v_cmp_ne_u64_e32 vcc_lo, v[1:2], v[3:4]
	v_cmp_ne_u64_e64 s2, v[7:8], v[1:2]
	s_waitcnt vmcnt(0) lgkmcnt(2)
	v_or_b32_e32 v27, 4, v47
	v_cmp_gt_u32_e64 s3, s19, v25
	v_or_b32_e32 v25, 5, v47
	v_cmp_gt_u32_e64 s5, s19, v26
	v_cmp_ne_u64_e64 s4, v[5:6], v[7:8]
	v_cmp_ne_u64_e64 s6, v[11:12], v[5:6]
	s_and_b32 s3, s3, vcc_lo
	v_cmp_gt_u32_e32 vcc_lo, s19, v25
	v_cndmask_b32_e64 v26, 0, 1, s3
	v_cmp_gt_u32_e64 s3, s19, v27
	s_and_b32 s2, s5, s2
	v_or_b32_e32 v28, 3, v47
	v_cndmask_b32_e64 v25, 0, 1, s2
	s_and_b32 s2, vcc_lo, s4
	v_or_b32_e32 v30, 1, v47
	v_cndmask_b32_e64 v27, 0, 1, s2
	s_and_b32 s2, s3, s6
	v_cmp_ne_u64_e32 vcc_lo, v[9:10], v[11:12]
	v_cndmask_b32_e64 v29, 0, 1, s2
	v_cmp_gt_u32_e64 s2, s19, v28
	v_cmp_ne_u64_e64 s3, v[13:14], v[15:16]
	v_or_b32_e32 v31, 2, v47
	v_cmp_gt_u32_e64 s4, s19, v30
	v_cmp_ne_u64_e64 s5, v[15:16], v[9:10]
	s_and_b32 s2, s2, vcc_lo
	v_lshlrev_b16 v27, 8, v27
	v_cmp_gt_u32_e64 s6, s19, v31
	v_cndmask_b32_e64 v28, 0, 1, s2
	s_and_b32 s2, s4, s3
	v_lshlrev_b16 v26, 8, v26
	v_cndmask_b32_e64 v30, 0, 1, s2
	s_and_b32 s2, s6, s5
	v_lshlrev_b16 v28, 8, v28
	v_cndmask_b32_e64 v31, 0, 1, s2
	v_or_b32_e32 v27, v29, v27
	v_lshlrev_b16 v30, 8, v30
	v_or_b32_e32 v25, v25, v26
	s_mov_b32 s3, exec_lo
	v_or_b32_e32 v26, v31, v28
	v_and_b32_e32 v27, 0xffff, v27
	v_or_b32_e32 v28, 1, v30
	v_lshlrev_b32_e32 v25, 16, v25
	s_waitcnt lgkmcnt(0)
	v_lshlrev_b32_e32 v29, 16, v26
	s_barrier
	v_and_b32_e32 v28, 0xffff, v28
	v_or_b32_e32 v26, v27, v25
	buffer_gl0_inv
                                        ; implicit-def: $sgpr2
	v_or_b32_e32 v25, v28, v29
	v_cmpx_ne_u32_e32 0, v0
	s_cbranch_execz .LBB555_58
; %bb.57:
	v_add_nc_u32_e32 v27, -8, v47
	v_cmp_gt_u32_e64 s2, s19, v47
	s_or_b32 s12, s12, exec_lo
	ds_load_b64 v[27:28], v27
	s_waitcnt lgkmcnt(0)
	v_cmp_ne_u64_e32 vcc_lo, v[27:28], v[13:14]
	s_and_b32 s2, s2, vcc_lo
	s_delay_alu instid0(SALU_CYCLE_1)
	s_and_b32 s2, s2, exec_lo
.LBB555_58:
	s_or_b32 exec_lo, exec_lo, s3
.LBB555_59:
	s_and_saveexec_b32 s3, s12
	s_cbranch_execz .LBB555_61
; %bb.60:
	s_waitcnt vmcnt(0) lgkmcnt(1)
	v_and_b32_e32 v27, 0xffffff00, v25
	v_cndmask_b32_e64 v28, 0, 1, s2
	s_delay_alu instid0(VALU_DEP_1) | instskip(NEXT) | instid1(VALU_DEP_1)
	v_or_b32_e32 v27, v28, v27
	v_and_b32_e32 v27, 0xffff, v27
	s_delay_alu instid0(VALU_DEP_1)
	v_and_or_b32 v25, 0xffff0000, v25, v27
.LBB555_61:
	s_or_b32 exec_lo, exec_lo, s3
	s_load_b64 s[12:13], s[0:1], 0x60
	s_and_not1_b32 vcc_lo, exec_lo, s20
	s_cbranch_vccnz .LBB555_63
; %bb.62:
	v_cmp_gt_u32_e32 vcc_lo, s19, v47
	s_waitcnt vmcnt(0) lgkmcnt(0)
	v_or_b32_e32 v28, 1, v47
	v_and_b32_e32 v29, 0xffffff00, v26
	v_or_b32_e32 v30, 2, v47
	v_cndmask_b32_e32 v27, 0, v25, vcc_lo
	s_delay_alu instid0(VALU_DEP_4) | instskip(SKIP_1) | instid1(VALU_DEP_4)
	v_cmp_gt_u32_e32 vcc_lo, s19, v28
	v_or_b32_e32 v28, 4, v47
	v_cmp_gt_u32_e64 s2, s19, v30
	v_or_b32_e32 v30, 3, v47
	v_and_b32_e32 v27, 0xff, v27
	s_delay_alu instid0(VALU_DEP_2) | instskip(NEXT) | instid1(VALU_DEP_2)
	v_cmp_gt_u32_e64 s3, s19, v30
	v_cndmask_b32_e32 v27, v27, v25, vcc_lo
	v_cmp_gt_u32_e32 vcc_lo, s19, v28
	v_cndmask_b32_e32 v28, v29, v26, vcc_lo
	v_or_b32_e32 v29, 5, v47
	s_delay_alu instid0(VALU_DEP_2) | instskip(SKIP_1) | instid1(VALU_DEP_1)
	v_and_b32_e32 v28, 0xffff00ff, v28
	v_and_b32_e32 v27, 0xffff, v27
	v_cndmask_b32_e64 v27, v27, v25, s2
	s_delay_alu instid0(VALU_DEP_4) | instskip(SKIP_1) | instid1(VALU_DEP_3)
	v_cmp_gt_u32_e64 s2, s19, v29
	v_or_b32_e32 v29, 6, v47
	v_and_b32_e32 v27, 0xffffff, v27
	s_delay_alu instid0(VALU_DEP_3) | instskip(NEXT) | instid1(VALU_DEP_2)
	v_cndmask_b32_e64 v28, v28, v26, s2
	v_cndmask_b32_e64 v27, v27, v25, s3
	s_delay_alu instid0(VALU_DEP_1) | instskip(SKIP_2) | instid1(VALU_DEP_3)
	v_dual_cndmask_b32 v27, v27, v25 :: v_dual_and_b32 v28, 0xff00ffff, v28
	v_cmp_gt_u32_e32 vcc_lo, s19, v29
	v_or_b32_e32 v29, 7, v47
	v_cndmask_b32_e64 v27, v27, v25, s2
	s_delay_alu instid0(VALU_DEP_1) | instskip(NEXT) | instid1(VALU_DEP_1)
	v_dual_cndmask_b32 v28, v28, v26 :: v_dual_cndmask_b32 v27, v27, v25
	v_and_b32_e32 v28, 0xffffff, v28
	s_delay_alu instid0(VALU_DEP_4) | instskip(NEXT) | instid1(VALU_DEP_2)
	v_cmp_gt_u32_e32 vcc_lo, s19, v29
	v_dual_cndmask_b32 v26, v28, v26 :: v_dual_cndmask_b32 v25, v27, v25
.LBB555_63:
	s_delay_alu instid0(VALU_DEP_1) | instskip(SKIP_1) | instid1(VALU_DEP_2)
	v_and_b32_e32 v36, 0xff, v25
	s_waitcnt vmcnt(0) lgkmcnt(0)
	v_alignbit_b32 v27, v26, v25, 24
	v_bfe_u32 v38, v25, 8, 8
	v_bfe_u32 v40, v25, 16, 8
	v_and_b32_e32 v44, 0xff, v26
	v_bfe_u32 v46, v26, 8, 8
	v_and_b32_e32 v42, 0xff, v27
	v_add_nc_u32_e32 v27, v38, v36
	v_mbcnt_lo_u32_b32 v50, -1, 0
	v_bfe_u32 v49, v26, 16, 8
	v_lshrrev_b32_e32 v48, 24, v26
	v_lshrrev_b32_e32 v51, 5, v0
	v_add3_u32 v27, v27, v40, v42
	v_and_b32_e32 v28, 15, v50
	v_and_b32_e32 v29, 16, v50
	s_and_b32 vcc_lo, exec_lo, s9
	s_mov_b32 s9, -1
	v_add3_u32 v27, v27, v44, v46
	v_cmp_eq_u32_e64 s4, 0, v28
	v_cmp_lt_u32_e64 s2, 1, v28
	v_cmp_lt_u32_e64 s5, 3, v28
	;; [unrolled: 1-line block ×3, first 2 shown]
	v_add3_u32 v52, v27, v49, v48
	v_or_b32_e32 v27, 31, v0
	v_cmp_eq_u32_e64 s7, 0, v29
	s_barrier
	buffer_gl0_inv
	v_cmp_eq_u32_e64 s6, v27, v0
	s_cbranch_vccz .LBB555_94
; %bb.64:
	v_mov_b32_dpp v27, v52 row_shr:1 row_mask:0xf bank_mask:0xf
	s_delay_alu instid0(VALU_DEP_1) | instskip(NEXT) | instid1(VALU_DEP_1)
	v_cndmask_b32_e64 v27, v27, 0, s4
	v_add_nc_u32_e32 v27, v27, v52
	s_delay_alu instid0(VALU_DEP_1) | instskip(NEXT) | instid1(VALU_DEP_1)
	v_mov_b32_dpp v28, v27 row_shr:2 row_mask:0xf bank_mask:0xf
	v_cndmask_b32_e64 v28, 0, v28, s2
	s_delay_alu instid0(VALU_DEP_1) | instskip(NEXT) | instid1(VALU_DEP_1)
	v_add_nc_u32_e32 v27, v27, v28
	v_mov_b32_dpp v28, v27 row_shr:4 row_mask:0xf bank_mask:0xf
	s_delay_alu instid0(VALU_DEP_1) | instskip(NEXT) | instid1(VALU_DEP_1)
	v_cndmask_b32_e64 v28, 0, v28, s5
	v_add_nc_u32_e32 v27, v27, v28
	s_delay_alu instid0(VALU_DEP_1) | instskip(NEXT) | instid1(VALU_DEP_1)
	v_mov_b32_dpp v28, v27 row_shr:8 row_mask:0xf bank_mask:0xf
	v_cndmask_b32_e64 v28, 0, v28, s3
	s_delay_alu instid0(VALU_DEP_1) | instskip(SKIP_3) | instid1(VALU_DEP_1)
	v_add_nc_u32_e32 v27, v27, v28
	ds_swizzle_b32 v28, v27 offset:swizzle(BROADCAST,32,15)
	s_waitcnt lgkmcnt(0)
	v_cndmask_b32_e64 v28, v28, 0, s7
	v_add_nc_u32_e32 v27, v27, v28
	s_and_saveexec_b32 s8, s6
	s_cbranch_execz .LBB555_66
; %bb.65:
	v_lshlrev_b32_e32 v28, 2, v51
	ds_store_b32 v28, v27
.LBB555_66:
	s_or_b32 exec_lo, exec_lo, s8
	s_delay_alu instid0(SALU_CYCLE_1)
	s_mov_b32 s8, exec_lo
	s_waitcnt lgkmcnt(0)
	s_barrier
	buffer_gl0_inv
	v_cmpx_gt_u32_e32 16, v0
	s_cbranch_execz .LBB555_68
; %bb.67:
	v_lshlrev_b32_e32 v28, 2, v0
	ds_load_b32 v29, v28
	s_waitcnt lgkmcnt(0)
	v_mov_b32_dpp v30, v29 row_shr:1 row_mask:0xf bank_mask:0xf
	s_delay_alu instid0(VALU_DEP_1) | instskip(NEXT) | instid1(VALU_DEP_1)
	v_cndmask_b32_e64 v30, v30, 0, s4
	v_add_nc_u32_e32 v29, v30, v29
	s_delay_alu instid0(VALU_DEP_1) | instskip(NEXT) | instid1(VALU_DEP_1)
	v_mov_b32_dpp v30, v29 row_shr:2 row_mask:0xf bank_mask:0xf
	v_cndmask_b32_e64 v30, 0, v30, s2
	s_delay_alu instid0(VALU_DEP_1) | instskip(NEXT) | instid1(VALU_DEP_1)
	v_add_nc_u32_e32 v29, v29, v30
	v_mov_b32_dpp v30, v29 row_shr:4 row_mask:0xf bank_mask:0xf
	s_delay_alu instid0(VALU_DEP_1) | instskip(NEXT) | instid1(VALU_DEP_1)
	v_cndmask_b32_e64 v30, 0, v30, s5
	v_add_nc_u32_e32 v29, v29, v30
	s_delay_alu instid0(VALU_DEP_1) | instskip(NEXT) | instid1(VALU_DEP_1)
	v_mov_b32_dpp v30, v29 row_shr:8 row_mask:0xf bank_mask:0xf
	v_cndmask_b32_e64 v30, 0, v30, s3
	s_delay_alu instid0(VALU_DEP_1)
	v_add_nc_u32_e32 v29, v29, v30
	ds_store_b32 v28, v29
.LBB555_68:
	s_or_b32 exec_lo, exec_lo, s8
	v_cmp_gt_u32_e32 vcc_lo, 32, v0
	s_mov_b32 s9, exec_lo
	s_waitcnt lgkmcnt(0)
	s_barrier
	buffer_gl0_inv
                                        ; implicit-def: $vgpr35
	v_cmpx_lt_u32_e32 31, v0
	s_cbranch_execz .LBB555_70
; %bb.69:
	v_lshl_add_u32 v28, v51, 2, -4
	ds_load_b32 v35, v28
	s_waitcnt lgkmcnt(0)
	v_add_nc_u32_e32 v27, v35, v27
.LBB555_70:
	s_or_b32 exec_lo, exec_lo, s9
	v_add_nc_u32_e32 v28, -1, v50
	s_delay_alu instid0(VALU_DEP_1) | instskip(NEXT) | instid1(VALU_DEP_1)
	v_cmp_gt_i32_e64 s8, 0, v28
	v_cndmask_b32_e64 v28, v28, v50, s8
	v_cmp_eq_u32_e64 s8, 0, v50
	s_delay_alu instid0(VALU_DEP_2)
	v_lshlrev_b32_e32 v28, 2, v28
	ds_bpermute_b32 v37, v28, v27
	s_and_saveexec_b32 s9, vcc_lo
	s_cbranch_execz .LBB555_93
; %bb.71:
	v_mov_b32_e32 v31, 0
	ds_load_b32 v27, v31 offset:60
	s_and_saveexec_b32 s19, s8
	s_cbranch_execz .LBB555_73
; %bb.72:
	s_add_i32 s20, s15, 32
	s_mov_b32 s21, 0
	v_mov_b32_e32 v28, 1
	s_lshl_b64 s[20:21], s[20:21], 3
	s_delay_alu instid0(SALU_CYCLE_1)
	s_add_u32 s20, s12, s20
	s_addc_u32 s21, s13, s21
	s_waitcnt lgkmcnt(0)
	global_store_b64 v31, v[27:28], s[20:21]
.LBB555_73:
	s_or_b32 exec_lo, exec_lo, s19
	v_xad_u32 v29, v50, -1, s15
	s_mov_b32 s20, 0
	s_mov_b32 s19, exec_lo
	s_delay_alu instid0(VALU_DEP_1) | instskip(NEXT) | instid1(VALU_DEP_1)
	v_add_nc_u32_e32 v30, 32, v29
	v_lshlrev_b64 v[30:31], 3, v[30:31]
	s_delay_alu instid0(VALU_DEP_1) | instskip(NEXT) | instid1(VALU_DEP_2)
	v_add_co_u32 v33, vcc_lo, s12, v30
	v_add_co_ci_u32_e32 v34, vcc_lo, s13, v31, vcc_lo
	global_load_b64 v[31:32], v[33:34], off glc
	s_waitcnt vmcnt(0)
	v_and_b32_e32 v28, 0xff, v32
	s_delay_alu instid0(VALU_DEP_1)
	v_cmpx_eq_u16_e32 0, v28
	s_cbranch_execz .LBB555_79
; %bb.74:
	s_mov_b32 s21, 1
	.p2align	6
.LBB555_75:                             ; =>This Loop Header: Depth=1
                                        ;     Child Loop BB555_76 Depth 2
	s_delay_alu instid0(SALU_CYCLE_1)
	s_max_u32 s22, s21, 1
.LBB555_76:                             ;   Parent Loop BB555_75 Depth=1
                                        ; =>  This Inner Loop Header: Depth=2
	s_delay_alu instid0(SALU_CYCLE_1)
	s_add_i32 s22, s22, -1
	s_sleep 1
	s_cmp_eq_u32 s22, 0
	s_cbranch_scc0 .LBB555_76
; %bb.77:                               ;   in Loop: Header=BB555_75 Depth=1
	global_load_b64 v[31:32], v[33:34], off glc
	s_cmp_lt_u32 s21, 32
	s_cselect_b32 s22, -1, 0
	s_delay_alu instid0(SALU_CYCLE_1) | instskip(SKIP_3) | instid1(VALU_DEP_1)
	s_cmp_lg_u32 s22, 0
	s_addc_u32 s21, s21, 0
	s_waitcnt vmcnt(0)
	v_and_b32_e32 v28, 0xff, v32
	v_cmp_ne_u16_e32 vcc_lo, 0, v28
	s_or_b32 s20, vcc_lo, s20
	s_delay_alu instid0(SALU_CYCLE_1)
	s_and_not1_b32 exec_lo, exec_lo, s20
	s_cbranch_execnz .LBB555_75
; %bb.78:
	s_or_b32 exec_lo, exec_lo, s20
.LBB555_79:
	s_delay_alu instid0(SALU_CYCLE_1)
	s_or_b32 exec_lo, exec_lo, s19
	v_cmp_ne_u32_e32 vcc_lo, 31, v50
	v_lshlrev_b32_e64 v41, v50, -1
	v_add_nc_u32_e32 v45, 2, v50
	v_add_nc_u32_e32 v58, 16, v50
	v_add_co_ci_u32_e32 v28, vcc_lo, 0, v50, vcc_lo
	s_delay_alu instid0(VALU_DEP_1)
	v_lshlrev_b32_e32 v39, 2, v28
	v_and_b32_e32 v28, 0xff, v32
	ds_bpermute_b32 v30, v39, v31
	v_cmp_eq_u16_e32 vcc_lo, 2, v28
	v_and_or_b32 v28, vcc_lo, v41, 0x80000000
	v_cmp_gt_u32_e32 vcc_lo, 30, v50
	s_delay_alu instid0(VALU_DEP_2) | instskip(SKIP_1) | instid1(VALU_DEP_2)
	v_ctz_i32_b32_e32 v28, v28
	v_cndmask_b32_e64 v33, 0, 1, vcc_lo
	v_cmp_lt_u32_e32 vcc_lo, v50, v28
	s_waitcnt lgkmcnt(0)
	s_delay_alu instid0(VALU_DEP_2) | instskip(NEXT) | instid1(VALU_DEP_1)
	v_dual_cndmask_b32 v30, 0, v30 :: v_dual_lshlrev_b32 v33, 1, v33
	v_add_lshl_u32 v43, v33, v50, 2
	v_cmp_gt_u32_e32 vcc_lo, 28, v50
	s_delay_alu instid0(VALU_DEP_3) | instskip(SKIP_4) | instid1(VALU_DEP_1)
	v_add_nc_u32_e32 v30, v30, v31
	v_cndmask_b32_e64 v33, 0, 1, vcc_lo
	v_cmp_le_u32_e32 vcc_lo, v45, v28
	ds_bpermute_b32 v31, v43, v30
	v_lshlrev_b32_e32 v33, 2, v33
	v_add_lshl_u32 v53, v33, v50, 2
	s_waitcnt lgkmcnt(0)
	v_cndmask_b32_e32 v31, 0, v31, vcc_lo
	v_cmp_gt_u32_e32 vcc_lo, 24, v50
	s_delay_alu instid0(VALU_DEP_2) | instskip(SKIP_4) | instid1(VALU_DEP_2)
	v_add_nc_u32_e32 v30, v30, v31
	v_cndmask_b32_e64 v33, 0, 1, vcc_lo
	ds_bpermute_b32 v31, v53, v30
	v_add_nc_u32_e32 v54, 4, v50
	v_lshlrev_b32_e32 v33, 3, v33
	v_cmp_le_u32_e32 vcc_lo, v54, v28
	s_delay_alu instid0(VALU_DEP_2) | instskip(SKIP_3) | instid1(VALU_DEP_2)
	v_add_lshl_u32 v55, v33, v50, 2
	s_waitcnt lgkmcnt(0)
	v_cndmask_b32_e32 v31, 0, v31, vcc_lo
	v_cmp_gt_u32_e32 vcc_lo, 16, v50
	v_add_nc_u32_e32 v30, v30, v31
	v_cndmask_b32_e64 v33, 0, 1, vcc_lo
	ds_bpermute_b32 v31, v55, v30
	v_add_nc_u32_e32 v56, 8, v50
	v_lshlrev_b32_e32 v33, 4, v33
	s_delay_alu instid0(VALU_DEP_2) | instskip(NEXT) | instid1(VALU_DEP_2)
	v_cmp_le_u32_e32 vcc_lo, v56, v28
	v_add_lshl_u32 v57, v33, v50, 2
	s_waitcnt lgkmcnt(0)
	v_cndmask_b32_e32 v31, 0, v31, vcc_lo
	v_cmp_le_u32_e32 vcc_lo, v58, v28
	s_delay_alu instid0(VALU_DEP_2) | instskip(SKIP_3) | instid1(VALU_DEP_1)
	v_add_nc_u32_e32 v30, v30, v31
	ds_bpermute_b32 v31, v57, v30
	s_waitcnt lgkmcnt(0)
	v_cndmask_b32_e32 v28, 0, v31, vcc_lo
	v_dual_mov_b32 v30, 0 :: v_dual_add_nc_u32 v31, v30, v28
	s_branch .LBB555_81
.LBB555_80:                             ;   in Loop: Header=BB555_81 Depth=1
	s_or_b32 exec_lo, exec_lo, s19
	ds_bpermute_b32 v34, v39, v31
	v_and_b32_e32 v33, 0xff, v32
	v_subrev_nc_u32_e32 v29, 32, v29
	s_delay_alu instid0(VALU_DEP_2) | instskip(SKIP_1) | instid1(VALU_DEP_1)
	v_cmp_eq_u16_e32 vcc_lo, 2, v33
	v_and_or_b32 v33, vcc_lo, v41, 0x80000000
	v_ctz_i32_b32_e32 v33, v33
	s_delay_alu instid0(VALU_DEP_1) | instskip(SKIP_3) | instid1(VALU_DEP_2)
	v_cmp_lt_u32_e32 vcc_lo, v50, v33
	s_waitcnt lgkmcnt(0)
	v_cndmask_b32_e32 v34, 0, v34, vcc_lo
	v_cmp_le_u32_e32 vcc_lo, v45, v33
	v_add_nc_u32_e32 v31, v34, v31
	ds_bpermute_b32 v34, v43, v31
	s_waitcnt lgkmcnt(0)
	v_cndmask_b32_e32 v34, 0, v34, vcc_lo
	v_cmp_le_u32_e32 vcc_lo, v54, v33
	s_delay_alu instid0(VALU_DEP_2) | instskip(SKIP_4) | instid1(VALU_DEP_2)
	v_add_nc_u32_e32 v31, v31, v34
	ds_bpermute_b32 v34, v53, v31
	s_waitcnt lgkmcnt(0)
	v_cndmask_b32_e32 v34, 0, v34, vcc_lo
	v_cmp_le_u32_e32 vcc_lo, v56, v33
	v_add_nc_u32_e32 v31, v31, v34
	ds_bpermute_b32 v34, v55, v31
	s_waitcnt lgkmcnt(0)
	v_cndmask_b32_e32 v34, 0, v34, vcc_lo
	v_cmp_le_u32_e32 vcc_lo, v58, v33
	s_delay_alu instid0(VALU_DEP_2) | instskip(SKIP_3) | instid1(VALU_DEP_1)
	v_add_nc_u32_e32 v31, v31, v34
	ds_bpermute_b32 v34, v57, v31
	s_waitcnt lgkmcnt(0)
	v_cndmask_b32_e32 v33, 0, v34, vcc_lo
	v_add3_u32 v31, v33, v28, v31
.LBB555_81:                             ; =>This Loop Header: Depth=1
                                        ;     Child Loop BB555_84 Depth 2
                                        ;       Child Loop BB555_85 Depth 3
	v_and_b32_e32 v28, 0xff, v32
	s_delay_alu instid0(VALU_DEP_1) | instskip(SKIP_2) | instid1(VALU_DEP_1)
	v_cmp_ne_u16_e32 vcc_lo, 2, v28
	v_cndmask_b32_e64 v28, 0, 1, vcc_lo
	;;#ASMSTART
	;;#ASMEND
	v_cmp_ne_u32_e32 vcc_lo, 0, v28
	v_mov_b32_e32 v28, v31
	s_cmp_lg_u32 vcc_lo, exec_lo
	s_cbranch_scc1 .LBB555_88
; %bb.82:                               ;   in Loop: Header=BB555_81 Depth=1
	v_lshlrev_b64 v[31:32], 3, v[29:30]
	s_mov_b32 s19, exec_lo
	s_delay_alu instid0(VALU_DEP_1) | instskip(NEXT) | instid1(VALU_DEP_2)
	v_add_co_u32 v33, vcc_lo, s12, v31
	v_add_co_ci_u32_e32 v34, vcc_lo, s13, v32, vcc_lo
	global_load_b64 v[31:32], v[33:34], off glc
	s_waitcnt vmcnt(0)
	v_and_b32_e32 v59, 0xff, v32
	s_delay_alu instid0(VALU_DEP_1)
	v_cmpx_eq_u16_e32 0, v59
	s_cbranch_execz .LBB555_80
; %bb.83:                               ;   in Loop: Header=BB555_81 Depth=1
	s_mov_b32 s21, 1
	s_mov_b32 s20, 0
	.p2align	6
.LBB555_84:                             ;   Parent Loop BB555_81 Depth=1
                                        ; =>  This Loop Header: Depth=2
                                        ;       Child Loop BB555_85 Depth 3
	s_max_u32 s22, s21, 1
.LBB555_85:                             ;   Parent Loop BB555_81 Depth=1
                                        ;     Parent Loop BB555_84 Depth=2
                                        ; =>    This Inner Loop Header: Depth=3
	s_delay_alu instid0(SALU_CYCLE_1)
	s_add_i32 s22, s22, -1
	s_sleep 1
	s_cmp_eq_u32 s22, 0
	s_cbranch_scc0 .LBB555_85
; %bb.86:                               ;   in Loop: Header=BB555_84 Depth=2
	global_load_b64 v[31:32], v[33:34], off glc
	s_cmp_lt_u32 s21, 32
	s_cselect_b32 s22, -1, 0
	s_delay_alu instid0(SALU_CYCLE_1) | instskip(SKIP_3) | instid1(VALU_DEP_1)
	s_cmp_lg_u32 s22, 0
	s_addc_u32 s21, s21, 0
	s_waitcnt vmcnt(0)
	v_and_b32_e32 v59, 0xff, v32
	v_cmp_ne_u16_e32 vcc_lo, 0, v59
	s_or_b32 s20, vcc_lo, s20
	s_delay_alu instid0(SALU_CYCLE_1)
	s_and_not1_b32 exec_lo, exec_lo, s20
	s_cbranch_execnz .LBB555_84
; %bb.87:                               ;   in Loop: Header=BB555_81 Depth=1
	s_or_b32 exec_lo, exec_lo, s20
	s_branch .LBB555_80
.LBB555_88:                             ;   in Loop: Header=BB555_81 Depth=1
                                        ; implicit-def: $vgpr31
                                        ; implicit-def: $vgpr32
	s_cbranch_execz .LBB555_81
; %bb.89:
	s_and_saveexec_b32 s19, s8
	s_cbranch_execz .LBB555_91
; %bb.90:
	s_add_i32 s20, s15, 32
	s_mov_b32 s21, 0
	v_dual_mov_b32 v30, 2 :: v_dual_add_nc_u32 v29, v28, v27
	s_lshl_b64 s[20:21], s[20:21], 3
	v_mov_b32_e32 v31, 0
	s_add_u32 s20, s12, s20
	s_addc_u32 s21, s13, s21
	global_store_b64 v31, v[29:30], s[20:21]
	ds_store_b64 v31, v[27:28] offset:33792
.LBB555_91:
	s_or_b32 exec_lo, exec_lo, s19
	v_cmp_eq_u32_e32 vcc_lo, 0, v0
	s_and_b32 exec_lo, exec_lo, vcc_lo
	s_cbranch_execz .LBB555_93
; %bb.92:
	v_mov_b32_e32 v27, 0
	ds_store_b32 v27, v28 offset:60
.LBB555_93:
	s_or_b32 exec_lo, exec_lo, s9
	v_mov_b32_e32 v27, 0
	s_waitcnt lgkmcnt(0)
	s_waitcnt_vscnt null, 0x0
	s_barrier
	buffer_gl0_inv
	v_cndmask_b32_e64 v29, v37, v35, s8
	ds_load_b32 v28, v27 offset:60
	v_cmp_ne_u32_e32 vcc_lo, 0, v0
	s_waitcnt lgkmcnt(0)
	s_barrier
	buffer_gl0_inv
	v_cndmask_b32_e32 v29, 0, v29, vcc_lo
	s_delay_alu instid0(VALU_DEP_1) | instskip(SKIP_2) | instid1(VALU_DEP_1)
	v_add_nc_u32_e32 v45, v28, v29
	ds_load_b64 v[27:28], v27 offset:33792
	v_add_nc_u32_e32 v43, v45, v36
	v_add_nc_u32_e32 v41, v43, v38
	s_delay_alu instid0(VALU_DEP_1) | instskip(NEXT) | instid1(VALU_DEP_1)
	v_add_nc_u32_e32 v39, v41, v40
	v_add_nc_u32_e32 v37, v39, v42
	s_waitcnt lgkmcnt(0)
	v_readfirstlane_b32 s8, v28
	s_delay_alu instid0(VALU_DEP_2) | instskip(NEXT) | instid1(VALU_DEP_1)
	v_add_nc_u32_e32 v35, v37, v44
	v_add_nc_u32_e32 v33, v35, v46
	s_delay_alu instid0(VALU_DEP_1)
	v_add_nc_u32_e32 v31, v33, v49
	v_lshrrev_b64 v[29:30], 24, v[25:26]
	s_branch .LBB555_104
.LBB555_94:
                                        ; implicit-def: $vgpr31
                                        ; implicit-def: $vgpr33
                                        ; implicit-def: $vgpr35
                                        ; implicit-def: $vgpr37
                                        ; implicit-def: $vgpr39
                                        ; implicit-def: $vgpr41
                                        ; implicit-def: $vgpr43
                                        ; implicit-def: $vgpr45
                                        ; implicit-def: $sgpr8
                                        ; implicit-def: $vgpr27
	v_lshrrev_b64 v[29:30], 24, v[25:26]
	s_and_b32 vcc_lo, exec_lo, s9
	s_cbranch_vccz .LBB555_104
; %bb.95:
	v_mov_b32_dpp v27, v52 row_shr:1 row_mask:0xf bank_mask:0xf
	s_delay_alu instid0(VALU_DEP_1) | instskip(NEXT) | instid1(VALU_DEP_1)
	v_cndmask_b32_e64 v27, v27, 0, s4
	v_add_nc_u32_e32 v27, v27, v52
	s_delay_alu instid0(VALU_DEP_1) | instskip(NEXT) | instid1(VALU_DEP_1)
	v_mov_b32_dpp v28, v27 row_shr:2 row_mask:0xf bank_mask:0xf
	v_cndmask_b32_e64 v28, 0, v28, s2
	s_delay_alu instid0(VALU_DEP_1) | instskip(NEXT) | instid1(VALU_DEP_1)
	v_add_nc_u32_e32 v27, v27, v28
	v_mov_b32_dpp v28, v27 row_shr:4 row_mask:0xf bank_mask:0xf
	s_delay_alu instid0(VALU_DEP_1) | instskip(NEXT) | instid1(VALU_DEP_1)
	v_cndmask_b32_e64 v28, 0, v28, s5
	v_add_nc_u32_e32 v27, v27, v28
	s_delay_alu instid0(VALU_DEP_1) | instskip(NEXT) | instid1(VALU_DEP_1)
	v_mov_b32_dpp v28, v27 row_shr:8 row_mask:0xf bank_mask:0xf
	v_cndmask_b32_e64 v28, 0, v28, s3
	s_delay_alu instid0(VALU_DEP_1) | instskip(SKIP_3) | instid1(VALU_DEP_1)
	v_add_nc_u32_e32 v27, v27, v28
	ds_swizzle_b32 v28, v27 offset:swizzle(BROADCAST,32,15)
	s_waitcnt lgkmcnt(0)
	v_cndmask_b32_e64 v28, v28, 0, s7
	v_add_nc_u32_e32 v27, v27, v28
	s_and_saveexec_b32 s7, s6
	s_cbranch_execz .LBB555_97
; %bb.96:
	v_lshlrev_b32_e32 v28, 2, v51
	ds_store_b32 v28, v27
.LBB555_97:
	s_or_b32 exec_lo, exec_lo, s7
	s_delay_alu instid0(SALU_CYCLE_1)
	s_mov_b32 s6, exec_lo
	s_waitcnt lgkmcnt(0)
	s_barrier
	buffer_gl0_inv
	v_cmpx_gt_u32_e32 16, v0
	s_cbranch_execz .LBB555_99
; %bb.98:
	v_lshlrev_b32_e32 v28, 2, v0
	ds_load_b32 v30, v28
	s_waitcnt lgkmcnt(0)
	v_mov_b32_dpp v31, v30 row_shr:1 row_mask:0xf bank_mask:0xf
	s_delay_alu instid0(VALU_DEP_1) | instskip(NEXT) | instid1(VALU_DEP_1)
	v_cndmask_b32_e64 v31, v31, 0, s4
	v_add_nc_u32_e32 v30, v31, v30
	s_delay_alu instid0(VALU_DEP_1) | instskip(NEXT) | instid1(VALU_DEP_1)
	v_mov_b32_dpp v31, v30 row_shr:2 row_mask:0xf bank_mask:0xf
	v_cndmask_b32_e64 v31, 0, v31, s2
	s_delay_alu instid0(VALU_DEP_1) | instskip(NEXT) | instid1(VALU_DEP_1)
	v_add_nc_u32_e32 v30, v30, v31
	v_mov_b32_dpp v31, v30 row_shr:4 row_mask:0xf bank_mask:0xf
	s_delay_alu instid0(VALU_DEP_1) | instskip(NEXT) | instid1(VALU_DEP_1)
	v_cndmask_b32_e64 v31, 0, v31, s5
	v_add_nc_u32_e32 v30, v30, v31
	s_delay_alu instid0(VALU_DEP_1) | instskip(NEXT) | instid1(VALU_DEP_1)
	v_mov_b32_dpp v31, v30 row_shr:8 row_mask:0xf bank_mask:0xf
	v_cndmask_b32_e64 v31, 0, v31, s3
	s_delay_alu instid0(VALU_DEP_1)
	v_add_nc_u32_e32 v30, v30, v31
	ds_store_b32 v28, v30
.LBB555_99:
	s_or_b32 exec_lo, exec_lo, s6
	v_mov_b32_e32 v28, 0
	v_mov_b32_e32 v30, 0
	s_mov_b32 s2, exec_lo
	s_waitcnt lgkmcnt(0)
	s_barrier
	buffer_gl0_inv
	v_cmpx_lt_u32_e32 31, v0
	s_cbranch_execz .LBB555_101
; %bb.100:
	v_lshl_add_u32 v30, v51, 2, -4
	ds_load_b32 v30, v30
.LBB555_101:
	s_or_b32 exec_lo, exec_lo, s2
	v_add_nc_u32_e32 v31, -1, v50
	s_waitcnt lgkmcnt(0)
	v_add_nc_u32_e32 v27, v30, v27
	s_mov_b32 s8, 0
	s_delay_alu instid0(VALU_DEP_2) | instskip(SKIP_2) | instid1(VALU_DEP_2)
	v_cmp_gt_i32_e32 vcc_lo, 0, v31
	v_cndmask_b32_e32 v31, v31, v50, vcc_lo
	v_cmp_eq_u32_e32 vcc_lo, 0, v0
	v_lshlrev_b32_e32 v31, 2, v31
	ds_bpermute_b32 v31, v31, v27
	ds_load_b32 v27, v28 offset:60
	s_and_saveexec_b32 s2, vcc_lo
	s_cbranch_execz .LBB555_103
; %bb.102:
	v_mov_b32_e32 v32, 0
	v_mov_b32_e32 v28, 2
	s_waitcnt lgkmcnt(0)
	global_store_b64 v32, v[27:28], s[12:13] offset:256
.LBB555_103:
	s_or_b32 exec_lo, exec_lo, s2
	v_cmp_eq_u32_e64 s2, 0, v50
	s_waitcnt lgkmcnt(0)
	s_waitcnt_vscnt null, 0x0
	s_barrier
	buffer_gl0_inv
	v_cndmask_b32_e64 v28, v31, v30, s2
	s_delay_alu instid0(VALU_DEP_1) | instskip(NEXT) | instid1(VALU_DEP_1)
	v_cndmask_b32_e64 v45, v28, 0, vcc_lo
	v_add_nc_u32_e32 v43, v45, v36
	s_delay_alu instid0(VALU_DEP_1) | instskip(NEXT) | instid1(VALU_DEP_1)
	v_add_nc_u32_e32 v41, v43, v38
	v_add_nc_u32_e32 v39, v41, v40
	s_delay_alu instid0(VALU_DEP_1) | instskip(NEXT) | instid1(VALU_DEP_1)
	v_add_nc_u32_e32 v37, v39, v42
	;; [unrolled: 3-line block ×3, first 2 shown]
	v_add_nc_u32_e32 v31, v33, v49
.LBB555_104:
	s_load_b128 s[4:7], s[0:1], 0x28
	v_add_nc_u32_e32 v51, s8, v27
	v_cmp_gt_u32_e64 s0, 0x201, v27
	v_lshrrev_b32_e32 v50, 8, v25
	v_lshrrev_b32_e32 v49, 16, v25
	;; [unrolled: 1-line block ×4, first 2 shown]
	v_cmp_lt_u32_e64 s1, v45, v51
	s_and_b32 vcc_lo, exec_lo, s0
	s_mov_b32 s2, -1
	s_cbranch_vccz .LBB555_130
; %bb.105:
	s_lshl_b64 s[2:3], s[10:11], 3
	s_waitcnt lgkmcnt(0)
	s_add_u32 s2, s4, s2
	s_addc_u32 s3, s5, s3
	s_or_b32 s9, s18, s1
	s_delay_alu instid0(SALU_CYCLE_1)
	s_and_saveexec_b32 s1, s9
	s_cbranch_execz .LBB555_108
; %bb.106:
	v_and_b32_e32 v32, 1, v25
	s_delay_alu instid0(VALU_DEP_1)
	v_cmp_eq_u32_e32 vcc_lo, 1, v32
	s_and_b32 exec_lo, exec_lo, vcc_lo
	s_cbranch_execz .LBB555_108
; %bb.107:
	v_mov_b32_e32 v46, 0
	s_delay_alu instid0(VALU_DEP_1) | instskip(NEXT) | instid1(VALU_DEP_1)
	v_lshlrev_b64 v[52:53], 3, v[45:46]
	v_add_co_u32 v52, vcc_lo, s2, v52
	s_delay_alu instid0(VALU_DEP_2)
	v_add_co_ci_u32_e32 v53, vcc_lo, s3, v53, vcc_lo
	global_store_b64 v[52:53], v[13:14], off
.LBB555_108:
	s_or_b32 exec_lo, exec_lo, s1
	v_cmp_lt_u32_e32 vcc_lo, v43, v51
	s_or_b32 s9, s18, vcc_lo
	s_delay_alu instid0(SALU_CYCLE_1)
	s_and_saveexec_b32 s1, s9
	s_cbranch_execz .LBB555_111
; %bb.109:
	v_and_b32_e32 v32, 1, v50
	s_delay_alu instid0(VALU_DEP_1)
	v_cmp_eq_u32_e32 vcc_lo, 1, v32
	s_and_b32 exec_lo, exec_lo, vcc_lo
	s_cbranch_execz .LBB555_111
; %bb.110:
	v_mov_b32_e32 v44, 0
	s_delay_alu instid0(VALU_DEP_1) | instskip(NEXT) | instid1(VALU_DEP_1)
	v_lshlrev_b64 v[52:53], 3, v[43:44]
	v_add_co_u32 v52, vcc_lo, s2, v52
	s_delay_alu instid0(VALU_DEP_2)
	v_add_co_ci_u32_e32 v53, vcc_lo, s3, v53, vcc_lo
	global_store_b64 v[52:53], v[15:16], off
.LBB555_111:
	s_or_b32 exec_lo, exec_lo, s1
	v_cmp_lt_u32_e32 vcc_lo, v41, v51
	s_or_b32 s9, s18, vcc_lo
	;; [unrolled: 21-line block ×7, first 2 shown]
	s_delay_alu instid0(SALU_CYCLE_1)
	s_and_saveexec_b32 s1, s9
	s_cbranch_execz .LBB555_129
; %bb.127:
	v_and_b32_e32 v32, 1, v48
	s_delay_alu instid0(VALU_DEP_1)
	v_cmp_eq_u32_e32 vcc_lo, 1, v32
	s_and_b32 exec_lo, exec_lo, vcc_lo
	s_cbranch_execz .LBB555_129
; %bb.128:
	v_mov_b32_e32 v32, 0
	s_delay_alu instid0(VALU_DEP_1) | instskip(NEXT) | instid1(VALU_DEP_1)
	v_lshlrev_b64 v[52:53], 3, v[31:32]
	v_add_co_u32 v52, vcc_lo, s2, v52
	s_delay_alu instid0(VALU_DEP_2)
	v_add_co_ci_u32_e32 v53, vcc_lo, s3, v53, vcc_lo
	global_store_b64 v[52:53], v[3:4], off
.LBB555_129:
	s_or_b32 exec_lo, exec_lo, s1
	s_mov_b32 s2, 0
.LBB555_130:
	v_and_b32_e32 v25, 1, v25
	s_and_b32 vcc_lo, exec_lo, s2
	s_delay_alu instid0(VALU_DEP_1)
	v_cmp_eq_u32_e64 s1, 1, v25
	s_cbranch_vccz .LBB555_151
; %bb.131:
	s_delay_alu instid0(VALU_DEP_1)
	s_and_saveexec_b32 s2, s1
	s_cbranch_execz .LBB555_133
; %bb.132:
	v_subrev_nc_u32_e32 v32, s8, v45
	s_delay_alu instid0(VALU_DEP_1)
	v_lshlrev_b32_e32 v32, 3, v32
	ds_store_b64 v32, v[13:14]
.LBB555_133:
	s_or_b32 exec_lo, exec_lo, s2
	v_and_b32_e32 v13, 1, v50
	s_mov_b32 s1, exec_lo
	s_delay_alu instid0(VALU_DEP_1)
	v_cmpx_eq_u32_e32 1, v13
	s_cbranch_execz .LBB555_135
; %bb.134:
	v_subrev_nc_u32_e32 v13, s8, v43
	s_delay_alu instid0(VALU_DEP_1)
	v_lshlrev_b32_e32 v13, 3, v13
	ds_store_b64 v13, v[15:16]
.LBB555_135:
	s_or_b32 exec_lo, exec_lo, s1
	v_and_b32_e32 v13, 1, v49
	s_mov_b32 s1, exec_lo
	s_delay_alu instid0(VALU_DEP_1)
	v_cmpx_eq_u32_e32 1, v13
	;; [unrolled: 12-line block ×7, first 2 shown]
	s_cbranch_execz .LBB555_147
; %bb.146:
	v_subrev_nc_u32_e32 v1, s8, v31
	s_delay_alu instid0(VALU_DEP_1)
	v_lshlrev_b32_e32 v1, 3, v1
	ds_store_b64 v1, v[3:4]
.LBB555_147:
	s_or_b32 exec_lo, exec_lo, s1
	s_delay_alu instid0(SALU_CYCLE_1)
	s_mov_b32 s2, exec_lo
	s_waitcnt lgkmcnt(0)
	s_waitcnt_vscnt null, 0x0
	s_barrier
	buffer_gl0_inv
	v_cmpx_lt_u32_e64 v0, v27
	s_cbranch_execz .LBB555_150
; %bb.148:
	s_mov_b32 s9, 0
	s_lshl_b64 s[12:13], s[10:11], 3
	s_lshl_b64 s[20:21], s[8:9], 3
	v_mov_b32_e32 v3, v0
	s_add_u32 s1, s12, s20
	s_addc_u32 s3, s13, s21
	s_add_u32 s1, s4, s1
	s_addc_u32 s3, s5, s3
	v_add_co_u32 v1, s1, s1, v47
	s_delay_alu instid0(VALU_DEP_1)
	v_add_co_ci_u32_e64 v2, null, s3, 0, s1
	.p2align	6
.LBB555_149:                            ; =>This Inner Loop Header: Depth=1
	ds_load_b64 v[4:5], v47
	v_add_nc_u32_e32 v3, 0x200, v3
	v_add_nc_u32_e32 v47, 0x1000, v47
	s_delay_alu instid0(VALU_DEP_2) | instskip(SKIP_4) | instid1(VALU_DEP_1)
	v_cmp_ge_u32_e32 vcc_lo, v3, v27
	s_or_b32 s9, vcc_lo, s9
	s_waitcnt lgkmcnt(0)
	global_store_b64 v[1:2], v[4:5], off
	v_add_co_u32 v1, s1, 0x1000, v1
	v_add_co_ci_u32_e64 v2, s1, 0, v2, s1
	s_and_not1_b32 exec_lo, exec_lo, s9
	s_cbranch_execnz .LBB555_149
.LBB555_150:
	s_or_b32 exec_lo, exec_lo, s2
.LBB555_151:
	s_delay_alu instid0(SALU_CYCLE_1)
	s_and_b32 vcc_lo, exec_lo, s0
	s_mov_b32 s0, -1
	s_waitcnt lgkmcnt(0)
	s_waitcnt_vscnt null, 0x0
	s_barrier
	buffer_gl0_inv
	s_cbranch_vccz .LBB555_179
; %bb.152:
	v_cmp_lt_u32_e32 vcc_lo, v45, v51
	s_lshl_b64 s[0:1], s[10:11], 2
	s_delay_alu instid0(SALU_CYCLE_1) | instskip(SKIP_2) | instid1(SALU_CYCLE_1)
	s_add_u32 s0, s6, s0
	s_addc_u32 s1, s7, s1
	s_or_b32 s3, s18, vcc_lo
	s_and_saveexec_b32 s2, s3
	s_cbranch_execz .LBB555_155
; %bb.153:
	v_cmp_eq_u32_e32 vcc_lo, 1, v25
	s_and_b32 exec_lo, exec_lo, vcc_lo
	s_cbranch_execz .LBB555_155
; %bb.154:
	v_mov_b32_e32 v46, 0
	s_delay_alu instid0(VALU_DEP_1) | instskip(NEXT) | instid1(VALU_DEP_1)
	v_lshlrev_b64 v[1:2], 2, v[45:46]
	v_add_co_u32 v1, vcc_lo, s0, v1
	s_delay_alu instid0(VALU_DEP_2)
	v_add_co_ci_u32_e32 v2, vcc_lo, s1, v2, vcc_lo
	global_store_b32 v[1:2], v23, off
.LBB555_155:
	s_or_b32 exec_lo, exec_lo, s2
	v_cmp_lt_u32_e32 vcc_lo, v43, v51
	s_or_b32 s3, s18, vcc_lo
	s_delay_alu instid0(SALU_CYCLE_1)
	s_and_saveexec_b32 s2, s3
	s_cbranch_execz .LBB555_158
; %bb.156:
	v_and_b32_e32 v1, 1, v50
	s_delay_alu instid0(VALU_DEP_1)
	v_cmp_eq_u32_e32 vcc_lo, 1, v1
	s_and_b32 exec_lo, exec_lo, vcc_lo
	s_cbranch_execz .LBB555_158
; %bb.157:
	v_mov_b32_e32 v44, 0
	s_delay_alu instid0(VALU_DEP_1) | instskip(NEXT) | instid1(VALU_DEP_1)
	v_lshlrev_b64 v[1:2], 2, v[43:44]
	v_add_co_u32 v1, vcc_lo, s0, v1
	s_delay_alu instid0(VALU_DEP_2)
	v_add_co_ci_u32_e32 v2, vcc_lo, s1, v2, vcc_lo
	global_store_b32 v[1:2], v24, off
.LBB555_158:
	s_or_b32 exec_lo, exec_lo, s2
	v_cmp_lt_u32_e32 vcc_lo, v41, v51
	s_or_b32 s3, s18, vcc_lo
	s_delay_alu instid0(SALU_CYCLE_1)
	s_and_saveexec_b32 s2, s3
	s_cbranch_execz .LBB555_161
; %bb.159:
	v_and_b32_e32 v1, 1, v49
	s_delay_alu instid0(VALU_DEP_1)
	v_cmp_eq_u32_e32 vcc_lo, 1, v1
	s_and_b32 exec_lo, exec_lo, vcc_lo
	s_cbranch_execz .LBB555_161
; %bb.160:
	v_mov_b32_e32 v42, 0
	s_delay_alu instid0(VALU_DEP_1) | instskip(NEXT) | instid1(VALU_DEP_1)
	v_lshlrev_b64 v[1:2], 2, v[41:42]
	v_add_co_u32 v1, vcc_lo, s0, v1
	s_delay_alu instid0(VALU_DEP_2)
	v_add_co_ci_u32_e32 v2, vcc_lo, s1, v2, vcc_lo
	global_store_b32 v[1:2], v21, off
.LBB555_161:
	;; [unrolled: 21-line block ×7, first 2 shown]
	s_or_b32 exec_lo, exec_lo, s2
.LBB555_177:
	v_cmp_eq_u32_e32 vcc_lo, 0, v0
	s_and_b32 s0, vcc_lo, s14
	s_delay_alu instid0(SALU_CYCLE_1)
	s_and_saveexec_b32 s1, s0
	s_cbranch_execz .LBB555_200
.LBB555_178:
	v_add_co_u32 v0, s0, s10, v27
	s_delay_alu instid0(VALU_DEP_1) | instskip(SKIP_1) | instid1(VALU_DEP_3)
	v_add_co_ci_u32_e64 v1, null, s11, 0, s0
	v_mov_b32_e32 v2, 0
	v_add_co_u32 v0, vcc_lo, v0, s8
	s_delay_alu instid0(VALU_DEP_3)
	v_add_co_ci_u32_e32 v1, vcc_lo, 0, v1, vcc_lo
	global_store_b64 v2, v[0:1], s[16:17]
	s_nop 0
	s_sendmsg sendmsg(MSG_DEALLOC_VGPRS)
	s_endpgm
.LBB555_179:
	s_and_b32 vcc_lo, exec_lo, s0
	s_cbranch_vccz .LBB555_177
; %bb.180:
	s_mov_b32 s0, exec_lo
	v_cmpx_eq_u32_e32 1, v25
	s_cbranch_execz .LBB555_182
; %bb.181:
	v_subrev_nc_u32_e32 v1, s8, v45
	s_delay_alu instid0(VALU_DEP_1)
	v_lshlrev_b32_e32 v1, 2, v1
	ds_store_b32 v1, v23
.LBB555_182:
	s_or_b32 exec_lo, exec_lo, s0
	v_and_b32_e32 v1, 1, v50
	s_mov_b32 s0, exec_lo
	s_delay_alu instid0(VALU_DEP_1)
	v_cmpx_eq_u32_e32 1, v1
	s_cbranch_execz .LBB555_184
; %bb.183:
	v_subrev_nc_u32_e32 v1, s8, v43
	s_delay_alu instid0(VALU_DEP_1)
	v_lshlrev_b32_e32 v1, 2, v1
	ds_store_b32 v1, v24
.LBB555_184:
	s_or_b32 exec_lo, exec_lo, s0
	v_and_b32_e32 v1, 1, v49
	s_mov_b32 s0, exec_lo
	s_delay_alu instid0(VALU_DEP_1)
	;; [unrolled: 12-line block ×7, first 2 shown]
	v_cmpx_eq_u32_e32 1, v1
	s_cbranch_execz .LBB555_196
; %bb.195:
	v_subrev_nc_u32_e32 v1, s8, v31
	s_delay_alu instid0(VALU_DEP_1)
	v_lshlrev_b32_e32 v1, 2, v1
	ds_store_b32 v1, v18
.LBB555_196:
	s_or_b32 exec_lo, exec_lo, s0
	s_delay_alu instid0(SALU_CYCLE_1)
	s_mov_b32 s1, exec_lo
	s_waitcnt lgkmcnt(0)
	s_waitcnt_vscnt null, 0x0
	s_barrier
	buffer_gl0_inv
	v_cmpx_lt_u32_e64 v0, v27
	s_cbranch_execz .LBB555_199
; %bb.197:
	s_mov_b32 s9, 0
	s_lshl_b64 s[2:3], s[10:11], 2
	s_lshl_b64 s[4:5], s[8:9], 2
	v_dual_mov_b32 v4, v0 :: v_dual_lshlrev_b32 v3, 2, v0
	s_add_u32 s0, s2, s4
	s_addc_u32 s2, s3, s5
	s_add_u32 s0, s6, s0
	s_addc_u32 s2, s7, s2
	v_add_co_u32 v1, s0, s0, v3
	s_delay_alu instid0(VALU_DEP_1)
	v_add_co_ci_u32_e64 v2, null, s2, 0, s0
	.p2align	6
.LBB555_198:                            ; =>This Inner Loop Header: Depth=1
	ds_load_b32 v5, v3
	v_add_nc_u32_e32 v4, 0x200, v4
	v_add_nc_u32_e32 v3, 0x800, v3
	s_delay_alu instid0(VALU_DEP_2) | instskip(SKIP_4) | instid1(VALU_DEP_1)
	v_cmp_ge_u32_e32 vcc_lo, v4, v27
	s_or_b32 s9, vcc_lo, s9
	s_waitcnt lgkmcnt(0)
	global_store_b32 v[1:2], v5, off
	v_add_co_u32 v1, s0, 0x800, v1
	v_add_co_ci_u32_e64 v2, s0, 0, v2, s0
	s_and_not1_b32 exec_lo, exec_lo, s9
	s_cbranch_execnz .LBB555_198
.LBB555_199:
	s_or_b32 exec_lo, exec_lo, s1
	v_cmp_eq_u32_e32 vcc_lo, 0, v0
	s_and_b32 s0, vcc_lo, s14
	s_delay_alu instid0(SALU_CYCLE_1)
	s_and_saveexec_b32 s1, s0
	s_cbranch_execnz .LBB555_178
.LBB555_200:
	s_nop 0
	s_sendmsg sendmsg(MSG_DEALLOC_VGPRS)
	s_endpgm
	.section	.rodata,"a",@progbits
	.p2align	6, 0x0
	.amdhsa_kernel _ZN7rocprim17ROCPRIM_400000_NS6detail17trampoline_kernelINS0_14default_configENS1_25partition_config_selectorILNS1_17partition_subalgoE9EyjbEEZZNS1_14partition_implILS5_9ELb0ES3_jN6thrust23THRUST_200600_302600_NS6detail15normal_iteratorINS9_10device_ptrIyEEEENSB_INSC_IjEEEEPNS0_10empty_typeENS0_5tupleIJSE_SH_EEENSJ_IJSG_SI_EEENS0_18inequality_wrapperINS9_8equal_toIyEEEEPmJSH_EEE10hipError_tPvRmT3_T4_T5_T6_T7_T9_mT8_P12ihipStream_tbDpT10_ENKUlT_T0_E_clISt17integral_constantIbLb1EES19_IbLb0EEEEDaS15_S16_EUlS15_E_NS1_11comp_targetILNS1_3genE9ELNS1_11target_archE1100ELNS1_3gpuE3ELNS1_3repE0EEENS1_30default_config_static_selectorELNS0_4arch9wavefront6targetE0EEEvT1_
		.amdhsa_group_segment_fixed_size 33800
		.amdhsa_private_segment_fixed_size 0
		.amdhsa_kernarg_size 112
		.amdhsa_user_sgpr_count 15
		.amdhsa_user_sgpr_dispatch_ptr 0
		.amdhsa_user_sgpr_queue_ptr 0
		.amdhsa_user_sgpr_kernarg_segment_ptr 1
		.amdhsa_user_sgpr_dispatch_id 0
		.amdhsa_user_sgpr_private_segment_size 0
		.amdhsa_wavefront_size32 1
		.amdhsa_uses_dynamic_stack 0
		.amdhsa_enable_private_segment 0
		.amdhsa_system_sgpr_workgroup_id_x 1
		.amdhsa_system_sgpr_workgroup_id_y 0
		.amdhsa_system_sgpr_workgroup_id_z 0
		.amdhsa_system_sgpr_workgroup_info 0
		.amdhsa_system_vgpr_workitem_id 0
		.amdhsa_next_free_vgpr 60
		.amdhsa_next_free_sgpr 24
		.amdhsa_reserve_vcc 1
		.amdhsa_float_round_mode_32 0
		.amdhsa_float_round_mode_16_64 0
		.amdhsa_float_denorm_mode_32 3
		.amdhsa_float_denorm_mode_16_64 3
		.amdhsa_dx10_clamp 1
		.amdhsa_ieee_mode 1
		.amdhsa_fp16_overflow 0
		.amdhsa_workgroup_processor_mode 1
		.amdhsa_memory_ordered 1
		.amdhsa_forward_progress 0
		.amdhsa_shared_vgpr_count 0
		.amdhsa_exception_fp_ieee_invalid_op 0
		.amdhsa_exception_fp_denorm_src 0
		.amdhsa_exception_fp_ieee_div_zero 0
		.amdhsa_exception_fp_ieee_overflow 0
		.amdhsa_exception_fp_ieee_underflow 0
		.amdhsa_exception_fp_ieee_inexact 0
		.amdhsa_exception_int_div_zero 0
	.end_amdhsa_kernel
	.section	.text._ZN7rocprim17ROCPRIM_400000_NS6detail17trampoline_kernelINS0_14default_configENS1_25partition_config_selectorILNS1_17partition_subalgoE9EyjbEEZZNS1_14partition_implILS5_9ELb0ES3_jN6thrust23THRUST_200600_302600_NS6detail15normal_iteratorINS9_10device_ptrIyEEEENSB_INSC_IjEEEEPNS0_10empty_typeENS0_5tupleIJSE_SH_EEENSJ_IJSG_SI_EEENS0_18inequality_wrapperINS9_8equal_toIyEEEEPmJSH_EEE10hipError_tPvRmT3_T4_T5_T6_T7_T9_mT8_P12ihipStream_tbDpT10_ENKUlT_T0_E_clISt17integral_constantIbLb1EES19_IbLb0EEEEDaS15_S16_EUlS15_E_NS1_11comp_targetILNS1_3genE9ELNS1_11target_archE1100ELNS1_3gpuE3ELNS1_3repE0EEENS1_30default_config_static_selectorELNS0_4arch9wavefront6targetE0EEEvT1_,"axG",@progbits,_ZN7rocprim17ROCPRIM_400000_NS6detail17trampoline_kernelINS0_14default_configENS1_25partition_config_selectorILNS1_17partition_subalgoE9EyjbEEZZNS1_14partition_implILS5_9ELb0ES3_jN6thrust23THRUST_200600_302600_NS6detail15normal_iteratorINS9_10device_ptrIyEEEENSB_INSC_IjEEEEPNS0_10empty_typeENS0_5tupleIJSE_SH_EEENSJ_IJSG_SI_EEENS0_18inequality_wrapperINS9_8equal_toIyEEEEPmJSH_EEE10hipError_tPvRmT3_T4_T5_T6_T7_T9_mT8_P12ihipStream_tbDpT10_ENKUlT_T0_E_clISt17integral_constantIbLb1EES19_IbLb0EEEEDaS15_S16_EUlS15_E_NS1_11comp_targetILNS1_3genE9ELNS1_11target_archE1100ELNS1_3gpuE3ELNS1_3repE0EEENS1_30default_config_static_selectorELNS0_4arch9wavefront6targetE0EEEvT1_,comdat
.Lfunc_end555:
	.size	_ZN7rocprim17ROCPRIM_400000_NS6detail17trampoline_kernelINS0_14default_configENS1_25partition_config_selectorILNS1_17partition_subalgoE9EyjbEEZZNS1_14partition_implILS5_9ELb0ES3_jN6thrust23THRUST_200600_302600_NS6detail15normal_iteratorINS9_10device_ptrIyEEEENSB_INSC_IjEEEEPNS0_10empty_typeENS0_5tupleIJSE_SH_EEENSJ_IJSG_SI_EEENS0_18inequality_wrapperINS9_8equal_toIyEEEEPmJSH_EEE10hipError_tPvRmT3_T4_T5_T6_T7_T9_mT8_P12ihipStream_tbDpT10_ENKUlT_T0_E_clISt17integral_constantIbLb1EES19_IbLb0EEEEDaS15_S16_EUlS15_E_NS1_11comp_targetILNS1_3genE9ELNS1_11target_archE1100ELNS1_3gpuE3ELNS1_3repE0EEENS1_30default_config_static_selectorELNS0_4arch9wavefront6targetE0EEEvT1_, .Lfunc_end555-_ZN7rocprim17ROCPRIM_400000_NS6detail17trampoline_kernelINS0_14default_configENS1_25partition_config_selectorILNS1_17partition_subalgoE9EyjbEEZZNS1_14partition_implILS5_9ELb0ES3_jN6thrust23THRUST_200600_302600_NS6detail15normal_iteratorINS9_10device_ptrIyEEEENSB_INSC_IjEEEEPNS0_10empty_typeENS0_5tupleIJSE_SH_EEENSJ_IJSG_SI_EEENS0_18inequality_wrapperINS9_8equal_toIyEEEEPmJSH_EEE10hipError_tPvRmT3_T4_T5_T6_T7_T9_mT8_P12ihipStream_tbDpT10_ENKUlT_T0_E_clISt17integral_constantIbLb1EES19_IbLb0EEEEDaS15_S16_EUlS15_E_NS1_11comp_targetILNS1_3genE9ELNS1_11target_archE1100ELNS1_3gpuE3ELNS1_3repE0EEENS1_30default_config_static_selectorELNS0_4arch9wavefront6targetE0EEEvT1_
                                        ; -- End function
	.section	.AMDGPU.csdata,"",@progbits
; Kernel info:
; codeLenInByte = 9396
; NumSgprs: 26
; NumVgprs: 60
; ScratchSize: 0
; MemoryBound: 0
; FloatMode: 240
; IeeeMode: 1
; LDSByteSize: 33800 bytes/workgroup (compile time only)
; SGPRBlocks: 3
; VGPRBlocks: 7
; NumSGPRsForWavesPerEU: 26
; NumVGPRsForWavesPerEU: 60
; Occupancy: 12
; WaveLimiterHint : 1
; COMPUTE_PGM_RSRC2:SCRATCH_EN: 0
; COMPUTE_PGM_RSRC2:USER_SGPR: 15
; COMPUTE_PGM_RSRC2:TRAP_HANDLER: 0
; COMPUTE_PGM_RSRC2:TGID_X_EN: 1
; COMPUTE_PGM_RSRC2:TGID_Y_EN: 0
; COMPUTE_PGM_RSRC2:TGID_Z_EN: 0
; COMPUTE_PGM_RSRC2:TIDIG_COMP_CNT: 0
	.section	.text._ZN7rocprim17ROCPRIM_400000_NS6detail17trampoline_kernelINS0_14default_configENS1_25partition_config_selectorILNS1_17partition_subalgoE9EyjbEEZZNS1_14partition_implILS5_9ELb0ES3_jN6thrust23THRUST_200600_302600_NS6detail15normal_iteratorINS9_10device_ptrIyEEEENSB_INSC_IjEEEEPNS0_10empty_typeENS0_5tupleIJSE_SH_EEENSJ_IJSG_SI_EEENS0_18inequality_wrapperINS9_8equal_toIyEEEEPmJSH_EEE10hipError_tPvRmT3_T4_T5_T6_T7_T9_mT8_P12ihipStream_tbDpT10_ENKUlT_T0_E_clISt17integral_constantIbLb1EES19_IbLb0EEEEDaS15_S16_EUlS15_E_NS1_11comp_targetILNS1_3genE8ELNS1_11target_archE1030ELNS1_3gpuE2ELNS1_3repE0EEENS1_30default_config_static_selectorELNS0_4arch9wavefront6targetE0EEEvT1_,"axG",@progbits,_ZN7rocprim17ROCPRIM_400000_NS6detail17trampoline_kernelINS0_14default_configENS1_25partition_config_selectorILNS1_17partition_subalgoE9EyjbEEZZNS1_14partition_implILS5_9ELb0ES3_jN6thrust23THRUST_200600_302600_NS6detail15normal_iteratorINS9_10device_ptrIyEEEENSB_INSC_IjEEEEPNS0_10empty_typeENS0_5tupleIJSE_SH_EEENSJ_IJSG_SI_EEENS0_18inequality_wrapperINS9_8equal_toIyEEEEPmJSH_EEE10hipError_tPvRmT3_T4_T5_T6_T7_T9_mT8_P12ihipStream_tbDpT10_ENKUlT_T0_E_clISt17integral_constantIbLb1EES19_IbLb0EEEEDaS15_S16_EUlS15_E_NS1_11comp_targetILNS1_3genE8ELNS1_11target_archE1030ELNS1_3gpuE2ELNS1_3repE0EEENS1_30default_config_static_selectorELNS0_4arch9wavefront6targetE0EEEvT1_,comdat
	.protected	_ZN7rocprim17ROCPRIM_400000_NS6detail17trampoline_kernelINS0_14default_configENS1_25partition_config_selectorILNS1_17partition_subalgoE9EyjbEEZZNS1_14partition_implILS5_9ELb0ES3_jN6thrust23THRUST_200600_302600_NS6detail15normal_iteratorINS9_10device_ptrIyEEEENSB_INSC_IjEEEEPNS0_10empty_typeENS0_5tupleIJSE_SH_EEENSJ_IJSG_SI_EEENS0_18inequality_wrapperINS9_8equal_toIyEEEEPmJSH_EEE10hipError_tPvRmT3_T4_T5_T6_T7_T9_mT8_P12ihipStream_tbDpT10_ENKUlT_T0_E_clISt17integral_constantIbLb1EES19_IbLb0EEEEDaS15_S16_EUlS15_E_NS1_11comp_targetILNS1_3genE8ELNS1_11target_archE1030ELNS1_3gpuE2ELNS1_3repE0EEENS1_30default_config_static_selectorELNS0_4arch9wavefront6targetE0EEEvT1_ ; -- Begin function _ZN7rocprim17ROCPRIM_400000_NS6detail17trampoline_kernelINS0_14default_configENS1_25partition_config_selectorILNS1_17partition_subalgoE9EyjbEEZZNS1_14partition_implILS5_9ELb0ES3_jN6thrust23THRUST_200600_302600_NS6detail15normal_iteratorINS9_10device_ptrIyEEEENSB_INSC_IjEEEEPNS0_10empty_typeENS0_5tupleIJSE_SH_EEENSJ_IJSG_SI_EEENS0_18inequality_wrapperINS9_8equal_toIyEEEEPmJSH_EEE10hipError_tPvRmT3_T4_T5_T6_T7_T9_mT8_P12ihipStream_tbDpT10_ENKUlT_T0_E_clISt17integral_constantIbLb1EES19_IbLb0EEEEDaS15_S16_EUlS15_E_NS1_11comp_targetILNS1_3genE8ELNS1_11target_archE1030ELNS1_3gpuE2ELNS1_3repE0EEENS1_30default_config_static_selectorELNS0_4arch9wavefront6targetE0EEEvT1_
	.globl	_ZN7rocprim17ROCPRIM_400000_NS6detail17trampoline_kernelINS0_14default_configENS1_25partition_config_selectorILNS1_17partition_subalgoE9EyjbEEZZNS1_14partition_implILS5_9ELb0ES3_jN6thrust23THRUST_200600_302600_NS6detail15normal_iteratorINS9_10device_ptrIyEEEENSB_INSC_IjEEEEPNS0_10empty_typeENS0_5tupleIJSE_SH_EEENSJ_IJSG_SI_EEENS0_18inequality_wrapperINS9_8equal_toIyEEEEPmJSH_EEE10hipError_tPvRmT3_T4_T5_T6_T7_T9_mT8_P12ihipStream_tbDpT10_ENKUlT_T0_E_clISt17integral_constantIbLb1EES19_IbLb0EEEEDaS15_S16_EUlS15_E_NS1_11comp_targetILNS1_3genE8ELNS1_11target_archE1030ELNS1_3gpuE2ELNS1_3repE0EEENS1_30default_config_static_selectorELNS0_4arch9wavefront6targetE0EEEvT1_
	.p2align	8
	.type	_ZN7rocprim17ROCPRIM_400000_NS6detail17trampoline_kernelINS0_14default_configENS1_25partition_config_selectorILNS1_17partition_subalgoE9EyjbEEZZNS1_14partition_implILS5_9ELb0ES3_jN6thrust23THRUST_200600_302600_NS6detail15normal_iteratorINS9_10device_ptrIyEEEENSB_INSC_IjEEEEPNS0_10empty_typeENS0_5tupleIJSE_SH_EEENSJ_IJSG_SI_EEENS0_18inequality_wrapperINS9_8equal_toIyEEEEPmJSH_EEE10hipError_tPvRmT3_T4_T5_T6_T7_T9_mT8_P12ihipStream_tbDpT10_ENKUlT_T0_E_clISt17integral_constantIbLb1EES19_IbLb0EEEEDaS15_S16_EUlS15_E_NS1_11comp_targetILNS1_3genE8ELNS1_11target_archE1030ELNS1_3gpuE2ELNS1_3repE0EEENS1_30default_config_static_selectorELNS0_4arch9wavefront6targetE0EEEvT1_,@function
_ZN7rocprim17ROCPRIM_400000_NS6detail17trampoline_kernelINS0_14default_configENS1_25partition_config_selectorILNS1_17partition_subalgoE9EyjbEEZZNS1_14partition_implILS5_9ELb0ES3_jN6thrust23THRUST_200600_302600_NS6detail15normal_iteratorINS9_10device_ptrIyEEEENSB_INSC_IjEEEEPNS0_10empty_typeENS0_5tupleIJSE_SH_EEENSJ_IJSG_SI_EEENS0_18inequality_wrapperINS9_8equal_toIyEEEEPmJSH_EEE10hipError_tPvRmT3_T4_T5_T6_T7_T9_mT8_P12ihipStream_tbDpT10_ENKUlT_T0_E_clISt17integral_constantIbLb1EES19_IbLb0EEEEDaS15_S16_EUlS15_E_NS1_11comp_targetILNS1_3genE8ELNS1_11target_archE1030ELNS1_3gpuE2ELNS1_3repE0EEENS1_30default_config_static_selectorELNS0_4arch9wavefront6targetE0EEEvT1_: ; @_ZN7rocprim17ROCPRIM_400000_NS6detail17trampoline_kernelINS0_14default_configENS1_25partition_config_selectorILNS1_17partition_subalgoE9EyjbEEZZNS1_14partition_implILS5_9ELb0ES3_jN6thrust23THRUST_200600_302600_NS6detail15normal_iteratorINS9_10device_ptrIyEEEENSB_INSC_IjEEEEPNS0_10empty_typeENS0_5tupleIJSE_SH_EEENSJ_IJSG_SI_EEENS0_18inequality_wrapperINS9_8equal_toIyEEEEPmJSH_EEE10hipError_tPvRmT3_T4_T5_T6_T7_T9_mT8_P12ihipStream_tbDpT10_ENKUlT_T0_E_clISt17integral_constantIbLb1EES19_IbLb0EEEEDaS15_S16_EUlS15_E_NS1_11comp_targetILNS1_3genE8ELNS1_11target_archE1030ELNS1_3gpuE2ELNS1_3repE0EEENS1_30default_config_static_selectorELNS0_4arch9wavefront6targetE0EEEvT1_
; %bb.0:
	.section	.rodata,"a",@progbits
	.p2align	6, 0x0
	.amdhsa_kernel _ZN7rocprim17ROCPRIM_400000_NS6detail17trampoline_kernelINS0_14default_configENS1_25partition_config_selectorILNS1_17partition_subalgoE9EyjbEEZZNS1_14partition_implILS5_9ELb0ES3_jN6thrust23THRUST_200600_302600_NS6detail15normal_iteratorINS9_10device_ptrIyEEEENSB_INSC_IjEEEEPNS0_10empty_typeENS0_5tupleIJSE_SH_EEENSJ_IJSG_SI_EEENS0_18inequality_wrapperINS9_8equal_toIyEEEEPmJSH_EEE10hipError_tPvRmT3_T4_T5_T6_T7_T9_mT8_P12ihipStream_tbDpT10_ENKUlT_T0_E_clISt17integral_constantIbLb1EES19_IbLb0EEEEDaS15_S16_EUlS15_E_NS1_11comp_targetILNS1_3genE8ELNS1_11target_archE1030ELNS1_3gpuE2ELNS1_3repE0EEENS1_30default_config_static_selectorELNS0_4arch9wavefront6targetE0EEEvT1_
		.amdhsa_group_segment_fixed_size 0
		.amdhsa_private_segment_fixed_size 0
		.amdhsa_kernarg_size 112
		.amdhsa_user_sgpr_count 15
		.amdhsa_user_sgpr_dispatch_ptr 0
		.amdhsa_user_sgpr_queue_ptr 0
		.amdhsa_user_sgpr_kernarg_segment_ptr 1
		.amdhsa_user_sgpr_dispatch_id 0
		.amdhsa_user_sgpr_private_segment_size 0
		.amdhsa_wavefront_size32 1
		.amdhsa_uses_dynamic_stack 0
		.amdhsa_enable_private_segment 0
		.amdhsa_system_sgpr_workgroup_id_x 1
		.amdhsa_system_sgpr_workgroup_id_y 0
		.amdhsa_system_sgpr_workgroup_id_z 0
		.amdhsa_system_sgpr_workgroup_info 0
		.amdhsa_system_vgpr_workitem_id 0
		.amdhsa_next_free_vgpr 1
		.amdhsa_next_free_sgpr 1
		.amdhsa_reserve_vcc 0
		.amdhsa_float_round_mode_32 0
		.amdhsa_float_round_mode_16_64 0
		.amdhsa_float_denorm_mode_32 3
		.amdhsa_float_denorm_mode_16_64 3
		.amdhsa_dx10_clamp 1
		.amdhsa_ieee_mode 1
		.amdhsa_fp16_overflow 0
		.amdhsa_workgroup_processor_mode 1
		.amdhsa_memory_ordered 1
		.amdhsa_forward_progress 0
		.amdhsa_shared_vgpr_count 0
		.amdhsa_exception_fp_ieee_invalid_op 0
		.amdhsa_exception_fp_denorm_src 0
		.amdhsa_exception_fp_ieee_div_zero 0
		.amdhsa_exception_fp_ieee_overflow 0
		.amdhsa_exception_fp_ieee_underflow 0
		.amdhsa_exception_fp_ieee_inexact 0
		.amdhsa_exception_int_div_zero 0
	.end_amdhsa_kernel
	.section	.text._ZN7rocprim17ROCPRIM_400000_NS6detail17trampoline_kernelINS0_14default_configENS1_25partition_config_selectorILNS1_17partition_subalgoE9EyjbEEZZNS1_14partition_implILS5_9ELb0ES3_jN6thrust23THRUST_200600_302600_NS6detail15normal_iteratorINS9_10device_ptrIyEEEENSB_INSC_IjEEEEPNS0_10empty_typeENS0_5tupleIJSE_SH_EEENSJ_IJSG_SI_EEENS0_18inequality_wrapperINS9_8equal_toIyEEEEPmJSH_EEE10hipError_tPvRmT3_T4_T5_T6_T7_T9_mT8_P12ihipStream_tbDpT10_ENKUlT_T0_E_clISt17integral_constantIbLb1EES19_IbLb0EEEEDaS15_S16_EUlS15_E_NS1_11comp_targetILNS1_3genE8ELNS1_11target_archE1030ELNS1_3gpuE2ELNS1_3repE0EEENS1_30default_config_static_selectorELNS0_4arch9wavefront6targetE0EEEvT1_,"axG",@progbits,_ZN7rocprim17ROCPRIM_400000_NS6detail17trampoline_kernelINS0_14default_configENS1_25partition_config_selectorILNS1_17partition_subalgoE9EyjbEEZZNS1_14partition_implILS5_9ELb0ES3_jN6thrust23THRUST_200600_302600_NS6detail15normal_iteratorINS9_10device_ptrIyEEEENSB_INSC_IjEEEEPNS0_10empty_typeENS0_5tupleIJSE_SH_EEENSJ_IJSG_SI_EEENS0_18inequality_wrapperINS9_8equal_toIyEEEEPmJSH_EEE10hipError_tPvRmT3_T4_T5_T6_T7_T9_mT8_P12ihipStream_tbDpT10_ENKUlT_T0_E_clISt17integral_constantIbLb1EES19_IbLb0EEEEDaS15_S16_EUlS15_E_NS1_11comp_targetILNS1_3genE8ELNS1_11target_archE1030ELNS1_3gpuE2ELNS1_3repE0EEENS1_30default_config_static_selectorELNS0_4arch9wavefront6targetE0EEEvT1_,comdat
.Lfunc_end556:
	.size	_ZN7rocprim17ROCPRIM_400000_NS6detail17trampoline_kernelINS0_14default_configENS1_25partition_config_selectorILNS1_17partition_subalgoE9EyjbEEZZNS1_14partition_implILS5_9ELb0ES3_jN6thrust23THRUST_200600_302600_NS6detail15normal_iteratorINS9_10device_ptrIyEEEENSB_INSC_IjEEEEPNS0_10empty_typeENS0_5tupleIJSE_SH_EEENSJ_IJSG_SI_EEENS0_18inequality_wrapperINS9_8equal_toIyEEEEPmJSH_EEE10hipError_tPvRmT3_T4_T5_T6_T7_T9_mT8_P12ihipStream_tbDpT10_ENKUlT_T0_E_clISt17integral_constantIbLb1EES19_IbLb0EEEEDaS15_S16_EUlS15_E_NS1_11comp_targetILNS1_3genE8ELNS1_11target_archE1030ELNS1_3gpuE2ELNS1_3repE0EEENS1_30default_config_static_selectorELNS0_4arch9wavefront6targetE0EEEvT1_, .Lfunc_end556-_ZN7rocprim17ROCPRIM_400000_NS6detail17trampoline_kernelINS0_14default_configENS1_25partition_config_selectorILNS1_17partition_subalgoE9EyjbEEZZNS1_14partition_implILS5_9ELb0ES3_jN6thrust23THRUST_200600_302600_NS6detail15normal_iteratorINS9_10device_ptrIyEEEENSB_INSC_IjEEEEPNS0_10empty_typeENS0_5tupleIJSE_SH_EEENSJ_IJSG_SI_EEENS0_18inequality_wrapperINS9_8equal_toIyEEEEPmJSH_EEE10hipError_tPvRmT3_T4_T5_T6_T7_T9_mT8_P12ihipStream_tbDpT10_ENKUlT_T0_E_clISt17integral_constantIbLb1EES19_IbLb0EEEEDaS15_S16_EUlS15_E_NS1_11comp_targetILNS1_3genE8ELNS1_11target_archE1030ELNS1_3gpuE2ELNS1_3repE0EEENS1_30default_config_static_selectorELNS0_4arch9wavefront6targetE0EEEvT1_
                                        ; -- End function
	.section	.AMDGPU.csdata,"",@progbits
; Kernel info:
; codeLenInByte = 0
; NumSgprs: 0
; NumVgprs: 0
; ScratchSize: 0
; MemoryBound: 0
; FloatMode: 240
; IeeeMode: 1
; LDSByteSize: 0 bytes/workgroup (compile time only)
; SGPRBlocks: 0
; VGPRBlocks: 0
; NumSGPRsForWavesPerEU: 1
; NumVGPRsForWavesPerEU: 1
; Occupancy: 16
; WaveLimiterHint : 0
; COMPUTE_PGM_RSRC2:SCRATCH_EN: 0
; COMPUTE_PGM_RSRC2:USER_SGPR: 15
; COMPUTE_PGM_RSRC2:TRAP_HANDLER: 0
; COMPUTE_PGM_RSRC2:TGID_X_EN: 1
; COMPUTE_PGM_RSRC2:TGID_Y_EN: 0
; COMPUTE_PGM_RSRC2:TGID_Z_EN: 0
; COMPUTE_PGM_RSRC2:TIDIG_COMP_CNT: 0
	.section	.text._ZN7rocprim17ROCPRIM_400000_NS6detail17trampoline_kernelINS0_14default_configENS1_25partition_config_selectorILNS1_17partition_subalgoE9EyjbEEZZNS1_14partition_implILS5_9ELb0ES3_jN6thrust23THRUST_200600_302600_NS6detail15normal_iteratorINS9_10device_ptrIyEEEENSB_INSC_IjEEEEPNS0_10empty_typeENS0_5tupleIJSE_SH_EEENSJ_IJSG_SI_EEENS0_18inequality_wrapperINS9_8equal_toIyEEEEPmJSH_EEE10hipError_tPvRmT3_T4_T5_T6_T7_T9_mT8_P12ihipStream_tbDpT10_ENKUlT_T0_E_clISt17integral_constantIbLb0EES19_IbLb1EEEEDaS15_S16_EUlS15_E_NS1_11comp_targetILNS1_3genE0ELNS1_11target_archE4294967295ELNS1_3gpuE0ELNS1_3repE0EEENS1_30default_config_static_selectorELNS0_4arch9wavefront6targetE0EEEvT1_,"axG",@progbits,_ZN7rocprim17ROCPRIM_400000_NS6detail17trampoline_kernelINS0_14default_configENS1_25partition_config_selectorILNS1_17partition_subalgoE9EyjbEEZZNS1_14partition_implILS5_9ELb0ES3_jN6thrust23THRUST_200600_302600_NS6detail15normal_iteratorINS9_10device_ptrIyEEEENSB_INSC_IjEEEEPNS0_10empty_typeENS0_5tupleIJSE_SH_EEENSJ_IJSG_SI_EEENS0_18inequality_wrapperINS9_8equal_toIyEEEEPmJSH_EEE10hipError_tPvRmT3_T4_T5_T6_T7_T9_mT8_P12ihipStream_tbDpT10_ENKUlT_T0_E_clISt17integral_constantIbLb0EES19_IbLb1EEEEDaS15_S16_EUlS15_E_NS1_11comp_targetILNS1_3genE0ELNS1_11target_archE4294967295ELNS1_3gpuE0ELNS1_3repE0EEENS1_30default_config_static_selectorELNS0_4arch9wavefront6targetE0EEEvT1_,comdat
	.protected	_ZN7rocprim17ROCPRIM_400000_NS6detail17trampoline_kernelINS0_14default_configENS1_25partition_config_selectorILNS1_17partition_subalgoE9EyjbEEZZNS1_14partition_implILS5_9ELb0ES3_jN6thrust23THRUST_200600_302600_NS6detail15normal_iteratorINS9_10device_ptrIyEEEENSB_INSC_IjEEEEPNS0_10empty_typeENS0_5tupleIJSE_SH_EEENSJ_IJSG_SI_EEENS0_18inequality_wrapperINS9_8equal_toIyEEEEPmJSH_EEE10hipError_tPvRmT3_T4_T5_T6_T7_T9_mT8_P12ihipStream_tbDpT10_ENKUlT_T0_E_clISt17integral_constantIbLb0EES19_IbLb1EEEEDaS15_S16_EUlS15_E_NS1_11comp_targetILNS1_3genE0ELNS1_11target_archE4294967295ELNS1_3gpuE0ELNS1_3repE0EEENS1_30default_config_static_selectorELNS0_4arch9wavefront6targetE0EEEvT1_ ; -- Begin function _ZN7rocprim17ROCPRIM_400000_NS6detail17trampoline_kernelINS0_14default_configENS1_25partition_config_selectorILNS1_17partition_subalgoE9EyjbEEZZNS1_14partition_implILS5_9ELb0ES3_jN6thrust23THRUST_200600_302600_NS6detail15normal_iteratorINS9_10device_ptrIyEEEENSB_INSC_IjEEEEPNS0_10empty_typeENS0_5tupleIJSE_SH_EEENSJ_IJSG_SI_EEENS0_18inequality_wrapperINS9_8equal_toIyEEEEPmJSH_EEE10hipError_tPvRmT3_T4_T5_T6_T7_T9_mT8_P12ihipStream_tbDpT10_ENKUlT_T0_E_clISt17integral_constantIbLb0EES19_IbLb1EEEEDaS15_S16_EUlS15_E_NS1_11comp_targetILNS1_3genE0ELNS1_11target_archE4294967295ELNS1_3gpuE0ELNS1_3repE0EEENS1_30default_config_static_selectorELNS0_4arch9wavefront6targetE0EEEvT1_
	.globl	_ZN7rocprim17ROCPRIM_400000_NS6detail17trampoline_kernelINS0_14default_configENS1_25partition_config_selectorILNS1_17partition_subalgoE9EyjbEEZZNS1_14partition_implILS5_9ELb0ES3_jN6thrust23THRUST_200600_302600_NS6detail15normal_iteratorINS9_10device_ptrIyEEEENSB_INSC_IjEEEEPNS0_10empty_typeENS0_5tupleIJSE_SH_EEENSJ_IJSG_SI_EEENS0_18inequality_wrapperINS9_8equal_toIyEEEEPmJSH_EEE10hipError_tPvRmT3_T4_T5_T6_T7_T9_mT8_P12ihipStream_tbDpT10_ENKUlT_T0_E_clISt17integral_constantIbLb0EES19_IbLb1EEEEDaS15_S16_EUlS15_E_NS1_11comp_targetILNS1_3genE0ELNS1_11target_archE4294967295ELNS1_3gpuE0ELNS1_3repE0EEENS1_30default_config_static_selectorELNS0_4arch9wavefront6targetE0EEEvT1_
	.p2align	8
	.type	_ZN7rocprim17ROCPRIM_400000_NS6detail17trampoline_kernelINS0_14default_configENS1_25partition_config_selectorILNS1_17partition_subalgoE9EyjbEEZZNS1_14partition_implILS5_9ELb0ES3_jN6thrust23THRUST_200600_302600_NS6detail15normal_iteratorINS9_10device_ptrIyEEEENSB_INSC_IjEEEEPNS0_10empty_typeENS0_5tupleIJSE_SH_EEENSJ_IJSG_SI_EEENS0_18inequality_wrapperINS9_8equal_toIyEEEEPmJSH_EEE10hipError_tPvRmT3_T4_T5_T6_T7_T9_mT8_P12ihipStream_tbDpT10_ENKUlT_T0_E_clISt17integral_constantIbLb0EES19_IbLb1EEEEDaS15_S16_EUlS15_E_NS1_11comp_targetILNS1_3genE0ELNS1_11target_archE4294967295ELNS1_3gpuE0ELNS1_3repE0EEENS1_30default_config_static_selectorELNS0_4arch9wavefront6targetE0EEEvT1_,@function
_ZN7rocprim17ROCPRIM_400000_NS6detail17trampoline_kernelINS0_14default_configENS1_25partition_config_selectorILNS1_17partition_subalgoE9EyjbEEZZNS1_14partition_implILS5_9ELb0ES3_jN6thrust23THRUST_200600_302600_NS6detail15normal_iteratorINS9_10device_ptrIyEEEENSB_INSC_IjEEEEPNS0_10empty_typeENS0_5tupleIJSE_SH_EEENSJ_IJSG_SI_EEENS0_18inequality_wrapperINS9_8equal_toIyEEEEPmJSH_EEE10hipError_tPvRmT3_T4_T5_T6_T7_T9_mT8_P12ihipStream_tbDpT10_ENKUlT_T0_E_clISt17integral_constantIbLb0EES19_IbLb1EEEEDaS15_S16_EUlS15_E_NS1_11comp_targetILNS1_3genE0ELNS1_11target_archE4294967295ELNS1_3gpuE0ELNS1_3repE0EEENS1_30default_config_static_selectorELNS0_4arch9wavefront6targetE0EEEvT1_: ; @_ZN7rocprim17ROCPRIM_400000_NS6detail17trampoline_kernelINS0_14default_configENS1_25partition_config_selectorILNS1_17partition_subalgoE9EyjbEEZZNS1_14partition_implILS5_9ELb0ES3_jN6thrust23THRUST_200600_302600_NS6detail15normal_iteratorINS9_10device_ptrIyEEEENSB_INSC_IjEEEEPNS0_10empty_typeENS0_5tupleIJSE_SH_EEENSJ_IJSG_SI_EEENS0_18inequality_wrapperINS9_8equal_toIyEEEEPmJSH_EEE10hipError_tPvRmT3_T4_T5_T6_T7_T9_mT8_P12ihipStream_tbDpT10_ENKUlT_T0_E_clISt17integral_constantIbLb0EES19_IbLb1EEEEDaS15_S16_EUlS15_E_NS1_11comp_targetILNS1_3genE0ELNS1_11target_archE4294967295ELNS1_3gpuE0ELNS1_3repE0EEENS1_30default_config_static_selectorELNS0_4arch9wavefront6targetE0EEEvT1_
; %bb.0:
	.section	.rodata,"a",@progbits
	.p2align	6, 0x0
	.amdhsa_kernel _ZN7rocprim17ROCPRIM_400000_NS6detail17trampoline_kernelINS0_14default_configENS1_25partition_config_selectorILNS1_17partition_subalgoE9EyjbEEZZNS1_14partition_implILS5_9ELb0ES3_jN6thrust23THRUST_200600_302600_NS6detail15normal_iteratorINS9_10device_ptrIyEEEENSB_INSC_IjEEEEPNS0_10empty_typeENS0_5tupleIJSE_SH_EEENSJ_IJSG_SI_EEENS0_18inequality_wrapperINS9_8equal_toIyEEEEPmJSH_EEE10hipError_tPvRmT3_T4_T5_T6_T7_T9_mT8_P12ihipStream_tbDpT10_ENKUlT_T0_E_clISt17integral_constantIbLb0EES19_IbLb1EEEEDaS15_S16_EUlS15_E_NS1_11comp_targetILNS1_3genE0ELNS1_11target_archE4294967295ELNS1_3gpuE0ELNS1_3repE0EEENS1_30default_config_static_selectorELNS0_4arch9wavefront6targetE0EEEvT1_
		.amdhsa_group_segment_fixed_size 0
		.amdhsa_private_segment_fixed_size 0
		.amdhsa_kernarg_size 128
		.amdhsa_user_sgpr_count 15
		.amdhsa_user_sgpr_dispatch_ptr 0
		.amdhsa_user_sgpr_queue_ptr 0
		.amdhsa_user_sgpr_kernarg_segment_ptr 1
		.amdhsa_user_sgpr_dispatch_id 0
		.amdhsa_user_sgpr_private_segment_size 0
		.amdhsa_wavefront_size32 1
		.amdhsa_uses_dynamic_stack 0
		.amdhsa_enable_private_segment 0
		.amdhsa_system_sgpr_workgroup_id_x 1
		.amdhsa_system_sgpr_workgroup_id_y 0
		.amdhsa_system_sgpr_workgroup_id_z 0
		.amdhsa_system_sgpr_workgroup_info 0
		.amdhsa_system_vgpr_workitem_id 0
		.amdhsa_next_free_vgpr 1
		.amdhsa_next_free_sgpr 1
		.amdhsa_reserve_vcc 0
		.amdhsa_float_round_mode_32 0
		.amdhsa_float_round_mode_16_64 0
		.amdhsa_float_denorm_mode_32 3
		.amdhsa_float_denorm_mode_16_64 3
		.amdhsa_dx10_clamp 1
		.amdhsa_ieee_mode 1
		.amdhsa_fp16_overflow 0
		.amdhsa_workgroup_processor_mode 1
		.amdhsa_memory_ordered 1
		.amdhsa_forward_progress 0
		.amdhsa_shared_vgpr_count 0
		.amdhsa_exception_fp_ieee_invalid_op 0
		.amdhsa_exception_fp_denorm_src 0
		.amdhsa_exception_fp_ieee_div_zero 0
		.amdhsa_exception_fp_ieee_overflow 0
		.amdhsa_exception_fp_ieee_underflow 0
		.amdhsa_exception_fp_ieee_inexact 0
		.amdhsa_exception_int_div_zero 0
	.end_amdhsa_kernel
	.section	.text._ZN7rocprim17ROCPRIM_400000_NS6detail17trampoline_kernelINS0_14default_configENS1_25partition_config_selectorILNS1_17partition_subalgoE9EyjbEEZZNS1_14partition_implILS5_9ELb0ES3_jN6thrust23THRUST_200600_302600_NS6detail15normal_iteratorINS9_10device_ptrIyEEEENSB_INSC_IjEEEEPNS0_10empty_typeENS0_5tupleIJSE_SH_EEENSJ_IJSG_SI_EEENS0_18inequality_wrapperINS9_8equal_toIyEEEEPmJSH_EEE10hipError_tPvRmT3_T4_T5_T6_T7_T9_mT8_P12ihipStream_tbDpT10_ENKUlT_T0_E_clISt17integral_constantIbLb0EES19_IbLb1EEEEDaS15_S16_EUlS15_E_NS1_11comp_targetILNS1_3genE0ELNS1_11target_archE4294967295ELNS1_3gpuE0ELNS1_3repE0EEENS1_30default_config_static_selectorELNS0_4arch9wavefront6targetE0EEEvT1_,"axG",@progbits,_ZN7rocprim17ROCPRIM_400000_NS6detail17trampoline_kernelINS0_14default_configENS1_25partition_config_selectorILNS1_17partition_subalgoE9EyjbEEZZNS1_14partition_implILS5_9ELb0ES3_jN6thrust23THRUST_200600_302600_NS6detail15normal_iteratorINS9_10device_ptrIyEEEENSB_INSC_IjEEEEPNS0_10empty_typeENS0_5tupleIJSE_SH_EEENSJ_IJSG_SI_EEENS0_18inequality_wrapperINS9_8equal_toIyEEEEPmJSH_EEE10hipError_tPvRmT3_T4_T5_T6_T7_T9_mT8_P12ihipStream_tbDpT10_ENKUlT_T0_E_clISt17integral_constantIbLb0EES19_IbLb1EEEEDaS15_S16_EUlS15_E_NS1_11comp_targetILNS1_3genE0ELNS1_11target_archE4294967295ELNS1_3gpuE0ELNS1_3repE0EEENS1_30default_config_static_selectorELNS0_4arch9wavefront6targetE0EEEvT1_,comdat
.Lfunc_end557:
	.size	_ZN7rocprim17ROCPRIM_400000_NS6detail17trampoline_kernelINS0_14default_configENS1_25partition_config_selectorILNS1_17partition_subalgoE9EyjbEEZZNS1_14partition_implILS5_9ELb0ES3_jN6thrust23THRUST_200600_302600_NS6detail15normal_iteratorINS9_10device_ptrIyEEEENSB_INSC_IjEEEEPNS0_10empty_typeENS0_5tupleIJSE_SH_EEENSJ_IJSG_SI_EEENS0_18inequality_wrapperINS9_8equal_toIyEEEEPmJSH_EEE10hipError_tPvRmT3_T4_T5_T6_T7_T9_mT8_P12ihipStream_tbDpT10_ENKUlT_T0_E_clISt17integral_constantIbLb0EES19_IbLb1EEEEDaS15_S16_EUlS15_E_NS1_11comp_targetILNS1_3genE0ELNS1_11target_archE4294967295ELNS1_3gpuE0ELNS1_3repE0EEENS1_30default_config_static_selectorELNS0_4arch9wavefront6targetE0EEEvT1_, .Lfunc_end557-_ZN7rocprim17ROCPRIM_400000_NS6detail17trampoline_kernelINS0_14default_configENS1_25partition_config_selectorILNS1_17partition_subalgoE9EyjbEEZZNS1_14partition_implILS5_9ELb0ES3_jN6thrust23THRUST_200600_302600_NS6detail15normal_iteratorINS9_10device_ptrIyEEEENSB_INSC_IjEEEEPNS0_10empty_typeENS0_5tupleIJSE_SH_EEENSJ_IJSG_SI_EEENS0_18inequality_wrapperINS9_8equal_toIyEEEEPmJSH_EEE10hipError_tPvRmT3_T4_T5_T6_T7_T9_mT8_P12ihipStream_tbDpT10_ENKUlT_T0_E_clISt17integral_constantIbLb0EES19_IbLb1EEEEDaS15_S16_EUlS15_E_NS1_11comp_targetILNS1_3genE0ELNS1_11target_archE4294967295ELNS1_3gpuE0ELNS1_3repE0EEENS1_30default_config_static_selectorELNS0_4arch9wavefront6targetE0EEEvT1_
                                        ; -- End function
	.section	.AMDGPU.csdata,"",@progbits
; Kernel info:
; codeLenInByte = 0
; NumSgprs: 0
; NumVgprs: 0
; ScratchSize: 0
; MemoryBound: 0
; FloatMode: 240
; IeeeMode: 1
; LDSByteSize: 0 bytes/workgroup (compile time only)
; SGPRBlocks: 0
; VGPRBlocks: 0
; NumSGPRsForWavesPerEU: 1
; NumVGPRsForWavesPerEU: 1
; Occupancy: 16
; WaveLimiterHint : 0
; COMPUTE_PGM_RSRC2:SCRATCH_EN: 0
; COMPUTE_PGM_RSRC2:USER_SGPR: 15
; COMPUTE_PGM_RSRC2:TRAP_HANDLER: 0
; COMPUTE_PGM_RSRC2:TGID_X_EN: 1
; COMPUTE_PGM_RSRC2:TGID_Y_EN: 0
; COMPUTE_PGM_RSRC2:TGID_Z_EN: 0
; COMPUTE_PGM_RSRC2:TIDIG_COMP_CNT: 0
	.section	.text._ZN7rocprim17ROCPRIM_400000_NS6detail17trampoline_kernelINS0_14default_configENS1_25partition_config_selectorILNS1_17partition_subalgoE9EyjbEEZZNS1_14partition_implILS5_9ELb0ES3_jN6thrust23THRUST_200600_302600_NS6detail15normal_iteratorINS9_10device_ptrIyEEEENSB_INSC_IjEEEEPNS0_10empty_typeENS0_5tupleIJSE_SH_EEENSJ_IJSG_SI_EEENS0_18inequality_wrapperINS9_8equal_toIyEEEEPmJSH_EEE10hipError_tPvRmT3_T4_T5_T6_T7_T9_mT8_P12ihipStream_tbDpT10_ENKUlT_T0_E_clISt17integral_constantIbLb0EES19_IbLb1EEEEDaS15_S16_EUlS15_E_NS1_11comp_targetILNS1_3genE5ELNS1_11target_archE942ELNS1_3gpuE9ELNS1_3repE0EEENS1_30default_config_static_selectorELNS0_4arch9wavefront6targetE0EEEvT1_,"axG",@progbits,_ZN7rocprim17ROCPRIM_400000_NS6detail17trampoline_kernelINS0_14default_configENS1_25partition_config_selectorILNS1_17partition_subalgoE9EyjbEEZZNS1_14partition_implILS5_9ELb0ES3_jN6thrust23THRUST_200600_302600_NS6detail15normal_iteratorINS9_10device_ptrIyEEEENSB_INSC_IjEEEEPNS0_10empty_typeENS0_5tupleIJSE_SH_EEENSJ_IJSG_SI_EEENS0_18inequality_wrapperINS9_8equal_toIyEEEEPmJSH_EEE10hipError_tPvRmT3_T4_T5_T6_T7_T9_mT8_P12ihipStream_tbDpT10_ENKUlT_T0_E_clISt17integral_constantIbLb0EES19_IbLb1EEEEDaS15_S16_EUlS15_E_NS1_11comp_targetILNS1_3genE5ELNS1_11target_archE942ELNS1_3gpuE9ELNS1_3repE0EEENS1_30default_config_static_selectorELNS0_4arch9wavefront6targetE0EEEvT1_,comdat
	.protected	_ZN7rocprim17ROCPRIM_400000_NS6detail17trampoline_kernelINS0_14default_configENS1_25partition_config_selectorILNS1_17partition_subalgoE9EyjbEEZZNS1_14partition_implILS5_9ELb0ES3_jN6thrust23THRUST_200600_302600_NS6detail15normal_iteratorINS9_10device_ptrIyEEEENSB_INSC_IjEEEEPNS0_10empty_typeENS0_5tupleIJSE_SH_EEENSJ_IJSG_SI_EEENS0_18inequality_wrapperINS9_8equal_toIyEEEEPmJSH_EEE10hipError_tPvRmT3_T4_T5_T6_T7_T9_mT8_P12ihipStream_tbDpT10_ENKUlT_T0_E_clISt17integral_constantIbLb0EES19_IbLb1EEEEDaS15_S16_EUlS15_E_NS1_11comp_targetILNS1_3genE5ELNS1_11target_archE942ELNS1_3gpuE9ELNS1_3repE0EEENS1_30default_config_static_selectorELNS0_4arch9wavefront6targetE0EEEvT1_ ; -- Begin function _ZN7rocprim17ROCPRIM_400000_NS6detail17trampoline_kernelINS0_14default_configENS1_25partition_config_selectorILNS1_17partition_subalgoE9EyjbEEZZNS1_14partition_implILS5_9ELb0ES3_jN6thrust23THRUST_200600_302600_NS6detail15normal_iteratorINS9_10device_ptrIyEEEENSB_INSC_IjEEEEPNS0_10empty_typeENS0_5tupleIJSE_SH_EEENSJ_IJSG_SI_EEENS0_18inequality_wrapperINS9_8equal_toIyEEEEPmJSH_EEE10hipError_tPvRmT3_T4_T5_T6_T7_T9_mT8_P12ihipStream_tbDpT10_ENKUlT_T0_E_clISt17integral_constantIbLb0EES19_IbLb1EEEEDaS15_S16_EUlS15_E_NS1_11comp_targetILNS1_3genE5ELNS1_11target_archE942ELNS1_3gpuE9ELNS1_3repE0EEENS1_30default_config_static_selectorELNS0_4arch9wavefront6targetE0EEEvT1_
	.globl	_ZN7rocprim17ROCPRIM_400000_NS6detail17trampoline_kernelINS0_14default_configENS1_25partition_config_selectorILNS1_17partition_subalgoE9EyjbEEZZNS1_14partition_implILS5_9ELb0ES3_jN6thrust23THRUST_200600_302600_NS6detail15normal_iteratorINS9_10device_ptrIyEEEENSB_INSC_IjEEEEPNS0_10empty_typeENS0_5tupleIJSE_SH_EEENSJ_IJSG_SI_EEENS0_18inequality_wrapperINS9_8equal_toIyEEEEPmJSH_EEE10hipError_tPvRmT3_T4_T5_T6_T7_T9_mT8_P12ihipStream_tbDpT10_ENKUlT_T0_E_clISt17integral_constantIbLb0EES19_IbLb1EEEEDaS15_S16_EUlS15_E_NS1_11comp_targetILNS1_3genE5ELNS1_11target_archE942ELNS1_3gpuE9ELNS1_3repE0EEENS1_30default_config_static_selectorELNS0_4arch9wavefront6targetE0EEEvT1_
	.p2align	8
	.type	_ZN7rocprim17ROCPRIM_400000_NS6detail17trampoline_kernelINS0_14default_configENS1_25partition_config_selectorILNS1_17partition_subalgoE9EyjbEEZZNS1_14partition_implILS5_9ELb0ES3_jN6thrust23THRUST_200600_302600_NS6detail15normal_iteratorINS9_10device_ptrIyEEEENSB_INSC_IjEEEEPNS0_10empty_typeENS0_5tupleIJSE_SH_EEENSJ_IJSG_SI_EEENS0_18inequality_wrapperINS9_8equal_toIyEEEEPmJSH_EEE10hipError_tPvRmT3_T4_T5_T6_T7_T9_mT8_P12ihipStream_tbDpT10_ENKUlT_T0_E_clISt17integral_constantIbLb0EES19_IbLb1EEEEDaS15_S16_EUlS15_E_NS1_11comp_targetILNS1_3genE5ELNS1_11target_archE942ELNS1_3gpuE9ELNS1_3repE0EEENS1_30default_config_static_selectorELNS0_4arch9wavefront6targetE0EEEvT1_,@function
_ZN7rocprim17ROCPRIM_400000_NS6detail17trampoline_kernelINS0_14default_configENS1_25partition_config_selectorILNS1_17partition_subalgoE9EyjbEEZZNS1_14partition_implILS5_9ELb0ES3_jN6thrust23THRUST_200600_302600_NS6detail15normal_iteratorINS9_10device_ptrIyEEEENSB_INSC_IjEEEEPNS0_10empty_typeENS0_5tupleIJSE_SH_EEENSJ_IJSG_SI_EEENS0_18inequality_wrapperINS9_8equal_toIyEEEEPmJSH_EEE10hipError_tPvRmT3_T4_T5_T6_T7_T9_mT8_P12ihipStream_tbDpT10_ENKUlT_T0_E_clISt17integral_constantIbLb0EES19_IbLb1EEEEDaS15_S16_EUlS15_E_NS1_11comp_targetILNS1_3genE5ELNS1_11target_archE942ELNS1_3gpuE9ELNS1_3repE0EEENS1_30default_config_static_selectorELNS0_4arch9wavefront6targetE0EEEvT1_: ; @_ZN7rocprim17ROCPRIM_400000_NS6detail17trampoline_kernelINS0_14default_configENS1_25partition_config_selectorILNS1_17partition_subalgoE9EyjbEEZZNS1_14partition_implILS5_9ELb0ES3_jN6thrust23THRUST_200600_302600_NS6detail15normal_iteratorINS9_10device_ptrIyEEEENSB_INSC_IjEEEEPNS0_10empty_typeENS0_5tupleIJSE_SH_EEENSJ_IJSG_SI_EEENS0_18inequality_wrapperINS9_8equal_toIyEEEEPmJSH_EEE10hipError_tPvRmT3_T4_T5_T6_T7_T9_mT8_P12ihipStream_tbDpT10_ENKUlT_T0_E_clISt17integral_constantIbLb0EES19_IbLb1EEEEDaS15_S16_EUlS15_E_NS1_11comp_targetILNS1_3genE5ELNS1_11target_archE942ELNS1_3gpuE9ELNS1_3repE0EEENS1_30default_config_static_selectorELNS0_4arch9wavefront6targetE0EEEvT1_
; %bb.0:
	.section	.rodata,"a",@progbits
	.p2align	6, 0x0
	.amdhsa_kernel _ZN7rocprim17ROCPRIM_400000_NS6detail17trampoline_kernelINS0_14default_configENS1_25partition_config_selectorILNS1_17partition_subalgoE9EyjbEEZZNS1_14partition_implILS5_9ELb0ES3_jN6thrust23THRUST_200600_302600_NS6detail15normal_iteratorINS9_10device_ptrIyEEEENSB_INSC_IjEEEEPNS0_10empty_typeENS0_5tupleIJSE_SH_EEENSJ_IJSG_SI_EEENS0_18inequality_wrapperINS9_8equal_toIyEEEEPmJSH_EEE10hipError_tPvRmT3_T4_T5_T6_T7_T9_mT8_P12ihipStream_tbDpT10_ENKUlT_T0_E_clISt17integral_constantIbLb0EES19_IbLb1EEEEDaS15_S16_EUlS15_E_NS1_11comp_targetILNS1_3genE5ELNS1_11target_archE942ELNS1_3gpuE9ELNS1_3repE0EEENS1_30default_config_static_selectorELNS0_4arch9wavefront6targetE0EEEvT1_
		.amdhsa_group_segment_fixed_size 0
		.amdhsa_private_segment_fixed_size 0
		.amdhsa_kernarg_size 128
		.amdhsa_user_sgpr_count 15
		.amdhsa_user_sgpr_dispatch_ptr 0
		.amdhsa_user_sgpr_queue_ptr 0
		.amdhsa_user_sgpr_kernarg_segment_ptr 1
		.amdhsa_user_sgpr_dispatch_id 0
		.amdhsa_user_sgpr_private_segment_size 0
		.amdhsa_wavefront_size32 1
		.amdhsa_uses_dynamic_stack 0
		.amdhsa_enable_private_segment 0
		.amdhsa_system_sgpr_workgroup_id_x 1
		.amdhsa_system_sgpr_workgroup_id_y 0
		.amdhsa_system_sgpr_workgroup_id_z 0
		.amdhsa_system_sgpr_workgroup_info 0
		.amdhsa_system_vgpr_workitem_id 0
		.amdhsa_next_free_vgpr 1
		.amdhsa_next_free_sgpr 1
		.amdhsa_reserve_vcc 0
		.amdhsa_float_round_mode_32 0
		.amdhsa_float_round_mode_16_64 0
		.amdhsa_float_denorm_mode_32 3
		.amdhsa_float_denorm_mode_16_64 3
		.amdhsa_dx10_clamp 1
		.amdhsa_ieee_mode 1
		.amdhsa_fp16_overflow 0
		.amdhsa_workgroup_processor_mode 1
		.amdhsa_memory_ordered 1
		.amdhsa_forward_progress 0
		.amdhsa_shared_vgpr_count 0
		.amdhsa_exception_fp_ieee_invalid_op 0
		.amdhsa_exception_fp_denorm_src 0
		.amdhsa_exception_fp_ieee_div_zero 0
		.amdhsa_exception_fp_ieee_overflow 0
		.amdhsa_exception_fp_ieee_underflow 0
		.amdhsa_exception_fp_ieee_inexact 0
		.amdhsa_exception_int_div_zero 0
	.end_amdhsa_kernel
	.section	.text._ZN7rocprim17ROCPRIM_400000_NS6detail17trampoline_kernelINS0_14default_configENS1_25partition_config_selectorILNS1_17partition_subalgoE9EyjbEEZZNS1_14partition_implILS5_9ELb0ES3_jN6thrust23THRUST_200600_302600_NS6detail15normal_iteratorINS9_10device_ptrIyEEEENSB_INSC_IjEEEEPNS0_10empty_typeENS0_5tupleIJSE_SH_EEENSJ_IJSG_SI_EEENS0_18inequality_wrapperINS9_8equal_toIyEEEEPmJSH_EEE10hipError_tPvRmT3_T4_T5_T6_T7_T9_mT8_P12ihipStream_tbDpT10_ENKUlT_T0_E_clISt17integral_constantIbLb0EES19_IbLb1EEEEDaS15_S16_EUlS15_E_NS1_11comp_targetILNS1_3genE5ELNS1_11target_archE942ELNS1_3gpuE9ELNS1_3repE0EEENS1_30default_config_static_selectorELNS0_4arch9wavefront6targetE0EEEvT1_,"axG",@progbits,_ZN7rocprim17ROCPRIM_400000_NS6detail17trampoline_kernelINS0_14default_configENS1_25partition_config_selectorILNS1_17partition_subalgoE9EyjbEEZZNS1_14partition_implILS5_9ELb0ES3_jN6thrust23THRUST_200600_302600_NS6detail15normal_iteratorINS9_10device_ptrIyEEEENSB_INSC_IjEEEEPNS0_10empty_typeENS0_5tupleIJSE_SH_EEENSJ_IJSG_SI_EEENS0_18inequality_wrapperINS9_8equal_toIyEEEEPmJSH_EEE10hipError_tPvRmT3_T4_T5_T6_T7_T9_mT8_P12ihipStream_tbDpT10_ENKUlT_T0_E_clISt17integral_constantIbLb0EES19_IbLb1EEEEDaS15_S16_EUlS15_E_NS1_11comp_targetILNS1_3genE5ELNS1_11target_archE942ELNS1_3gpuE9ELNS1_3repE0EEENS1_30default_config_static_selectorELNS0_4arch9wavefront6targetE0EEEvT1_,comdat
.Lfunc_end558:
	.size	_ZN7rocprim17ROCPRIM_400000_NS6detail17trampoline_kernelINS0_14default_configENS1_25partition_config_selectorILNS1_17partition_subalgoE9EyjbEEZZNS1_14partition_implILS5_9ELb0ES3_jN6thrust23THRUST_200600_302600_NS6detail15normal_iteratorINS9_10device_ptrIyEEEENSB_INSC_IjEEEEPNS0_10empty_typeENS0_5tupleIJSE_SH_EEENSJ_IJSG_SI_EEENS0_18inequality_wrapperINS9_8equal_toIyEEEEPmJSH_EEE10hipError_tPvRmT3_T4_T5_T6_T7_T9_mT8_P12ihipStream_tbDpT10_ENKUlT_T0_E_clISt17integral_constantIbLb0EES19_IbLb1EEEEDaS15_S16_EUlS15_E_NS1_11comp_targetILNS1_3genE5ELNS1_11target_archE942ELNS1_3gpuE9ELNS1_3repE0EEENS1_30default_config_static_selectorELNS0_4arch9wavefront6targetE0EEEvT1_, .Lfunc_end558-_ZN7rocprim17ROCPRIM_400000_NS6detail17trampoline_kernelINS0_14default_configENS1_25partition_config_selectorILNS1_17partition_subalgoE9EyjbEEZZNS1_14partition_implILS5_9ELb0ES3_jN6thrust23THRUST_200600_302600_NS6detail15normal_iteratorINS9_10device_ptrIyEEEENSB_INSC_IjEEEEPNS0_10empty_typeENS0_5tupleIJSE_SH_EEENSJ_IJSG_SI_EEENS0_18inequality_wrapperINS9_8equal_toIyEEEEPmJSH_EEE10hipError_tPvRmT3_T4_T5_T6_T7_T9_mT8_P12ihipStream_tbDpT10_ENKUlT_T0_E_clISt17integral_constantIbLb0EES19_IbLb1EEEEDaS15_S16_EUlS15_E_NS1_11comp_targetILNS1_3genE5ELNS1_11target_archE942ELNS1_3gpuE9ELNS1_3repE0EEENS1_30default_config_static_selectorELNS0_4arch9wavefront6targetE0EEEvT1_
                                        ; -- End function
	.section	.AMDGPU.csdata,"",@progbits
; Kernel info:
; codeLenInByte = 0
; NumSgprs: 0
; NumVgprs: 0
; ScratchSize: 0
; MemoryBound: 0
; FloatMode: 240
; IeeeMode: 1
; LDSByteSize: 0 bytes/workgroup (compile time only)
; SGPRBlocks: 0
; VGPRBlocks: 0
; NumSGPRsForWavesPerEU: 1
; NumVGPRsForWavesPerEU: 1
; Occupancy: 16
; WaveLimiterHint : 0
; COMPUTE_PGM_RSRC2:SCRATCH_EN: 0
; COMPUTE_PGM_RSRC2:USER_SGPR: 15
; COMPUTE_PGM_RSRC2:TRAP_HANDLER: 0
; COMPUTE_PGM_RSRC2:TGID_X_EN: 1
; COMPUTE_PGM_RSRC2:TGID_Y_EN: 0
; COMPUTE_PGM_RSRC2:TGID_Z_EN: 0
; COMPUTE_PGM_RSRC2:TIDIG_COMP_CNT: 0
	.section	.text._ZN7rocprim17ROCPRIM_400000_NS6detail17trampoline_kernelINS0_14default_configENS1_25partition_config_selectorILNS1_17partition_subalgoE9EyjbEEZZNS1_14partition_implILS5_9ELb0ES3_jN6thrust23THRUST_200600_302600_NS6detail15normal_iteratorINS9_10device_ptrIyEEEENSB_INSC_IjEEEEPNS0_10empty_typeENS0_5tupleIJSE_SH_EEENSJ_IJSG_SI_EEENS0_18inequality_wrapperINS9_8equal_toIyEEEEPmJSH_EEE10hipError_tPvRmT3_T4_T5_T6_T7_T9_mT8_P12ihipStream_tbDpT10_ENKUlT_T0_E_clISt17integral_constantIbLb0EES19_IbLb1EEEEDaS15_S16_EUlS15_E_NS1_11comp_targetILNS1_3genE4ELNS1_11target_archE910ELNS1_3gpuE8ELNS1_3repE0EEENS1_30default_config_static_selectorELNS0_4arch9wavefront6targetE0EEEvT1_,"axG",@progbits,_ZN7rocprim17ROCPRIM_400000_NS6detail17trampoline_kernelINS0_14default_configENS1_25partition_config_selectorILNS1_17partition_subalgoE9EyjbEEZZNS1_14partition_implILS5_9ELb0ES3_jN6thrust23THRUST_200600_302600_NS6detail15normal_iteratorINS9_10device_ptrIyEEEENSB_INSC_IjEEEEPNS0_10empty_typeENS0_5tupleIJSE_SH_EEENSJ_IJSG_SI_EEENS0_18inequality_wrapperINS9_8equal_toIyEEEEPmJSH_EEE10hipError_tPvRmT3_T4_T5_T6_T7_T9_mT8_P12ihipStream_tbDpT10_ENKUlT_T0_E_clISt17integral_constantIbLb0EES19_IbLb1EEEEDaS15_S16_EUlS15_E_NS1_11comp_targetILNS1_3genE4ELNS1_11target_archE910ELNS1_3gpuE8ELNS1_3repE0EEENS1_30default_config_static_selectorELNS0_4arch9wavefront6targetE0EEEvT1_,comdat
	.protected	_ZN7rocprim17ROCPRIM_400000_NS6detail17trampoline_kernelINS0_14default_configENS1_25partition_config_selectorILNS1_17partition_subalgoE9EyjbEEZZNS1_14partition_implILS5_9ELb0ES3_jN6thrust23THRUST_200600_302600_NS6detail15normal_iteratorINS9_10device_ptrIyEEEENSB_INSC_IjEEEEPNS0_10empty_typeENS0_5tupleIJSE_SH_EEENSJ_IJSG_SI_EEENS0_18inequality_wrapperINS9_8equal_toIyEEEEPmJSH_EEE10hipError_tPvRmT3_T4_T5_T6_T7_T9_mT8_P12ihipStream_tbDpT10_ENKUlT_T0_E_clISt17integral_constantIbLb0EES19_IbLb1EEEEDaS15_S16_EUlS15_E_NS1_11comp_targetILNS1_3genE4ELNS1_11target_archE910ELNS1_3gpuE8ELNS1_3repE0EEENS1_30default_config_static_selectorELNS0_4arch9wavefront6targetE0EEEvT1_ ; -- Begin function _ZN7rocprim17ROCPRIM_400000_NS6detail17trampoline_kernelINS0_14default_configENS1_25partition_config_selectorILNS1_17partition_subalgoE9EyjbEEZZNS1_14partition_implILS5_9ELb0ES3_jN6thrust23THRUST_200600_302600_NS6detail15normal_iteratorINS9_10device_ptrIyEEEENSB_INSC_IjEEEEPNS0_10empty_typeENS0_5tupleIJSE_SH_EEENSJ_IJSG_SI_EEENS0_18inequality_wrapperINS9_8equal_toIyEEEEPmJSH_EEE10hipError_tPvRmT3_T4_T5_T6_T7_T9_mT8_P12ihipStream_tbDpT10_ENKUlT_T0_E_clISt17integral_constantIbLb0EES19_IbLb1EEEEDaS15_S16_EUlS15_E_NS1_11comp_targetILNS1_3genE4ELNS1_11target_archE910ELNS1_3gpuE8ELNS1_3repE0EEENS1_30default_config_static_selectorELNS0_4arch9wavefront6targetE0EEEvT1_
	.globl	_ZN7rocprim17ROCPRIM_400000_NS6detail17trampoline_kernelINS0_14default_configENS1_25partition_config_selectorILNS1_17partition_subalgoE9EyjbEEZZNS1_14partition_implILS5_9ELb0ES3_jN6thrust23THRUST_200600_302600_NS6detail15normal_iteratorINS9_10device_ptrIyEEEENSB_INSC_IjEEEEPNS0_10empty_typeENS0_5tupleIJSE_SH_EEENSJ_IJSG_SI_EEENS0_18inequality_wrapperINS9_8equal_toIyEEEEPmJSH_EEE10hipError_tPvRmT3_T4_T5_T6_T7_T9_mT8_P12ihipStream_tbDpT10_ENKUlT_T0_E_clISt17integral_constantIbLb0EES19_IbLb1EEEEDaS15_S16_EUlS15_E_NS1_11comp_targetILNS1_3genE4ELNS1_11target_archE910ELNS1_3gpuE8ELNS1_3repE0EEENS1_30default_config_static_selectorELNS0_4arch9wavefront6targetE0EEEvT1_
	.p2align	8
	.type	_ZN7rocprim17ROCPRIM_400000_NS6detail17trampoline_kernelINS0_14default_configENS1_25partition_config_selectorILNS1_17partition_subalgoE9EyjbEEZZNS1_14partition_implILS5_9ELb0ES3_jN6thrust23THRUST_200600_302600_NS6detail15normal_iteratorINS9_10device_ptrIyEEEENSB_INSC_IjEEEEPNS0_10empty_typeENS0_5tupleIJSE_SH_EEENSJ_IJSG_SI_EEENS0_18inequality_wrapperINS9_8equal_toIyEEEEPmJSH_EEE10hipError_tPvRmT3_T4_T5_T6_T7_T9_mT8_P12ihipStream_tbDpT10_ENKUlT_T0_E_clISt17integral_constantIbLb0EES19_IbLb1EEEEDaS15_S16_EUlS15_E_NS1_11comp_targetILNS1_3genE4ELNS1_11target_archE910ELNS1_3gpuE8ELNS1_3repE0EEENS1_30default_config_static_selectorELNS0_4arch9wavefront6targetE0EEEvT1_,@function
_ZN7rocprim17ROCPRIM_400000_NS6detail17trampoline_kernelINS0_14default_configENS1_25partition_config_selectorILNS1_17partition_subalgoE9EyjbEEZZNS1_14partition_implILS5_9ELb0ES3_jN6thrust23THRUST_200600_302600_NS6detail15normal_iteratorINS9_10device_ptrIyEEEENSB_INSC_IjEEEEPNS0_10empty_typeENS0_5tupleIJSE_SH_EEENSJ_IJSG_SI_EEENS0_18inequality_wrapperINS9_8equal_toIyEEEEPmJSH_EEE10hipError_tPvRmT3_T4_T5_T6_T7_T9_mT8_P12ihipStream_tbDpT10_ENKUlT_T0_E_clISt17integral_constantIbLb0EES19_IbLb1EEEEDaS15_S16_EUlS15_E_NS1_11comp_targetILNS1_3genE4ELNS1_11target_archE910ELNS1_3gpuE8ELNS1_3repE0EEENS1_30default_config_static_selectorELNS0_4arch9wavefront6targetE0EEEvT1_: ; @_ZN7rocprim17ROCPRIM_400000_NS6detail17trampoline_kernelINS0_14default_configENS1_25partition_config_selectorILNS1_17partition_subalgoE9EyjbEEZZNS1_14partition_implILS5_9ELb0ES3_jN6thrust23THRUST_200600_302600_NS6detail15normal_iteratorINS9_10device_ptrIyEEEENSB_INSC_IjEEEEPNS0_10empty_typeENS0_5tupleIJSE_SH_EEENSJ_IJSG_SI_EEENS0_18inequality_wrapperINS9_8equal_toIyEEEEPmJSH_EEE10hipError_tPvRmT3_T4_T5_T6_T7_T9_mT8_P12ihipStream_tbDpT10_ENKUlT_T0_E_clISt17integral_constantIbLb0EES19_IbLb1EEEEDaS15_S16_EUlS15_E_NS1_11comp_targetILNS1_3genE4ELNS1_11target_archE910ELNS1_3gpuE8ELNS1_3repE0EEENS1_30default_config_static_selectorELNS0_4arch9wavefront6targetE0EEEvT1_
; %bb.0:
	.section	.rodata,"a",@progbits
	.p2align	6, 0x0
	.amdhsa_kernel _ZN7rocprim17ROCPRIM_400000_NS6detail17trampoline_kernelINS0_14default_configENS1_25partition_config_selectorILNS1_17partition_subalgoE9EyjbEEZZNS1_14partition_implILS5_9ELb0ES3_jN6thrust23THRUST_200600_302600_NS6detail15normal_iteratorINS9_10device_ptrIyEEEENSB_INSC_IjEEEEPNS0_10empty_typeENS0_5tupleIJSE_SH_EEENSJ_IJSG_SI_EEENS0_18inequality_wrapperINS9_8equal_toIyEEEEPmJSH_EEE10hipError_tPvRmT3_T4_T5_T6_T7_T9_mT8_P12ihipStream_tbDpT10_ENKUlT_T0_E_clISt17integral_constantIbLb0EES19_IbLb1EEEEDaS15_S16_EUlS15_E_NS1_11comp_targetILNS1_3genE4ELNS1_11target_archE910ELNS1_3gpuE8ELNS1_3repE0EEENS1_30default_config_static_selectorELNS0_4arch9wavefront6targetE0EEEvT1_
		.amdhsa_group_segment_fixed_size 0
		.amdhsa_private_segment_fixed_size 0
		.amdhsa_kernarg_size 128
		.amdhsa_user_sgpr_count 15
		.amdhsa_user_sgpr_dispatch_ptr 0
		.amdhsa_user_sgpr_queue_ptr 0
		.amdhsa_user_sgpr_kernarg_segment_ptr 1
		.amdhsa_user_sgpr_dispatch_id 0
		.amdhsa_user_sgpr_private_segment_size 0
		.amdhsa_wavefront_size32 1
		.amdhsa_uses_dynamic_stack 0
		.amdhsa_enable_private_segment 0
		.amdhsa_system_sgpr_workgroup_id_x 1
		.amdhsa_system_sgpr_workgroup_id_y 0
		.amdhsa_system_sgpr_workgroup_id_z 0
		.amdhsa_system_sgpr_workgroup_info 0
		.amdhsa_system_vgpr_workitem_id 0
		.amdhsa_next_free_vgpr 1
		.amdhsa_next_free_sgpr 1
		.amdhsa_reserve_vcc 0
		.amdhsa_float_round_mode_32 0
		.amdhsa_float_round_mode_16_64 0
		.amdhsa_float_denorm_mode_32 3
		.amdhsa_float_denorm_mode_16_64 3
		.amdhsa_dx10_clamp 1
		.amdhsa_ieee_mode 1
		.amdhsa_fp16_overflow 0
		.amdhsa_workgroup_processor_mode 1
		.amdhsa_memory_ordered 1
		.amdhsa_forward_progress 0
		.amdhsa_shared_vgpr_count 0
		.amdhsa_exception_fp_ieee_invalid_op 0
		.amdhsa_exception_fp_denorm_src 0
		.amdhsa_exception_fp_ieee_div_zero 0
		.amdhsa_exception_fp_ieee_overflow 0
		.amdhsa_exception_fp_ieee_underflow 0
		.amdhsa_exception_fp_ieee_inexact 0
		.amdhsa_exception_int_div_zero 0
	.end_amdhsa_kernel
	.section	.text._ZN7rocprim17ROCPRIM_400000_NS6detail17trampoline_kernelINS0_14default_configENS1_25partition_config_selectorILNS1_17partition_subalgoE9EyjbEEZZNS1_14partition_implILS5_9ELb0ES3_jN6thrust23THRUST_200600_302600_NS6detail15normal_iteratorINS9_10device_ptrIyEEEENSB_INSC_IjEEEEPNS0_10empty_typeENS0_5tupleIJSE_SH_EEENSJ_IJSG_SI_EEENS0_18inequality_wrapperINS9_8equal_toIyEEEEPmJSH_EEE10hipError_tPvRmT3_T4_T5_T6_T7_T9_mT8_P12ihipStream_tbDpT10_ENKUlT_T0_E_clISt17integral_constantIbLb0EES19_IbLb1EEEEDaS15_S16_EUlS15_E_NS1_11comp_targetILNS1_3genE4ELNS1_11target_archE910ELNS1_3gpuE8ELNS1_3repE0EEENS1_30default_config_static_selectorELNS0_4arch9wavefront6targetE0EEEvT1_,"axG",@progbits,_ZN7rocprim17ROCPRIM_400000_NS6detail17trampoline_kernelINS0_14default_configENS1_25partition_config_selectorILNS1_17partition_subalgoE9EyjbEEZZNS1_14partition_implILS5_9ELb0ES3_jN6thrust23THRUST_200600_302600_NS6detail15normal_iteratorINS9_10device_ptrIyEEEENSB_INSC_IjEEEEPNS0_10empty_typeENS0_5tupleIJSE_SH_EEENSJ_IJSG_SI_EEENS0_18inequality_wrapperINS9_8equal_toIyEEEEPmJSH_EEE10hipError_tPvRmT3_T4_T5_T6_T7_T9_mT8_P12ihipStream_tbDpT10_ENKUlT_T0_E_clISt17integral_constantIbLb0EES19_IbLb1EEEEDaS15_S16_EUlS15_E_NS1_11comp_targetILNS1_3genE4ELNS1_11target_archE910ELNS1_3gpuE8ELNS1_3repE0EEENS1_30default_config_static_selectorELNS0_4arch9wavefront6targetE0EEEvT1_,comdat
.Lfunc_end559:
	.size	_ZN7rocprim17ROCPRIM_400000_NS6detail17trampoline_kernelINS0_14default_configENS1_25partition_config_selectorILNS1_17partition_subalgoE9EyjbEEZZNS1_14partition_implILS5_9ELb0ES3_jN6thrust23THRUST_200600_302600_NS6detail15normal_iteratorINS9_10device_ptrIyEEEENSB_INSC_IjEEEEPNS0_10empty_typeENS0_5tupleIJSE_SH_EEENSJ_IJSG_SI_EEENS0_18inequality_wrapperINS9_8equal_toIyEEEEPmJSH_EEE10hipError_tPvRmT3_T4_T5_T6_T7_T9_mT8_P12ihipStream_tbDpT10_ENKUlT_T0_E_clISt17integral_constantIbLb0EES19_IbLb1EEEEDaS15_S16_EUlS15_E_NS1_11comp_targetILNS1_3genE4ELNS1_11target_archE910ELNS1_3gpuE8ELNS1_3repE0EEENS1_30default_config_static_selectorELNS0_4arch9wavefront6targetE0EEEvT1_, .Lfunc_end559-_ZN7rocprim17ROCPRIM_400000_NS6detail17trampoline_kernelINS0_14default_configENS1_25partition_config_selectorILNS1_17partition_subalgoE9EyjbEEZZNS1_14partition_implILS5_9ELb0ES3_jN6thrust23THRUST_200600_302600_NS6detail15normal_iteratorINS9_10device_ptrIyEEEENSB_INSC_IjEEEEPNS0_10empty_typeENS0_5tupleIJSE_SH_EEENSJ_IJSG_SI_EEENS0_18inequality_wrapperINS9_8equal_toIyEEEEPmJSH_EEE10hipError_tPvRmT3_T4_T5_T6_T7_T9_mT8_P12ihipStream_tbDpT10_ENKUlT_T0_E_clISt17integral_constantIbLb0EES19_IbLb1EEEEDaS15_S16_EUlS15_E_NS1_11comp_targetILNS1_3genE4ELNS1_11target_archE910ELNS1_3gpuE8ELNS1_3repE0EEENS1_30default_config_static_selectorELNS0_4arch9wavefront6targetE0EEEvT1_
                                        ; -- End function
	.section	.AMDGPU.csdata,"",@progbits
; Kernel info:
; codeLenInByte = 0
; NumSgprs: 0
; NumVgprs: 0
; ScratchSize: 0
; MemoryBound: 0
; FloatMode: 240
; IeeeMode: 1
; LDSByteSize: 0 bytes/workgroup (compile time only)
; SGPRBlocks: 0
; VGPRBlocks: 0
; NumSGPRsForWavesPerEU: 1
; NumVGPRsForWavesPerEU: 1
; Occupancy: 15
; WaveLimiterHint : 0
; COMPUTE_PGM_RSRC2:SCRATCH_EN: 0
; COMPUTE_PGM_RSRC2:USER_SGPR: 15
; COMPUTE_PGM_RSRC2:TRAP_HANDLER: 0
; COMPUTE_PGM_RSRC2:TGID_X_EN: 1
; COMPUTE_PGM_RSRC2:TGID_Y_EN: 0
; COMPUTE_PGM_RSRC2:TGID_Z_EN: 0
; COMPUTE_PGM_RSRC2:TIDIG_COMP_CNT: 0
	.section	.text._ZN7rocprim17ROCPRIM_400000_NS6detail17trampoline_kernelINS0_14default_configENS1_25partition_config_selectorILNS1_17partition_subalgoE9EyjbEEZZNS1_14partition_implILS5_9ELb0ES3_jN6thrust23THRUST_200600_302600_NS6detail15normal_iteratorINS9_10device_ptrIyEEEENSB_INSC_IjEEEEPNS0_10empty_typeENS0_5tupleIJSE_SH_EEENSJ_IJSG_SI_EEENS0_18inequality_wrapperINS9_8equal_toIyEEEEPmJSH_EEE10hipError_tPvRmT3_T4_T5_T6_T7_T9_mT8_P12ihipStream_tbDpT10_ENKUlT_T0_E_clISt17integral_constantIbLb0EES19_IbLb1EEEEDaS15_S16_EUlS15_E_NS1_11comp_targetILNS1_3genE3ELNS1_11target_archE908ELNS1_3gpuE7ELNS1_3repE0EEENS1_30default_config_static_selectorELNS0_4arch9wavefront6targetE0EEEvT1_,"axG",@progbits,_ZN7rocprim17ROCPRIM_400000_NS6detail17trampoline_kernelINS0_14default_configENS1_25partition_config_selectorILNS1_17partition_subalgoE9EyjbEEZZNS1_14partition_implILS5_9ELb0ES3_jN6thrust23THRUST_200600_302600_NS6detail15normal_iteratorINS9_10device_ptrIyEEEENSB_INSC_IjEEEEPNS0_10empty_typeENS0_5tupleIJSE_SH_EEENSJ_IJSG_SI_EEENS0_18inequality_wrapperINS9_8equal_toIyEEEEPmJSH_EEE10hipError_tPvRmT3_T4_T5_T6_T7_T9_mT8_P12ihipStream_tbDpT10_ENKUlT_T0_E_clISt17integral_constantIbLb0EES19_IbLb1EEEEDaS15_S16_EUlS15_E_NS1_11comp_targetILNS1_3genE3ELNS1_11target_archE908ELNS1_3gpuE7ELNS1_3repE0EEENS1_30default_config_static_selectorELNS0_4arch9wavefront6targetE0EEEvT1_,comdat
	.protected	_ZN7rocprim17ROCPRIM_400000_NS6detail17trampoline_kernelINS0_14default_configENS1_25partition_config_selectorILNS1_17partition_subalgoE9EyjbEEZZNS1_14partition_implILS5_9ELb0ES3_jN6thrust23THRUST_200600_302600_NS6detail15normal_iteratorINS9_10device_ptrIyEEEENSB_INSC_IjEEEEPNS0_10empty_typeENS0_5tupleIJSE_SH_EEENSJ_IJSG_SI_EEENS0_18inequality_wrapperINS9_8equal_toIyEEEEPmJSH_EEE10hipError_tPvRmT3_T4_T5_T6_T7_T9_mT8_P12ihipStream_tbDpT10_ENKUlT_T0_E_clISt17integral_constantIbLb0EES19_IbLb1EEEEDaS15_S16_EUlS15_E_NS1_11comp_targetILNS1_3genE3ELNS1_11target_archE908ELNS1_3gpuE7ELNS1_3repE0EEENS1_30default_config_static_selectorELNS0_4arch9wavefront6targetE0EEEvT1_ ; -- Begin function _ZN7rocprim17ROCPRIM_400000_NS6detail17trampoline_kernelINS0_14default_configENS1_25partition_config_selectorILNS1_17partition_subalgoE9EyjbEEZZNS1_14partition_implILS5_9ELb0ES3_jN6thrust23THRUST_200600_302600_NS6detail15normal_iteratorINS9_10device_ptrIyEEEENSB_INSC_IjEEEEPNS0_10empty_typeENS0_5tupleIJSE_SH_EEENSJ_IJSG_SI_EEENS0_18inequality_wrapperINS9_8equal_toIyEEEEPmJSH_EEE10hipError_tPvRmT3_T4_T5_T6_T7_T9_mT8_P12ihipStream_tbDpT10_ENKUlT_T0_E_clISt17integral_constantIbLb0EES19_IbLb1EEEEDaS15_S16_EUlS15_E_NS1_11comp_targetILNS1_3genE3ELNS1_11target_archE908ELNS1_3gpuE7ELNS1_3repE0EEENS1_30default_config_static_selectorELNS0_4arch9wavefront6targetE0EEEvT1_
	.globl	_ZN7rocprim17ROCPRIM_400000_NS6detail17trampoline_kernelINS0_14default_configENS1_25partition_config_selectorILNS1_17partition_subalgoE9EyjbEEZZNS1_14partition_implILS5_9ELb0ES3_jN6thrust23THRUST_200600_302600_NS6detail15normal_iteratorINS9_10device_ptrIyEEEENSB_INSC_IjEEEEPNS0_10empty_typeENS0_5tupleIJSE_SH_EEENSJ_IJSG_SI_EEENS0_18inequality_wrapperINS9_8equal_toIyEEEEPmJSH_EEE10hipError_tPvRmT3_T4_T5_T6_T7_T9_mT8_P12ihipStream_tbDpT10_ENKUlT_T0_E_clISt17integral_constantIbLb0EES19_IbLb1EEEEDaS15_S16_EUlS15_E_NS1_11comp_targetILNS1_3genE3ELNS1_11target_archE908ELNS1_3gpuE7ELNS1_3repE0EEENS1_30default_config_static_selectorELNS0_4arch9wavefront6targetE0EEEvT1_
	.p2align	8
	.type	_ZN7rocprim17ROCPRIM_400000_NS6detail17trampoline_kernelINS0_14default_configENS1_25partition_config_selectorILNS1_17partition_subalgoE9EyjbEEZZNS1_14partition_implILS5_9ELb0ES3_jN6thrust23THRUST_200600_302600_NS6detail15normal_iteratorINS9_10device_ptrIyEEEENSB_INSC_IjEEEEPNS0_10empty_typeENS0_5tupleIJSE_SH_EEENSJ_IJSG_SI_EEENS0_18inequality_wrapperINS9_8equal_toIyEEEEPmJSH_EEE10hipError_tPvRmT3_T4_T5_T6_T7_T9_mT8_P12ihipStream_tbDpT10_ENKUlT_T0_E_clISt17integral_constantIbLb0EES19_IbLb1EEEEDaS15_S16_EUlS15_E_NS1_11comp_targetILNS1_3genE3ELNS1_11target_archE908ELNS1_3gpuE7ELNS1_3repE0EEENS1_30default_config_static_selectorELNS0_4arch9wavefront6targetE0EEEvT1_,@function
_ZN7rocprim17ROCPRIM_400000_NS6detail17trampoline_kernelINS0_14default_configENS1_25partition_config_selectorILNS1_17partition_subalgoE9EyjbEEZZNS1_14partition_implILS5_9ELb0ES3_jN6thrust23THRUST_200600_302600_NS6detail15normal_iteratorINS9_10device_ptrIyEEEENSB_INSC_IjEEEEPNS0_10empty_typeENS0_5tupleIJSE_SH_EEENSJ_IJSG_SI_EEENS0_18inequality_wrapperINS9_8equal_toIyEEEEPmJSH_EEE10hipError_tPvRmT3_T4_T5_T6_T7_T9_mT8_P12ihipStream_tbDpT10_ENKUlT_T0_E_clISt17integral_constantIbLb0EES19_IbLb1EEEEDaS15_S16_EUlS15_E_NS1_11comp_targetILNS1_3genE3ELNS1_11target_archE908ELNS1_3gpuE7ELNS1_3repE0EEENS1_30default_config_static_selectorELNS0_4arch9wavefront6targetE0EEEvT1_: ; @_ZN7rocprim17ROCPRIM_400000_NS6detail17trampoline_kernelINS0_14default_configENS1_25partition_config_selectorILNS1_17partition_subalgoE9EyjbEEZZNS1_14partition_implILS5_9ELb0ES3_jN6thrust23THRUST_200600_302600_NS6detail15normal_iteratorINS9_10device_ptrIyEEEENSB_INSC_IjEEEEPNS0_10empty_typeENS0_5tupleIJSE_SH_EEENSJ_IJSG_SI_EEENS0_18inequality_wrapperINS9_8equal_toIyEEEEPmJSH_EEE10hipError_tPvRmT3_T4_T5_T6_T7_T9_mT8_P12ihipStream_tbDpT10_ENKUlT_T0_E_clISt17integral_constantIbLb0EES19_IbLb1EEEEDaS15_S16_EUlS15_E_NS1_11comp_targetILNS1_3genE3ELNS1_11target_archE908ELNS1_3gpuE7ELNS1_3repE0EEENS1_30default_config_static_selectorELNS0_4arch9wavefront6targetE0EEEvT1_
; %bb.0:
	.section	.rodata,"a",@progbits
	.p2align	6, 0x0
	.amdhsa_kernel _ZN7rocprim17ROCPRIM_400000_NS6detail17trampoline_kernelINS0_14default_configENS1_25partition_config_selectorILNS1_17partition_subalgoE9EyjbEEZZNS1_14partition_implILS5_9ELb0ES3_jN6thrust23THRUST_200600_302600_NS6detail15normal_iteratorINS9_10device_ptrIyEEEENSB_INSC_IjEEEEPNS0_10empty_typeENS0_5tupleIJSE_SH_EEENSJ_IJSG_SI_EEENS0_18inequality_wrapperINS9_8equal_toIyEEEEPmJSH_EEE10hipError_tPvRmT3_T4_T5_T6_T7_T9_mT8_P12ihipStream_tbDpT10_ENKUlT_T0_E_clISt17integral_constantIbLb0EES19_IbLb1EEEEDaS15_S16_EUlS15_E_NS1_11comp_targetILNS1_3genE3ELNS1_11target_archE908ELNS1_3gpuE7ELNS1_3repE0EEENS1_30default_config_static_selectorELNS0_4arch9wavefront6targetE0EEEvT1_
		.amdhsa_group_segment_fixed_size 0
		.amdhsa_private_segment_fixed_size 0
		.amdhsa_kernarg_size 128
		.amdhsa_user_sgpr_count 15
		.amdhsa_user_sgpr_dispatch_ptr 0
		.amdhsa_user_sgpr_queue_ptr 0
		.amdhsa_user_sgpr_kernarg_segment_ptr 1
		.amdhsa_user_sgpr_dispatch_id 0
		.amdhsa_user_sgpr_private_segment_size 0
		.amdhsa_wavefront_size32 1
		.amdhsa_uses_dynamic_stack 0
		.amdhsa_enable_private_segment 0
		.amdhsa_system_sgpr_workgroup_id_x 1
		.amdhsa_system_sgpr_workgroup_id_y 0
		.amdhsa_system_sgpr_workgroup_id_z 0
		.amdhsa_system_sgpr_workgroup_info 0
		.amdhsa_system_vgpr_workitem_id 0
		.amdhsa_next_free_vgpr 1
		.amdhsa_next_free_sgpr 1
		.amdhsa_reserve_vcc 0
		.amdhsa_float_round_mode_32 0
		.amdhsa_float_round_mode_16_64 0
		.amdhsa_float_denorm_mode_32 3
		.amdhsa_float_denorm_mode_16_64 3
		.amdhsa_dx10_clamp 1
		.amdhsa_ieee_mode 1
		.amdhsa_fp16_overflow 0
		.amdhsa_workgroup_processor_mode 1
		.amdhsa_memory_ordered 1
		.amdhsa_forward_progress 0
		.amdhsa_shared_vgpr_count 0
		.amdhsa_exception_fp_ieee_invalid_op 0
		.amdhsa_exception_fp_denorm_src 0
		.amdhsa_exception_fp_ieee_div_zero 0
		.amdhsa_exception_fp_ieee_overflow 0
		.amdhsa_exception_fp_ieee_underflow 0
		.amdhsa_exception_fp_ieee_inexact 0
		.amdhsa_exception_int_div_zero 0
	.end_amdhsa_kernel
	.section	.text._ZN7rocprim17ROCPRIM_400000_NS6detail17trampoline_kernelINS0_14default_configENS1_25partition_config_selectorILNS1_17partition_subalgoE9EyjbEEZZNS1_14partition_implILS5_9ELb0ES3_jN6thrust23THRUST_200600_302600_NS6detail15normal_iteratorINS9_10device_ptrIyEEEENSB_INSC_IjEEEEPNS0_10empty_typeENS0_5tupleIJSE_SH_EEENSJ_IJSG_SI_EEENS0_18inequality_wrapperINS9_8equal_toIyEEEEPmJSH_EEE10hipError_tPvRmT3_T4_T5_T6_T7_T9_mT8_P12ihipStream_tbDpT10_ENKUlT_T0_E_clISt17integral_constantIbLb0EES19_IbLb1EEEEDaS15_S16_EUlS15_E_NS1_11comp_targetILNS1_3genE3ELNS1_11target_archE908ELNS1_3gpuE7ELNS1_3repE0EEENS1_30default_config_static_selectorELNS0_4arch9wavefront6targetE0EEEvT1_,"axG",@progbits,_ZN7rocprim17ROCPRIM_400000_NS6detail17trampoline_kernelINS0_14default_configENS1_25partition_config_selectorILNS1_17partition_subalgoE9EyjbEEZZNS1_14partition_implILS5_9ELb0ES3_jN6thrust23THRUST_200600_302600_NS6detail15normal_iteratorINS9_10device_ptrIyEEEENSB_INSC_IjEEEEPNS0_10empty_typeENS0_5tupleIJSE_SH_EEENSJ_IJSG_SI_EEENS0_18inequality_wrapperINS9_8equal_toIyEEEEPmJSH_EEE10hipError_tPvRmT3_T4_T5_T6_T7_T9_mT8_P12ihipStream_tbDpT10_ENKUlT_T0_E_clISt17integral_constantIbLb0EES19_IbLb1EEEEDaS15_S16_EUlS15_E_NS1_11comp_targetILNS1_3genE3ELNS1_11target_archE908ELNS1_3gpuE7ELNS1_3repE0EEENS1_30default_config_static_selectorELNS0_4arch9wavefront6targetE0EEEvT1_,comdat
.Lfunc_end560:
	.size	_ZN7rocprim17ROCPRIM_400000_NS6detail17trampoline_kernelINS0_14default_configENS1_25partition_config_selectorILNS1_17partition_subalgoE9EyjbEEZZNS1_14partition_implILS5_9ELb0ES3_jN6thrust23THRUST_200600_302600_NS6detail15normal_iteratorINS9_10device_ptrIyEEEENSB_INSC_IjEEEEPNS0_10empty_typeENS0_5tupleIJSE_SH_EEENSJ_IJSG_SI_EEENS0_18inequality_wrapperINS9_8equal_toIyEEEEPmJSH_EEE10hipError_tPvRmT3_T4_T5_T6_T7_T9_mT8_P12ihipStream_tbDpT10_ENKUlT_T0_E_clISt17integral_constantIbLb0EES19_IbLb1EEEEDaS15_S16_EUlS15_E_NS1_11comp_targetILNS1_3genE3ELNS1_11target_archE908ELNS1_3gpuE7ELNS1_3repE0EEENS1_30default_config_static_selectorELNS0_4arch9wavefront6targetE0EEEvT1_, .Lfunc_end560-_ZN7rocprim17ROCPRIM_400000_NS6detail17trampoline_kernelINS0_14default_configENS1_25partition_config_selectorILNS1_17partition_subalgoE9EyjbEEZZNS1_14partition_implILS5_9ELb0ES3_jN6thrust23THRUST_200600_302600_NS6detail15normal_iteratorINS9_10device_ptrIyEEEENSB_INSC_IjEEEEPNS0_10empty_typeENS0_5tupleIJSE_SH_EEENSJ_IJSG_SI_EEENS0_18inequality_wrapperINS9_8equal_toIyEEEEPmJSH_EEE10hipError_tPvRmT3_T4_T5_T6_T7_T9_mT8_P12ihipStream_tbDpT10_ENKUlT_T0_E_clISt17integral_constantIbLb0EES19_IbLb1EEEEDaS15_S16_EUlS15_E_NS1_11comp_targetILNS1_3genE3ELNS1_11target_archE908ELNS1_3gpuE7ELNS1_3repE0EEENS1_30default_config_static_selectorELNS0_4arch9wavefront6targetE0EEEvT1_
                                        ; -- End function
	.section	.AMDGPU.csdata,"",@progbits
; Kernel info:
; codeLenInByte = 0
; NumSgprs: 0
; NumVgprs: 0
; ScratchSize: 0
; MemoryBound: 0
; FloatMode: 240
; IeeeMode: 1
; LDSByteSize: 0 bytes/workgroup (compile time only)
; SGPRBlocks: 0
; VGPRBlocks: 0
; NumSGPRsForWavesPerEU: 1
; NumVGPRsForWavesPerEU: 1
; Occupancy: 16
; WaveLimiterHint : 0
; COMPUTE_PGM_RSRC2:SCRATCH_EN: 0
; COMPUTE_PGM_RSRC2:USER_SGPR: 15
; COMPUTE_PGM_RSRC2:TRAP_HANDLER: 0
; COMPUTE_PGM_RSRC2:TGID_X_EN: 1
; COMPUTE_PGM_RSRC2:TGID_Y_EN: 0
; COMPUTE_PGM_RSRC2:TGID_Z_EN: 0
; COMPUTE_PGM_RSRC2:TIDIG_COMP_CNT: 0
	.section	.text._ZN7rocprim17ROCPRIM_400000_NS6detail17trampoline_kernelINS0_14default_configENS1_25partition_config_selectorILNS1_17partition_subalgoE9EyjbEEZZNS1_14partition_implILS5_9ELb0ES3_jN6thrust23THRUST_200600_302600_NS6detail15normal_iteratorINS9_10device_ptrIyEEEENSB_INSC_IjEEEEPNS0_10empty_typeENS0_5tupleIJSE_SH_EEENSJ_IJSG_SI_EEENS0_18inequality_wrapperINS9_8equal_toIyEEEEPmJSH_EEE10hipError_tPvRmT3_T4_T5_T6_T7_T9_mT8_P12ihipStream_tbDpT10_ENKUlT_T0_E_clISt17integral_constantIbLb0EES19_IbLb1EEEEDaS15_S16_EUlS15_E_NS1_11comp_targetILNS1_3genE2ELNS1_11target_archE906ELNS1_3gpuE6ELNS1_3repE0EEENS1_30default_config_static_selectorELNS0_4arch9wavefront6targetE0EEEvT1_,"axG",@progbits,_ZN7rocprim17ROCPRIM_400000_NS6detail17trampoline_kernelINS0_14default_configENS1_25partition_config_selectorILNS1_17partition_subalgoE9EyjbEEZZNS1_14partition_implILS5_9ELb0ES3_jN6thrust23THRUST_200600_302600_NS6detail15normal_iteratorINS9_10device_ptrIyEEEENSB_INSC_IjEEEEPNS0_10empty_typeENS0_5tupleIJSE_SH_EEENSJ_IJSG_SI_EEENS0_18inequality_wrapperINS9_8equal_toIyEEEEPmJSH_EEE10hipError_tPvRmT3_T4_T5_T6_T7_T9_mT8_P12ihipStream_tbDpT10_ENKUlT_T0_E_clISt17integral_constantIbLb0EES19_IbLb1EEEEDaS15_S16_EUlS15_E_NS1_11comp_targetILNS1_3genE2ELNS1_11target_archE906ELNS1_3gpuE6ELNS1_3repE0EEENS1_30default_config_static_selectorELNS0_4arch9wavefront6targetE0EEEvT1_,comdat
	.protected	_ZN7rocprim17ROCPRIM_400000_NS6detail17trampoline_kernelINS0_14default_configENS1_25partition_config_selectorILNS1_17partition_subalgoE9EyjbEEZZNS1_14partition_implILS5_9ELb0ES3_jN6thrust23THRUST_200600_302600_NS6detail15normal_iteratorINS9_10device_ptrIyEEEENSB_INSC_IjEEEEPNS0_10empty_typeENS0_5tupleIJSE_SH_EEENSJ_IJSG_SI_EEENS0_18inequality_wrapperINS9_8equal_toIyEEEEPmJSH_EEE10hipError_tPvRmT3_T4_T5_T6_T7_T9_mT8_P12ihipStream_tbDpT10_ENKUlT_T0_E_clISt17integral_constantIbLb0EES19_IbLb1EEEEDaS15_S16_EUlS15_E_NS1_11comp_targetILNS1_3genE2ELNS1_11target_archE906ELNS1_3gpuE6ELNS1_3repE0EEENS1_30default_config_static_selectorELNS0_4arch9wavefront6targetE0EEEvT1_ ; -- Begin function _ZN7rocprim17ROCPRIM_400000_NS6detail17trampoline_kernelINS0_14default_configENS1_25partition_config_selectorILNS1_17partition_subalgoE9EyjbEEZZNS1_14partition_implILS5_9ELb0ES3_jN6thrust23THRUST_200600_302600_NS6detail15normal_iteratorINS9_10device_ptrIyEEEENSB_INSC_IjEEEEPNS0_10empty_typeENS0_5tupleIJSE_SH_EEENSJ_IJSG_SI_EEENS0_18inequality_wrapperINS9_8equal_toIyEEEEPmJSH_EEE10hipError_tPvRmT3_T4_T5_T6_T7_T9_mT8_P12ihipStream_tbDpT10_ENKUlT_T0_E_clISt17integral_constantIbLb0EES19_IbLb1EEEEDaS15_S16_EUlS15_E_NS1_11comp_targetILNS1_3genE2ELNS1_11target_archE906ELNS1_3gpuE6ELNS1_3repE0EEENS1_30default_config_static_selectorELNS0_4arch9wavefront6targetE0EEEvT1_
	.globl	_ZN7rocprim17ROCPRIM_400000_NS6detail17trampoline_kernelINS0_14default_configENS1_25partition_config_selectorILNS1_17partition_subalgoE9EyjbEEZZNS1_14partition_implILS5_9ELb0ES3_jN6thrust23THRUST_200600_302600_NS6detail15normal_iteratorINS9_10device_ptrIyEEEENSB_INSC_IjEEEEPNS0_10empty_typeENS0_5tupleIJSE_SH_EEENSJ_IJSG_SI_EEENS0_18inequality_wrapperINS9_8equal_toIyEEEEPmJSH_EEE10hipError_tPvRmT3_T4_T5_T6_T7_T9_mT8_P12ihipStream_tbDpT10_ENKUlT_T0_E_clISt17integral_constantIbLb0EES19_IbLb1EEEEDaS15_S16_EUlS15_E_NS1_11comp_targetILNS1_3genE2ELNS1_11target_archE906ELNS1_3gpuE6ELNS1_3repE0EEENS1_30default_config_static_selectorELNS0_4arch9wavefront6targetE0EEEvT1_
	.p2align	8
	.type	_ZN7rocprim17ROCPRIM_400000_NS6detail17trampoline_kernelINS0_14default_configENS1_25partition_config_selectorILNS1_17partition_subalgoE9EyjbEEZZNS1_14partition_implILS5_9ELb0ES3_jN6thrust23THRUST_200600_302600_NS6detail15normal_iteratorINS9_10device_ptrIyEEEENSB_INSC_IjEEEEPNS0_10empty_typeENS0_5tupleIJSE_SH_EEENSJ_IJSG_SI_EEENS0_18inequality_wrapperINS9_8equal_toIyEEEEPmJSH_EEE10hipError_tPvRmT3_T4_T5_T6_T7_T9_mT8_P12ihipStream_tbDpT10_ENKUlT_T0_E_clISt17integral_constantIbLb0EES19_IbLb1EEEEDaS15_S16_EUlS15_E_NS1_11comp_targetILNS1_3genE2ELNS1_11target_archE906ELNS1_3gpuE6ELNS1_3repE0EEENS1_30default_config_static_selectorELNS0_4arch9wavefront6targetE0EEEvT1_,@function
_ZN7rocprim17ROCPRIM_400000_NS6detail17trampoline_kernelINS0_14default_configENS1_25partition_config_selectorILNS1_17partition_subalgoE9EyjbEEZZNS1_14partition_implILS5_9ELb0ES3_jN6thrust23THRUST_200600_302600_NS6detail15normal_iteratorINS9_10device_ptrIyEEEENSB_INSC_IjEEEEPNS0_10empty_typeENS0_5tupleIJSE_SH_EEENSJ_IJSG_SI_EEENS0_18inequality_wrapperINS9_8equal_toIyEEEEPmJSH_EEE10hipError_tPvRmT3_T4_T5_T6_T7_T9_mT8_P12ihipStream_tbDpT10_ENKUlT_T0_E_clISt17integral_constantIbLb0EES19_IbLb1EEEEDaS15_S16_EUlS15_E_NS1_11comp_targetILNS1_3genE2ELNS1_11target_archE906ELNS1_3gpuE6ELNS1_3repE0EEENS1_30default_config_static_selectorELNS0_4arch9wavefront6targetE0EEEvT1_: ; @_ZN7rocprim17ROCPRIM_400000_NS6detail17trampoline_kernelINS0_14default_configENS1_25partition_config_selectorILNS1_17partition_subalgoE9EyjbEEZZNS1_14partition_implILS5_9ELb0ES3_jN6thrust23THRUST_200600_302600_NS6detail15normal_iteratorINS9_10device_ptrIyEEEENSB_INSC_IjEEEEPNS0_10empty_typeENS0_5tupleIJSE_SH_EEENSJ_IJSG_SI_EEENS0_18inequality_wrapperINS9_8equal_toIyEEEEPmJSH_EEE10hipError_tPvRmT3_T4_T5_T6_T7_T9_mT8_P12ihipStream_tbDpT10_ENKUlT_T0_E_clISt17integral_constantIbLb0EES19_IbLb1EEEEDaS15_S16_EUlS15_E_NS1_11comp_targetILNS1_3genE2ELNS1_11target_archE906ELNS1_3gpuE6ELNS1_3repE0EEENS1_30default_config_static_selectorELNS0_4arch9wavefront6targetE0EEEvT1_
; %bb.0:
	.section	.rodata,"a",@progbits
	.p2align	6, 0x0
	.amdhsa_kernel _ZN7rocprim17ROCPRIM_400000_NS6detail17trampoline_kernelINS0_14default_configENS1_25partition_config_selectorILNS1_17partition_subalgoE9EyjbEEZZNS1_14partition_implILS5_9ELb0ES3_jN6thrust23THRUST_200600_302600_NS6detail15normal_iteratorINS9_10device_ptrIyEEEENSB_INSC_IjEEEEPNS0_10empty_typeENS0_5tupleIJSE_SH_EEENSJ_IJSG_SI_EEENS0_18inequality_wrapperINS9_8equal_toIyEEEEPmJSH_EEE10hipError_tPvRmT3_T4_T5_T6_T7_T9_mT8_P12ihipStream_tbDpT10_ENKUlT_T0_E_clISt17integral_constantIbLb0EES19_IbLb1EEEEDaS15_S16_EUlS15_E_NS1_11comp_targetILNS1_3genE2ELNS1_11target_archE906ELNS1_3gpuE6ELNS1_3repE0EEENS1_30default_config_static_selectorELNS0_4arch9wavefront6targetE0EEEvT1_
		.amdhsa_group_segment_fixed_size 0
		.amdhsa_private_segment_fixed_size 0
		.amdhsa_kernarg_size 128
		.amdhsa_user_sgpr_count 15
		.amdhsa_user_sgpr_dispatch_ptr 0
		.amdhsa_user_sgpr_queue_ptr 0
		.amdhsa_user_sgpr_kernarg_segment_ptr 1
		.amdhsa_user_sgpr_dispatch_id 0
		.amdhsa_user_sgpr_private_segment_size 0
		.amdhsa_wavefront_size32 1
		.amdhsa_uses_dynamic_stack 0
		.amdhsa_enable_private_segment 0
		.amdhsa_system_sgpr_workgroup_id_x 1
		.amdhsa_system_sgpr_workgroup_id_y 0
		.amdhsa_system_sgpr_workgroup_id_z 0
		.amdhsa_system_sgpr_workgroup_info 0
		.amdhsa_system_vgpr_workitem_id 0
		.amdhsa_next_free_vgpr 1
		.amdhsa_next_free_sgpr 1
		.amdhsa_reserve_vcc 0
		.amdhsa_float_round_mode_32 0
		.amdhsa_float_round_mode_16_64 0
		.amdhsa_float_denorm_mode_32 3
		.amdhsa_float_denorm_mode_16_64 3
		.amdhsa_dx10_clamp 1
		.amdhsa_ieee_mode 1
		.amdhsa_fp16_overflow 0
		.amdhsa_workgroup_processor_mode 1
		.amdhsa_memory_ordered 1
		.amdhsa_forward_progress 0
		.amdhsa_shared_vgpr_count 0
		.amdhsa_exception_fp_ieee_invalid_op 0
		.amdhsa_exception_fp_denorm_src 0
		.amdhsa_exception_fp_ieee_div_zero 0
		.amdhsa_exception_fp_ieee_overflow 0
		.amdhsa_exception_fp_ieee_underflow 0
		.amdhsa_exception_fp_ieee_inexact 0
		.amdhsa_exception_int_div_zero 0
	.end_amdhsa_kernel
	.section	.text._ZN7rocprim17ROCPRIM_400000_NS6detail17trampoline_kernelINS0_14default_configENS1_25partition_config_selectorILNS1_17partition_subalgoE9EyjbEEZZNS1_14partition_implILS5_9ELb0ES3_jN6thrust23THRUST_200600_302600_NS6detail15normal_iteratorINS9_10device_ptrIyEEEENSB_INSC_IjEEEEPNS0_10empty_typeENS0_5tupleIJSE_SH_EEENSJ_IJSG_SI_EEENS0_18inequality_wrapperINS9_8equal_toIyEEEEPmJSH_EEE10hipError_tPvRmT3_T4_T5_T6_T7_T9_mT8_P12ihipStream_tbDpT10_ENKUlT_T0_E_clISt17integral_constantIbLb0EES19_IbLb1EEEEDaS15_S16_EUlS15_E_NS1_11comp_targetILNS1_3genE2ELNS1_11target_archE906ELNS1_3gpuE6ELNS1_3repE0EEENS1_30default_config_static_selectorELNS0_4arch9wavefront6targetE0EEEvT1_,"axG",@progbits,_ZN7rocprim17ROCPRIM_400000_NS6detail17trampoline_kernelINS0_14default_configENS1_25partition_config_selectorILNS1_17partition_subalgoE9EyjbEEZZNS1_14partition_implILS5_9ELb0ES3_jN6thrust23THRUST_200600_302600_NS6detail15normal_iteratorINS9_10device_ptrIyEEEENSB_INSC_IjEEEEPNS0_10empty_typeENS0_5tupleIJSE_SH_EEENSJ_IJSG_SI_EEENS0_18inequality_wrapperINS9_8equal_toIyEEEEPmJSH_EEE10hipError_tPvRmT3_T4_T5_T6_T7_T9_mT8_P12ihipStream_tbDpT10_ENKUlT_T0_E_clISt17integral_constantIbLb0EES19_IbLb1EEEEDaS15_S16_EUlS15_E_NS1_11comp_targetILNS1_3genE2ELNS1_11target_archE906ELNS1_3gpuE6ELNS1_3repE0EEENS1_30default_config_static_selectorELNS0_4arch9wavefront6targetE0EEEvT1_,comdat
.Lfunc_end561:
	.size	_ZN7rocprim17ROCPRIM_400000_NS6detail17trampoline_kernelINS0_14default_configENS1_25partition_config_selectorILNS1_17partition_subalgoE9EyjbEEZZNS1_14partition_implILS5_9ELb0ES3_jN6thrust23THRUST_200600_302600_NS6detail15normal_iteratorINS9_10device_ptrIyEEEENSB_INSC_IjEEEEPNS0_10empty_typeENS0_5tupleIJSE_SH_EEENSJ_IJSG_SI_EEENS0_18inequality_wrapperINS9_8equal_toIyEEEEPmJSH_EEE10hipError_tPvRmT3_T4_T5_T6_T7_T9_mT8_P12ihipStream_tbDpT10_ENKUlT_T0_E_clISt17integral_constantIbLb0EES19_IbLb1EEEEDaS15_S16_EUlS15_E_NS1_11comp_targetILNS1_3genE2ELNS1_11target_archE906ELNS1_3gpuE6ELNS1_3repE0EEENS1_30default_config_static_selectorELNS0_4arch9wavefront6targetE0EEEvT1_, .Lfunc_end561-_ZN7rocprim17ROCPRIM_400000_NS6detail17trampoline_kernelINS0_14default_configENS1_25partition_config_selectorILNS1_17partition_subalgoE9EyjbEEZZNS1_14partition_implILS5_9ELb0ES3_jN6thrust23THRUST_200600_302600_NS6detail15normal_iteratorINS9_10device_ptrIyEEEENSB_INSC_IjEEEEPNS0_10empty_typeENS0_5tupleIJSE_SH_EEENSJ_IJSG_SI_EEENS0_18inequality_wrapperINS9_8equal_toIyEEEEPmJSH_EEE10hipError_tPvRmT3_T4_T5_T6_T7_T9_mT8_P12ihipStream_tbDpT10_ENKUlT_T0_E_clISt17integral_constantIbLb0EES19_IbLb1EEEEDaS15_S16_EUlS15_E_NS1_11comp_targetILNS1_3genE2ELNS1_11target_archE906ELNS1_3gpuE6ELNS1_3repE0EEENS1_30default_config_static_selectorELNS0_4arch9wavefront6targetE0EEEvT1_
                                        ; -- End function
	.section	.AMDGPU.csdata,"",@progbits
; Kernel info:
; codeLenInByte = 0
; NumSgprs: 0
; NumVgprs: 0
; ScratchSize: 0
; MemoryBound: 0
; FloatMode: 240
; IeeeMode: 1
; LDSByteSize: 0 bytes/workgroup (compile time only)
; SGPRBlocks: 0
; VGPRBlocks: 0
; NumSGPRsForWavesPerEU: 1
; NumVGPRsForWavesPerEU: 1
; Occupancy: 16
; WaveLimiterHint : 0
; COMPUTE_PGM_RSRC2:SCRATCH_EN: 0
; COMPUTE_PGM_RSRC2:USER_SGPR: 15
; COMPUTE_PGM_RSRC2:TRAP_HANDLER: 0
; COMPUTE_PGM_RSRC2:TGID_X_EN: 1
; COMPUTE_PGM_RSRC2:TGID_Y_EN: 0
; COMPUTE_PGM_RSRC2:TGID_Z_EN: 0
; COMPUTE_PGM_RSRC2:TIDIG_COMP_CNT: 0
	.section	.text._ZN7rocprim17ROCPRIM_400000_NS6detail17trampoline_kernelINS0_14default_configENS1_25partition_config_selectorILNS1_17partition_subalgoE9EyjbEEZZNS1_14partition_implILS5_9ELb0ES3_jN6thrust23THRUST_200600_302600_NS6detail15normal_iteratorINS9_10device_ptrIyEEEENSB_INSC_IjEEEEPNS0_10empty_typeENS0_5tupleIJSE_SH_EEENSJ_IJSG_SI_EEENS0_18inequality_wrapperINS9_8equal_toIyEEEEPmJSH_EEE10hipError_tPvRmT3_T4_T5_T6_T7_T9_mT8_P12ihipStream_tbDpT10_ENKUlT_T0_E_clISt17integral_constantIbLb0EES19_IbLb1EEEEDaS15_S16_EUlS15_E_NS1_11comp_targetILNS1_3genE10ELNS1_11target_archE1200ELNS1_3gpuE4ELNS1_3repE0EEENS1_30default_config_static_selectorELNS0_4arch9wavefront6targetE0EEEvT1_,"axG",@progbits,_ZN7rocprim17ROCPRIM_400000_NS6detail17trampoline_kernelINS0_14default_configENS1_25partition_config_selectorILNS1_17partition_subalgoE9EyjbEEZZNS1_14partition_implILS5_9ELb0ES3_jN6thrust23THRUST_200600_302600_NS6detail15normal_iteratorINS9_10device_ptrIyEEEENSB_INSC_IjEEEEPNS0_10empty_typeENS0_5tupleIJSE_SH_EEENSJ_IJSG_SI_EEENS0_18inequality_wrapperINS9_8equal_toIyEEEEPmJSH_EEE10hipError_tPvRmT3_T4_T5_T6_T7_T9_mT8_P12ihipStream_tbDpT10_ENKUlT_T0_E_clISt17integral_constantIbLb0EES19_IbLb1EEEEDaS15_S16_EUlS15_E_NS1_11comp_targetILNS1_3genE10ELNS1_11target_archE1200ELNS1_3gpuE4ELNS1_3repE0EEENS1_30default_config_static_selectorELNS0_4arch9wavefront6targetE0EEEvT1_,comdat
	.protected	_ZN7rocprim17ROCPRIM_400000_NS6detail17trampoline_kernelINS0_14default_configENS1_25partition_config_selectorILNS1_17partition_subalgoE9EyjbEEZZNS1_14partition_implILS5_9ELb0ES3_jN6thrust23THRUST_200600_302600_NS6detail15normal_iteratorINS9_10device_ptrIyEEEENSB_INSC_IjEEEEPNS0_10empty_typeENS0_5tupleIJSE_SH_EEENSJ_IJSG_SI_EEENS0_18inequality_wrapperINS9_8equal_toIyEEEEPmJSH_EEE10hipError_tPvRmT3_T4_T5_T6_T7_T9_mT8_P12ihipStream_tbDpT10_ENKUlT_T0_E_clISt17integral_constantIbLb0EES19_IbLb1EEEEDaS15_S16_EUlS15_E_NS1_11comp_targetILNS1_3genE10ELNS1_11target_archE1200ELNS1_3gpuE4ELNS1_3repE0EEENS1_30default_config_static_selectorELNS0_4arch9wavefront6targetE0EEEvT1_ ; -- Begin function _ZN7rocprim17ROCPRIM_400000_NS6detail17trampoline_kernelINS0_14default_configENS1_25partition_config_selectorILNS1_17partition_subalgoE9EyjbEEZZNS1_14partition_implILS5_9ELb0ES3_jN6thrust23THRUST_200600_302600_NS6detail15normal_iteratorINS9_10device_ptrIyEEEENSB_INSC_IjEEEEPNS0_10empty_typeENS0_5tupleIJSE_SH_EEENSJ_IJSG_SI_EEENS0_18inequality_wrapperINS9_8equal_toIyEEEEPmJSH_EEE10hipError_tPvRmT3_T4_T5_T6_T7_T9_mT8_P12ihipStream_tbDpT10_ENKUlT_T0_E_clISt17integral_constantIbLb0EES19_IbLb1EEEEDaS15_S16_EUlS15_E_NS1_11comp_targetILNS1_3genE10ELNS1_11target_archE1200ELNS1_3gpuE4ELNS1_3repE0EEENS1_30default_config_static_selectorELNS0_4arch9wavefront6targetE0EEEvT1_
	.globl	_ZN7rocprim17ROCPRIM_400000_NS6detail17trampoline_kernelINS0_14default_configENS1_25partition_config_selectorILNS1_17partition_subalgoE9EyjbEEZZNS1_14partition_implILS5_9ELb0ES3_jN6thrust23THRUST_200600_302600_NS6detail15normal_iteratorINS9_10device_ptrIyEEEENSB_INSC_IjEEEEPNS0_10empty_typeENS0_5tupleIJSE_SH_EEENSJ_IJSG_SI_EEENS0_18inequality_wrapperINS9_8equal_toIyEEEEPmJSH_EEE10hipError_tPvRmT3_T4_T5_T6_T7_T9_mT8_P12ihipStream_tbDpT10_ENKUlT_T0_E_clISt17integral_constantIbLb0EES19_IbLb1EEEEDaS15_S16_EUlS15_E_NS1_11comp_targetILNS1_3genE10ELNS1_11target_archE1200ELNS1_3gpuE4ELNS1_3repE0EEENS1_30default_config_static_selectorELNS0_4arch9wavefront6targetE0EEEvT1_
	.p2align	8
	.type	_ZN7rocprim17ROCPRIM_400000_NS6detail17trampoline_kernelINS0_14default_configENS1_25partition_config_selectorILNS1_17partition_subalgoE9EyjbEEZZNS1_14partition_implILS5_9ELb0ES3_jN6thrust23THRUST_200600_302600_NS6detail15normal_iteratorINS9_10device_ptrIyEEEENSB_INSC_IjEEEEPNS0_10empty_typeENS0_5tupleIJSE_SH_EEENSJ_IJSG_SI_EEENS0_18inequality_wrapperINS9_8equal_toIyEEEEPmJSH_EEE10hipError_tPvRmT3_T4_T5_T6_T7_T9_mT8_P12ihipStream_tbDpT10_ENKUlT_T0_E_clISt17integral_constantIbLb0EES19_IbLb1EEEEDaS15_S16_EUlS15_E_NS1_11comp_targetILNS1_3genE10ELNS1_11target_archE1200ELNS1_3gpuE4ELNS1_3repE0EEENS1_30default_config_static_selectorELNS0_4arch9wavefront6targetE0EEEvT1_,@function
_ZN7rocprim17ROCPRIM_400000_NS6detail17trampoline_kernelINS0_14default_configENS1_25partition_config_selectorILNS1_17partition_subalgoE9EyjbEEZZNS1_14partition_implILS5_9ELb0ES3_jN6thrust23THRUST_200600_302600_NS6detail15normal_iteratorINS9_10device_ptrIyEEEENSB_INSC_IjEEEEPNS0_10empty_typeENS0_5tupleIJSE_SH_EEENSJ_IJSG_SI_EEENS0_18inequality_wrapperINS9_8equal_toIyEEEEPmJSH_EEE10hipError_tPvRmT3_T4_T5_T6_T7_T9_mT8_P12ihipStream_tbDpT10_ENKUlT_T0_E_clISt17integral_constantIbLb0EES19_IbLb1EEEEDaS15_S16_EUlS15_E_NS1_11comp_targetILNS1_3genE10ELNS1_11target_archE1200ELNS1_3gpuE4ELNS1_3repE0EEENS1_30default_config_static_selectorELNS0_4arch9wavefront6targetE0EEEvT1_: ; @_ZN7rocprim17ROCPRIM_400000_NS6detail17trampoline_kernelINS0_14default_configENS1_25partition_config_selectorILNS1_17partition_subalgoE9EyjbEEZZNS1_14partition_implILS5_9ELb0ES3_jN6thrust23THRUST_200600_302600_NS6detail15normal_iteratorINS9_10device_ptrIyEEEENSB_INSC_IjEEEEPNS0_10empty_typeENS0_5tupleIJSE_SH_EEENSJ_IJSG_SI_EEENS0_18inequality_wrapperINS9_8equal_toIyEEEEPmJSH_EEE10hipError_tPvRmT3_T4_T5_T6_T7_T9_mT8_P12ihipStream_tbDpT10_ENKUlT_T0_E_clISt17integral_constantIbLb0EES19_IbLb1EEEEDaS15_S16_EUlS15_E_NS1_11comp_targetILNS1_3genE10ELNS1_11target_archE1200ELNS1_3gpuE4ELNS1_3repE0EEENS1_30default_config_static_selectorELNS0_4arch9wavefront6targetE0EEEvT1_
; %bb.0:
	.section	.rodata,"a",@progbits
	.p2align	6, 0x0
	.amdhsa_kernel _ZN7rocprim17ROCPRIM_400000_NS6detail17trampoline_kernelINS0_14default_configENS1_25partition_config_selectorILNS1_17partition_subalgoE9EyjbEEZZNS1_14partition_implILS5_9ELb0ES3_jN6thrust23THRUST_200600_302600_NS6detail15normal_iteratorINS9_10device_ptrIyEEEENSB_INSC_IjEEEEPNS0_10empty_typeENS0_5tupleIJSE_SH_EEENSJ_IJSG_SI_EEENS0_18inequality_wrapperINS9_8equal_toIyEEEEPmJSH_EEE10hipError_tPvRmT3_T4_T5_T6_T7_T9_mT8_P12ihipStream_tbDpT10_ENKUlT_T0_E_clISt17integral_constantIbLb0EES19_IbLb1EEEEDaS15_S16_EUlS15_E_NS1_11comp_targetILNS1_3genE10ELNS1_11target_archE1200ELNS1_3gpuE4ELNS1_3repE0EEENS1_30default_config_static_selectorELNS0_4arch9wavefront6targetE0EEEvT1_
		.amdhsa_group_segment_fixed_size 0
		.amdhsa_private_segment_fixed_size 0
		.amdhsa_kernarg_size 128
		.amdhsa_user_sgpr_count 15
		.amdhsa_user_sgpr_dispatch_ptr 0
		.amdhsa_user_sgpr_queue_ptr 0
		.amdhsa_user_sgpr_kernarg_segment_ptr 1
		.amdhsa_user_sgpr_dispatch_id 0
		.amdhsa_user_sgpr_private_segment_size 0
		.amdhsa_wavefront_size32 1
		.amdhsa_uses_dynamic_stack 0
		.amdhsa_enable_private_segment 0
		.amdhsa_system_sgpr_workgroup_id_x 1
		.amdhsa_system_sgpr_workgroup_id_y 0
		.amdhsa_system_sgpr_workgroup_id_z 0
		.amdhsa_system_sgpr_workgroup_info 0
		.amdhsa_system_vgpr_workitem_id 0
		.amdhsa_next_free_vgpr 1
		.amdhsa_next_free_sgpr 1
		.amdhsa_reserve_vcc 0
		.amdhsa_float_round_mode_32 0
		.amdhsa_float_round_mode_16_64 0
		.amdhsa_float_denorm_mode_32 3
		.amdhsa_float_denorm_mode_16_64 3
		.amdhsa_dx10_clamp 1
		.amdhsa_ieee_mode 1
		.amdhsa_fp16_overflow 0
		.amdhsa_workgroup_processor_mode 1
		.amdhsa_memory_ordered 1
		.amdhsa_forward_progress 0
		.amdhsa_shared_vgpr_count 0
		.amdhsa_exception_fp_ieee_invalid_op 0
		.amdhsa_exception_fp_denorm_src 0
		.amdhsa_exception_fp_ieee_div_zero 0
		.amdhsa_exception_fp_ieee_overflow 0
		.amdhsa_exception_fp_ieee_underflow 0
		.amdhsa_exception_fp_ieee_inexact 0
		.amdhsa_exception_int_div_zero 0
	.end_amdhsa_kernel
	.section	.text._ZN7rocprim17ROCPRIM_400000_NS6detail17trampoline_kernelINS0_14default_configENS1_25partition_config_selectorILNS1_17partition_subalgoE9EyjbEEZZNS1_14partition_implILS5_9ELb0ES3_jN6thrust23THRUST_200600_302600_NS6detail15normal_iteratorINS9_10device_ptrIyEEEENSB_INSC_IjEEEEPNS0_10empty_typeENS0_5tupleIJSE_SH_EEENSJ_IJSG_SI_EEENS0_18inequality_wrapperINS9_8equal_toIyEEEEPmJSH_EEE10hipError_tPvRmT3_T4_T5_T6_T7_T9_mT8_P12ihipStream_tbDpT10_ENKUlT_T0_E_clISt17integral_constantIbLb0EES19_IbLb1EEEEDaS15_S16_EUlS15_E_NS1_11comp_targetILNS1_3genE10ELNS1_11target_archE1200ELNS1_3gpuE4ELNS1_3repE0EEENS1_30default_config_static_selectorELNS0_4arch9wavefront6targetE0EEEvT1_,"axG",@progbits,_ZN7rocprim17ROCPRIM_400000_NS6detail17trampoline_kernelINS0_14default_configENS1_25partition_config_selectorILNS1_17partition_subalgoE9EyjbEEZZNS1_14partition_implILS5_9ELb0ES3_jN6thrust23THRUST_200600_302600_NS6detail15normal_iteratorINS9_10device_ptrIyEEEENSB_INSC_IjEEEEPNS0_10empty_typeENS0_5tupleIJSE_SH_EEENSJ_IJSG_SI_EEENS0_18inequality_wrapperINS9_8equal_toIyEEEEPmJSH_EEE10hipError_tPvRmT3_T4_T5_T6_T7_T9_mT8_P12ihipStream_tbDpT10_ENKUlT_T0_E_clISt17integral_constantIbLb0EES19_IbLb1EEEEDaS15_S16_EUlS15_E_NS1_11comp_targetILNS1_3genE10ELNS1_11target_archE1200ELNS1_3gpuE4ELNS1_3repE0EEENS1_30default_config_static_selectorELNS0_4arch9wavefront6targetE0EEEvT1_,comdat
.Lfunc_end562:
	.size	_ZN7rocprim17ROCPRIM_400000_NS6detail17trampoline_kernelINS0_14default_configENS1_25partition_config_selectorILNS1_17partition_subalgoE9EyjbEEZZNS1_14partition_implILS5_9ELb0ES3_jN6thrust23THRUST_200600_302600_NS6detail15normal_iteratorINS9_10device_ptrIyEEEENSB_INSC_IjEEEEPNS0_10empty_typeENS0_5tupleIJSE_SH_EEENSJ_IJSG_SI_EEENS0_18inequality_wrapperINS9_8equal_toIyEEEEPmJSH_EEE10hipError_tPvRmT3_T4_T5_T6_T7_T9_mT8_P12ihipStream_tbDpT10_ENKUlT_T0_E_clISt17integral_constantIbLb0EES19_IbLb1EEEEDaS15_S16_EUlS15_E_NS1_11comp_targetILNS1_3genE10ELNS1_11target_archE1200ELNS1_3gpuE4ELNS1_3repE0EEENS1_30default_config_static_selectorELNS0_4arch9wavefront6targetE0EEEvT1_, .Lfunc_end562-_ZN7rocprim17ROCPRIM_400000_NS6detail17trampoline_kernelINS0_14default_configENS1_25partition_config_selectorILNS1_17partition_subalgoE9EyjbEEZZNS1_14partition_implILS5_9ELb0ES3_jN6thrust23THRUST_200600_302600_NS6detail15normal_iteratorINS9_10device_ptrIyEEEENSB_INSC_IjEEEEPNS0_10empty_typeENS0_5tupleIJSE_SH_EEENSJ_IJSG_SI_EEENS0_18inequality_wrapperINS9_8equal_toIyEEEEPmJSH_EEE10hipError_tPvRmT3_T4_T5_T6_T7_T9_mT8_P12ihipStream_tbDpT10_ENKUlT_T0_E_clISt17integral_constantIbLb0EES19_IbLb1EEEEDaS15_S16_EUlS15_E_NS1_11comp_targetILNS1_3genE10ELNS1_11target_archE1200ELNS1_3gpuE4ELNS1_3repE0EEENS1_30default_config_static_selectorELNS0_4arch9wavefront6targetE0EEEvT1_
                                        ; -- End function
	.section	.AMDGPU.csdata,"",@progbits
; Kernel info:
; codeLenInByte = 0
; NumSgprs: 0
; NumVgprs: 0
; ScratchSize: 0
; MemoryBound: 0
; FloatMode: 240
; IeeeMode: 1
; LDSByteSize: 0 bytes/workgroup (compile time only)
; SGPRBlocks: 0
; VGPRBlocks: 0
; NumSGPRsForWavesPerEU: 1
; NumVGPRsForWavesPerEU: 1
; Occupancy: 15
; WaveLimiterHint : 0
; COMPUTE_PGM_RSRC2:SCRATCH_EN: 0
; COMPUTE_PGM_RSRC2:USER_SGPR: 15
; COMPUTE_PGM_RSRC2:TRAP_HANDLER: 0
; COMPUTE_PGM_RSRC2:TGID_X_EN: 1
; COMPUTE_PGM_RSRC2:TGID_Y_EN: 0
; COMPUTE_PGM_RSRC2:TGID_Z_EN: 0
; COMPUTE_PGM_RSRC2:TIDIG_COMP_CNT: 0
	.section	.text._ZN7rocprim17ROCPRIM_400000_NS6detail17trampoline_kernelINS0_14default_configENS1_25partition_config_selectorILNS1_17partition_subalgoE9EyjbEEZZNS1_14partition_implILS5_9ELb0ES3_jN6thrust23THRUST_200600_302600_NS6detail15normal_iteratorINS9_10device_ptrIyEEEENSB_INSC_IjEEEEPNS0_10empty_typeENS0_5tupleIJSE_SH_EEENSJ_IJSG_SI_EEENS0_18inequality_wrapperINS9_8equal_toIyEEEEPmJSH_EEE10hipError_tPvRmT3_T4_T5_T6_T7_T9_mT8_P12ihipStream_tbDpT10_ENKUlT_T0_E_clISt17integral_constantIbLb0EES19_IbLb1EEEEDaS15_S16_EUlS15_E_NS1_11comp_targetILNS1_3genE9ELNS1_11target_archE1100ELNS1_3gpuE3ELNS1_3repE0EEENS1_30default_config_static_selectorELNS0_4arch9wavefront6targetE0EEEvT1_,"axG",@progbits,_ZN7rocprim17ROCPRIM_400000_NS6detail17trampoline_kernelINS0_14default_configENS1_25partition_config_selectorILNS1_17partition_subalgoE9EyjbEEZZNS1_14partition_implILS5_9ELb0ES3_jN6thrust23THRUST_200600_302600_NS6detail15normal_iteratorINS9_10device_ptrIyEEEENSB_INSC_IjEEEEPNS0_10empty_typeENS0_5tupleIJSE_SH_EEENSJ_IJSG_SI_EEENS0_18inequality_wrapperINS9_8equal_toIyEEEEPmJSH_EEE10hipError_tPvRmT3_T4_T5_T6_T7_T9_mT8_P12ihipStream_tbDpT10_ENKUlT_T0_E_clISt17integral_constantIbLb0EES19_IbLb1EEEEDaS15_S16_EUlS15_E_NS1_11comp_targetILNS1_3genE9ELNS1_11target_archE1100ELNS1_3gpuE3ELNS1_3repE0EEENS1_30default_config_static_selectorELNS0_4arch9wavefront6targetE0EEEvT1_,comdat
	.protected	_ZN7rocprim17ROCPRIM_400000_NS6detail17trampoline_kernelINS0_14default_configENS1_25partition_config_selectorILNS1_17partition_subalgoE9EyjbEEZZNS1_14partition_implILS5_9ELb0ES3_jN6thrust23THRUST_200600_302600_NS6detail15normal_iteratorINS9_10device_ptrIyEEEENSB_INSC_IjEEEEPNS0_10empty_typeENS0_5tupleIJSE_SH_EEENSJ_IJSG_SI_EEENS0_18inequality_wrapperINS9_8equal_toIyEEEEPmJSH_EEE10hipError_tPvRmT3_T4_T5_T6_T7_T9_mT8_P12ihipStream_tbDpT10_ENKUlT_T0_E_clISt17integral_constantIbLb0EES19_IbLb1EEEEDaS15_S16_EUlS15_E_NS1_11comp_targetILNS1_3genE9ELNS1_11target_archE1100ELNS1_3gpuE3ELNS1_3repE0EEENS1_30default_config_static_selectorELNS0_4arch9wavefront6targetE0EEEvT1_ ; -- Begin function _ZN7rocprim17ROCPRIM_400000_NS6detail17trampoline_kernelINS0_14default_configENS1_25partition_config_selectorILNS1_17partition_subalgoE9EyjbEEZZNS1_14partition_implILS5_9ELb0ES3_jN6thrust23THRUST_200600_302600_NS6detail15normal_iteratorINS9_10device_ptrIyEEEENSB_INSC_IjEEEEPNS0_10empty_typeENS0_5tupleIJSE_SH_EEENSJ_IJSG_SI_EEENS0_18inequality_wrapperINS9_8equal_toIyEEEEPmJSH_EEE10hipError_tPvRmT3_T4_T5_T6_T7_T9_mT8_P12ihipStream_tbDpT10_ENKUlT_T0_E_clISt17integral_constantIbLb0EES19_IbLb1EEEEDaS15_S16_EUlS15_E_NS1_11comp_targetILNS1_3genE9ELNS1_11target_archE1100ELNS1_3gpuE3ELNS1_3repE0EEENS1_30default_config_static_selectorELNS0_4arch9wavefront6targetE0EEEvT1_
	.globl	_ZN7rocprim17ROCPRIM_400000_NS6detail17trampoline_kernelINS0_14default_configENS1_25partition_config_selectorILNS1_17partition_subalgoE9EyjbEEZZNS1_14partition_implILS5_9ELb0ES3_jN6thrust23THRUST_200600_302600_NS6detail15normal_iteratorINS9_10device_ptrIyEEEENSB_INSC_IjEEEEPNS0_10empty_typeENS0_5tupleIJSE_SH_EEENSJ_IJSG_SI_EEENS0_18inequality_wrapperINS9_8equal_toIyEEEEPmJSH_EEE10hipError_tPvRmT3_T4_T5_T6_T7_T9_mT8_P12ihipStream_tbDpT10_ENKUlT_T0_E_clISt17integral_constantIbLb0EES19_IbLb1EEEEDaS15_S16_EUlS15_E_NS1_11comp_targetILNS1_3genE9ELNS1_11target_archE1100ELNS1_3gpuE3ELNS1_3repE0EEENS1_30default_config_static_selectorELNS0_4arch9wavefront6targetE0EEEvT1_
	.p2align	8
	.type	_ZN7rocprim17ROCPRIM_400000_NS6detail17trampoline_kernelINS0_14default_configENS1_25partition_config_selectorILNS1_17partition_subalgoE9EyjbEEZZNS1_14partition_implILS5_9ELb0ES3_jN6thrust23THRUST_200600_302600_NS6detail15normal_iteratorINS9_10device_ptrIyEEEENSB_INSC_IjEEEEPNS0_10empty_typeENS0_5tupleIJSE_SH_EEENSJ_IJSG_SI_EEENS0_18inequality_wrapperINS9_8equal_toIyEEEEPmJSH_EEE10hipError_tPvRmT3_T4_T5_T6_T7_T9_mT8_P12ihipStream_tbDpT10_ENKUlT_T0_E_clISt17integral_constantIbLb0EES19_IbLb1EEEEDaS15_S16_EUlS15_E_NS1_11comp_targetILNS1_3genE9ELNS1_11target_archE1100ELNS1_3gpuE3ELNS1_3repE0EEENS1_30default_config_static_selectorELNS0_4arch9wavefront6targetE0EEEvT1_,@function
_ZN7rocprim17ROCPRIM_400000_NS6detail17trampoline_kernelINS0_14default_configENS1_25partition_config_selectorILNS1_17partition_subalgoE9EyjbEEZZNS1_14partition_implILS5_9ELb0ES3_jN6thrust23THRUST_200600_302600_NS6detail15normal_iteratorINS9_10device_ptrIyEEEENSB_INSC_IjEEEEPNS0_10empty_typeENS0_5tupleIJSE_SH_EEENSJ_IJSG_SI_EEENS0_18inequality_wrapperINS9_8equal_toIyEEEEPmJSH_EEE10hipError_tPvRmT3_T4_T5_T6_T7_T9_mT8_P12ihipStream_tbDpT10_ENKUlT_T0_E_clISt17integral_constantIbLb0EES19_IbLb1EEEEDaS15_S16_EUlS15_E_NS1_11comp_targetILNS1_3genE9ELNS1_11target_archE1100ELNS1_3gpuE3ELNS1_3repE0EEENS1_30default_config_static_selectorELNS0_4arch9wavefront6targetE0EEEvT1_: ; @_ZN7rocprim17ROCPRIM_400000_NS6detail17trampoline_kernelINS0_14default_configENS1_25partition_config_selectorILNS1_17partition_subalgoE9EyjbEEZZNS1_14partition_implILS5_9ELb0ES3_jN6thrust23THRUST_200600_302600_NS6detail15normal_iteratorINS9_10device_ptrIyEEEENSB_INSC_IjEEEEPNS0_10empty_typeENS0_5tupleIJSE_SH_EEENSJ_IJSG_SI_EEENS0_18inequality_wrapperINS9_8equal_toIyEEEEPmJSH_EEE10hipError_tPvRmT3_T4_T5_T6_T7_T9_mT8_P12ihipStream_tbDpT10_ENKUlT_T0_E_clISt17integral_constantIbLb0EES19_IbLb1EEEEDaS15_S16_EUlS15_E_NS1_11comp_targetILNS1_3genE9ELNS1_11target_archE1100ELNS1_3gpuE3ELNS1_3repE0EEENS1_30default_config_static_selectorELNS0_4arch9wavefront6targetE0EEEvT1_
; %bb.0:
	s_clause 0x4
	s_load_b128 s[4:7], s[0:1], 0x8
	s_load_b64 s[8:9], s[0:1], 0x18
	s_load_b128 s[12:15], s[0:1], 0x40
	s_load_b64 s[10:11], s[0:1], 0x50
	s_load_b64 s[20:21], s[0:1], 0x60
	v_cmp_ne_u32_e64 s3, 0, v0
	v_cmp_eq_u32_e64 s2, 0, v0
	s_delay_alu instid0(VALU_DEP_1)
	s_and_saveexec_b32 s16, s2
	s_cbranch_execz .LBB563_4
; %bb.1:
	s_mov_b32 s18, exec_lo
	s_mov_b32 s17, exec_lo
	v_mbcnt_lo_u32_b32 v1, s18, 0
                                        ; implicit-def: $vgpr2
	s_delay_alu instid0(VALU_DEP_1)
	v_cmpx_eq_u32_e32 0, v1
	s_cbranch_execz .LBB563_3
; %bb.2:
	s_load_b64 s[22:23], s[0:1], 0x70
	s_bcnt1_i32_b32 s18, s18
	s_delay_alu instid0(SALU_CYCLE_1)
	v_dual_mov_b32 v2, 0 :: v_dual_mov_b32 v3, s18
	s_waitcnt lgkmcnt(0)
	global_atomic_add_u32 v2, v2, v3, s[22:23] glc
.LBB563_3:
	s_or_b32 exec_lo, exec_lo, s17
	s_waitcnt vmcnt(0)
	v_readfirstlane_b32 s17, v2
	s_delay_alu instid0(VALU_DEP_1)
	v_dual_mov_b32 v2, 0 :: v_dual_add_nc_u32 v1, s17, v1
	ds_store_b32 v2, v1
.LBB563_4:
	s_or_b32 exec_lo, exec_lo, s16
	v_mov_b32_e32 v1, 0
	s_clause 0x1
	s_load_b128 s[16:19], s[0:1], 0x28
	s_load_b32 s0, s[0:1], 0x68
	s_waitcnt lgkmcnt(0)
	s_barrier
	buffer_gl0_inv
	ds_load_b32 v3, v1
	s_waitcnt lgkmcnt(0)
	s_barrier
	buffer_gl0_inv
	global_load_b64 v[1:2], v1, s[14:15]
	s_lshl_b64 s[22:23], s[6:7], 3
	s_mov_b32 s15, 0
	s_add_u32 s4, s4, s22
	s_addc_u32 s5, s5, s23
	v_lshlrev_b32_e32 v47, 3, v0
	v_lshrrev_b32_e32 v24, 2, v0
	v_or_b32_e32 v23, 0x200, v0
	v_or_b32_e32 v21, 0x400, v0
	;; [unrolled: 1-line block ×5, first 2 shown]
	s_add_i32 s22, s0, -1
	s_lshl_b32 s0, s0, 12
	s_lshl_b32 s1, s22, 12
	v_or_b32_e32 v17, 0xc00, v0
	v_readfirstlane_b32 s24, v3
	s_add_i32 s1, s6, s1
	v_or_b32_e32 v19, 0xe00, v0
	s_sub_i32 s25, s10, s1
	s_delay_alu instid0(VALU_DEP_2)
	s_lshl_b32 s14, s24, 12
	s_add_u32 s0, s6, s0
	s_addc_u32 s1, s7, 0
	s_cmp_eq_u32 s24, s22
	v_cmp_ge_u64_e64 s0, s[0:1], s[10:11]
	s_cselect_b32 s22, -1, 0
	s_delay_alu instid0(VALU_DEP_1) | instid1(SALU_CYCLE_1)
	s_and_b32 s26, s0, s22
	s_lshl_b64 s[0:1], s[14:15], 3
	s_xor_b32 s23, s26, -1
	s_add_u32 s4, s4, s0
	s_addc_u32 s1, s5, s1
	s_and_b32 vcc_lo, exec_lo, s23
	s_mov_b32 s5, -1
	s_waitcnt vmcnt(0)
	v_readfirstlane_b32 s10, v1
	v_readfirstlane_b32 s11, v2
	s_cbranch_vccz .LBB563_6
; %bb.5:
	v_add_co_u32 v1, s0, s4, v47
	s_delay_alu instid0(VALU_DEP_1) | instskip(SKIP_1) | instid1(VALU_DEP_3)
	v_add_co_ci_u32_e64 v2, null, s1, 0, s0
	v_lshrrev_b32_e32 v26, 2, v23
	v_add_co_u32 v3, vcc_lo, 0x1000, v1
	s_delay_alu instid0(VALU_DEP_3)
	v_add_co_ci_u32_e32 v4, vcc_lo, 0, v2, vcc_lo
	v_add_co_u32 v5, vcc_lo, 0x2000, v1
	v_add_co_ci_u32_e32 v6, vcc_lo, 0, v2, vcc_lo
	v_add_co_u32 v7, vcc_lo, 0x3000, v1
	;; [unrolled: 2-line block ×6, first 2 shown]
	v_add_co_ci_u32_e32 v16, vcc_lo, 0, v2, vcc_lo
	s_clause 0x7
	flat_load_b64 v[1:2], v[1:2]
	flat_load_b64 v[3:4], v[3:4]
	flat_load_b64 v[5:6], v[5:6]
	flat_load_b64 v[7:8], v[7:8]
	flat_load_b64 v[9:10], v[9:10]
	flat_load_b64 v[11:12], v[11:12]
	flat_load_b64 v[13:14], v[13:14]
	flat_load_b64 v[15:16], v[15:16]
	v_lshrrev_b32_e32 v27, 2, v21
	v_lshrrev_b32_e32 v28, 2, v22
	;; [unrolled: 1-line block ×3, first 2 shown]
	v_and_b32_e32 v25, 0x78, v24
	v_lshrrev_b32_e32 v30, 2, v18
	v_lshrrev_b32_e32 v31, 2, v17
	;; [unrolled: 1-line block ×3, first 2 shown]
	v_and_b32_e32 v26, 0xf8, v26
	v_and_b32_e32 v27, 0x178, v27
	;; [unrolled: 1-line block ×4, first 2 shown]
	v_add_nc_u32_e32 v25, v25, v47
	v_and_b32_e32 v30, 0x2f8, v30
	v_and_b32_e32 v31, 0x378, v31
	;; [unrolled: 1-line block ×3, first 2 shown]
	v_add_nc_u32_e32 v26, v26, v47
	v_add_nc_u32_e32 v27, v27, v47
	v_add_nc_u32_e32 v28, v28, v47
	v_add_nc_u32_e32 v29, v29, v47
	s_mov_b32 s5, s15
	v_add_nc_u32_e32 v30, v30, v47
	v_add_nc_u32_e32 v31, v31, v47
	;; [unrolled: 1-line block ×3, first 2 shown]
	s_waitcnt vmcnt(7) lgkmcnt(7)
	ds_store_b64 v25, v[1:2]
	s_waitcnt vmcnt(6) lgkmcnt(7)
	ds_store_b64 v26, v[3:4] offset:4096
	s_waitcnt vmcnt(5) lgkmcnt(7)
	ds_store_b64 v27, v[5:6] offset:8192
	;; [unrolled: 2-line block ×7, first 2 shown]
	s_waitcnt lgkmcnt(0)
	s_barrier
.LBB563_6:
	v_cmp_gt_u32_e64 s0, s25, v0
	s_and_not1_b32 vcc_lo, exec_lo, s5
	s_cbranch_vccnz .LBB563_24
; %bb.7:
                                        ; implicit-def: $vgpr1_vgpr2_vgpr3_vgpr4_vgpr5_vgpr6_vgpr7_vgpr8_vgpr9_vgpr10_vgpr11_vgpr12_vgpr13_vgpr14_vgpr15_vgpr16
	s_delay_alu instid0(VALU_DEP_1)
	s_and_saveexec_b32 s5, s0
	s_cbranch_execz .LBB563_15
; %bb.8:
	v_add_co_u32 v1, s0, s4, v47
	s_delay_alu instid0(VALU_DEP_1) | instskip(SKIP_2) | instid1(SALU_CYCLE_1)
	v_add_co_ci_u32_e64 v2, null, s1, 0, s0
	flat_load_b64 v[1:2], v[1:2]
	s_or_b32 exec_lo, exec_lo, s5
	s_mov_b32 s0, exec_lo
	v_cmpx_gt_u32_e64 s25, v23
	s_cbranch_execnz .LBB563_16
.LBB563_9:
	s_or_b32 exec_lo, exec_lo, s0
	s_delay_alu instid0(SALU_CYCLE_1)
	s_mov_b32 s0, exec_lo
	v_cmpx_gt_u32_e64 s25, v21
	s_cbranch_execz .LBB563_17
.LBB563_10:
	v_lshlrev_b32_e32 v5, 3, v21
	s_delay_alu instid0(VALU_DEP_1) | instskip(NEXT) | instid1(VALU_DEP_1)
	v_add_co_u32 v5, s5, s4, v5
	v_add_co_ci_u32_e64 v6, null, s1, 0, s5
	flat_load_b64 v[5:6], v[5:6]
	s_or_b32 exec_lo, exec_lo, s0
	s_delay_alu instid0(SALU_CYCLE_1)
	s_mov_b32 s0, exec_lo
	v_cmpx_gt_u32_e64 s25, v22
	s_cbranch_execnz .LBB563_18
.LBB563_11:
	s_or_b32 exec_lo, exec_lo, s0
	s_delay_alu instid0(SALU_CYCLE_1)
	s_mov_b32 s0, exec_lo
	v_cmpx_gt_u32_e64 s25, v20
	s_cbranch_execz .LBB563_19
.LBB563_12:
	v_lshlrev_b32_e32 v9, 3, v20
	s_delay_alu instid0(VALU_DEP_1) | instskip(NEXT) | instid1(VALU_DEP_1)
	v_add_co_u32 v9, s5, s4, v9
	v_add_co_ci_u32_e64 v10, null, s1, 0, s5
	flat_load_b64 v[9:10], v[9:10]
	s_or_b32 exec_lo, exec_lo, s0
	s_delay_alu instid0(SALU_CYCLE_1)
	s_mov_b32 s0, exec_lo
	v_cmpx_gt_u32_e64 s25, v18
	s_cbranch_execnz .LBB563_20
.LBB563_13:
	s_or_b32 exec_lo, exec_lo, s0
	s_delay_alu instid0(SALU_CYCLE_1)
	s_mov_b32 s0, exec_lo
	v_cmpx_gt_u32_e64 s25, v17
	s_cbranch_execz .LBB563_21
.LBB563_14:
	v_lshlrev_b32_e32 v13, 3, v17
	s_delay_alu instid0(VALU_DEP_1) | instskip(NEXT) | instid1(VALU_DEP_1)
	v_add_co_u32 v13, s5, s4, v13
	v_add_co_ci_u32_e64 v14, null, s1, 0, s5
	flat_load_b64 v[13:14], v[13:14]
	s_or_b32 exec_lo, exec_lo, s0
	s_delay_alu instid0(SALU_CYCLE_1)
	s_mov_b32 s0, exec_lo
	v_cmpx_gt_u32_e64 s25, v19
	s_cbranch_execnz .LBB563_22
	s_branch .LBB563_23
.LBB563_15:
	s_or_b32 exec_lo, exec_lo, s5
	s_delay_alu instid0(SALU_CYCLE_1)
	s_mov_b32 s0, exec_lo
	v_cmpx_gt_u32_e64 s25, v23
	s_cbranch_execz .LBB563_9
.LBB563_16:
	v_lshlrev_b32_e32 v3, 3, v23
	s_delay_alu instid0(VALU_DEP_1) | instskip(NEXT) | instid1(VALU_DEP_1)
	v_add_co_u32 v3, s5, s4, v3
	v_add_co_ci_u32_e64 v4, null, s1, 0, s5
	flat_load_b64 v[3:4], v[3:4]
	s_or_b32 exec_lo, exec_lo, s0
	s_delay_alu instid0(SALU_CYCLE_1)
	s_mov_b32 s0, exec_lo
	v_cmpx_gt_u32_e64 s25, v21
	s_cbranch_execnz .LBB563_10
.LBB563_17:
	s_or_b32 exec_lo, exec_lo, s0
	s_delay_alu instid0(SALU_CYCLE_1)
	s_mov_b32 s0, exec_lo
	v_cmpx_gt_u32_e64 s25, v22
	s_cbranch_execz .LBB563_11
.LBB563_18:
	v_lshlrev_b32_e32 v7, 3, v22
	s_delay_alu instid0(VALU_DEP_1) | instskip(NEXT) | instid1(VALU_DEP_1)
	v_add_co_u32 v7, s5, s4, v7
	v_add_co_ci_u32_e64 v8, null, s1, 0, s5
	flat_load_b64 v[7:8], v[7:8]
	s_or_b32 exec_lo, exec_lo, s0
	s_delay_alu instid0(SALU_CYCLE_1)
	s_mov_b32 s0, exec_lo
	v_cmpx_gt_u32_e64 s25, v20
	s_cbranch_execnz .LBB563_12
.LBB563_19:
	s_or_b32 exec_lo, exec_lo, s0
	s_delay_alu instid0(SALU_CYCLE_1)
	s_mov_b32 s0, exec_lo
	v_cmpx_gt_u32_e64 s25, v18
	s_cbranch_execz .LBB563_13
.LBB563_20:
	v_lshlrev_b32_e32 v11, 3, v18
	s_delay_alu instid0(VALU_DEP_1) | instskip(NEXT) | instid1(VALU_DEP_1)
	v_add_co_u32 v11, s5, s4, v11
	v_add_co_ci_u32_e64 v12, null, s1, 0, s5
	flat_load_b64 v[11:12], v[11:12]
	s_or_b32 exec_lo, exec_lo, s0
	s_delay_alu instid0(SALU_CYCLE_1)
	s_mov_b32 s0, exec_lo
	v_cmpx_gt_u32_e64 s25, v17
	s_cbranch_execnz .LBB563_14
.LBB563_21:
	s_or_b32 exec_lo, exec_lo, s0
	s_delay_alu instid0(SALU_CYCLE_1)
	s_mov_b32 s0, exec_lo
	v_cmpx_gt_u32_e64 s25, v19
	s_cbranch_execz .LBB563_23
.LBB563_22:
	v_lshlrev_b32_e32 v15, 3, v19
	s_delay_alu instid0(VALU_DEP_1) | instskip(NEXT) | instid1(VALU_DEP_1)
	v_add_co_u32 v15, s5, s4, v15
	v_add_co_ci_u32_e64 v16, null, s1, 0, s5
	flat_load_b64 v[15:16], v[15:16]
.LBB563_23:
	s_or_b32 exec_lo, exec_lo, s0
	v_lshrrev_b32_e32 v25, 2, v23
	v_lshrrev_b32_e32 v26, 2, v21
	;; [unrolled: 1-line block ×4, first 2 shown]
	v_and_b32_e32 v27, 0x78, v24
	v_lshrrev_b32_e32 v30, 2, v18
	v_lshrrev_b32_e32 v31, 2, v17
	;; [unrolled: 1-line block ×3, first 2 shown]
	v_and_b32_e32 v25, 0xf8, v25
	v_and_b32_e32 v26, 0x1f8, v26
	;; [unrolled: 1-line block ×4, first 2 shown]
	v_add_nc_u32_e32 v27, v27, v47
	v_and_b32_e32 v30, 0x3f8, v30
	v_and_b32_e32 v31, 0x3f8, v31
	;; [unrolled: 1-line block ×3, first 2 shown]
	v_add_nc_u32_e32 v25, v25, v47
	v_add_nc_u32_e32 v26, v26, v47
	;; [unrolled: 1-line block ×7, first 2 shown]
	s_waitcnt vmcnt(0) lgkmcnt(0)
	ds_store_b64 v27, v[1:2]
	ds_store_b64 v25, v[3:4] offset:4096
	ds_store_b64 v26, v[5:6] offset:8192
	;; [unrolled: 1-line block ×7, first 2 shown]
	s_waitcnt lgkmcnt(0)
	s_barrier
.LBB563_24:
	v_add_nc_u32_e32 v24, v24, v47
	buffer_gl0_inv
	s_lshl_b64 s[28:29], s[6:7], 2
	v_lshrrev_b32_e32 v26, 3, v0
	s_add_u32 s0, s8, s28
	v_lshlrev_b32_e32 v25, 3, v24
	s_addc_u32 s5, s9, s29
	s_lshl_b64 s[8:9], s[14:15], 2
	ds_load_2addr_b64 v[13:16], v25 offset1:1
	ds_load_2addr_b64 v[9:12], v25 offset0:2 offset1:3
	ds_load_2addr_b64 v[5:8], v25 offset0:4 offset1:5
	;; [unrolled: 1-line block ×3, first 2 shown]
	s_add_u32 s0, s0, s8
	s_addc_u32 s5, s5, s9
	s_and_b32 vcc_lo, exec_lo, s23
	s_mov_b32 s8, -1
	s_waitcnt lgkmcnt(0)
	s_barrier
	buffer_gl0_inv
	s_cbranch_vccz .LBB563_26
; %bb.25:
	v_lshlrev_b32_e32 v35, 2, v0
	v_lshrrev_b32_e32 v37, 3, v23
	v_lshrrev_b32_e32 v38, 3, v21
	;; [unrolled: 1-line block ×4, first 2 shown]
	v_add_co_u32 v27, s8, s0, v35
	s_delay_alu instid0(VALU_DEP_1) | instskip(SKIP_1) | instid1(VALU_DEP_3)
	v_add_co_ci_u32_e64 v28, null, s5, 0, s8
	v_lshrrev_b32_e32 v41, 3, v18
	v_add_co_u32 v29, vcc_lo, 0x1000, v27
	s_delay_alu instid0(VALU_DEP_3)
	v_add_co_ci_u32_e32 v30, vcc_lo, 0, v28, vcc_lo
	v_add_co_u32 v31, vcc_lo, 0x2000, v27
	v_add_co_ci_u32_e32 v32, vcc_lo, 0, v28, vcc_lo
	v_add_co_u32 v33, vcc_lo, 0x3000, v27
	v_add_co_ci_u32_e32 v34, vcc_lo, 0, v28, vcc_lo
	s_clause 0x7
	flat_load_b32 v36, v[27:28]
	flat_load_b32 v27, v[27:28] offset:2048
	flat_load_b32 v28, v[29:30]
	flat_load_b32 v29, v[29:30] offset:2048
	;; [unrolled: 2-line block ×4, first 2 shown]
	v_and_b32_e32 v34, 60, v26
	v_lshrrev_b32_e32 v42, 3, v17
	v_lshrrev_b32_e32 v43, 3, v19
	v_and_b32_e32 v37, 0x7c, v37
	v_and_b32_e32 v38, 0xbc, v38
	;; [unrolled: 1-line block ×4, first 2 shown]
	v_add_nc_u32_e32 v34, v34, v35
	v_and_b32_e32 v41, 0x17c, v41
	v_and_b32_e32 v42, 0x1bc, v42
	;; [unrolled: 1-line block ×3, first 2 shown]
	v_add_nc_u32_e32 v37, v37, v35
	v_add_nc_u32_e32 v38, v38, v35
	;; [unrolled: 1-line block ×4, first 2 shown]
	s_mov_b32 s8, 0
	v_add_nc_u32_e32 v41, v41, v35
	v_add_nc_u32_e32 v42, v42, v35
	;; [unrolled: 1-line block ×3, first 2 shown]
	s_waitcnt vmcnt(7) lgkmcnt(7)
	ds_store_b32 v34, v36
	s_waitcnt vmcnt(6) lgkmcnt(7)
	ds_store_b32 v37, v27 offset:2048
	s_waitcnt vmcnt(5) lgkmcnt(7)
	ds_store_b32 v38, v28 offset:4096
	s_waitcnt vmcnt(4) lgkmcnt(7)
	ds_store_b32 v39, v29 offset:6144
	s_waitcnt vmcnt(3) lgkmcnt(7)
	ds_store_b32 v40, v30 offset:8192
	s_waitcnt vmcnt(2) lgkmcnt(7)
	ds_store_b32 v41, v31 offset:10240
	s_waitcnt vmcnt(1) lgkmcnt(7)
	ds_store_b32 v42, v32 offset:12288
	s_waitcnt vmcnt(0) lgkmcnt(7)
	ds_store_b32 v35, v33 offset:14336
	s_waitcnt lgkmcnt(0)
	s_barrier
.LBB563_26:
	s_and_not1_b32 vcc_lo, exec_lo, s8
	s_cbranch_vccnz .LBB563_44
; %bb.27:
	s_mov_b32 s8, exec_lo
                                        ; implicit-def: $vgpr27
	v_cmpx_gt_u32_e64 s25, v0
	s_cbranch_execz .LBB563_29
; %bb.28:
	v_lshlrev_b32_e32 v27, 2, v0
	s_delay_alu instid0(VALU_DEP_1) | instskip(NEXT) | instid1(VALU_DEP_1)
	v_add_co_u32 v27, s9, s0, v27
	v_add_co_ci_u32_e64 v28, null, s5, 0, s9
	flat_load_b32 v27, v[27:28]
.LBB563_29:
	s_or_b32 exec_lo, exec_lo, s8
	s_delay_alu instid0(SALU_CYCLE_1)
	s_mov_b32 s8, exec_lo
                                        ; implicit-def: $vgpr28
	v_cmpx_gt_u32_e64 s25, v23
	s_cbranch_execz .LBB563_31
; %bb.30:
	v_lshlrev_b32_e32 v28, 2, v0
	s_delay_alu instid0(VALU_DEP_1) | instskip(NEXT) | instid1(VALU_DEP_1)
	v_add_co_u32 v28, s9, s0, v28
	v_add_co_ci_u32_e64 v29, null, s5, 0, s9
	flat_load_b32 v28, v[28:29] offset:2048
.LBB563_31:
	s_or_b32 exec_lo, exec_lo, s8
	s_delay_alu instid0(SALU_CYCLE_1)
	s_mov_b32 s8, exec_lo
                                        ; implicit-def: $vgpr29
	v_cmpx_gt_u32_e64 s25, v21
	s_cbranch_execz .LBB563_33
; %bb.32:
	v_lshlrev_b32_e32 v29, 2, v21
	s_delay_alu instid0(VALU_DEP_1) | instskip(NEXT) | instid1(VALU_DEP_1)
	v_add_co_u32 v29, s9, s0, v29
	v_add_co_ci_u32_e64 v30, null, s5, 0, s9
	flat_load_b32 v29, v[29:30]
.LBB563_33:
	s_or_b32 exec_lo, exec_lo, s8
	s_delay_alu instid0(SALU_CYCLE_1)
	s_mov_b32 s8, exec_lo
                                        ; implicit-def: $vgpr30
	v_cmpx_gt_u32_e64 s25, v22
	s_cbranch_execz .LBB563_35
; %bb.34:
	v_lshlrev_b32_e32 v30, 2, v22
	s_delay_alu instid0(VALU_DEP_1) | instskip(NEXT) | instid1(VALU_DEP_1)
	v_add_co_u32 v30, s9, s0, v30
	v_add_co_ci_u32_e64 v31, null, s5, 0, s9
	flat_load_b32 v30, v[30:31]
.LBB563_35:
	s_or_b32 exec_lo, exec_lo, s8
	s_delay_alu instid0(SALU_CYCLE_1)
	s_mov_b32 s8, exec_lo
                                        ; implicit-def: $vgpr31
	v_cmpx_gt_u32_e64 s25, v20
	s_cbranch_execz .LBB563_37
; %bb.36:
	v_lshlrev_b32_e32 v31, 2, v20
	s_delay_alu instid0(VALU_DEP_1) | instskip(NEXT) | instid1(VALU_DEP_1)
	v_add_co_u32 v31, s9, s0, v31
	v_add_co_ci_u32_e64 v32, null, s5, 0, s9
	flat_load_b32 v31, v[31:32]
.LBB563_37:
	s_or_b32 exec_lo, exec_lo, s8
	s_delay_alu instid0(SALU_CYCLE_1)
	s_mov_b32 s8, exec_lo
                                        ; implicit-def: $vgpr32
	v_cmpx_gt_u32_e64 s25, v18
	s_cbranch_execz .LBB563_39
; %bb.38:
	v_lshlrev_b32_e32 v32, 2, v18
	s_delay_alu instid0(VALU_DEP_1) | instskip(NEXT) | instid1(VALU_DEP_1)
	v_add_co_u32 v32, s9, s0, v32
	v_add_co_ci_u32_e64 v33, null, s5, 0, s9
	flat_load_b32 v32, v[32:33]
.LBB563_39:
	s_or_b32 exec_lo, exec_lo, s8
	s_delay_alu instid0(SALU_CYCLE_1)
	s_mov_b32 s8, exec_lo
                                        ; implicit-def: $vgpr33
	v_cmpx_gt_u32_e64 s25, v17
	s_cbranch_execz .LBB563_41
; %bb.40:
	v_lshlrev_b32_e32 v33, 2, v17
	s_delay_alu instid0(VALU_DEP_1) | instskip(NEXT) | instid1(VALU_DEP_1)
	v_add_co_u32 v33, s9, s0, v33
	v_add_co_ci_u32_e64 v34, null, s5, 0, s9
	flat_load_b32 v33, v[33:34]
.LBB563_41:
	s_or_b32 exec_lo, exec_lo, s8
	s_delay_alu instid0(SALU_CYCLE_1)
	s_mov_b32 s8, exec_lo
                                        ; implicit-def: $vgpr34
	v_cmpx_gt_u32_e64 s25, v19
	s_cbranch_execz .LBB563_43
; %bb.42:
	v_lshlrev_b32_e32 v34, 2, v19
	s_delay_alu instid0(VALU_DEP_1) | instskip(NEXT) | instid1(VALU_DEP_1)
	v_add_co_u32 v34, s0, s0, v34
	v_add_co_ci_u32_e64 v35, null, s5, 0, s0
	flat_load_b32 v34, v[34:35]
.LBB563_43:
	s_or_b32 exec_lo, exec_lo, s8
	v_lshrrev_b32_e32 v23, 3, v23
	v_lshrrev_b32_e32 v21, 3, v21
	;; [unrolled: 1-line block ×4, first 2 shown]
	v_and_b32_e32 v26, 60, v26
	v_lshlrev_b32_e32 v35, 2, v0
	v_lshrrev_b32_e32 v18, 3, v18
	v_lshrrev_b32_e32 v17, 3, v17
	;; [unrolled: 1-line block ×3, first 2 shown]
	v_and_b32_e32 v23, 0x7c, v23
	v_and_b32_e32 v21, 0xfc, v21
	v_and_b32_e32 v22, 0xfc, v22
	v_and_b32_e32 v20, 0x1fc, v20
	v_add_nc_u32_e32 v26, v26, v35
	v_and_b32_e32 v18, 0x1fc, v18
	v_and_b32_e32 v17, 0x1fc, v17
	;; [unrolled: 1-line block ×3, first 2 shown]
	v_add_nc_u32_e32 v23, v23, v35
	v_add_nc_u32_e32 v21, v21, v35
	;; [unrolled: 1-line block ×7, first 2 shown]
	s_waitcnt vmcnt(0) lgkmcnt(0)
	ds_store_b32 v26, v27
	ds_store_b32 v23, v28 offset:2048
	ds_store_b32 v21, v29 offset:4096
	;; [unrolled: 1-line block ×7, first 2 shown]
	s_waitcnt lgkmcnt(0)
	s_barrier
.LBB563_44:
	v_lshlrev_b32_e32 v17, 2, v24
	buffer_gl0_inv
	s_cmp_lg_u32 s24, 0
	s_mov_b32 s14, 0
	s_cselect_b32 s9, -1, 0
	v_sub_nc_u32_e32 v17, v25, v17
	s_cmp_lg_u64 s[6:7], 0
	ds_load_2addr_b32 v[23:24], v17 offset1:1
	ds_load_2addr_b32 v[21:22], v17 offset0:2 offset1:3
	ds_load_2addr_b32 v[19:20], v17 offset0:4 offset1:5
	;; [unrolled: 1-line block ×3, first 2 shown]
	s_cselect_b32 s0, -1, 0
	s_waitcnt lgkmcnt(0)
	s_or_b32 s0, s0, s9
	s_barrier
	s_and_b32 vcc_lo, exec_lo, s0
	buffer_gl0_inv
	s_cbranch_vccz .LBB563_49
; %bb.45:
	v_add_co_u32 v25, s0, -8, s4
	s_delay_alu instid0(VALU_DEP_1)
	v_add_co_ci_u32_e64 v26, null, -1, s1, s0
	s_mov_b32 s1, -1
	s_and_b32 vcc_lo, exec_lo, s23
	flat_load_b64 v[27:28], v[25:26]
	ds_store_b64 v47, v[3:4]
	s_cbranch_vccz .LBB563_50
; %bb.46:
	s_waitcnt vmcnt(0) lgkmcnt(1)
	v_dual_mov_b32 v25, v27 :: v_dual_mov_b32 v26, v28
	s_waitcnt lgkmcnt(0)
	s_barrier
	buffer_gl0_inv
	s_and_saveexec_b32 s0, s3
	s_cbranch_execz .LBB563_48
; %bb.47:
	v_add_nc_u32_e32 v25, -8, v47
	ds_load_b64 v[25:26], v25
.LBB563_48:
	s_or_b32 exec_lo, exec_lo, s0
	v_cmp_ne_u64_e32 vcc_lo, v[1:2], v[3:4]
	s_waitcnt lgkmcnt(0)
	v_cmp_ne_u64_e64 s0, v[25:26], v[13:14]
	v_cndmask_b32_e64 v29, 0, 1, vcc_lo
	v_cmp_ne_u64_e32 vcc_lo, v[7:8], v[1:2]
	s_delay_alu instid0(VALU_DEP_2) | instskip(SKIP_2) | instid1(VALU_DEP_2)
	v_lshlrev_b16 v29, 8, v29
	v_cndmask_b32_e64 v30, 0, 1, vcc_lo
	v_cmp_ne_u64_e32 vcc_lo, v[5:6], v[7:8]
	v_or_b32_e32 v29, v30, v29
	v_cndmask_b32_e64 v31, 0, 1, vcc_lo
	v_cmp_ne_u64_e32 vcc_lo, v[9:10], v[11:12]
	s_delay_alu instid0(VALU_DEP_3) | instskip(NEXT) | instid1(VALU_DEP_3)
	v_lshlrev_b32_e32 v29, 16, v29
	v_lshlrev_b16 v31, 8, v31
	v_cndmask_b32_e64 v32, 0, 1, vcc_lo
	v_cmp_ne_u64_e32 vcc_lo, v[11:12], v[5:6]
	s_delay_alu instid0(VALU_DEP_2) | instskip(SKIP_2) | instid1(VALU_DEP_2)
	v_lshlrev_b16 v32, 8, v32
	v_cndmask_b32_e64 v33, 0, 1, vcc_lo
	v_cmp_ne_u64_e32 vcc_lo, v[15:16], v[9:10]
	v_or_b32_e32 v31, v33, v31
	v_cndmask_b32_e64 v34, 0, 1, vcc_lo
	v_cmp_ne_u64_e32 vcc_lo, v[13:14], v[15:16]
	s_delay_alu instid0(VALU_DEP_3) | instskip(NEXT) | instid1(VALU_DEP_3)
	v_and_b32_e32 v31, 0xffff, v31
	v_or_b32_e32 v32, v34, v32
	v_cndmask_b32_e64 v35, 0, 1, vcc_lo
	s_delay_alu instid0(VALU_DEP_3) | instskip(NEXT) | instid1(VALU_DEP_3)
	v_or_b32_e32 v26, v31, v29
	v_lshlrev_b32_e32 v30, 16, v32
	s_delay_alu instid0(VALU_DEP_3) | instskip(NEXT) | instid1(VALU_DEP_1)
	v_lshlrev_b16 v34, 8, v35
	v_and_b32_e32 v32, 0xffff, v34
	s_delay_alu instid0(VALU_DEP_1)
	v_or_b32_e32 v25, v32, v30
	s_branch .LBB563_54
.LBB563_49:
                                        ; implicit-def: $sgpr0
                                        ; implicit-def: $vgpr26
	s_branch .LBB563_55
.LBB563_50:
                                        ; implicit-def: $sgpr0
                                        ; implicit-def: $vgpr26
	s_and_b32 vcc_lo, exec_lo, s1
	s_cbranch_vccz .LBB563_54
; %bb.51:
	s_waitcnt vmcnt(0) lgkmcnt(0)
	s_barrier
	buffer_gl0_inv
	s_and_saveexec_b32 s0, s3
	s_cbranch_execz .LBB563_53
; %bb.52:
	v_add_nc_u32_e32 v25, -8, v47
	ds_load_b64 v[27:28], v25
.LBB563_53:
	s_or_b32 exec_lo, exec_lo, s0
	v_or_b32_e32 v25, 7, v47
	v_or_b32_e32 v26, 6, v47
	v_cmp_ne_u64_e32 vcc_lo, v[1:2], v[3:4]
	v_or_b32_e32 v29, 5, v47
	v_cmp_ne_u64_e64 s1, v[7:8], v[1:2]
	v_cmp_gt_u32_e64 s0, s25, v25
	v_cmp_gt_u32_e64 s4, s25, v26
	v_cmp_ne_u64_e64 s5, v[5:6], v[7:8]
	v_cmp_gt_u32_e64 s6, s25, v29
	v_or_b32_e32 v29, 3, v47
	s_and_b32 s0, s0, vcc_lo
	v_or_b32_e32 v30, 4, v47
	v_cndmask_b32_e64 v25, 0, 1, s0
	s_and_b32 s0, s4, s1
	v_cmp_ne_u64_e32 vcc_lo, v[9:10], v[11:12]
	v_cndmask_b32_e64 v26, 0, 1, s0
	s_and_b32 s0, s6, s5
	v_cmp_gt_u32_e64 s1, s25, v30
	v_cndmask_b32_e64 v31, 0, 1, s0
	v_cmp_gt_u32_e64 s0, s25, v29
	v_or_b32_e32 v29, 2, v47
	v_or_b32_e32 v30, 1, v47
	v_cmp_ne_u64_e64 s4, v[11:12], v[5:6]
	v_cmp_ne_u64_e64 s6, v[13:14], v[15:16]
	s_and_b32 s0, s0, vcc_lo
	v_cmp_ne_u64_e32 vcc_lo, v[15:16], v[9:10]
	v_cndmask_b32_e64 v32, 0, 1, s0
	v_cmp_gt_u32_e64 s0, s25, v29
	v_cmp_gt_u32_e64 s5, s25, v30
	s_and_b32 s1, s1, s4
	v_lshlrev_b16 v31, 8, v31
	v_cndmask_b32_e64 v29, 0, 1, s1
	s_and_b32 s0, s0, vcc_lo
	v_lshlrev_b16 v32, 8, v32
	v_cndmask_b32_e64 v30, 0, 1, s0
	s_and_b32 s0, s5, s6
	v_lshlrev_b16 v25, 8, v25
	v_cndmask_b32_e64 v33, 0, 1, s0
	v_or_b32_e32 v29, v29, v31
	v_or_b32_e32 v30, v30, v32
	s_waitcnt lgkmcnt(0)
	v_cmp_ne_u64_e32 vcc_lo, v[27:28], v[13:14]
	v_or_b32_e32 v25, v26, v25
	v_lshlrev_b16 v32, 8, v33
	v_and_b32_e32 v29, 0xffff, v29
	v_lshlrev_b32_e32 v26, 16, v30
	v_cmp_gt_u32_e64 s0, s25, v47
	v_lshlrev_b32_e32 v31, 16, v25
	v_and_b32_e32 v30, 0xffff, v32
	s_delay_alu instid0(VALU_DEP_3) | instskip(NEXT) | instid1(VALU_DEP_1)
	s_and_b32 s0, s0, vcc_lo
	v_or_b32_e32 v25, v30, v26
	s_delay_alu instid0(VALU_DEP_3)
	v_or_b32_e32 v26, v29, v31
.LBB563_54:
	s_mov_b32 s14, -1
	s_cbranch_execnz .LBB563_63
.LBB563_55:
	v_cmp_ne_u64_e64 s1, v[1:2], v[3:4]
	v_cmp_ne_u64_e64 s4, v[7:8], v[1:2]
	;; [unrolled: 1-line block ×7, first 2 shown]
	s_and_b32 vcc_lo, exec_lo, s23
	ds_store_b64 v47, v[3:4]
	s_cbranch_vccz .LBB563_59
; %bb.56:
	v_cndmask_b32_e64 v25, 0, 1, s1
	s_waitcnt vmcnt(0) lgkmcnt(2)
	v_cndmask_b32_e64 v27, 0, 1, s5
	v_cndmask_b32_e64 v29, 0, 1, s7
	;; [unrolled: 1-line block ×6, first 2 shown]
	v_lshlrev_b16 v27, 8, v27
	v_lshlrev_b16 v25, 8, v25
	;; [unrolled: 1-line block ×4, first 2 shown]
	s_waitcnt lgkmcnt(0)
	v_or_b32_e32 v27, v28, v27
	v_or_b32_e32 v25, v26, v25
	v_or_b32_e32 v26, v31, v29
	v_or_b32_e32 v28, 1, v30
	s_barrier
	v_and_b32_e32 v27, 0xffff, v27
	v_lshlrev_b32_e32 v25, 16, v25
	v_lshlrev_b32_e32 v29, 16, v26
	v_and_b32_e32 v28, 0xffff, v28
	buffer_gl0_inv
                                        ; implicit-def: $sgpr0
	v_or_b32_e32 v26, v27, v25
	v_or_b32_e32 v25, v28, v29
	s_and_saveexec_b32 s1, s3
	s_delay_alu instid0(SALU_CYCLE_1)
	s_xor_b32 s1, exec_lo, s1
	s_cbranch_execz .LBB563_58
; %bb.57:
	v_add_nc_u32_e32 v27, -8, v47
	s_or_b32 s14, s14, exec_lo
	ds_load_b64 v[27:28], v27
	s_waitcnt lgkmcnt(0)
	v_cmp_ne_u64_e32 vcc_lo, v[27:28], v[13:14]
	s_and_b32 s0, vcc_lo, exec_lo
.LBB563_58:
	s_or_b32 exec_lo, exec_lo, s1
	s_branch .LBB563_63
.LBB563_59:
                                        ; implicit-def: $sgpr0
                                        ; implicit-def: $vgpr26
	s_cbranch_execz .LBB563_63
; %bb.60:
	v_or_b32_e32 v25, 7, v47
	v_or_b32_e32 v26, 6, v47
	v_cmp_ne_u64_e32 vcc_lo, v[1:2], v[3:4]
	v_cmp_ne_u64_e64 s0, v[7:8], v[1:2]
	s_waitcnt vmcnt(0) lgkmcnt(2)
	v_or_b32_e32 v27, 4, v47
	v_cmp_gt_u32_e64 s1, s25, v25
	v_or_b32_e32 v25, 5, v47
	v_cmp_gt_u32_e64 s5, s25, v26
	v_cmp_ne_u64_e64 s4, v[5:6], v[7:8]
	v_cmp_ne_u64_e64 s6, v[11:12], v[5:6]
	s_and_b32 s1, s1, vcc_lo
	v_cmp_gt_u32_e32 vcc_lo, s25, v25
	v_cndmask_b32_e64 v26, 0, 1, s1
	v_cmp_gt_u32_e64 s1, s25, v27
	s_and_b32 s0, s5, s0
	v_or_b32_e32 v28, 3, v47
	v_cndmask_b32_e64 v25, 0, 1, s0
	s_and_b32 s0, vcc_lo, s4
	v_or_b32_e32 v30, 1, v47
	v_cndmask_b32_e64 v27, 0, 1, s0
	s_and_b32 s0, s1, s6
	v_cmp_ne_u64_e32 vcc_lo, v[9:10], v[11:12]
	v_cndmask_b32_e64 v29, 0, 1, s0
	v_cmp_gt_u32_e64 s0, s25, v28
	v_cmp_ne_u64_e64 s1, v[13:14], v[15:16]
	v_or_b32_e32 v31, 2, v47
	v_cmp_gt_u32_e64 s4, s25, v30
	v_cmp_ne_u64_e64 s5, v[15:16], v[9:10]
	s_and_b32 s0, s0, vcc_lo
	v_lshlrev_b16 v27, 8, v27
	v_cmp_gt_u32_e64 s6, s25, v31
	v_cndmask_b32_e64 v28, 0, 1, s0
	s_and_b32 s0, s4, s1
	v_lshlrev_b16 v26, 8, v26
	v_cndmask_b32_e64 v30, 0, 1, s0
	s_and_b32 s0, s6, s5
	v_lshlrev_b16 v28, 8, v28
	v_cndmask_b32_e64 v31, 0, 1, s0
	v_or_b32_e32 v27, v29, v27
	v_lshlrev_b16 v30, 8, v30
	v_or_b32_e32 v25, v25, v26
	s_waitcnt lgkmcnt(0)
	v_or_b32_e32 v26, v31, v28
	v_and_b32_e32 v27, 0xffff, v27
	v_or_b32_e32 v28, 1, v30
	v_lshlrev_b32_e32 v25, 16, v25
	s_barrier
	v_lshlrev_b32_e32 v29, 16, v26
	buffer_gl0_inv
	v_and_b32_e32 v28, 0xffff, v28
	v_or_b32_e32 v26, v27, v25
                                        ; implicit-def: $sgpr0
	s_delay_alu instid0(VALU_DEP_2)
	v_or_b32_e32 v25, v28, v29
	s_and_saveexec_b32 s1, s3
	s_cbranch_execz .LBB563_62
; %bb.61:
	v_add_nc_u32_e32 v27, -8, v47
	v_cmp_gt_u32_e64 s0, s25, v47
	s_or_b32 s14, s14, exec_lo
	ds_load_b64 v[27:28], v27
	s_waitcnt lgkmcnt(0)
	v_cmp_ne_u64_e32 vcc_lo, v[27:28], v[13:14]
	s_and_b32 s0, s0, vcc_lo
	s_delay_alu instid0(SALU_CYCLE_1)
	s_and_b32 s0, s0, exec_lo
.LBB563_62:
	s_or_b32 exec_lo, exec_lo, s1
.LBB563_63:
	s_and_saveexec_b32 s1, s14
	s_cbranch_execz .LBB563_65
; %bb.64:
	s_waitcnt vmcnt(0) lgkmcnt(1)
	v_and_b32_e32 v27, 0xffffff00, v25
	v_cndmask_b32_e64 v28, 0, 1, s0
	s_delay_alu instid0(VALU_DEP_1) | instskip(NEXT) | instid1(VALU_DEP_1)
	v_or_b32_e32 v27, v28, v27
	v_and_b32_e32 v27, 0xffff, v27
	s_delay_alu instid0(VALU_DEP_1)
	v_and_or_b32 v25, 0xffff0000, v25, v27
.LBB563_65:
	s_or_b32 exec_lo, exec_lo, s1
	s_delay_alu instid0(SALU_CYCLE_1)
	s_and_not1_b32 vcc_lo, exec_lo, s26
	s_cbranch_vccnz .LBB563_67
; %bb.66:
	v_cmp_gt_u32_e32 vcc_lo, s25, v47
	s_waitcnt vmcnt(0) lgkmcnt(1)
	v_or_b32_e32 v28, 1, v47
	v_and_b32_e32 v29, 0xffffff00, v26
	v_or_b32_e32 v30, 2, v47
	v_cndmask_b32_e32 v27, 0, v25, vcc_lo
	s_delay_alu instid0(VALU_DEP_4) | instskip(SKIP_1) | instid1(VALU_DEP_4)
	v_cmp_gt_u32_e32 vcc_lo, s25, v28
	v_or_b32_e32 v28, 4, v47
	v_cmp_gt_u32_e64 s0, s25, v30
	v_or_b32_e32 v30, 3, v47
	v_and_b32_e32 v27, 0xff, v27
	s_delay_alu instid0(VALU_DEP_2) | instskip(NEXT) | instid1(VALU_DEP_2)
	v_cmp_gt_u32_e64 s1, s25, v30
	v_cndmask_b32_e32 v27, v27, v25, vcc_lo
	v_cmp_gt_u32_e32 vcc_lo, s25, v28
	v_cndmask_b32_e32 v28, v29, v26, vcc_lo
	v_or_b32_e32 v29, 5, v47
	s_delay_alu instid0(VALU_DEP_2) | instskip(SKIP_1) | instid1(VALU_DEP_1)
	v_and_b32_e32 v28, 0xffff00ff, v28
	v_and_b32_e32 v27, 0xffff, v27
	v_cndmask_b32_e64 v27, v27, v25, s0
	s_delay_alu instid0(VALU_DEP_4) | instskip(SKIP_1) | instid1(VALU_DEP_3)
	v_cmp_gt_u32_e64 s0, s25, v29
	v_or_b32_e32 v29, 6, v47
	v_and_b32_e32 v27, 0xffffff, v27
	s_delay_alu instid0(VALU_DEP_3) | instskip(NEXT) | instid1(VALU_DEP_2)
	v_cndmask_b32_e64 v28, v28, v26, s0
	v_cndmask_b32_e64 v27, v27, v25, s1
	s_delay_alu instid0(VALU_DEP_1) | instskip(SKIP_2) | instid1(VALU_DEP_3)
	v_dual_cndmask_b32 v27, v27, v25 :: v_dual_and_b32 v28, 0xff00ffff, v28
	v_cmp_gt_u32_e32 vcc_lo, s25, v29
	v_or_b32_e32 v29, 7, v47
	v_cndmask_b32_e64 v27, v27, v25, s0
	s_delay_alu instid0(VALU_DEP_1) | instskip(NEXT) | instid1(VALU_DEP_1)
	v_dual_cndmask_b32 v28, v28, v26 :: v_dual_cndmask_b32 v27, v27, v25
	v_and_b32_e32 v28, 0xffffff, v28
	s_delay_alu instid0(VALU_DEP_4) | instskip(NEXT) | instid1(VALU_DEP_2)
	v_cmp_gt_u32_e32 vcc_lo, s25, v29
	v_dual_cndmask_b32 v26, v28, v26 :: v_dual_cndmask_b32 v25, v27, v25
.LBB563_67:
	s_delay_alu instid0(VALU_DEP_1) | instskip(SKIP_1) | instid1(VALU_DEP_2)
	v_and_b32_e32 v36, 0xff, v25
	s_waitcnt vmcnt(0) lgkmcnt(1)
	v_alignbit_b32 v27, v26, v25, 24
	v_bfe_u32 v38, v25, 8, 8
	v_bfe_u32 v40, v25, 16, 8
	v_and_b32_e32 v44, 0xff, v26
	v_bfe_u32 v46, v26, 8, 8
	v_and_b32_e32 v42, 0xff, v27
	v_add_nc_u32_e32 v27, v38, v36
	v_mbcnt_lo_u32_b32 v50, -1, 0
	v_bfe_u32 v49, v26, 16, 8
	v_lshrrev_b32_e32 v48, 24, v26
	v_lshrrev_b32_e32 v51, 5, v0
	v_add3_u32 v27, v27, v40, v42
	v_and_b32_e32 v28, 15, v50
	v_and_b32_e32 v29, 16, v50
	s_and_b32 vcc_lo, exec_lo, s9
	s_mov_b32 s7, -1
	v_add3_u32 v27, v27, v44, v46
	v_cmp_eq_u32_e64 s3, 0, v28
	v_cmp_lt_u32_e64 s0, 1, v28
	v_cmp_lt_u32_e64 s4, 3, v28
	;; [unrolled: 1-line block ×3, first 2 shown]
	v_add3_u32 v52, v27, v49, v48
	v_or_b32_e32 v27, 31, v0
	v_cmp_eq_u32_e64 s6, 0, v29
	s_waitcnt lgkmcnt(0)
	s_barrier
	buffer_gl0_inv
	v_cmp_eq_u32_e64 s5, v27, v0
	s_cbranch_vccz .LBB563_93
; %bb.68:
	v_mov_b32_dpp v27, v52 row_shr:1 row_mask:0xf bank_mask:0xf
	s_delay_alu instid0(VALU_DEP_1) | instskip(NEXT) | instid1(VALU_DEP_1)
	v_cndmask_b32_e64 v27, v27, 0, s3
	v_add_nc_u32_e32 v27, v27, v52
	s_delay_alu instid0(VALU_DEP_1) | instskip(NEXT) | instid1(VALU_DEP_1)
	v_mov_b32_dpp v28, v27 row_shr:2 row_mask:0xf bank_mask:0xf
	v_cndmask_b32_e64 v28, 0, v28, s0
	s_delay_alu instid0(VALU_DEP_1) | instskip(NEXT) | instid1(VALU_DEP_1)
	v_add_nc_u32_e32 v27, v27, v28
	v_mov_b32_dpp v28, v27 row_shr:4 row_mask:0xf bank_mask:0xf
	s_delay_alu instid0(VALU_DEP_1) | instskip(NEXT) | instid1(VALU_DEP_1)
	v_cndmask_b32_e64 v28, 0, v28, s4
	v_add_nc_u32_e32 v27, v27, v28
	s_delay_alu instid0(VALU_DEP_1) | instskip(NEXT) | instid1(VALU_DEP_1)
	v_mov_b32_dpp v28, v27 row_shr:8 row_mask:0xf bank_mask:0xf
	v_cndmask_b32_e64 v28, 0, v28, s1
	s_delay_alu instid0(VALU_DEP_1) | instskip(SKIP_3) | instid1(VALU_DEP_1)
	v_add_nc_u32_e32 v27, v27, v28
	ds_swizzle_b32 v28, v27 offset:swizzle(BROADCAST,32,15)
	s_waitcnt lgkmcnt(0)
	v_cndmask_b32_e64 v28, v28, 0, s6
	v_add_nc_u32_e32 v27, v27, v28
	s_and_saveexec_b32 s7, s5
	s_cbranch_execz .LBB563_70
; %bb.69:
	v_lshlrev_b32_e32 v28, 2, v51
	ds_store_b32 v28, v27
.LBB563_70:
	s_or_b32 exec_lo, exec_lo, s7
	s_delay_alu instid0(SALU_CYCLE_1)
	s_mov_b32 s7, exec_lo
	s_waitcnt lgkmcnt(0)
	s_barrier
	buffer_gl0_inv
	v_cmpx_gt_u32_e32 16, v0
	s_cbranch_execz .LBB563_72
; %bb.71:
	v_lshlrev_b32_e32 v28, 2, v0
	ds_load_b32 v29, v28
	s_waitcnt lgkmcnt(0)
	v_mov_b32_dpp v30, v29 row_shr:1 row_mask:0xf bank_mask:0xf
	s_delay_alu instid0(VALU_DEP_1) | instskip(NEXT) | instid1(VALU_DEP_1)
	v_cndmask_b32_e64 v30, v30, 0, s3
	v_add_nc_u32_e32 v29, v30, v29
	s_delay_alu instid0(VALU_DEP_1) | instskip(NEXT) | instid1(VALU_DEP_1)
	v_mov_b32_dpp v30, v29 row_shr:2 row_mask:0xf bank_mask:0xf
	v_cndmask_b32_e64 v30, 0, v30, s0
	s_delay_alu instid0(VALU_DEP_1) | instskip(NEXT) | instid1(VALU_DEP_1)
	v_add_nc_u32_e32 v29, v29, v30
	v_mov_b32_dpp v30, v29 row_shr:4 row_mask:0xf bank_mask:0xf
	s_delay_alu instid0(VALU_DEP_1) | instskip(NEXT) | instid1(VALU_DEP_1)
	v_cndmask_b32_e64 v30, 0, v30, s4
	v_add_nc_u32_e32 v29, v29, v30
	s_delay_alu instid0(VALU_DEP_1) | instskip(NEXT) | instid1(VALU_DEP_1)
	v_mov_b32_dpp v30, v29 row_shr:8 row_mask:0xf bank_mask:0xf
	v_cndmask_b32_e64 v30, 0, v30, s1
	s_delay_alu instid0(VALU_DEP_1)
	v_add_nc_u32_e32 v29, v29, v30
	ds_store_b32 v28, v29
.LBB563_72:
	s_or_b32 exec_lo, exec_lo, s7
	v_cmp_gt_u32_e32 vcc_lo, 32, v0
	s_mov_b32 s8, exec_lo
	s_waitcnt lgkmcnt(0)
	s_barrier
	buffer_gl0_inv
                                        ; implicit-def: $vgpr35
	v_cmpx_lt_u32_e32 31, v0
	s_cbranch_execz .LBB563_74
; %bb.73:
	v_lshl_add_u32 v28, v51, 2, -4
	ds_load_b32 v35, v28
	s_waitcnt lgkmcnt(0)
	v_add_nc_u32_e32 v27, v35, v27
.LBB563_74:
	s_or_b32 exec_lo, exec_lo, s8
	v_add_nc_u32_e32 v28, -1, v50
	s_delay_alu instid0(VALU_DEP_1) | instskip(NEXT) | instid1(VALU_DEP_1)
	v_cmp_gt_i32_e64 s7, 0, v28
	v_cndmask_b32_e64 v28, v28, v50, s7
	v_cmp_eq_u32_e64 s7, 0, v50
	s_delay_alu instid0(VALU_DEP_2)
	v_lshlrev_b32_e32 v28, 2, v28
	ds_bpermute_b32 v37, v28, v27
	s_and_saveexec_b32 s8, vcc_lo
	s_cbranch_execz .LBB563_92
; %bb.75:
	v_mov_b32_e32 v31, 0
	ds_load_b32 v27, v31 offset:60
	s_and_saveexec_b32 s9, s7
	s_cbranch_execz .LBB563_77
; %bb.76:
	s_add_i32 s14, s24, 32
	v_mov_b32_e32 v28, 1
	s_lshl_b64 s[14:15], s[14:15], 3
	s_delay_alu instid0(SALU_CYCLE_1)
	s_add_u32 s14, s20, s14
	s_addc_u32 s15, s21, s15
	s_waitcnt lgkmcnt(0)
	global_store_b64 v31, v[27:28], s[14:15]
.LBB563_77:
	s_or_b32 exec_lo, exec_lo, s9
	v_xad_u32 v29, v50, -1, s24
	s_mov_b32 s14, 0
	s_mov_b32 s9, exec_lo
	s_delay_alu instid0(VALU_DEP_1) | instskip(NEXT) | instid1(VALU_DEP_1)
	v_add_nc_u32_e32 v30, 32, v29
	v_lshlrev_b64 v[30:31], 3, v[30:31]
	s_delay_alu instid0(VALU_DEP_1) | instskip(NEXT) | instid1(VALU_DEP_2)
	v_add_co_u32 v33, vcc_lo, s20, v30
	v_add_co_ci_u32_e32 v34, vcc_lo, s21, v31, vcc_lo
	global_load_b64 v[31:32], v[33:34], off glc
	s_waitcnt vmcnt(0)
	v_and_b32_e32 v28, 0xff, v32
	s_delay_alu instid0(VALU_DEP_1)
	v_cmpx_eq_u16_e32 0, v28
	s_cbranch_execz .LBB563_80
.LBB563_78:                             ; =>This Inner Loop Header: Depth=1
	global_load_b64 v[31:32], v[33:34], off glc
	s_waitcnt vmcnt(0)
	v_and_b32_e32 v28, 0xff, v32
	s_delay_alu instid0(VALU_DEP_1) | instskip(SKIP_1) | instid1(SALU_CYCLE_1)
	v_cmp_ne_u16_e32 vcc_lo, 0, v28
	s_or_b32 s14, vcc_lo, s14
	s_and_not1_b32 exec_lo, exec_lo, s14
	s_cbranch_execnz .LBB563_78
; %bb.79:
	s_or_b32 exec_lo, exec_lo, s14
.LBB563_80:
	s_delay_alu instid0(SALU_CYCLE_1)
	s_or_b32 exec_lo, exec_lo, s9
	v_cmp_ne_u32_e32 vcc_lo, 31, v50
	v_lshlrev_b32_e64 v41, v50, -1
	v_add_nc_u32_e32 v45, 2, v50
	v_add_nc_u32_e32 v58, 16, v50
	v_add_co_ci_u32_e32 v28, vcc_lo, 0, v50, vcc_lo
	s_delay_alu instid0(VALU_DEP_1)
	v_lshlrev_b32_e32 v39, 2, v28
	v_and_b32_e32 v28, 0xff, v32
	ds_bpermute_b32 v30, v39, v31
	v_cmp_eq_u16_e32 vcc_lo, 2, v28
	v_and_or_b32 v28, vcc_lo, v41, 0x80000000
	v_cmp_gt_u32_e32 vcc_lo, 30, v50
	s_delay_alu instid0(VALU_DEP_2) | instskip(SKIP_1) | instid1(VALU_DEP_2)
	v_ctz_i32_b32_e32 v28, v28
	v_cndmask_b32_e64 v33, 0, 1, vcc_lo
	v_cmp_lt_u32_e32 vcc_lo, v50, v28
	s_waitcnt lgkmcnt(0)
	s_delay_alu instid0(VALU_DEP_2) | instskip(NEXT) | instid1(VALU_DEP_1)
	v_dual_cndmask_b32 v30, 0, v30 :: v_dual_lshlrev_b32 v33, 1, v33
	v_add_lshl_u32 v43, v33, v50, 2
	v_cmp_gt_u32_e32 vcc_lo, 28, v50
	s_delay_alu instid0(VALU_DEP_3) | instskip(SKIP_4) | instid1(VALU_DEP_1)
	v_add_nc_u32_e32 v30, v30, v31
	v_cndmask_b32_e64 v33, 0, 1, vcc_lo
	v_cmp_le_u32_e32 vcc_lo, v45, v28
	ds_bpermute_b32 v31, v43, v30
	v_lshlrev_b32_e32 v33, 2, v33
	v_add_lshl_u32 v53, v33, v50, 2
	s_waitcnt lgkmcnt(0)
	v_cndmask_b32_e32 v31, 0, v31, vcc_lo
	v_cmp_gt_u32_e32 vcc_lo, 24, v50
	s_delay_alu instid0(VALU_DEP_2) | instskip(SKIP_4) | instid1(VALU_DEP_2)
	v_add_nc_u32_e32 v30, v30, v31
	v_cndmask_b32_e64 v33, 0, 1, vcc_lo
	ds_bpermute_b32 v31, v53, v30
	v_add_nc_u32_e32 v54, 4, v50
	v_lshlrev_b32_e32 v33, 3, v33
	v_cmp_le_u32_e32 vcc_lo, v54, v28
	s_delay_alu instid0(VALU_DEP_2) | instskip(SKIP_3) | instid1(VALU_DEP_2)
	v_add_lshl_u32 v55, v33, v50, 2
	s_waitcnt lgkmcnt(0)
	v_cndmask_b32_e32 v31, 0, v31, vcc_lo
	v_cmp_gt_u32_e32 vcc_lo, 16, v50
	v_add_nc_u32_e32 v30, v30, v31
	v_cndmask_b32_e64 v33, 0, 1, vcc_lo
	ds_bpermute_b32 v31, v55, v30
	v_add_nc_u32_e32 v56, 8, v50
	v_lshlrev_b32_e32 v33, 4, v33
	s_delay_alu instid0(VALU_DEP_2) | instskip(NEXT) | instid1(VALU_DEP_2)
	v_cmp_le_u32_e32 vcc_lo, v56, v28
	v_add_lshl_u32 v57, v33, v50, 2
	s_waitcnt lgkmcnt(0)
	v_cndmask_b32_e32 v31, 0, v31, vcc_lo
	v_cmp_le_u32_e32 vcc_lo, v58, v28
	s_delay_alu instid0(VALU_DEP_2) | instskip(SKIP_3) | instid1(VALU_DEP_1)
	v_add_nc_u32_e32 v30, v30, v31
	ds_bpermute_b32 v31, v57, v30
	s_waitcnt lgkmcnt(0)
	v_cndmask_b32_e32 v28, 0, v31, vcc_lo
	v_dual_mov_b32 v30, 0 :: v_dual_add_nc_u32 v31, v30, v28
	s_branch .LBB563_82
.LBB563_81:                             ;   in Loop: Header=BB563_82 Depth=1
	s_or_b32 exec_lo, exec_lo, s9
	ds_bpermute_b32 v34, v39, v31
	v_and_b32_e32 v33, 0xff, v32
	v_subrev_nc_u32_e32 v29, 32, v29
	s_delay_alu instid0(VALU_DEP_2) | instskip(SKIP_1) | instid1(VALU_DEP_1)
	v_cmp_eq_u16_e32 vcc_lo, 2, v33
	v_and_or_b32 v33, vcc_lo, v41, 0x80000000
	v_ctz_i32_b32_e32 v33, v33
	s_delay_alu instid0(VALU_DEP_1) | instskip(SKIP_3) | instid1(VALU_DEP_2)
	v_cmp_lt_u32_e32 vcc_lo, v50, v33
	s_waitcnt lgkmcnt(0)
	v_cndmask_b32_e32 v34, 0, v34, vcc_lo
	v_cmp_le_u32_e32 vcc_lo, v45, v33
	v_add_nc_u32_e32 v31, v34, v31
	ds_bpermute_b32 v34, v43, v31
	s_waitcnt lgkmcnt(0)
	v_cndmask_b32_e32 v34, 0, v34, vcc_lo
	v_cmp_le_u32_e32 vcc_lo, v54, v33
	s_delay_alu instid0(VALU_DEP_2) | instskip(SKIP_4) | instid1(VALU_DEP_2)
	v_add_nc_u32_e32 v31, v31, v34
	ds_bpermute_b32 v34, v53, v31
	s_waitcnt lgkmcnt(0)
	v_cndmask_b32_e32 v34, 0, v34, vcc_lo
	v_cmp_le_u32_e32 vcc_lo, v56, v33
	v_add_nc_u32_e32 v31, v31, v34
	ds_bpermute_b32 v34, v55, v31
	s_waitcnt lgkmcnt(0)
	v_cndmask_b32_e32 v34, 0, v34, vcc_lo
	v_cmp_le_u32_e32 vcc_lo, v58, v33
	s_delay_alu instid0(VALU_DEP_2) | instskip(SKIP_3) | instid1(VALU_DEP_1)
	v_add_nc_u32_e32 v31, v31, v34
	ds_bpermute_b32 v34, v57, v31
	s_waitcnt lgkmcnt(0)
	v_cndmask_b32_e32 v33, 0, v34, vcc_lo
	v_add3_u32 v31, v33, v28, v31
.LBB563_82:                             ; =>This Loop Header: Depth=1
                                        ;     Child Loop BB563_85 Depth 2
	v_and_b32_e32 v28, 0xff, v32
	s_delay_alu instid0(VALU_DEP_1) | instskip(SKIP_2) | instid1(VALU_DEP_1)
	v_cmp_ne_u16_e32 vcc_lo, 2, v28
	v_cndmask_b32_e64 v28, 0, 1, vcc_lo
	;;#ASMSTART
	;;#ASMEND
	v_cmp_ne_u32_e32 vcc_lo, 0, v28
	v_mov_b32_e32 v28, v31
	s_cmp_lg_u32 vcc_lo, exec_lo
	s_cbranch_scc1 .LBB563_87
; %bb.83:                               ;   in Loop: Header=BB563_82 Depth=1
	v_lshlrev_b64 v[31:32], 3, v[29:30]
	s_mov_b32 s9, exec_lo
	s_delay_alu instid0(VALU_DEP_1) | instskip(NEXT) | instid1(VALU_DEP_2)
	v_add_co_u32 v33, vcc_lo, s20, v31
	v_add_co_ci_u32_e32 v34, vcc_lo, s21, v32, vcc_lo
	global_load_b64 v[31:32], v[33:34], off glc
	s_waitcnt vmcnt(0)
	v_and_b32_e32 v59, 0xff, v32
	s_delay_alu instid0(VALU_DEP_1)
	v_cmpx_eq_u16_e32 0, v59
	s_cbranch_execz .LBB563_81
; %bb.84:                               ;   in Loop: Header=BB563_82 Depth=1
	s_mov_b32 s14, 0
.LBB563_85:                             ;   Parent Loop BB563_82 Depth=1
                                        ; =>  This Inner Loop Header: Depth=2
	global_load_b64 v[31:32], v[33:34], off glc
	s_waitcnt vmcnt(0)
	v_and_b32_e32 v59, 0xff, v32
	s_delay_alu instid0(VALU_DEP_1) | instskip(SKIP_1) | instid1(SALU_CYCLE_1)
	v_cmp_ne_u16_e32 vcc_lo, 0, v59
	s_or_b32 s14, vcc_lo, s14
	s_and_not1_b32 exec_lo, exec_lo, s14
	s_cbranch_execnz .LBB563_85
; %bb.86:                               ;   in Loop: Header=BB563_82 Depth=1
	s_or_b32 exec_lo, exec_lo, s14
	s_branch .LBB563_81
.LBB563_87:                             ;   in Loop: Header=BB563_82 Depth=1
                                        ; implicit-def: $vgpr31
                                        ; implicit-def: $vgpr32
	s_cbranch_execz .LBB563_82
; %bb.88:
	s_and_saveexec_b32 s9, s7
	s_cbranch_execz .LBB563_90
; %bb.89:
	s_add_i32 s14, s24, 32
	s_mov_b32 s15, 0
	v_dual_mov_b32 v30, 2 :: v_dual_add_nc_u32 v29, v28, v27
	s_lshl_b64 s[14:15], s[14:15], 3
	v_mov_b32_e32 v31, 0
	s_add_u32 s14, s20, s14
	s_addc_u32 s15, s21, s15
	global_store_b64 v31, v[29:30], s[14:15]
	ds_store_b64 v31, v[27:28] offset:33792
.LBB563_90:
	s_or_b32 exec_lo, exec_lo, s9
	s_delay_alu instid0(SALU_CYCLE_1)
	s_and_b32 exec_lo, exec_lo, s2
	s_cbranch_execz .LBB563_92
; %bb.91:
	v_mov_b32_e32 v27, 0
	ds_store_b32 v27, v28 offset:60
.LBB563_92:
	s_or_b32 exec_lo, exec_lo, s8
	v_mov_b32_e32 v27, 0
	s_waitcnt lgkmcnt(0)
	s_waitcnt_vscnt null, 0x0
	s_barrier
	buffer_gl0_inv
	v_cndmask_b32_e64 v29, v37, v35, s7
	ds_load_b32 v28, v27 offset:60
	s_waitcnt lgkmcnt(0)
	s_barrier
	buffer_gl0_inv
	v_cndmask_b32_e64 v29, v29, 0, s2
	s_delay_alu instid0(VALU_DEP_1) | instskip(SKIP_2) | instid1(VALU_DEP_1)
	v_add_nc_u32_e32 v45, v28, v29
	ds_load_b64 v[27:28], v27 offset:33792
	v_add_nc_u32_e32 v43, v45, v36
	v_add_nc_u32_e32 v41, v43, v38
	s_delay_alu instid0(VALU_DEP_1) | instskip(NEXT) | instid1(VALU_DEP_1)
	v_add_nc_u32_e32 v39, v41, v40
	v_add_nc_u32_e32 v37, v39, v42
	s_waitcnt lgkmcnt(0)
	v_readfirstlane_b32 s8, v28
	s_delay_alu instid0(VALU_DEP_2) | instskip(NEXT) | instid1(VALU_DEP_1)
	v_add_nc_u32_e32 v35, v37, v44
	v_add_nc_u32_e32 v33, v35, v46
	s_delay_alu instid0(VALU_DEP_1)
	v_add_nc_u32_e32 v31, v33, v49
	v_lshrrev_b64 v[29:30], 24, v[25:26]
	s_branch .LBB563_103
.LBB563_93:
                                        ; implicit-def: $vgpr31
                                        ; implicit-def: $vgpr33
                                        ; implicit-def: $vgpr35
                                        ; implicit-def: $vgpr37
                                        ; implicit-def: $vgpr39
                                        ; implicit-def: $vgpr41
                                        ; implicit-def: $vgpr43
                                        ; implicit-def: $vgpr45
                                        ; implicit-def: $sgpr8
                                        ; implicit-def: $vgpr27
	v_lshrrev_b64 v[29:30], 24, v[25:26]
	s_and_b32 vcc_lo, exec_lo, s7
	s_cbranch_vccz .LBB563_103
; %bb.94:
	v_mov_b32_dpp v27, v52 row_shr:1 row_mask:0xf bank_mask:0xf
	s_delay_alu instid0(VALU_DEP_1) | instskip(NEXT) | instid1(VALU_DEP_1)
	v_cndmask_b32_e64 v27, v27, 0, s3
	v_add_nc_u32_e32 v27, v27, v52
	s_delay_alu instid0(VALU_DEP_1) | instskip(NEXT) | instid1(VALU_DEP_1)
	v_mov_b32_dpp v28, v27 row_shr:2 row_mask:0xf bank_mask:0xf
	v_cndmask_b32_e64 v28, 0, v28, s0
	s_delay_alu instid0(VALU_DEP_1) | instskip(NEXT) | instid1(VALU_DEP_1)
	v_add_nc_u32_e32 v27, v27, v28
	v_mov_b32_dpp v28, v27 row_shr:4 row_mask:0xf bank_mask:0xf
	s_delay_alu instid0(VALU_DEP_1) | instskip(NEXT) | instid1(VALU_DEP_1)
	v_cndmask_b32_e64 v28, 0, v28, s4
	v_add_nc_u32_e32 v27, v27, v28
	s_delay_alu instid0(VALU_DEP_1) | instskip(NEXT) | instid1(VALU_DEP_1)
	v_mov_b32_dpp v28, v27 row_shr:8 row_mask:0xf bank_mask:0xf
	v_cndmask_b32_e64 v28, 0, v28, s1
	s_delay_alu instid0(VALU_DEP_1) | instskip(SKIP_3) | instid1(VALU_DEP_1)
	v_add_nc_u32_e32 v27, v27, v28
	ds_swizzle_b32 v28, v27 offset:swizzle(BROADCAST,32,15)
	s_waitcnt lgkmcnt(0)
	v_cndmask_b32_e64 v28, v28, 0, s6
	v_add_nc_u32_e32 v27, v27, v28
	s_and_saveexec_b32 s6, s5
	s_cbranch_execz .LBB563_96
; %bb.95:
	v_lshlrev_b32_e32 v28, 2, v51
	ds_store_b32 v28, v27
.LBB563_96:
	s_or_b32 exec_lo, exec_lo, s6
	s_delay_alu instid0(SALU_CYCLE_1)
	s_mov_b32 s5, exec_lo
	s_waitcnt lgkmcnt(0)
	s_barrier
	buffer_gl0_inv
	v_cmpx_gt_u32_e32 16, v0
	s_cbranch_execz .LBB563_98
; %bb.97:
	v_lshlrev_b32_e32 v28, 2, v0
	ds_load_b32 v30, v28
	s_waitcnt lgkmcnt(0)
	v_mov_b32_dpp v31, v30 row_shr:1 row_mask:0xf bank_mask:0xf
	s_delay_alu instid0(VALU_DEP_1) | instskip(NEXT) | instid1(VALU_DEP_1)
	v_cndmask_b32_e64 v31, v31, 0, s3
	v_add_nc_u32_e32 v30, v31, v30
	s_delay_alu instid0(VALU_DEP_1) | instskip(NEXT) | instid1(VALU_DEP_1)
	v_mov_b32_dpp v31, v30 row_shr:2 row_mask:0xf bank_mask:0xf
	v_cndmask_b32_e64 v31, 0, v31, s0
	s_delay_alu instid0(VALU_DEP_1) | instskip(NEXT) | instid1(VALU_DEP_1)
	v_add_nc_u32_e32 v30, v30, v31
	v_mov_b32_dpp v31, v30 row_shr:4 row_mask:0xf bank_mask:0xf
	s_delay_alu instid0(VALU_DEP_1) | instskip(NEXT) | instid1(VALU_DEP_1)
	v_cndmask_b32_e64 v31, 0, v31, s4
	v_add_nc_u32_e32 v30, v30, v31
	s_delay_alu instid0(VALU_DEP_1) | instskip(NEXT) | instid1(VALU_DEP_1)
	v_mov_b32_dpp v31, v30 row_shr:8 row_mask:0xf bank_mask:0xf
	v_cndmask_b32_e64 v31, 0, v31, s1
	s_delay_alu instid0(VALU_DEP_1)
	v_add_nc_u32_e32 v30, v30, v31
	ds_store_b32 v28, v30
.LBB563_98:
	s_or_b32 exec_lo, exec_lo, s5
	v_mov_b32_e32 v28, 0
	v_mov_b32_e32 v30, 0
	s_mov_b32 s0, exec_lo
	s_waitcnt lgkmcnt(0)
	s_barrier
	buffer_gl0_inv
	v_cmpx_lt_u32_e32 31, v0
	s_cbranch_execz .LBB563_100
; %bb.99:
	v_lshl_add_u32 v30, v51, 2, -4
	ds_load_b32 v30, v30
.LBB563_100:
	s_or_b32 exec_lo, exec_lo, s0
	v_add_nc_u32_e32 v31, -1, v50
	s_waitcnt lgkmcnt(0)
	v_add_nc_u32_e32 v27, v30, v27
	s_mov_b32 s8, 0
	s_delay_alu instid0(VALU_DEP_2) | instskip(SKIP_1) | instid1(VALU_DEP_1)
	v_cmp_gt_i32_e32 vcc_lo, 0, v31
	v_cndmask_b32_e32 v31, v31, v50, vcc_lo
	v_lshlrev_b32_e32 v31, 2, v31
	ds_bpermute_b32 v31, v31, v27
	ds_load_b32 v27, v28 offset:60
	s_and_saveexec_b32 s0, s2
	s_cbranch_execz .LBB563_102
; %bb.101:
	v_mov_b32_e32 v32, 0
	v_mov_b32_e32 v28, 2
	s_waitcnt lgkmcnt(0)
	global_store_b64 v32, v[27:28], s[20:21] offset:256
.LBB563_102:
	s_or_b32 exec_lo, exec_lo, s0
	v_cmp_eq_u32_e32 vcc_lo, 0, v50
	s_waitcnt lgkmcnt(0)
	s_waitcnt_vscnt null, 0x0
	s_barrier
	buffer_gl0_inv
	v_cndmask_b32_e32 v28, v31, v30, vcc_lo
	s_delay_alu instid0(VALU_DEP_1) | instskip(NEXT) | instid1(VALU_DEP_1)
	v_cndmask_b32_e64 v45, v28, 0, s2
	v_add_nc_u32_e32 v43, v45, v36
	s_delay_alu instid0(VALU_DEP_1) | instskip(NEXT) | instid1(VALU_DEP_1)
	v_add_nc_u32_e32 v41, v43, v38
	v_add_nc_u32_e32 v39, v41, v40
	s_delay_alu instid0(VALU_DEP_1) | instskip(NEXT) | instid1(VALU_DEP_1)
	v_add_nc_u32_e32 v37, v39, v42
	;; [unrolled: 3-line block ×3, first 2 shown]
	v_add_nc_u32_e32 v31, v33, v49
.LBB563_103:
	v_add_nc_u32_e32 v51, s8, v27
	v_cmp_gt_u32_e64 s0, 0x201, v27
	v_lshrrev_b32_e32 v50, 8, v25
	v_lshrrev_b32_e32 v49, 16, v25
	;; [unrolled: 1-line block ×4, first 2 shown]
	v_cmp_lt_u32_e64 s1, v45, v51
	s_and_b32 vcc_lo, exec_lo, s0
	s_mov_b32 s3, -1
	s_cbranch_vccz .LBB563_129
; %bb.104:
	s_lshl_b64 s[4:5], s[10:11], 3
	s_delay_alu instid0(SALU_CYCLE_1) | instskip(SKIP_2) | instid1(SALU_CYCLE_1)
	s_add_u32 s3, s16, s4
	s_addc_u32 s4, s17, s5
	s_or_b32 s5, s23, s1
	s_and_saveexec_b32 s1, s5
	s_cbranch_execz .LBB563_107
; %bb.105:
	v_and_b32_e32 v32, 1, v25
	s_delay_alu instid0(VALU_DEP_1)
	v_cmp_eq_u32_e32 vcc_lo, 1, v32
	s_and_b32 exec_lo, exec_lo, vcc_lo
	s_cbranch_execz .LBB563_107
; %bb.106:
	v_mov_b32_e32 v46, 0
	s_delay_alu instid0(VALU_DEP_1) | instskip(NEXT) | instid1(VALU_DEP_1)
	v_lshlrev_b64 v[52:53], 3, v[45:46]
	v_add_co_u32 v52, vcc_lo, s3, v52
	s_delay_alu instid0(VALU_DEP_2)
	v_add_co_ci_u32_e32 v53, vcc_lo, s4, v53, vcc_lo
	global_store_b64 v[52:53], v[13:14], off
.LBB563_107:
	s_or_b32 exec_lo, exec_lo, s1
	v_cmp_lt_u32_e32 vcc_lo, v43, v51
	s_or_b32 s5, s23, vcc_lo
	s_delay_alu instid0(SALU_CYCLE_1)
	s_and_saveexec_b32 s1, s5
	s_cbranch_execz .LBB563_110
; %bb.108:
	v_and_b32_e32 v32, 1, v50
	s_delay_alu instid0(VALU_DEP_1)
	v_cmp_eq_u32_e32 vcc_lo, 1, v32
	s_and_b32 exec_lo, exec_lo, vcc_lo
	s_cbranch_execz .LBB563_110
; %bb.109:
	v_mov_b32_e32 v44, 0
	s_delay_alu instid0(VALU_DEP_1) | instskip(NEXT) | instid1(VALU_DEP_1)
	v_lshlrev_b64 v[52:53], 3, v[43:44]
	v_add_co_u32 v52, vcc_lo, s3, v52
	s_delay_alu instid0(VALU_DEP_2)
	v_add_co_ci_u32_e32 v53, vcc_lo, s4, v53, vcc_lo
	global_store_b64 v[52:53], v[15:16], off
.LBB563_110:
	s_or_b32 exec_lo, exec_lo, s1
	v_cmp_lt_u32_e32 vcc_lo, v41, v51
	s_or_b32 s5, s23, vcc_lo
	s_delay_alu instid0(SALU_CYCLE_1)
	;; [unrolled: 21-line block ×7, first 2 shown]
	s_and_saveexec_b32 s1, s5
	s_cbranch_execz .LBB563_128
; %bb.126:
	v_and_b32_e32 v32, 1, v48
	s_delay_alu instid0(VALU_DEP_1)
	v_cmp_eq_u32_e32 vcc_lo, 1, v32
	s_and_b32 exec_lo, exec_lo, vcc_lo
	s_cbranch_execz .LBB563_128
; %bb.127:
	v_mov_b32_e32 v32, 0
	s_delay_alu instid0(VALU_DEP_1) | instskip(NEXT) | instid1(VALU_DEP_1)
	v_lshlrev_b64 v[52:53], 3, v[31:32]
	v_add_co_u32 v52, vcc_lo, s3, v52
	s_delay_alu instid0(VALU_DEP_2)
	v_add_co_ci_u32_e32 v53, vcc_lo, s4, v53, vcc_lo
	global_store_b64 v[52:53], v[3:4], off
.LBB563_128:
	s_or_b32 exec_lo, exec_lo, s1
	s_mov_b32 s3, 0
.LBB563_129:
	v_and_b32_e32 v25, 1, v25
	s_and_b32 vcc_lo, exec_lo, s3
	s_delay_alu instid0(VALU_DEP_1)
	v_cmp_eq_u32_e64 s1, 1, v25
	s_cbranch_vccz .LBB563_150
; %bb.130:
	s_delay_alu instid0(VALU_DEP_1)
	s_and_saveexec_b32 s3, s1
	s_cbranch_execz .LBB563_132
; %bb.131:
	v_subrev_nc_u32_e32 v32, s8, v45
	s_delay_alu instid0(VALU_DEP_1)
	v_lshlrev_b32_e32 v32, 3, v32
	ds_store_b64 v32, v[13:14]
.LBB563_132:
	s_or_b32 exec_lo, exec_lo, s3
	v_and_b32_e32 v13, 1, v50
	s_mov_b32 s1, exec_lo
	s_delay_alu instid0(VALU_DEP_1)
	v_cmpx_eq_u32_e32 1, v13
	s_cbranch_execz .LBB563_134
; %bb.133:
	v_subrev_nc_u32_e32 v13, s8, v43
	s_delay_alu instid0(VALU_DEP_1)
	v_lshlrev_b32_e32 v13, 3, v13
	ds_store_b64 v13, v[15:16]
.LBB563_134:
	s_or_b32 exec_lo, exec_lo, s1
	v_and_b32_e32 v13, 1, v49
	s_mov_b32 s1, exec_lo
	s_delay_alu instid0(VALU_DEP_1)
	v_cmpx_eq_u32_e32 1, v13
	;; [unrolled: 12-line block ×7, first 2 shown]
	s_cbranch_execz .LBB563_146
; %bb.145:
	v_subrev_nc_u32_e32 v1, s8, v31
	s_delay_alu instid0(VALU_DEP_1)
	v_lshlrev_b32_e32 v1, 3, v1
	ds_store_b64 v1, v[3:4]
.LBB563_146:
	s_or_b32 exec_lo, exec_lo, s1
	s_delay_alu instid0(SALU_CYCLE_1)
	s_mov_b32 s3, exec_lo
	s_waitcnt lgkmcnt(0)
	s_waitcnt_vscnt null, 0x0
	s_barrier
	buffer_gl0_inv
	v_cmpx_lt_u32_e64 v0, v27
	s_cbranch_execz .LBB563_149
; %bb.147:
	s_mov_b32 s9, 0
	s_lshl_b64 s[4:5], s[10:11], 3
	s_lshl_b64 s[6:7], s[8:9], 3
	v_mov_b32_e32 v3, v0
	s_add_u32 s1, s4, s6
	s_addc_u32 s4, s5, s7
	s_add_u32 s1, s16, s1
	s_addc_u32 s4, s17, s4
	v_add_co_u32 v1, s1, s1, v47
	s_delay_alu instid0(VALU_DEP_1)
	v_add_co_ci_u32_e64 v2, null, s4, 0, s1
	.p2align	6
.LBB563_148:                            ; =>This Inner Loop Header: Depth=1
	ds_load_b64 v[4:5], v47
	v_add_nc_u32_e32 v3, 0x200, v3
	v_add_nc_u32_e32 v47, 0x1000, v47
	s_delay_alu instid0(VALU_DEP_2) | instskip(SKIP_4) | instid1(VALU_DEP_1)
	v_cmp_ge_u32_e32 vcc_lo, v3, v27
	s_or_b32 s9, vcc_lo, s9
	s_waitcnt lgkmcnt(0)
	global_store_b64 v[1:2], v[4:5], off
	v_add_co_u32 v1, s1, 0x1000, v1
	v_add_co_ci_u32_e64 v2, s1, 0, v2, s1
	s_and_not1_b32 exec_lo, exec_lo, s9
	s_cbranch_execnz .LBB563_148
.LBB563_149:
	s_or_b32 exec_lo, exec_lo, s3
.LBB563_150:
	s_delay_alu instid0(SALU_CYCLE_1)
	s_and_b32 vcc_lo, exec_lo, s0
	s_mov_b32 s0, -1
	s_waitcnt_vscnt null, 0x0
	s_barrier
	buffer_gl0_inv
	s_cbranch_vccz .LBB563_178
; %bb.151:
	v_cmp_lt_u32_e32 vcc_lo, v45, v51
	s_lshl_b64 s[0:1], s[10:11], 2
	s_delay_alu instid0(SALU_CYCLE_1) | instskip(SKIP_2) | instid1(SALU_CYCLE_1)
	s_add_u32 s0, s18, s0
	s_addc_u32 s1, s19, s1
	s_or_b32 s4, s23, vcc_lo
	s_and_saveexec_b32 s3, s4
	s_cbranch_execz .LBB563_154
; %bb.152:
	v_cmp_eq_u32_e32 vcc_lo, 1, v25
	s_and_b32 exec_lo, exec_lo, vcc_lo
	s_cbranch_execz .LBB563_154
; %bb.153:
	v_mov_b32_e32 v46, 0
	s_delay_alu instid0(VALU_DEP_1) | instskip(NEXT) | instid1(VALU_DEP_1)
	v_lshlrev_b64 v[1:2], 2, v[45:46]
	v_add_co_u32 v1, vcc_lo, s0, v1
	s_delay_alu instid0(VALU_DEP_2)
	v_add_co_ci_u32_e32 v2, vcc_lo, s1, v2, vcc_lo
	global_store_b32 v[1:2], v23, off
.LBB563_154:
	s_or_b32 exec_lo, exec_lo, s3
	v_cmp_lt_u32_e32 vcc_lo, v43, v51
	s_or_b32 s4, s23, vcc_lo
	s_delay_alu instid0(SALU_CYCLE_1)
	s_and_saveexec_b32 s3, s4
	s_cbranch_execz .LBB563_157
; %bb.155:
	v_and_b32_e32 v1, 1, v50
	s_delay_alu instid0(VALU_DEP_1)
	v_cmp_eq_u32_e32 vcc_lo, 1, v1
	s_and_b32 exec_lo, exec_lo, vcc_lo
	s_cbranch_execz .LBB563_157
; %bb.156:
	v_mov_b32_e32 v44, 0
	s_delay_alu instid0(VALU_DEP_1) | instskip(NEXT) | instid1(VALU_DEP_1)
	v_lshlrev_b64 v[1:2], 2, v[43:44]
	v_add_co_u32 v1, vcc_lo, s0, v1
	s_delay_alu instid0(VALU_DEP_2)
	v_add_co_ci_u32_e32 v2, vcc_lo, s1, v2, vcc_lo
	global_store_b32 v[1:2], v24, off
.LBB563_157:
	s_or_b32 exec_lo, exec_lo, s3
	v_cmp_lt_u32_e32 vcc_lo, v41, v51
	s_or_b32 s4, s23, vcc_lo
	s_delay_alu instid0(SALU_CYCLE_1)
	s_and_saveexec_b32 s3, s4
	s_cbranch_execz .LBB563_160
; %bb.158:
	v_and_b32_e32 v1, 1, v49
	s_delay_alu instid0(VALU_DEP_1)
	v_cmp_eq_u32_e32 vcc_lo, 1, v1
	s_and_b32 exec_lo, exec_lo, vcc_lo
	s_cbranch_execz .LBB563_160
; %bb.159:
	v_mov_b32_e32 v42, 0
	s_delay_alu instid0(VALU_DEP_1) | instskip(NEXT) | instid1(VALU_DEP_1)
	v_lshlrev_b64 v[1:2], 2, v[41:42]
	v_add_co_u32 v1, vcc_lo, s0, v1
	s_delay_alu instid0(VALU_DEP_2)
	v_add_co_ci_u32_e32 v2, vcc_lo, s1, v2, vcc_lo
	global_store_b32 v[1:2], v21, off
.LBB563_160:
	;; [unrolled: 21-line block ×7, first 2 shown]
	s_or_b32 exec_lo, exec_lo, s3
.LBB563_176:
	s_and_b32 s0, s2, s22
	s_delay_alu instid0(SALU_CYCLE_1)
	s_and_saveexec_b32 s1, s0
	s_cbranch_execz .LBB563_199
.LBB563_177:
	v_add_co_u32 v0, s0, s10, v27
	s_delay_alu instid0(VALU_DEP_1) | instskip(SKIP_1) | instid1(VALU_DEP_3)
	v_add_co_ci_u32_e64 v1, null, s11, 0, s0
	v_mov_b32_e32 v2, 0
	v_add_co_u32 v0, vcc_lo, v0, s8
	s_delay_alu instid0(VALU_DEP_3)
	v_add_co_ci_u32_e32 v1, vcc_lo, 0, v1, vcc_lo
	global_store_b64 v2, v[0:1], s[12:13]
	s_nop 0
	s_sendmsg sendmsg(MSG_DEALLOC_VGPRS)
	s_endpgm
.LBB563_178:
	s_and_b32 vcc_lo, exec_lo, s0
	s_cbranch_vccz .LBB563_176
; %bb.179:
	s_mov_b32 s0, exec_lo
	v_cmpx_eq_u32_e32 1, v25
	s_cbranch_execz .LBB563_181
; %bb.180:
	v_subrev_nc_u32_e32 v1, s8, v45
	s_delay_alu instid0(VALU_DEP_1)
	v_lshlrev_b32_e32 v1, 2, v1
	ds_store_b32 v1, v23
.LBB563_181:
	s_or_b32 exec_lo, exec_lo, s0
	v_and_b32_e32 v1, 1, v50
	s_mov_b32 s0, exec_lo
	s_delay_alu instid0(VALU_DEP_1)
	v_cmpx_eq_u32_e32 1, v1
	s_cbranch_execz .LBB563_183
; %bb.182:
	v_subrev_nc_u32_e32 v1, s8, v43
	s_delay_alu instid0(VALU_DEP_1)
	v_lshlrev_b32_e32 v1, 2, v1
	ds_store_b32 v1, v24
.LBB563_183:
	s_or_b32 exec_lo, exec_lo, s0
	v_and_b32_e32 v1, 1, v49
	s_mov_b32 s0, exec_lo
	s_delay_alu instid0(VALU_DEP_1)
	;; [unrolled: 12-line block ×7, first 2 shown]
	v_cmpx_eq_u32_e32 1, v1
	s_cbranch_execz .LBB563_195
; %bb.194:
	v_subrev_nc_u32_e32 v1, s8, v31
	s_delay_alu instid0(VALU_DEP_1)
	v_lshlrev_b32_e32 v1, 2, v1
	ds_store_b32 v1, v18
.LBB563_195:
	s_or_b32 exec_lo, exec_lo, s0
	s_delay_alu instid0(SALU_CYCLE_1)
	s_mov_b32 s1, exec_lo
	s_waitcnt lgkmcnt(0)
	s_waitcnt_vscnt null, 0x0
	s_barrier
	buffer_gl0_inv
	v_cmpx_lt_u32_e64 v0, v27
	s_cbranch_execz .LBB563_198
; %bb.196:
	s_mov_b32 s9, 0
	s_lshl_b64 s[4:5], s[10:11], 2
	s_lshl_b64 s[6:7], s[8:9], 2
	v_lshlrev_b32_e32 v3, 2, v0
	s_add_u32 s0, s4, s6
	s_addc_u32 s3, s5, s7
	s_add_u32 s0, s18, s0
	s_addc_u32 s3, s19, s3
	v_add_co_u32 v1, s0, s0, v3
	s_delay_alu instid0(VALU_DEP_1)
	v_add_co_ci_u32_e64 v2, null, s3, 0, s0
	.p2align	6
.LBB563_197:                            ; =>This Inner Loop Header: Depth=1
	ds_load_b32 v4, v3
	v_add_nc_u32_e32 v0, 0x200, v0
	v_add_nc_u32_e32 v3, 0x800, v3
	s_delay_alu instid0(VALU_DEP_2) | instskip(SKIP_4) | instid1(VALU_DEP_1)
	v_cmp_ge_u32_e32 vcc_lo, v0, v27
	s_or_b32 s9, vcc_lo, s9
	s_waitcnt lgkmcnt(0)
	global_store_b32 v[1:2], v4, off
	v_add_co_u32 v1, s0, 0x800, v1
	v_add_co_ci_u32_e64 v2, s0, 0, v2, s0
	s_and_not1_b32 exec_lo, exec_lo, s9
	s_cbranch_execnz .LBB563_197
.LBB563_198:
	s_or_b32 exec_lo, exec_lo, s1
	s_and_b32 s0, s2, s22
	s_delay_alu instid0(SALU_CYCLE_1)
	s_and_saveexec_b32 s1, s0
	s_cbranch_execnz .LBB563_177
.LBB563_199:
	s_nop 0
	s_sendmsg sendmsg(MSG_DEALLOC_VGPRS)
	s_endpgm
	.section	.rodata,"a",@progbits
	.p2align	6, 0x0
	.amdhsa_kernel _ZN7rocprim17ROCPRIM_400000_NS6detail17trampoline_kernelINS0_14default_configENS1_25partition_config_selectorILNS1_17partition_subalgoE9EyjbEEZZNS1_14partition_implILS5_9ELb0ES3_jN6thrust23THRUST_200600_302600_NS6detail15normal_iteratorINS9_10device_ptrIyEEEENSB_INSC_IjEEEEPNS0_10empty_typeENS0_5tupleIJSE_SH_EEENSJ_IJSG_SI_EEENS0_18inequality_wrapperINS9_8equal_toIyEEEEPmJSH_EEE10hipError_tPvRmT3_T4_T5_T6_T7_T9_mT8_P12ihipStream_tbDpT10_ENKUlT_T0_E_clISt17integral_constantIbLb0EES19_IbLb1EEEEDaS15_S16_EUlS15_E_NS1_11comp_targetILNS1_3genE9ELNS1_11target_archE1100ELNS1_3gpuE3ELNS1_3repE0EEENS1_30default_config_static_selectorELNS0_4arch9wavefront6targetE0EEEvT1_
		.amdhsa_group_segment_fixed_size 33800
		.amdhsa_private_segment_fixed_size 0
		.amdhsa_kernarg_size 128
		.amdhsa_user_sgpr_count 15
		.amdhsa_user_sgpr_dispatch_ptr 0
		.amdhsa_user_sgpr_queue_ptr 0
		.amdhsa_user_sgpr_kernarg_segment_ptr 1
		.amdhsa_user_sgpr_dispatch_id 0
		.amdhsa_user_sgpr_private_segment_size 0
		.amdhsa_wavefront_size32 1
		.amdhsa_uses_dynamic_stack 0
		.amdhsa_enable_private_segment 0
		.amdhsa_system_sgpr_workgroup_id_x 1
		.amdhsa_system_sgpr_workgroup_id_y 0
		.amdhsa_system_sgpr_workgroup_id_z 0
		.amdhsa_system_sgpr_workgroup_info 0
		.amdhsa_system_vgpr_workitem_id 0
		.amdhsa_next_free_vgpr 60
		.amdhsa_next_free_sgpr 30
		.amdhsa_reserve_vcc 1
		.amdhsa_float_round_mode_32 0
		.amdhsa_float_round_mode_16_64 0
		.amdhsa_float_denorm_mode_32 3
		.amdhsa_float_denorm_mode_16_64 3
		.amdhsa_dx10_clamp 1
		.amdhsa_ieee_mode 1
		.amdhsa_fp16_overflow 0
		.amdhsa_workgroup_processor_mode 1
		.amdhsa_memory_ordered 1
		.amdhsa_forward_progress 0
		.amdhsa_shared_vgpr_count 0
		.amdhsa_exception_fp_ieee_invalid_op 0
		.amdhsa_exception_fp_denorm_src 0
		.amdhsa_exception_fp_ieee_div_zero 0
		.amdhsa_exception_fp_ieee_overflow 0
		.amdhsa_exception_fp_ieee_underflow 0
		.amdhsa_exception_fp_ieee_inexact 0
		.amdhsa_exception_int_div_zero 0
	.end_amdhsa_kernel
	.section	.text._ZN7rocprim17ROCPRIM_400000_NS6detail17trampoline_kernelINS0_14default_configENS1_25partition_config_selectorILNS1_17partition_subalgoE9EyjbEEZZNS1_14partition_implILS5_9ELb0ES3_jN6thrust23THRUST_200600_302600_NS6detail15normal_iteratorINS9_10device_ptrIyEEEENSB_INSC_IjEEEEPNS0_10empty_typeENS0_5tupleIJSE_SH_EEENSJ_IJSG_SI_EEENS0_18inequality_wrapperINS9_8equal_toIyEEEEPmJSH_EEE10hipError_tPvRmT3_T4_T5_T6_T7_T9_mT8_P12ihipStream_tbDpT10_ENKUlT_T0_E_clISt17integral_constantIbLb0EES19_IbLb1EEEEDaS15_S16_EUlS15_E_NS1_11comp_targetILNS1_3genE9ELNS1_11target_archE1100ELNS1_3gpuE3ELNS1_3repE0EEENS1_30default_config_static_selectorELNS0_4arch9wavefront6targetE0EEEvT1_,"axG",@progbits,_ZN7rocprim17ROCPRIM_400000_NS6detail17trampoline_kernelINS0_14default_configENS1_25partition_config_selectorILNS1_17partition_subalgoE9EyjbEEZZNS1_14partition_implILS5_9ELb0ES3_jN6thrust23THRUST_200600_302600_NS6detail15normal_iteratorINS9_10device_ptrIyEEEENSB_INSC_IjEEEEPNS0_10empty_typeENS0_5tupleIJSE_SH_EEENSJ_IJSG_SI_EEENS0_18inequality_wrapperINS9_8equal_toIyEEEEPmJSH_EEE10hipError_tPvRmT3_T4_T5_T6_T7_T9_mT8_P12ihipStream_tbDpT10_ENKUlT_T0_E_clISt17integral_constantIbLb0EES19_IbLb1EEEEDaS15_S16_EUlS15_E_NS1_11comp_targetILNS1_3genE9ELNS1_11target_archE1100ELNS1_3gpuE3ELNS1_3repE0EEENS1_30default_config_static_selectorELNS0_4arch9wavefront6targetE0EEEvT1_,comdat
.Lfunc_end563:
	.size	_ZN7rocprim17ROCPRIM_400000_NS6detail17trampoline_kernelINS0_14default_configENS1_25partition_config_selectorILNS1_17partition_subalgoE9EyjbEEZZNS1_14partition_implILS5_9ELb0ES3_jN6thrust23THRUST_200600_302600_NS6detail15normal_iteratorINS9_10device_ptrIyEEEENSB_INSC_IjEEEEPNS0_10empty_typeENS0_5tupleIJSE_SH_EEENSJ_IJSG_SI_EEENS0_18inequality_wrapperINS9_8equal_toIyEEEEPmJSH_EEE10hipError_tPvRmT3_T4_T5_T6_T7_T9_mT8_P12ihipStream_tbDpT10_ENKUlT_T0_E_clISt17integral_constantIbLb0EES19_IbLb1EEEEDaS15_S16_EUlS15_E_NS1_11comp_targetILNS1_3genE9ELNS1_11target_archE1100ELNS1_3gpuE3ELNS1_3repE0EEENS1_30default_config_static_selectorELNS0_4arch9wavefront6targetE0EEEvT1_, .Lfunc_end563-_ZN7rocprim17ROCPRIM_400000_NS6detail17trampoline_kernelINS0_14default_configENS1_25partition_config_selectorILNS1_17partition_subalgoE9EyjbEEZZNS1_14partition_implILS5_9ELb0ES3_jN6thrust23THRUST_200600_302600_NS6detail15normal_iteratorINS9_10device_ptrIyEEEENSB_INSC_IjEEEEPNS0_10empty_typeENS0_5tupleIJSE_SH_EEENSJ_IJSG_SI_EEENS0_18inequality_wrapperINS9_8equal_toIyEEEEPmJSH_EEE10hipError_tPvRmT3_T4_T5_T6_T7_T9_mT8_P12ihipStream_tbDpT10_ENKUlT_T0_E_clISt17integral_constantIbLb0EES19_IbLb1EEEEDaS15_S16_EUlS15_E_NS1_11comp_targetILNS1_3genE9ELNS1_11target_archE1100ELNS1_3gpuE3ELNS1_3repE0EEENS1_30default_config_static_selectorELNS0_4arch9wavefront6targetE0EEEvT1_
                                        ; -- End function
	.section	.AMDGPU.csdata,"",@progbits
; Kernel info:
; codeLenInByte = 9416
; NumSgprs: 32
; NumVgprs: 60
; ScratchSize: 0
; MemoryBound: 0
; FloatMode: 240
; IeeeMode: 1
; LDSByteSize: 33800 bytes/workgroup (compile time only)
; SGPRBlocks: 3
; VGPRBlocks: 7
; NumSGPRsForWavesPerEU: 32
; NumVGPRsForWavesPerEU: 60
; Occupancy: 12
; WaveLimiterHint : 1
; COMPUTE_PGM_RSRC2:SCRATCH_EN: 0
; COMPUTE_PGM_RSRC2:USER_SGPR: 15
; COMPUTE_PGM_RSRC2:TRAP_HANDLER: 0
; COMPUTE_PGM_RSRC2:TGID_X_EN: 1
; COMPUTE_PGM_RSRC2:TGID_Y_EN: 0
; COMPUTE_PGM_RSRC2:TGID_Z_EN: 0
; COMPUTE_PGM_RSRC2:TIDIG_COMP_CNT: 0
	.section	.text._ZN7rocprim17ROCPRIM_400000_NS6detail17trampoline_kernelINS0_14default_configENS1_25partition_config_selectorILNS1_17partition_subalgoE9EyjbEEZZNS1_14partition_implILS5_9ELb0ES3_jN6thrust23THRUST_200600_302600_NS6detail15normal_iteratorINS9_10device_ptrIyEEEENSB_INSC_IjEEEEPNS0_10empty_typeENS0_5tupleIJSE_SH_EEENSJ_IJSG_SI_EEENS0_18inequality_wrapperINS9_8equal_toIyEEEEPmJSH_EEE10hipError_tPvRmT3_T4_T5_T6_T7_T9_mT8_P12ihipStream_tbDpT10_ENKUlT_T0_E_clISt17integral_constantIbLb0EES19_IbLb1EEEEDaS15_S16_EUlS15_E_NS1_11comp_targetILNS1_3genE8ELNS1_11target_archE1030ELNS1_3gpuE2ELNS1_3repE0EEENS1_30default_config_static_selectorELNS0_4arch9wavefront6targetE0EEEvT1_,"axG",@progbits,_ZN7rocprim17ROCPRIM_400000_NS6detail17trampoline_kernelINS0_14default_configENS1_25partition_config_selectorILNS1_17partition_subalgoE9EyjbEEZZNS1_14partition_implILS5_9ELb0ES3_jN6thrust23THRUST_200600_302600_NS6detail15normal_iteratorINS9_10device_ptrIyEEEENSB_INSC_IjEEEEPNS0_10empty_typeENS0_5tupleIJSE_SH_EEENSJ_IJSG_SI_EEENS0_18inequality_wrapperINS9_8equal_toIyEEEEPmJSH_EEE10hipError_tPvRmT3_T4_T5_T6_T7_T9_mT8_P12ihipStream_tbDpT10_ENKUlT_T0_E_clISt17integral_constantIbLb0EES19_IbLb1EEEEDaS15_S16_EUlS15_E_NS1_11comp_targetILNS1_3genE8ELNS1_11target_archE1030ELNS1_3gpuE2ELNS1_3repE0EEENS1_30default_config_static_selectorELNS0_4arch9wavefront6targetE0EEEvT1_,comdat
	.protected	_ZN7rocprim17ROCPRIM_400000_NS6detail17trampoline_kernelINS0_14default_configENS1_25partition_config_selectorILNS1_17partition_subalgoE9EyjbEEZZNS1_14partition_implILS5_9ELb0ES3_jN6thrust23THRUST_200600_302600_NS6detail15normal_iteratorINS9_10device_ptrIyEEEENSB_INSC_IjEEEEPNS0_10empty_typeENS0_5tupleIJSE_SH_EEENSJ_IJSG_SI_EEENS0_18inequality_wrapperINS9_8equal_toIyEEEEPmJSH_EEE10hipError_tPvRmT3_T4_T5_T6_T7_T9_mT8_P12ihipStream_tbDpT10_ENKUlT_T0_E_clISt17integral_constantIbLb0EES19_IbLb1EEEEDaS15_S16_EUlS15_E_NS1_11comp_targetILNS1_3genE8ELNS1_11target_archE1030ELNS1_3gpuE2ELNS1_3repE0EEENS1_30default_config_static_selectorELNS0_4arch9wavefront6targetE0EEEvT1_ ; -- Begin function _ZN7rocprim17ROCPRIM_400000_NS6detail17trampoline_kernelINS0_14default_configENS1_25partition_config_selectorILNS1_17partition_subalgoE9EyjbEEZZNS1_14partition_implILS5_9ELb0ES3_jN6thrust23THRUST_200600_302600_NS6detail15normal_iteratorINS9_10device_ptrIyEEEENSB_INSC_IjEEEEPNS0_10empty_typeENS0_5tupleIJSE_SH_EEENSJ_IJSG_SI_EEENS0_18inequality_wrapperINS9_8equal_toIyEEEEPmJSH_EEE10hipError_tPvRmT3_T4_T5_T6_T7_T9_mT8_P12ihipStream_tbDpT10_ENKUlT_T0_E_clISt17integral_constantIbLb0EES19_IbLb1EEEEDaS15_S16_EUlS15_E_NS1_11comp_targetILNS1_3genE8ELNS1_11target_archE1030ELNS1_3gpuE2ELNS1_3repE0EEENS1_30default_config_static_selectorELNS0_4arch9wavefront6targetE0EEEvT1_
	.globl	_ZN7rocprim17ROCPRIM_400000_NS6detail17trampoline_kernelINS0_14default_configENS1_25partition_config_selectorILNS1_17partition_subalgoE9EyjbEEZZNS1_14partition_implILS5_9ELb0ES3_jN6thrust23THRUST_200600_302600_NS6detail15normal_iteratorINS9_10device_ptrIyEEEENSB_INSC_IjEEEEPNS0_10empty_typeENS0_5tupleIJSE_SH_EEENSJ_IJSG_SI_EEENS0_18inequality_wrapperINS9_8equal_toIyEEEEPmJSH_EEE10hipError_tPvRmT3_T4_T5_T6_T7_T9_mT8_P12ihipStream_tbDpT10_ENKUlT_T0_E_clISt17integral_constantIbLb0EES19_IbLb1EEEEDaS15_S16_EUlS15_E_NS1_11comp_targetILNS1_3genE8ELNS1_11target_archE1030ELNS1_3gpuE2ELNS1_3repE0EEENS1_30default_config_static_selectorELNS0_4arch9wavefront6targetE0EEEvT1_
	.p2align	8
	.type	_ZN7rocprim17ROCPRIM_400000_NS6detail17trampoline_kernelINS0_14default_configENS1_25partition_config_selectorILNS1_17partition_subalgoE9EyjbEEZZNS1_14partition_implILS5_9ELb0ES3_jN6thrust23THRUST_200600_302600_NS6detail15normal_iteratorINS9_10device_ptrIyEEEENSB_INSC_IjEEEEPNS0_10empty_typeENS0_5tupleIJSE_SH_EEENSJ_IJSG_SI_EEENS0_18inequality_wrapperINS9_8equal_toIyEEEEPmJSH_EEE10hipError_tPvRmT3_T4_T5_T6_T7_T9_mT8_P12ihipStream_tbDpT10_ENKUlT_T0_E_clISt17integral_constantIbLb0EES19_IbLb1EEEEDaS15_S16_EUlS15_E_NS1_11comp_targetILNS1_3genE8ELNS1_11target_archE1030ELNS1_3gpuE2ELNS1_3repE0EEENS1_30default_config_static_selectorELNS0_4arch9wavefront6targetE0EEEvT1_,@function
_ZN7rocprim17ROCPRIM_400000_NS6detail17trampoline_kernelINS0_14default_configENS1_25partition_config_selectorILNS1_17partition_subalgoE9EyjbEEZZNS1_14partition_implILS5_9ELb0ES3_jN6thrust23THRUST_200600_302600_NS6detail15normal_iteratorINS9_10device_ptrIyEEEENSB_INSC_IjEEEEPNS0_10empty_typeENS0_5tupleIJSE_SH_EEENSJ_IJSG_SI_EEENS0_18inequality_wrapperINS9_8equal_toIyEEEEPmJSH_EEE10hipError_tPvRmT3_T4_T5_T6_T7_T9_mT8_P12ihipStream_tbDpT10_ENKUlT_T0_E_clISt17integral_constantIbLb0EES19_IbLb1EEEEDaS15_S16_EUlS15_E_NS1_11comp_targetILNS1_3genE8ELNS1_11target_archE1030ELNS1_3gpuE2ELNS1_3repE0EEENS1_30default_config_static_selectorELNS0_4arch9wavefront6targetE0EEEvT1_: ; @_ZN7rocprim17ROCPRIM_400000_NS6detail17trampoline_kernelINS0_14default_configENS1_25partition_config_selectorILNS1_17partition_subalgoE9EyjbEEZZNS1_14partition_implILS5_9ELb0ES3_jN6thrust23THRUST_200600_302600_NS6detail15normal_iteratorINS9_10device_ptrIyEEEENSB_INSC_IjEEEEPNS0_10empty_typeENS0_5tupleIJSE_SH_EEENSJ_IJSG_SI_EEENS0_18inequality_wrapperINS9_8equal_toIyEEEEPmJSH_EEE10hipError_tPvRmT3_T4_T5_T6_T7_T9_mT8_P12ihipStream_tbDpT10_ENKUlT_T0_E_clISt17integral_constantIbLb0EES19_IbLb1EEEEDaS15_S16_EUlS15_E_NS1_11comp_targetILNS1_3genE8ELNS1_11target_archE1030ELNS1_3gpuE2ELNS1_3repE0EEENS1_30default_config_static_selectorELNS0_4arch9wavefront6targetE0EEEvT1_
; %bb.0:
	.section	.rodata,"a",@progbits
	.p2align	6, 0x0
	.amdhsa_kernel _ZN7rocprim17ROCPRIM_400000_NS6detail17trampoline_kernelINS0_14default_configENS1_25partition_config_selectorILNS1_17partition_subalgoE9EyjbEEZZNS1_14partition_implILS5_9ELb0ES3_jN6thrust23THRUST_200600_302600_NS6detail15normal_iteratorINS9_10device_ptrIyEEEENSB_INSC_IjEEEEPNS0_10empty_typeENS0_5tupleIJSE_SH_EEENSJ_IJSG_SI_EEENS0_18inequality_wrapperINS9_8equal_toIyEEEEPmJSH_EEE10hipError_tPvRmT3_T4_T5_T6_T7_T9_mT8_P12ihipStream_tbDpT10_ENKUlT_T0_E_clISt17integral_constantIbLb0EES19_IbLb1EEEEDaS15_S16_EUlS15_E_NS1_11comp_targetILNS1_3genE8ELNS1_11target_archE1030ELNS1_3gpuE2ELNS1_3repE0EEENS1_30default_config_static_selectorELNS0_4arch9wavefront6targetE0EEEvT1_
		.amdhsa_group_segment_fixed_size 0
		.amdhsa_private_segment_fixed_size 0
		.amdhsa_kernarg_size 128
		.amdhsa_user_sgpr_count 15
		.amdhsa_user_sgpr_dispatch_ptr 0
		.amdhsa_user_sgpr_queue_ptr 0
		.amdhsa_user_sgpr_kernarg_segment_ptr 1
		.amdhsa_user_sgpr_dispatch_id 0
		.amdhsa_user_sgpr_private_segment_size 0
		.amdhsa_wavefront_size32 1
		.amdhsa_uses_dynamic_stack 0
		.amdhsa_enable_private_segment 0
		.amdhsa_system_sgpr_workgroup_id_x 1
		.amdhsa_system_sgpr_workgroup_id_y 0
		.amdhsa_system_sgpr_workgroup_id_z 0
		.amdhsa_system_sgpr_workgroup_info 0
		.amdhsa_system_vgpr_workitem_id 0
		.amdhsa_next_free_vgpr 1
		.amdhsa_next_free_sgpr 1
		.amdhsa_reserve_vcc 0
		.amdhsa_float_round_mode_32 0
		.amdhsa_float_round_mode_16_64 0
		.amdhsa_float_denorm_mode_32 3
		.amdhsa_float_denorm_mode_16_64 3
		.amdhsa_dx10_clamp 1
		.amdhsa_ieee_mode 1
		.amdhsa_fp16_overflow 0
		.amdhsa_workgroup_processor_mode 1
		.amdhsa_memory_ordered 1
		.amdhsa_forward_progress 0
		.amdhsa_shared_vgpr_count 0
		.amdhsa_exception_fp_ieee_invalid_op 0
		.amdhsa_exception_fp_denorm_src 0
		.amdhsa_exception_fp_ieee_div_zero 0
		.amdhsa_exception_fp_ieee_overflow 0
		.amdhsa_exception_fp_ieee_underflow 0
		.amdhsa_exception_fp_ieee_inexact 0
		.amdhsa_exception_int_div_zero 0
	.end_amdhsa_kernel
	.section	.text._ZN7rocprim17ROCPRIM_400000_NS6detail17trampoline_kernelINS0_14default_configENS1_25partition_config_selectorILNS1_17partition_subalgoE9EyjbEEZZNS1_14partition_implILS5_9ELb0ES3_jN6thrust23THRUST_200600_302600_NS6detail15normal_iteratorINS9_10device_ptrIyEEEENSB_INSC_IjEEEEPNS0_10empty_typeENS0_5tupleIJSE_SH_EEENSJ_IJSG_SI_EEENS0_18inequality_wrapperINS9_8equal_toIyEEEEPmJSH_EEE10hipError_tPvRmT3_T4_T5_T6_T7_T9_mT8_P12ihipStream_tbDpT10_ENKUlT_T0_E_clISt17integral_constantIbLb0EES19_IbLb1EEEEDaS15_S16_EUlS15_E_NS1_11comp_targetILNS1_3genE8ELNS1_11target_archE1030ELNS1_3gpuE2ELNS1_3repE0EEENS1_30default_config_static_selectorELNS0_4arch9wavefront6targetE0EEEvT1_,"axG",@progbits,_ZN7rocprim17ROCPRIM_400000_NS6detail17trampoline_kernelINS0_14default_configENS1_25partition_config_selectorILNS1_17partition_subalgoE9EyjbEEZZNS1_14partition_implILS5_9ELb0ES3_jN6thrust23THRUST_200600_302600_NS6detail15normal_iteratorINS9_10device_ptrIyEEEENSB_INSC_IjEEEEPNS0_10empty_typeENS0_5tupleIJSE_SH_EEENSJ_IJSG_SI_EEENS0_18inequality_wrapperINS9_8equal_toIyEEEEPmJSH_EEE10hipError_tPvRmT3_T4_T5_T6_T7_T9_mT8_P12ihipStream_tbDpT10_ENKUlT_T0_E_clISt17integral_constantIbLb0EES19_IbLb1EEEEDaS15_S16_EUlS15_E_NS1_11comp_targetILNS1_3genE8ELNS1_11target_archE1030ELNS1_3gpuE2ELNS1_3repE0EEENS1_30default_config_static_selectorELNS0_4arch9wavefront6targetE0EEEvT1_,comdat
.Lfunc_end564:
	.size	_ZN7rocprim17ROCPRIM_400000_NS6detail17trampoline_kernelINS0_14default_configENS1_25partition_config_selectorILNS1_17partition_subalgoE9EyjbEEZZNS1_14partition_implILS5_9ELb0ES3_jN6thrust23THRUST_200600_302600_NS6detail15normal_iteratorINS9_10device_ptrIyEEEENSB_INSC_IjEEEEPNS0_10empty_typeENS0_5tupleIJSE_SH_EEENSJ_IJSG_SI_EEENS0_18inequality_wrapperINS9_8equal_toIyEEEEPmJSH_EEE10hipError_tPvRmT3_T4_T5_T6_T7_T9_mT8_P12ihipStream_tbDpT10_ENKUlT_T0_E_clISt17integral_constantIbLb0EES19_IbLb1EEEEDaS15_S16_EUlS15_E_NS1_11comp_targetILNS1_3genE8ELNS1_11target_archE1030ELNS1_3gpuE2ELNS1_3repE0EEENS1_30default_config_static_selectorELNS0_4arch9wavefront6targetE0EEEvT1_, .Lfunc_end564-_ZN7rocprim17ROCPRIM_400000_NS6detail17trampoline_kernelINS0_14default_configENS1_25partition_config_selectorILNS1_17partition_subalgoE9EyjbEEZZNS1_14partition_implILS5_9ELb0ES3_jN6thrust23THRUST_200600_302600_NS6detail15normal_iteratorINS9_10device_ptrIyEEEENSB_INSC_IjEEEEPNS0_10empty_typeENS0_5tupleIJSE_SH_EEENSJ_IJSG_SI_EEENS0_18inequality_wrapperINS9_8equal_toIyEEEEPmJSH_EEE10hipError_tPvRmT3_T4_T5_T6_T7_T9_mT8_P12ihipStream_tbDpT10_ENKUlT_T0_E_clISt17integral_constantIbLb0EES19_IbLb1EEEEDaS15_S16_EUlS15_E_NS1_11comp_targetILNS1_3genE8ELNS1_11target_archE1030ELNS1_3gpuE2ELNS1_3repE0EEENS1_30default_config_static_selectorELNS0_4arch9wavefront6targetE0EEEvT1_
                                        ; -- End function
	.section	.AMDGPU.csdata,"",@progbits
; Kernel info:
; codeLenInByte = 0
; NumSgprs: 0
; NumVgprs: 0
; ScratchSize: 0
; MemoryBound: 0
; FloatMode: 240
; IeeeMode: 1
; LDSByteSize: 0 bytes/workgroup (compile time only)
; SGPRBlocks: 0
; VGPRBlocks: 0
; NumSGPRsForWavesPerEU: 1
; NumVGPRsForWavesPerEU: 1
; Occupancy: 16
; WaveLimiterHint : 0
; COMPUTE_PGM_RSRC2:SCRATCH_EN: 0
; COMPUTE_PGM_RSRC2:USER_SGPR: 15
; COMPUTE_PGM_RSRC2:TRAP_HANDLER: 0
; COMPUTE_PGM_RSRC2:TGID_X_EN: 1
; COMPUTE_PGM_RSRC2:TGID_Y_EN: 0
; COMPUTE_PGM_RSRC2:TGID_Z_EN: 0
; COMPUTE_PGM_RSRC2:TIDIG_COMP_CNT: 0
	.section	.text._ZN7rocprim17ROCPRIM_400000_NS6detail17trampoline_kernelINS0_14default_configENS1_25partition_config_selectorILNS1_17partition_subalgoE9EtjbEEZZNS1_14partition_implILS5_9ELb0ES3_jN6thrust23THRUST_200600_302600_NS6detail15normal_iteratorINS9_10device_ptrItEEEENSB_INSC_IjEEEEPNS0_10empty_typeENS0_5tupleIJSE_SH_EEENSJ_IJSG_SI_EEENS0_18inequality_wrapperINS9_8equal_toItEEEEPmJSH_EEE10hipError_tPvRmT3_T4_T5_T6_T7_T9_mT8_P12ihipStream_tbDpT10_ENKUlT_T0_E_clISt17integral_constantIbLb0EES1A_EEDaS15_S16_EUlS15_E_NS1_11comp_targetILNS1_3genE0ELNS1_11target_archE4294967295ELNS1_3gpuE0ELNS1_3repE0EEENS1_30default_config_static_selectorELNS0_4arch9wavefront6targetE0EEEvT1_,"axG",@progbits,_ZN7rocprim17ROCPRIM_400000_NS6detail17trampoline_kernelINS0_14default_configENS1_25partition_config_selectorILNS1_17partition_subalgoE9EtjbEEZZNS1_14partition_implILS5_9ELb0ES3_jN6thrust23THRUST_200600_302600_NS6detail15normal_iteratorINS9_10device_ptrItEEEENSB_INSC_IjEEEEPNS0_10empty_typeENS0_5tupleIJSE_SH_EEENSJ_IJSG_SI_EEENS0_18inequality_wrapperINS9_8equal_toItEEEEPmJSH_EEE10hipError_tPvRmT3_T4_T5_T6_T7_T9_mT8_P12ihipStream_tbDpT10_ENKUlT_T0_E_clISt17integral_constantIbLb0EES1A_EEDaS15_S16_EUlS15_E_NS1_11comp_targetILNS1_3genE0ELNS1_11target_archE4294967295ELNS1_3gpuE0ELNS1_3repE0EEENS1_30default_config_static_selectorELNS0_4arch9wavefront6targetE0EEEvT1_,comdat
	.protected	_ZN7rocprim17ROCPRIM_400000_NS6detail17trampoline_kernelINS0_14default_configENS1_25partition_config_selectorILNS1_17partition_subalgoE9EtjbEEZZNS1_14partition_implILS5_9ELb0ES3_jN6thrust23THRUST_200600_302600_NS6detail15normal_iteratorINS9_10device_ptrItEEEENSB_INSC_IjEEEEPNS0_10empty_typeENS0_5tupleIJSE_SH_EEENSJ_IJSG_SI_EEENS0_18inequality_wrapperINS9_8equal_toItEEEEPmJSH_EEE10hipError_tPvRmT3_T4_T5_T6_T7_T9_mT8_P12ihipStream_tbDpT10_ENKUlT_T0_E_clISt17integral_constantIbLb0EES1A_EEDaS15_S16_EUlS15_E_NS1_11comp_targetILNS1_3genE0ELNS1_11target_archE4294967295ELNS1_3gpuE0ELNS1_3repE0EEENS1_30default_config_static_selectorELNS0_4arch9wavefront6targetE0EEEvT1_ ; -- Begin function _ZN7rocprim17ROCPRIM_400000_NS6detail17trampoline_kernelINS0_14default_configENS1_25partition_config_selectorILNS1_17partition_subalgoE9EtjbEEZZNS1_14partition_implILS5_9ELb0ES3_jN6thrust23THRUST_200600_302600_NS6detail15normal_iteratorINS9_10device_ptrItEEEENSB_INSC_IjEEEEPNS0_10empty_typeENS0_5tupleIJSE_SH_EEENSJ_IJSG_SI_EEENS0_18inequality_wrapperINS9_8equal_toItEEEEPmJSH_EEE10hipError_tPvRmT3_T4_T5_T6_T7_T9_mT8_P12ihipStream_tbDpT10_ENKUlT_T0_E_clISt17integral_constantIbLb0EES1A_EEDaS15_S16_EUlS15_E_NS1_11comp_targetILNS1_3genE0ELNS1_11target_archE4294967295ELNS1_3gpuE0ELNS1_3repE0EEENS1_30default_config_static_selectorELNS0_4arch9wavefront6targetE0EEEvT1_
	.globl	_ZN7rocprim17ROCPRIM_400000_NS6detail17trampoline_kernelINS0_14default_configENS1_25partition_config_selectorILNS1_17partition_subalgoE9EtjbEEZZNS1_14partition_implILS5_9ELb0ES3_jN6thrust23THRUST_200600_302600_NS6detail15normal_iteratorINS9_10device_ptrItEEEENSB_INSC_IjEEEEPNS0_10empty_typeENS0_5tupleIJSE_SH_EEENSJ_IJSG_SI_EEENS0_18inequality_wrapperINS9_8equal_toItEEEEPmJSH_EEE10hipError_tPvRmT3_T4_T5_T6_T7_T9_mT8_P12ihipStream_tbDpT10_ENKUlT_T0_E_clISt17integral_constantIbLb0EES1A_EEDaS15_S16_EUlS15_E_NS1_11comp_targetILNS1_3genE0ELNS1_11target_archE4294967295ELNS1_3gpuE0ELNS1_3repE0EEENS1_30default_config_static_selectorELNS0_4arch9wavefront6targetE0EEEvT1_
	.p2align	8
	.type	_ZN7rocprim17ROCPRIM_400000_NS6detail17trampoline_kernelINS0_14default_configENS1_25partition_config_selectorILNS1_17partition_subalgoE9EtjbEEZZNS1_14partition_implILS5_9ELb0ES3_jN6thrust23THRUST_200600_302600_NS6detail15normal_iteratorINS9_10device_ptrItEEEENSB_INSC_IjEEEEPNS0_10empty_typeENS0_5tupleIJSE_SH_EEENSJ_IJSG_SI_EEENS0_18inequality_wrapperINS9_8equal_toItEEEEPmJSH_EEE10hipError_tPvRmT3_T4_T5_T6_T7_T9_mT8_P12ihipStream_tbDpT10_ENKUlT_T0_E_clISt17integral_constantIbLb0EES1A_EEDaS15_S16_EUlS15_E_NS1_11comp_targetILNS1_3genE0ELNS1_11target_archE4294967295ELNS1_3gpuE0ELNS1_3repE0EEENS1_30default_config_static_selectorELNS0_4arch9wavefront6targetE0EEEvT1_,@function
_ZN7rocprim17ROCPRIM_400000_NS6detail17trampoline_kernelINS0_14default_configENS1_25partition_config_selectorILNS1_17partition_subalgoE9EtjbEEZZNS1_14partition_implILS5_9ELb0ES3_jN6thrust23THRUST_200600_302600_NS6detail15normal_iteratorINS9_10device_ptrItEEEENSB_INSC_IjEEEEPNS0_10empty_typeENS0_5tupleIJSE_SH_EEENSJ_IJSG_SI_EEENS0_18inequality_wrapperINS9_8equal_toItEEEEPmJSH_EEE10hipError_tPvRmT3_T4_T5_T6_T7_T9_mT8_P12ihipStream_tbDpT10_ENKUlT_T0_E_clISt17integral_constantIbLb0EES1A_EEDaS15_S16_EUlS15_E_NS1_11comp_targetILNS1_3genE0ELNS1_11target_archE4294967295ELNS1_3gpuE0ELNS1_3repE0EEENS1_30default_config_static_selectorELNS0_4arch9wavefront6targetE0EEEvT1_: ; @_ZN7rocprim17ROCPRIM_400000_NS6detail17trampoline_kernelINS0_14default_configENS1_25partition_config_selectorILNS1_17partition_subalgoE9EtjbEEZZNS1_14partition_implILS5_9ELb0ES3_jN6thrust23THRUST_200600_302600_NS6detail15normal_iteratorINS9_10device_ptrItEEEENSB_INSC_IjEEEEPNS0_10empty_typeENS0_5tupleIJSE_SH_EEENSJ_IJSG_SI_EEENS0_18inequality_wrapperINS9_8equal_toItEEEEPmJSH_EEE10hipError_tPvRmT3_T4_T5_T6_T7_T9_mT8_P12ihipStream_tbDpT10_ENKUlT_T0_E_clISt17integral_constantIbLb0EES1A_EEDaS15_S16_EUlS15_E_NS1_11comp_targetILNS1_3genE0ELNS1_11target_archE4294967295ELNS1_3gpuE0ELNS1_3repE0EEENS1_30default_config_static_selectorELNS0_4arch9wavefront6targetE0EEEvT1_
; %bb.0:
	.section	.rodata,"a",@progbits
	.p2align	6, 0x0
	.amdhsa_kernel _ZN7rocprim17ROCPRIM_400000_NS6detail17trampoline_kernelINS0_14default_configENS1_25partition_config_selectorILNS1_17partition_subalgoE9EtjbEEZZNS1_14partition_implILS5_9ELb0ES3_jN6thrust23THRUST_200600_302600_NS6detail15normal_iteratorINS9_10device_ptrItEEEENSB_INSC_IjEEEEPNS0_10empty_typeENS0_5tupleIJSE_SH_EEENSJ_IJSG_SI_EEENS0_18inequality_wrapperINS9_8equal_toItEEEEPmJSH_EEE10hipError_tPvRmT3_T4_T5_T6_T7_T9_mT8_P12ihipStream_tbDpT10_ENKUlT_T0_E_clISt17integral_constantIbLb0EES1A_EEDaS15_S16_EUlS15_E_NS1_11comp_targetILNS1_3genE0ELNS1_11target_archE4294967295ELNS1_3gpuE0ELNS1_3repE0EEENS1_30default_config_static_selectorELNS0_4arch9wavefront6targetE0EEEvT1_
		.amdhsa_group_segment_fixed_size 0
		.amdhsa_private_segment_fixed_size 0
		.amdhsa_kernarg_size 112
		.amdhsa_user_sgpr_count 15
		.amdhsa_user_sgpr_dispatch_ptr 0
		.amdhsa_user_sgpr_queue_ptr 0
		.amdhsa_user_sgpr_kernarg_segment_ptr 1
		.amdhsa_user_sgpr_dispatch_id 0
		.amdhsa_user_sgpr_private_segment_size 0
		.amdhsa_wavefront_size32 1
		.amdhsa_uses_dynamic_stack 0
		.amdhsa_enable_private_segment 0
		.amdhsa_system_sgpr_workgroup_id_x 1
		.amdhsa_system_sgpr_workgroup_id_y 0
		.amdhsa_system_sgpr_workgroup_id_z 0
		.amdhsa_system_sgpr_workgroup_info 0
		.amdhsa_system_vgpr_workitem_id 0
		.amdhsa_next_free_vgpr 1
		.amdhsa_next_free_sgpr 1
		.amdhsa_reserve_vcc 0
		.amdhsa_float_round_mode_32 0
		.amdhsa_float_round_mode_16_64 0
		.amdhsa_float_denorm_mode_32 3
		.amdhsa_float_denorm_mode_16_64 3
		.amdhsa_dx10_clamp 1
		.amdhsa_ieee_mode 1
		.amdhsa_fp16_overflow 0
		.amdhsa_workgroup_processor_mode 1
		.amdhsa_memory_ordered 1
		.amdhsa_forward_progress 0
		.amdhsa_shared_vgpr_count 0
		.amdhsa_exception_fp_ieee_invalid_op 0
		.amdhsa_exception_fp_denorm_src 0
		.amdhsa_exception_fp_ieee_div_zero 0
		.amdhsa_exception_fp_ieee_overflow 0
		.amdhsa_exception_fp_ieee_underflow 0
		.amdhsa_exception_fp_ieee_inexact 0
		.amdhsa_exception_int_div_zero 0
	.end_amdhsa_kernel
	.section	.text._ZN7rocprim17ROCPRIM_400000_NS6detail17trampoline_kernelINS0_14default_configENS1_25partition_config_selectorILNS1_17partition_subalgoE9EtjbEEZZNS1_14partition_implILS5_9ELb0ES3_jN6thrust23THRUST_200600_302600_NS6detail15normal_iteratorINS9_10device_ptrItEEEENSB_INSC_IjEEEEPNS0_10empty_typeENS0_5tupleIJSE_SH_EEENSJ_IJSG_SI_EEENS0_18inequality_wrapperINS9_8equal_toItEEEEPmJSH_EEE10hipError_tPvRmT3_T4_T5_T6_T7_T9_mT8_P12ihipStream_tbDpT10_ENKUlT_T0_E_clISt17integral_constantIbLb0EES1A_EEDaS15_S16_EUlS15_E_NS1_11comp_targetILNS1_3genE0ELNS1_11target_archE4294967295ELNS1_3gpuE0ELNS1_3repE0EEENS1_30default_config_static_selectorELNS0_4arch9wavefront6targetE0EEEvT1_,"axG",@progbits,_ZN7rocprim17ROCPRIM_400000_NS6detail17trampoline_kernelINS0_14default_configENS1_25partition_config_selectorILNS1_17partition_subalgoE9EtjbEEZZNS1_14partition_implILS5_9ELb0ES3_jN6thrust23THRUST_200600_302600_NS6detail15normal_iteratorINS9_10device_ptrItEEEENSB_INSC_IjEEEEPNS0_10empty_typeENS0_5tupleIJSE_SH_EEENSJ_IJSG_SI_EEENS0_18inequality_wrapperINS9_8equal_toItEEEEPmJSH_EEE10hipError_tPvRmT3_T4_T5_T6_T7_T9_mT8_P12ihipStream_tbDpT10_ENKUlT_T0_E_clISt17integral_constantIbLb0EES1A_EEDaS15_S16_EUlS15_E_NS1_11comp_targetILNS1_3genE0ELNS1_11target_archE4294967295ELNS1_3gpuE0ELNS1_3repE0EEENS1_30default_config_static_selectorELNS0_4arch9wavefront6targetE0EEEvT1_,comdat
.Lfunc_end565:
	.size	_ZN7rocprim17ROCPRIM_400000_NS6detail17trampoline_kernelINS0_14default_configENS1_25partition_config_selectorILNS1_17partition_subalgoE9EtjbEEZZNS1_14partition_implILS5_9ELb0ES3_jN6thrust23THRUST_200600_302600_NS6detail15normal_iteratorINS9_10device_ptrItEEEENSB_INSC_IjEEEEPNS0_10empty_typeENS0_5tupleIJSE_SH_EEENSJ_IJSG_SI_EEENS0_18inequality_wrapperINS9_8equal_toItEEEEPmJSH_EEE10hipError_tPvRmT3_T4_T5_T6_T7_T9_mT8_P12ihipStream_tbDpT10_ENKUlT_T0_E_clISt17integral_constantIbLb0EES1A_EEDaS15_S16_EUlS15_E_NS1_11comp_targetILNS1_3genE0ELNS1_11target_archE4294967295ELNS1_3gpuE0ELNS1_3repE0EEENS1_30default_config_static_selectorELNS0_4arch9wavefront6targetE0EEEvT1_, .Lfunc_end565-_ZN7rocprim17ROCPRIM_400000_NS6detail17trampoline_kernelINS0_14default_configENS1_25partition_config_selectorILNS1_17partition_subalgoE9EtjbEEZZNS1_14partition_implILS5_9ELb0ES3_jN6thrust23THRUST_200600_302600_NS6detail15normal_iteratorINS9_10device_ptrItEEEENSB_INSC_IjEEEEPNS0_10empty_typeENS0_5tupleIJSE_SH_EEENSJ_IJSG_SI_EEENS0_18inequality_wrapperINS9_8equal_toItEEEEPmJSH_EEE10hipError_tPvRmT3_T4_T5_T6_T7_T9_mT8_P12ihipStream_tbDpT10_ENKUlT_T0_E_clISt17integral_constantIbLb0EES1A_EEDaS15_S16_EUlS15_E_NS1_11comp_targetILNS1_3genE0ELNS1_11target_archE4294967295ELNS1_3gpuE0ELNS1_3repE0EEENS1_30default_config_static_selectorELNS0_4arch9wavefront6targetE0EEEvT1_
                                        ; -- End function
	.section	.AMDGPU.csdata,"",@progbits
; Kernel info:
; codeLenInByte = 0
; NumSgprs: 0
; NumVgprs: 0
; ScratchSize: 0
; MemoryBound: 0
; FloatMode: 240
; IeeeMode: 1
; LDSByteSize: 0 bytes/workgroup (compile time only)
; SGPRBlocks: 0
; VGPRBlocks: 0
; NumSGPRsForWavesPerEU: 1
; NumVGPRsForWavesPerEU: 1
; Occupancy: 16
; WaveLimiterHint : 0
; COMPUTE_PGM_RSRC2:SCRATCH_EN: 0
; COMPUTE_PGM_RSRC2:USER_SGPR: 15
; COMPUTE_PGM_RSRC2:TRAP_HANDLER: 0
; COMPUTE_PGM_RSRC2:TGID_X_EN: 1
; COMPUTE_PGM_RSRC2:TGID_Y_EN: 0
; COMPUTE_PGM_RSRC2:TGID_Z_EN: 0
; COMPUTE_PGM_RSRC2:TIDIG_COMP_CNT: 0
	.section	.text._ZN7rocprim17ROCPRIM_400000_NS6detail17trampoline_kernelINS0_14default_configENS1_25partition_config_selectorILNS1_17partition_subalgoE9EtjbEEZZNS1_14partition_implILS5_9ELb0ES3_jN6thrust23THRUST_200600_302600_NS6detail15normal_iteratorINS9_10device_ptrItEEEENSB_INSC_IjEEEEPNS0_10empty_typeENS0_5tupleIJSE_SH_EEENSJ_IJSG_SI_EEENS0_18inequality_wrapperINS9_8equal_toItEEEEPmJSH_EEE10hipError_tPvRmT3_T4_T5_T6_T7_T9_mT8_P12ihipStream_tbDpT10_ENKUlT_T0_E_clISt17integral_constantIbLb0EES1A_EEDaS15_S16_EUlS15_E_NS1_11comp_targetILNS1_3genE5ELNS1_11target_archE942ELNS1_3gpuE9ELNS1_3repE0EEENS1_30default_config_static_selectorELNS0_4arch9wavefront6targetE0EEEvT1_,"axG",@progbits,_ZN7rocprim17ROCPRIM_400000_NS6detail17trampoline_kernelINS0_14default_configENS1_25partition_config_selectorILNS1_17partition_subalgoE9EtjbEEZZNS1_14partition_implILS5_9ELb0ES3_jN6thrust23THRUST_200600_302600_NS6detail15normal_iteratorINS9_10device_ptrItEEEENSB_INSC_IjEEEEPNS0_10empty_typeENS0_5tupleIJSE_SH_EEENSJ_IJSG_SI_EEENS0_18inequality_wrapperINS9_8equal_toItEEEEPmJSH_EEE10hipError_tPvRmT3_T4_T5_T6_T7_T9_mT8_P12ihipStream_tbDpT10_ENKUlT_T0_E_clISt17integral_constantIbLb0EES1A_EEDaS15_S16_EUlS15_E_NS1_11comp_targetILNS1_3genE5ELNS1_11target_archE942ELNS1_3gpuE9ELNS1_3repE0EEENS1_30default_config_static_selectorELNS0_4arch9wavefront6targetE0EEEvT1_,comdat
	.protected	_ZN7rocprim17ROCPRIM_400000_NS6detail17trampoline_kernelINS0_14default_configENS1_25partition_config_selectorILNS1_17partition_subalgoE9EtjbEEZZNS1_14partition_implILS5_9ELb0ES3_jN6thrust23THRUST_200600_302600_NS6detail15normal_iteratorINS9_10device_ptrItEEEENSB_INSC_IjEEEEPNS0_10empty_typeENS0_5tupleIJSE_SH_EEENSJ_IJSG_SI_EEENS0_18inequality_wrapperINS9_8equal_toItEEEEPmJSH_EEE10hipError_tPvRmT3_T4_T5_T6_T7_T9_mT8_P12ihipStream_tbDpT10_ENKUlT_T0_E_clISt17integral_constantIbLb0EES1A_EEDaS15_S16_EUlS15_E_NS1_11comp_targetILNS1_3genE5ELNS1_11target_archE942ELNS1_3gpuE9ELNS1_3repE0EEENS1_30default_config_static_selectorELNS0_4arch9wavefront6targetE0EEEvT1_ ; -- Begin function _ZN7rocprim17ROCPRIM_400000_NS6detail17trampoline_kernelINS0_14default_configENS1_25partition_config_selectorILNS1_17partition_subalgoE9EtjbEEZZNS1_14partition_implILS5_9ELb0ES3_jN6thrust23THRUST_200600_302600_NS6detail15normal_iteratorINS9_10device_ptrItEEEENSB_INSC_IjEEEEPNS0_10empty_typeENS0_5tupleIJSE_SH_EEENSJ_IJSG_SI_EEENS0_18inequality_wrapperINS9_8equal_toItEEEEPmJSH_EEE10hipError_tPvRmT3_T4_T5_T6_T7_T9_mT8_P12ihipStream_tbDpT10_ENKUlT_T0_E_clISt17integral_constantIbLb0EES1A_EEDaS15_S16_EUlS15_E_NS1_11comp_targetILNS1_3genE5ELNS1_11target_archE942ELNS1_3gpuE9ELNS1_3repE0EEENS1_30default_config_static_selectorELNS0_4arch9wavefront6targetE0EEEvT1_
	.globl	_ZN7rocprim17ROCPRIM_400000_NS6detail17trampoline_kernelINS0_14default_configENS1_25partition_config_selectorILNS1_17partition_subalgoE9EtjbEEZZNS1_14partition_implILS5_9ELb0ES3_jN6thrust23THRUST_200600_302600_NS6detail15normal_iteratorINS9_10device_ptrItEEEENSB_INSC_IjEEEEPNS0_10empty_typeENS0_5tupleIJSE_SH_EEENSJ_IJSG_SI_EEENS0_18inequality_wrapperINS9_8equal_toItEEEEPmJSH_EEE10hipError_tPvRmT3_T4_T5_T6_T7_T9_mT8_P12ihipStream_tbDpT10_ENKUlT_T0_E_clISt17integral_constantIbLb0EES1A_EEDaS15_S16_EUlS15_E_NS1_11comp_targetILNS1_3genE5ELNS1_11target_archE942ELNS1_3gpuE9ELNS1_3repE0EEENS1_30default_config_static_selectorELNS0_4arch9wavefront6targetE0EEEvT1_
	.p2align	8
	.type	_ZN7rocprim17ROCPRIM_400000_NS6detail17trampoline_kernelINS0_14default_configENS1_25partition_config_selectorILNS1_17partition_subalgoE9EtjbEEZZNS1_14partition_implILS5_9ELb0ES3_jN6thrust23THRUST_200600_302600_NS6detail15normal_iteratorINS9_10device_ptrItEEEENSB_INSC_IjEEEEPNS0_10empty_typeENS0_5tupleIJSE_SH_EEENSJ_IJSG_SI_EEENS0_18inequality_wrapperINS9_8equal_toItEEEEPmJSH_EEE10hipError_tPvRmT3_T4_T5_T6_T7_T9_mT8_P12ihipStream_tbDpT10_ENKUlT_T0_E_clISt17integral_constantIbLb0EES1A_EEDaS15_S16_EUlS15_E_NS1_11comp_targetILNS1_3genE5ELNS1_11target_archE942ELNS1_3gpuE9ELNS1_3repE0EEENS1_30default_config_static_selectorELNS0_4arch9wavefront6targetE0EEEvT1_,@function
_ZN7rocprim17ROCPRIM_400000_NS6detail17trampoline_kernelINS0_14default_configENS1_25partition_config_selectorILNS1_17partition_subalgoE9EtjbEEZZNS1_14partition_implILS5_9ELb0ES3_jN6thrust23THRUST_200600_302600_NS6detail15normal_iteratorINS9_10device_ptrItEEEENSB_INSC_IjEEEEPNS0_10empty_typeENS0_5tupleIJSE_SH_EEENSJ_IJSG_SI_EEENS0_18inequality_wrapperINS9_8equal_toItEEEEPmJSH_EEE10hipError_tPvRmT3_T4_T5_T6_T7_T9_mT8_P12ihipStream_tbDpT10_ENKUlT_T0_E_clISt17integral_constantIbLb0EES1A_EEDaS15_S16_EUlS15_E_NS1_11comp_targetILNS1_3genE5ELNS1_11target_archE942ELNS1_3gpuE9ELNS1_3repE0EEENS1_30default_config_static_selectorELNS0_4arch9wavefront6targetE0EEEvT1_: ; @_ZN7rocprim17ROCPRIM_400000_NS6detail17trampoline_kernelINS0_14default_configENS1_25partition_config_selectorILNS1_17partition_subalgoE9EtjbEEZZNS1_14partition_implILS5_9ELb0ES3_jN6thrust23THRUST_200600_302600_NS6detail15normal_iteratorINS9_10device_ptrItEEEENSB_INSC_IjEEEEPNS0_10empty_typeENS0_5tupleIJSE_SH_EEENSJ_IJSG_SI_EEENS0_18inequality_wrapperINS9_8equal_toItEEEEPmJSH_EEE10hipError_tPvRmT3_T4_T5_T6_T7_T9_mT8_P12ihipStream_tbDpT10_ENKUlT_T0_E_clISt17integral_constantIbLb0EES1A_EEDaS15_S16_EUlS15_E_NS1_11comp_targetILNS1_3genE5ELNS1_11target_archE942ELNS1_3gpuE9ELNS1_3repE0EEENS1_30default_config_static_selectorELNS0_4arch9wavefront6targetE0EEEvT1_
; %bb.0:
	.section	.rodata,"a",@progbits
	.p2align	6, 0x0
	.amdhsa_kernel _ZN7rocprim17ROCPRIM_400000_NS6detail17trampoline_kernelINS0_14default_configENS1_25partition_config_selectorILNS1_17partition_subalgoE9EtjbEEZZNS1_14partition_implILS5_9ELb0ES3_jN6thrust23THRUST_200600_302600_NS6detail15normal_iteratorINS9_10device_ptrItEEEENSB_INSC_IjEEEEPNS0_10empty_typeENS0_5tupleIJSE_SH_EEENSJ_IJSG_SI_EEENS0_18inequality_wrapperINS9_8equal_toItEEEEPmJSH_EEE10hipError_tPvRmT3_T4_T5_T6_T7_T9_mT8_P12ihipStream_tbDpT10_ENKUlT_T0_E_clISt17integral_constantIbLb0EES1A_EEDaS15_S16_EUlS15_E_NS1_11comp_targetILNS1_3genE5ELNS1_11target_archE942ELNS1_3gpuE9ELNS1_3repE0EEENS1_30default_config_static_selectorELNS0_4arch9wavefront6targetE0EEEvT1_
		.amdhsa_group_segment_fixed_size 0
		.amdhsa_private_segment_fixed_size 0
		.amdhsa_kernarg_size 112
		.amdhsa_user_sgpr_count 15
		.amdhsa_user_sgpr_dispatch_ptr 0
		.amdhsa_user_sgpr_queue_ptr 0
		.amdhsa_user_sgpr_kernarg_segment_ptr 1
		.amdhsa_user_sgpr_dispatch_id 0
		.amdhsa_user_sgpr_private_segment_size 0
		.amdhsa_wavefront_size32 1
		.amdhsa_uses_dynamic_stack 0
		.amdhsa_enable_private_segment 0
		.amdhsa_system_sgpr_workgroup_id_x 1
		.amdhsa_system_sgpr_workgroup_id_y 0
		.amdhsa_system_sgpr_workgroup_id_z 0
		.amdhsa_system_sgpr_workgroup_info 0
		.amdhsa_system_vgpr_workitem_id 0
		.amdhsa_next_free_vgpr 1
		.amdhsa_next_free_sgpr 1
		.amdhsa_reserve_vcc 0
		.amdhsa_float_round_mode_32 0
		.amdhsa_float_round_mode_16_64 0
		.amdhsa_float_denorm_mode_32 3
		.amdhsa_float_denorm_mode_16_64 3
		.amdhsa_dx10_clamp 1
		.amdhsa_ieee_mode 1
		.amdhsa_fp16_overflow 0
		.amdhsa_workgroup_processor_mode 1
		.amdhsa_memory_ordered 1
		.amdhsa_forward_progress 0
		.amdhsa_shared_vgpr_count 0
		.amdhsa_exception_fp_ieee_invalid_op 0
		.amdhsa_exception_fp_denorm_src 0
		.amdhsa_exception_fp_ieee_div_zero 0
		.amdhsa_exception_fp_ieee_overflow 0
		.amdhsa_exception_fp_ieee_underflow 0
		.amdhsa_exception_fp_ieee_inexact 0
		.amdhsa_exception_int_div_zero 0
	.end_amdhsa_kernel
	.section	.text._ZN7rocprim17ROCPRIM_400000_NS6detail17trampoline_kernelINS0_14default_configENS1_25partition_config_selectorILNS1_17partition_subalgoE9EtjbEEZZNS1_14partition_implILS5_9ELb0ES3_jN6thrust23THRUST_200600_302600_NS6detail15normal_iteratorINS9_10device_ptrItEEEENSB_INSC_IjEEEEPNS0_10empty_typeENS0_5tupleIJSE_SH_EEENSJ_IJSG_SI_EEENS0_18inequality_wrapperINS9_8equal_toItEEEEPmJSH_EEE10hipError_tPvRmT3_T4_T5_T6_T7_T9_mT8_P12ihipStream_tbDpT10_ENKUlT_T0_E_clISt17integral_constantIbLb0EES1A_EEDaS15_S16_EUlS15_E_NS1_11comp_targetILNS1_3genE5ELNS1_11target_archE942ELNS1_3gpuE9ELNS1_3repE0EEENS1_30default_config_static_selectorELNS0_4arch9wavefront6targetE0EEEvT1_,"axG",@progbits,_ZN7rocprim17ROCPRIM_400000_NS6detail17trampoline_kernelINS0_14default_configENS1_25partition_config_selectorILNS1_17partition_subalgoE9EtjbEEZZNS1_14partition_implILS5_9ELb0ES3_jN6thrust23THRUST_200600_302600_NS6detail15normal_iteratorINS9_10device_ptrItEEEENSB_INSC_IjEEEEPNS0_10empty_typeENS0_5tupleIJSE_SH_EEENSJ_IJSG_SI_EEENS0_18inequality_wrapperINS9_8equal_toItEEEEPmJSH_EEE10hipError_tPvRmT3_T4_T5_T6_T7_T9_mT8_P12ihipStream_tbDpT10_ENKUlT_T0_E_clISt17integral_constantIbLb0EES1A_EEDaS15_S16_EUlS15_E_NS1_11comp_targetILNS1_3genE5ELNS1_11target_archE942ELNS1_3gpuE9ELNS1_3repE0EEENS1_30default_config_static_selectorELNS0_4arch9wavefront6targetE0EEEvT1_,comdat
.Lfunc_end566:
	.size	_ZN7rocprim17ROCPRIM_400000_NS6detail17trampoline_kernelINS0_14default_configENS1_25partition_config_selectorILNS1_17partition_subalgoE9EtjbEEZZNS1_14partition_implILS5_9ELb0ES3_jN6thrust23THRUST_200600_302600_NS6detail15normal_iteratorINS9_10device_ptrItEEEENSB_INSC_IjEEEEPNS0_10empty_typeENS0_5tupleIJSE_SH_EEENSJ_IJSG_SI_EEENS0_18inequality_wrapperINS9_8equal_toItEEEEPmJSH_EEE10hipError_tPvRmT3_T4_T5_T6_T7_T9_mT8_P12ihipStream_tbDpT10_ENKUlT_T0_E_clISt17integral_constantIbLb0EES1A_EEDaS15_S16_EUlS15_E_NS1_11comp_targetILNS1_3genE5ELNS1_11target_archE942ELNS1_3gpuE9ELNS1_3repE0EEENS1_30default_config_static_selectorELNS0_4arch9wavefront6targetE0EEEvT1_, .Lfunc_end566-_ZN7rocprim17ROCPRIM_400000_NS6detail17trampoline_kernelINS0_14default_configENS1_25partition_config_selectorILNS1_17partition_subalgoE9EtjbEEZZNS1_14partition_implILS5_9ELb0ES3_jN6thrust23THRUST_200600_302600_NS6detail15normal_iteratorINS9_10device_ptrItEEEENSB_INSC_IjEEEEPNS0_10empty_typeENS0_5tupleIJSE_SH_EEENSJ_IJSG_SI_EEENS0_18inequality_wrapperINS9_8equal_toItEEEEPmJSH_EEE10hipError_tPvRmT3_T4_T5_T6_T7_T9_mT8_P12ihipStream_tbDpT10_ENKUlT_T0_E_clISt17integral_constantIbLb0EES1A_EEDaS15_S16_EUlS15_E_NS1_11comp_targetILNS1_3genE5ELNS1_11target_archE942ELNS1_3gpuE9ELNS1_3repE0EEENS1_30default_config_static_selectorELNS0_4arch9wavefront6targetE0EEEvT1_
                                        ; -- End function
	.section	.AMDGPU.csdata,"",@progbits
; Kernel info:
; codeLenInByte = 0
; NumSgprs: 0
; NumVgprs: 0
; ScratchSize: 0
; MemoryBound: 0
; FloatMode: 240
; IeeeMode: 1
; LDSByteSize: 0 bytes/workgroup (compile time only)
; SGPRBlocks: 0
; VGPRBlocks: 0
; NumSGPRsForWavesPerEU: 1
; NumVGPRsForWavesPerEU: 1
; Occupancy: 16
; WaveLimiterHint : 0
; COMPUTE_PGM_RSRC2:SCRATCH_EN: 0
; COMPUTE_PGM_RSRC2:USER_SGPR: 15
; COMPUTE_PGM_RSRC2:TRAP_HANDLER: 0
; COMPUTE_PGM_RSRC2:TGID_X_EN: 1
; COMPUTE_PGM_RSRC2:TGID_Y_EN: 0
; COMPUTE_PGM_RSRC2:TGID_Z_EN: 0
; COMPUTE_PGM_RSRC2:TIDIG_COMP_CNT: 0
	.section	.text._ZN7rocprim17ROCPRIM_400000_NS6detail17trampoline_kernelINS0_14default_configENS1_25partition_config_selectorILNS1_17partition_subalgoE9EtjbEEZZNS1_14partition_implILS5_9ELb0ES3_jN6thrust23THRUST_200600_302600_NS6detail15normal_iteratorINS9_10device_ptrItEEEENSB_INSC_IjEEEEPNS0_10empty_typeENS0_5tupleIJSE_SH_EEENSJ_IJSG_SI_EEENS0_18inequality_wrapperINS9_8equal_toItEEEEPmJSH_EEE10hipError_tPvRmT3_T4_T5_T6_T7_T9_mT8_P12ihipStream_tbDpT10_ENKUlT_T0_E_clISt17integral_constantIbLb0EES1A_EEDaS15_S16_EUlS15_E_NS1_11comp_targetILNS1_3genE4ELNS1_11target_archE910ELNS1_3gpuE8ELNS1_3repE0EEENS1_30default_config_static_selectorELNS0_4arch9wavefront6targetE0EEEvT1_,"axG",@progbits,_ZN7rocprim17ROCPRIM_400000_NS6detail17trampoline_kernelINS0_14default_configENS1_25partition_config_selectorILNS1_17partition_subalgoE9EtjbEEZZNS1_14partition_implILS5_9ELb0ES3_jN6thrust23THRUST_200600_302600_NS6detail15normal_iteratorINS9_10device_ptrItEEEENSB_INSC_IjEEEEPNS0_10empty_typeENS0_5tupleIJSE_SH_EEENSJ_IJSG_SI_EEENS0_18inequality_wrapperINS9_8equal_toItEEEEPmJSH_EEE10hipError_tPvRmT3_T4_T5_T6_T7_T9_mT8_P12ihipStream_tbDpT10_ENKUlT_T0_E_clISt17integral_constantIbLb0EES1A_EEDaS15_S16_EUlS15_E_NS1_11comp_targetILNS1_3genE4ELNS1_11target_archE910ELNS1_3gpuE8ELNS1_3repE0EEENS1_30default_config_static_selectorELNS0_4arch9wavefront6targetE0EEEvT1_,comdat
	.protected	_ZN7rocprim17ROCPRIM_400000_NS6detail17trampoline_kernelINS0_14default_configENS1_25partition_config_selectorILNS1_17partition_subalgoE9EtjbEEZZNS1_14partition_implILS5_9ELb0ES3_jN6thrust23THRUST_200600_302600_NS6detail15normal_iteratorINS9_10device_ptrItEEEENSB_INSC_IjEEEEPNS0_10empty_typeENS0_5tupleIJSE_SH_EEENSJ_IJSG_SI_EEENS0_18inequality_wrapperINS9_8equal_toItEEEEPmJSH_EEE10hipError_tPvRmT3_T4_T5_T6_T7_T9_mT8_P12ihipStream_tbDpT10_ENKUlT_T0_E_clISt17integral_constantIbLb0EES1A_EEDaS15_S16_EUlS15_E_NS1_11comp_targetILNS1_3genE4ELNS1_11target_archE910ELNS1_3gpuE8ELNS1_3repE0EEENS1_30default_config_static_selectorELNS0_4arch9wavefront6targetE0EEEvT1_ ; -- Begin function _ZN7rocprim17ROCPRIM_400000_NS6detail17trampoline_kernelINS0_14default_configENS1_25partition_config_selectorILNS1_17partition_subalgoE9EtjbEEZZNS1_14partition_implILS5_9ELb0ES3_jN6thrust23THRUST_200600_302600_NS6detail15normal_iteratorINS9_10device_ptrItEEEENSB_INSC_IjEEEEPNS0_10empty_typeENS0_5tupleIJSE_SH_EEENSJ_IJSG_SI_EEENS0_18inequality_wrapperINS9_8equal_toItEEEEPmJSH_EEE10hipError_tPvRmT3_T4_T5_T6_T7_T9_mT8_P12ihipStream_tbDpT10_ENKUlT_T0_E_clISt17integral_constantIbLb0EES1A_EEDaS15_S16_EUlS15_E_NS1_11comp_targetILNS1_3genE4ELNS1_11target_archE910ELNS1_3gpuE8ELNS1_3repE0EEENS1_30default_config_static_selectorELNS0_4arch9wavefront6targetE0EEEvT1_
	.globl	_ZN7rocprim17ROCPRIM_400000_NS6detail17trampoline_kernelINS0_14default_configENS1_25partition_config_selectorILNS1_17partition_subalgoE9EtjbEEZZNS1_14partition_implILS5_9ELb0ES3_jN6thrust23THRUST_200600_302600_NS6detail15normal_iteratorINS9_10device_ptrItEEEENSB_INSC_IjEEEEPNS0_10empty_typeENS0_5tupleIJSE_SH_EEENSJ_IJSG_SI_EEENS0_18inequality_wrapperINS9_8equal_toItEEEEPmJSH_EEE10hipError_tPvRmT3_T4_T5_T6_T7_T9_mT8_P12ihipStream_tbDpT10_ENKUlT_T0_E_clISt17integral_constantIbLb0EES1A_EEDaS15_S16_EUlS15_E_NS1_11comp_targetILNS1_3genE4ELNS1_11target_archE910ELNS1_3gpuE8ELNS1_3repE0EEENS1_30default_config_static_selectorELNS0_4arch9wavefront6targetE0EEEvT1_
	.p2align	8
	.type	_ZN7rocprim17ROCPRIM_400000_NS6detail17trampoline_kernelINS0_14default_configENS1_25partition_config_selectorILNS1_17partition_subalgoE9EtjbEEZZNS1_14partition_implILS5_9ELb0ES3_jN6thrust23THRUST_200600_302600_NS6detail15normal_iteratorINS9_10device_ptrItEEEENSB_INSC_IjEEEEPNS0_10empty_typeENS0_5tupleIJSE_SH_EEENSJ_IJSG_SI_EEENS0_18inequality_wrapperINS9_8equal_toItEEEEPmJSH_EEE10hipError_tPvRmT3_T4_T5_T6_T7_T9_mT8_P12ihipStream_tbDpT10_ENKUlT_T0_E_clISt17integral_constantIbLb0EES1A_EEDaS15_S16_EUlS15_E_NS1_11comp_targetILNS1_3genE4ELNS1_11target_archE910ELNS1_3gpuE8ELNS1_3repE0EEENS1_30default_config_static_selectorELNS0_4arch9wavefront6targetE0EEEvT1_,@function
_ZN7rocprim17ROCPRIM_400000_NS6detail17trampoline_kernelINS0_14default_configENS1_25partition_config_selectorILNS1_17partition_subalgoE9EtjbEEZZNS1_14partition_implILS5_9ELb0ES3_jN6thrust23THRUST_200600_302600_NS6detail15normal_iteratorINS9_10device_ptrItEEEENSB_INSC_IjEEEEPNS0_10empty_typeENS0_5tupleIJSE_SH_EEENSJ_IJSG_SI_EEENS0_18inequality_wrapperINS9_8equal_toItEEEEPmJSH_EEE10hipError_tPvRmT3_T4_T5_T6_T7_T9_mT8_P12ihipStream_tbDpT10_ENKUlT_T0_E_clISt17integral_constantIbLb0EES1A_EEDaS15_S16_EUlS15_E_NS1_11comp_targetILNS1_3genE4ELNS1_11target_archE910ELNS1_3gpuE8ELNS1_3repE0EEENS1_30default_config_static_selectorELNS0_4arch9wavefront6targetE0EEEvT1_: ; @_ZN7rocprim17ROCPRIM_400000_NS6detail17trampoline_kernelINS0_14default_configENS1_25partition_config_selectorILNS1_17partition_subalgoE9EtjbEEZZNS1_14partition_implILS5_9ELb0ES3_jN6thrust23THRUST_200600_302600_NS6detail15normal_iteratorINS9_10device_ptrItEEEENSB_INSC_IjEEEEPNS0_10empty_typeENS0_5tupleIJSE_SH_EEENSJ_IJSG_SI_EEENS0_18inequality_wrapperINS9_8equal_toItEEEEPmJSH_EEE10hipError_tPvRmT3_T4_T5_T6_T7_T9_mT8_P12ihipStream_tbDpT10_ENKUlT_T0_E_clISt17integral_constantIbLb0EES1A_EEDaS15_S16_EUlS15_E_NS1_11comp_targetILNS1_3genE4ELNS1_11target_archE910ELNS1_3gpuE8ELNS1_3repE0EEENS1_30default_config_static_selectorELNS0_4arch9wavefront6targetE0EEEvT1_
; %bb.0:
	.section	.rodata,"a",@progbits
	.p2align	6, 0x0
	.amdhsa_kernel _ZN7rocprim17ROCPRIM_400000_NS6detail17trampoline_kernelINS0_14default_configENS1_25partition_config_selectorILNS1_17partition_subalgoE9EtjbEEZZNS1_14partition_implILS5_9ELb0ES3_jN6thrust23THRUST_200600_302600_NS6detail15normal_iteratorINS9_10device_ptrItEEEENSB_INSC_IjEEEEPNS0_10empty_typeENS0_5tupleIJSE_SH_EEENSJ_IJSG_SI_EEENS0_18inequality_wrapperINS9_8equal_toItEEEEPmJSH_EEE10hipError_tPvRmT3_T4_T5_T6_T7_T9_mT8_P12ihipStream_tbDpT10_ENKUlT_T0_E_clISt17integral_constantIbLb0EES1A_EEDaS15_S16_EUlS15_E_NS1_11comp_targetILNS1_3genE4ELNS1_11target_archE910ELNS1_3gpuE8ELNS1_3repE0EEENS1_30default_config_static_selectorELNS0_4arch9wavefront6targetE0EEEvT1_
		.amdhsa_group_segment_fixed_size 0
		.amdhsa_private_segment_fixed_size 0
		.amdhsa_kernarg_size 112
		.amdhsa_user_sgpr_count 15
		.amdhsa_user_sgpr_dispatch_ptr 0
		.amdhsa_user_sgpr_queue_ptr 0
		.amdhsa_user_sgpr_kernarg_segment_ptr 1
		.amdhsa_user_sgpr_dispatch_id 0
		.amdhsa_user_sgpr_private_segment_size 0
		.amdhsa_wavefront_size32 1
		.amdhsa_uses_dynamic_stack 0
		.amdhsa_enable_private_segment 0
		.amdhsa_system_sgpr_workgroup_id_x 1
		.amdhsa_system_sgpr_workgroup_id_y 0
		.amdhsa_system_sgpr_workgroup_id_z 0
		.amdhsa_system_sgpr_workgroup_info 0
		.amdhsa_system_vgpr_workitem_id 0
		.amdhsa_next_free_vgpr 1
		.amdhsa_next_free_sgpr 1
		.amdhsa_reserve_vcc 0
		.amdhsa_float_round_mode_32 0
		.amdhsa_float_round_mode_16_64 0
		.amdhsa_float_denorm_mode_32 3
		.amdhsa_float_denorm_mode_16_64 3
		.amdhsa_dx10_clamp 1
		.amdhsa_ieee_mode 1
		.amdhsa_fp16_overflow 0
		.amdhsa_workgroup_processor_mode 1
		.amdhsa_memory_ordered 1
		.amdhsa_forward_progress 0
		.amdhsa_shared_vgpr_count 0
		.amdhsa_exception_fp_ieee_invalid_op 0
		.amdhsa_exception_fp_denorm_src 0
		.amdhsa_exception_fp_ieee_div_zero 0
		.amdhsa_exception_fp_ieee_overflow 0
		.amdhsa_exception_fp_ieee_underflow 0
		.amdhsa_exception_fp_ieee_inexact 0
		.amdhsa_exception_int_div_zero 0
	.end_amdhsa_kernel
	.section	.text._ZN7rocprim17ROCPRIM_400000_NS6detail17trampoline_kernelINS0_14default_configENS1_25partition_config_selectorILNS1_17partition_subalgoE9EtjbEEZZNS1_14partition_implILS5_9ELb0ES3_jN6thrust23THRUST_200600_302600_NS6detail15normal_iteratorINS9_10device_ptrItEEEENSB_INSC_IjEEEEPNS0_10empty_typeENS0_5tupleIJSE_SH_EEENSJ_IJSG_SI_EEENS0_18inequality_wrapperINS9_8equal_toItEEEEPmJSH_EEE10hipError_tPvRmT3_T4_T5_T6_T7_T9_mT8_P12ihipStream_tbDpT10_ENKUlT_T0_E_clISt17integral_constantIbLb0EES1A_EEDaS15_S16_EUlS15_E_NS1_11comp_targetILNS1_3genE4ELNS1_11target_archE910ELNS1_3gpuE8ELNS1_3repE0EEENS1_30default_config_static_selectorELNS0_4arch9wavefront6targetE0EEEvT1_,"axG",@progbits,_ZN7rocprim17ROCPRIM_400000_NS6detail17trampoline_kernelINS0_14default_configENS1_25partition_config_selectorILNS1_17partition_subalgoE9EtjbEEZZNS1_14partition_implILS5_9ELb0ES3_jN6thrust23THRUST_200600_302600_NS6detail15normal_iteratorINS9_10device_ptrItEEEENSB_INSC_IjEEEEPNS0_10empty_typeENS0_5tupleIJSE_SH_EEENSJ_IJSG_SI_EEENS0_18inequality_wrapperINS9_8equal_toItEEEEPmJSH_EEE10hipError_tPvRmT3_T4_T5_T6_T7_T9_mT8_P12ihipStream_tbDpT10_ENKUlT_T0_E_clISt17integral_constantIbLb0EES1A_EEDaS15_S16_EUlS15_E_NS1_11comp_targetILNS1_3genE4ELNS1_11target_archE910ELNS1_3gpuE8ELNS1_3repE0EEENS1_30default_config_static_selectorELNS0_4arch9wavefront6targetE0EEEvT1_,comdat
.Lfunc_end567:
	.size	_ZN7rocprim17ROCPRIM_400000_NS6detail17trampoline_kernelINS0_14default_configENS1_25partition_config_selectorILNS1_17partition_subalgoE9EtjbEEZZNS1_14partition_implILS5_9ELb0ES3_jN6thrust23THRUST_200600_302600_NS6detail15normal_iteratorINS9_10device_ptrItEEEENSB_INSC_IjEEEEPNS0_10empty_typeENS0_5tupleIJSE_SH_EEENSJ_IJSG_SI_EEENS0_18inequality_wrapperINS9_8equal_toItEEEEPmJSH_EEE10hipError_tPvRmT3_T4_T5_T6_T7_T9_mT8_P12ihipStream_tbDpT10_ENKUlT_T0_E_clISt17integral_constantIbLb0EES1A_EEDaS15_S16_EUlS15_E_NS1_11comp_targetILNS1_3genE4ELNS1_11target_archE910ELNS1_3gpuE8ELNS1_3repE0EEENS1_30default_config_static_selectorELNS0_4arch9wavefront6targetE0EEEvT1_, .Lfunc_end567-_ZN7rocprim17ROCPRIM_400000_NS6detail17trampoline_kernelINS0_14default_configENS1_25partition_config_selectorILNS1_17partition_subalgoE9EtjbEEZZNS1_14partition_implILS5_9ELb0ES3_jN6thrust23THRUST_200600_302600_NS6detail15normal_iteratorINS9_10device_ptrItEEEENSB_INSC_IjEEEEPNS0_10empty_typeENS0_5tupleIJSE_SH_EEENSJ_IJSG_SI_EEENS0_18inequality_wrapperINS9_8equal_toItEEEEPmJSH_EEE10hipError_tPvRmT3_T4_T5_T6_T7_T9_mT8_P12ihipStream_tbDpT10_ENKUlT_T0_E_clISt17integral_constantIbLb0EES1A_EEDaS15_S16_EUlS15_E_NS1_11comp_targetILNS1_3genE4ELNS1_11target_archE910ELNS1_3gpuE8ELNS1_3repE0EEENS1_30default_config_static_selectorELNS0_4arch9wavefront6targetE0EEEvT1_
                                        ; -- End function
	.section	.AMDGPU.csdata,"",@progbits
; Kernel info:
; codeLenInByte = 0
; NumSgprs: 0
; NumVgprs: 0
; ScratchSize: 0
; MemoryBound: 0
; FloatMode: 240
; IeeeMode: 1
; LDSByteSize: 0 bytes/workgroup (compile time only)
; SGPRBlocks: 0
; VGPRBlocks: 0
; NumSGPRsForWavesPerEU: 1
; NumVGPRsForWavesPerEU: 1
; Occupancy: 15
; WaveLimiterHint : 0
; COMPUTE_PGM_RSRC2:SCRATCH_EN: 0
; COMPUTE_PGM_RSRC2:USER_SGPR: 15
; COMPUTE_PGM_RSRC2:TRAP_HANDLER: 0
; COMPUTE_PGM_RSRC2:TGID_X_EN: 1
; COMPUTE_PGM_RSRC2:TGID_Y_EN: 0
; COMPUTE_PGM_RSRC2:TGID_Z_EN: 0
; COMPUTE_PGM_RSRC2:TIDIG_COMP_CNT: 0
	.section	.text._ZN7rocprim17ROCPRIM_400000_NS6detail17trampoline_kernelINS0_14default_configENS1_25partition_config_selectorILNS1_17partition_subalgoE9EtjbEEZZNS1_14partition_implILS5_9ELb0ES3_jN6thrust23THRUST_200600_302600_NS6detail15normal_iteratorINS9_10device_ptrItEEEENSB_INSC_IjEEEEPNS0_10empty_typeENS0_5tupleIJSE_SH_EEENSJ_IJSG_SI_EEENS0_18inequality_wrapperINS9_8equal_toItEEEEPmJSH_EEE10hipError_tPvRmT3_T4_T5_T6_T7_T9_mT8_P12ihipStream_tbDpT10_ENKUlT_T0_E_clISt17integral_constantIbLb0EES1A_EEDaS15_S16_EUlS15_E_NS1_11comp_targetILNS1_3genE3ELNS1_11target_archE908ELNS1_3gpuE7ELNS1_3repE0EEENS1_30default_config_static_selectorELNS0_4arch9wavefront6targetE0EEEvT1_,"axG",@progbits,_ZN7rocprim17ROCPRIM_400000_NS6detail17trampoline_kernelINS0_14default_configENS1_25partition_config_selectorILNS1_17partition_subalgoE9EtjbEEZZNS1_14partition_implILS5_9ELb0ES3_jN6thrust23THRUST_200600_302600_NS6detail15normal_iteratorINS9_10device_ptrItEEEENSB_INSC_IjEEEEPNS0_10empty_typeENS0_5tupleIJSE_SH_EEENSJ_IJSG_SI_EEENS0_18inequality_wrapperINS9_8equal_toItEEEEPmJSH_EEE10hipError_tPvRmT3_T4_T5_T6_T7_T9_mT8_P12ihipStream_tbDpT10_ENKUlT_T0_E_clISt17integral_constantIbLb0EES1A_EEDaS15_S16_EUlS15_E_NS1_11comp_targetILNS1_3genE3ELNS1_11target_archE908ELNS1_3gpuE7ELNS1_3repE0EEENS1_30default_config_static_selectorELNS0_4arch9wavefront6targetE0EEEvT1_,comdat
	.protected	_ZN7rocprim17ROCPRIM_400000_NS6detail17trampoline_kernelINS0_14default_configENS1_25partition_config_selectorILNS1_17partition_subalgoE9EtjbEEZZNS1_14partition_implILS5_9ELb0ES3_jN6thrust23THRUST_200600_302600_NS6detail15normal_iteratorINS9_10device_ptrItEEEENSB_INSC_IjEEEEPNS0_10empty_typeENS0_5tupleIJSE_SH_EEENSJ_IJSG_SI_EEENS0_18inequality_wrapperINS9_8equal_toItEEEEPmJSH_EEE10hipError_tPvRmT3_T4_T5_T6_T7_T9_mT8_P12ihipStream_tbDpT10_ENKUlT_T0_E_clISt17integral_constantIbLb0EES1A_EEDaS15_S16_EUlS15_E_NS1_11comp_targetILNS1_3genE3ELNS1_11target_archE908ELNS1_3gpuE7ELNS1_3repE0EEENS1_30default_config_static_selectorELNS0_4arch9wavefront6targetE0EEEvT1_ ; -- Begin function _ZN7rocprim17ROCPRIM_400000_NS6detail17trampoline_kernelINS0_14default_configENS1_25partition_config_selectorILNS1_17partition_subalgoE9EtjbEEZZNS1_14partition_implILS5_9ELb0ES3_jN6thrust23THRUST_200600_302600_NS6detail15normal_iteratorINS9_10device_ptrItEEEENSB_INSC_IjEEEEPNS0_10empty_typeENS0_5tupleIJSE_SH_EEENSJ_IJSG_SI_EEENS0_18inequality_wrapperINS9_8equal_toItEEEEPmJSH_EEE10hipError_tPvRmT3_T4_T5_T6_T7_T9_mT8_P12ihipStream_tbDpT10_ENKUlT_T0_E_clISt17integral_constantIbLb0EES1A_EEDaS15_S16_EUlS15_E_NS1_11comp_targetILNS1_3genE3ELNS1_11target_archE908ELNS1_3gpuE7ELNS1_3repE0EEENS1_30default_config_static_selectorELNS0_4arch9wavefront6targetE0EEEvT1_
	.globl	_ZN7rocprim17ROCPRIM_400000_NS6detail17trampoline_kernelINS0_14default_configENS1_25partition_config_selectorILNS1_17partition_subalgoE9EtjbEEZZNS1_14partition_implILS5_9ELb0ES3_jN6thrust23THRUST_200600_302600_NS6detail15normal_iteratorINS9_10device_ptrItEEEENSB_INSC_IjEEEEPNS0_10empty_typeENS0_5tupleIJSE_SH_EEENSJ_IJSG_SI_EEENS0_18inequality_wrapperINS9_8equal_toItEEEEPmJSH_EEE10hipError_tPvRmT3_T4_T5_T6_T7_T9_mT8_P12ihipStream_tbDpT10_ENKUlT_T0_E_clISt17integral_constantIbLb0EES1A_EEDaS15_S16_EUlS15_E_NS1_11comp_targetILNS1_3genE3ELNS1_11target_archE908ELNS1_3gpuE7ELNS1_3repE0EEENS1_30default_config_static_selectorELNS0_4arch9wavefront6targetE0EEEvT1_
	.p2align	8
	.type	_ZN7rocprim17ROCPRIM_400000_NS6detail17trampoline_kernelINS0_14default_configENS1_25partition_config_selectorILNS1_17partition_subalgoE9EtjbEEZZNS1_14partition_implILS5_9ELb0ES3_jN6thrust23THRUST_200600_302600_NS6detail15normal_iteratorINS9_10device_ptrItEEEENSB_INSC_IjEEEEPNS0_10empty_typeENS0_5tupleIJSE_SH_EEENSJ_IJSG_SI_EEENS0_18inequality_wrapperINS9_8equal_toItEEEEPmJSH_EEE10hipError_tPvRmT3_T4_T5_T6_T7_T9_mT8_P12ihipStream_tbDpT10_ENKUlT_T0_E_clISt17integral_constantIbLb0EES1A_EEDaS15_S16_EUlS15_E_NS1_11comp_targetILNS1_3genE3ELNS1_11target_archE908ELNS1_3gpuE7ELNS1_3repE0EEENS1_30default_config_static_selectorELNS0_4arch9wavefront6targetE0EEEvT1_,@function
_ZN7rocprim17ROCPRIM_400000_NS6detail17trampoline_kernelINS0_14default_configENS1_25partition_config_selectorILNS1_17partition_subalgoE9EtjbEEZZNS1_14partition_implILS5_9ELb0ES3_jN6thrust23THRUST_200600_302600_NS6detail15normal_iteratorINS9_10device_ptrItEEEENSB_INSC_IjEEEEPNS0_10empty_typeENS0_5tupleIJSE_SH_EEENSJ_IJSG_SI_EEENS0_18inequality_wrapperINS9_8equal_toItEEEEPmJSH_EEE10hipError_tPvRmT3_T4_T5_T6_T7_T9_mT8_P12ihipStream_tbDpT10_ENKUlT_T0_E_clISt17integral_constantIbLb0EES1A_EEDaS15_S16_EUlS15_E_NS1_11comp_targetILNS1_3genE3ELNS1_11target_archE908ELNS1_3gpuE7ELNS1_3repE0EEENS1_30default_config_static_selectorELNS0_4arch9wavefront6targetE0EEEvT1_: ; @_ZN7rocprim17ROCPRIM_400000_NS6detail17trampoline_kernelINS0_14default_configENS1_25partition_config_selectorILNS1_17partition_subalgoE9EtjbEEZZNS1_14partition_implILS5_9ELb0ES3_jN6thrust23THRUST_200600_302600_NS6detail15normal_iteratorINS9_10device_ptrItEEEENSB_INSC_IjEEEEPNS0_10empty_typeENS0_5tupleIJSE_SH_EEENSJ_IJSG_SI_EEENS0_18inequality_wrapperINS9_8equal_toItEEEEPmJSH_EEE10hipError_tPvRmT3_T4_T5_T6_T7_T9_mT8_P12ihipStream_tbDpT10_ENKUlT_T0_E_clISt17integral_constantIbLb0EES1A_EEDaS15_S16_EUlS15_E_NS1_11comp_targetILNS1_3genE3ELNS1_11target_archE908ELNS1_3gpuE7ELNS1_3repE0EEENS1_30default_config_static_selectorELNS0_4arch9wavefront6targetE0EEEvT1_
; %bb.0:
	.section	.rodata,"a",@progbits
	.p2align	6, 0x0
	.amdhsa_kernel _ZN7rocprim17ROCPRIM_400000_NS6detail17trampoline_kernelINS0_14default_configENS1_25partition_config_selectorILNS1_17partition_subalgoE9EtjbEEZZNS1_14partition_implILS5_9ELb0ES3_jN6thrust23THRUST_200600_302600_NS6detail15normal_iteratorINS9_10device_ptrItEEEENSB_INSC_IjEEEEPNS0_10empty_typeENS0_5tupleIJSE_SH_EEENSJ_IJSG_SI_EEENS0_18inequality_wrapperINS9_8equal_toItEEEEPmJSH_EEE10hipError_tPvRmT3_T4_T5_T6_T7_T9_mT8_P12ihipStream_tbDpT10_ENKUlT_T0_E_clISt17integral_constantIbLb0EES1A_EEDaS15_S16_EUlS15_E_NS1_11comp_targetILNS1_3genE3ELNS1_11target_archE908ELNS1_3gpuE7ELNS1_3repE0EEENS1_30default_config_static_selectorELNS0_4arch9wavefront6targetE0EEEvT1_
		.amdhsa_group_segment_fixed_size 0
		.amdhsa_private_segment_fixed_size 0
		.amdhsa_kernarg_size 112
		.amdhsa_user_sgpr_count 15
		.amdhsa_user_sgpr_dispatch_ptr 0
		.amdhsa_user_sgpr_queue_ptr 0
		.amdhsa_user_sgpr_kernarg_segment_ptr 1
		.amdhsa_user_sgpr_dispatch_id 0
		.amdhsa_user_sgpr_private_segment_size 0
		.amdhsa_wavefront_size32 1
		.amdhsa_uses_dynamic_stack 0
		.amdhsa_enable_private_segment 0
		.amdhsa_system_sgpr_workgroup_id_x 1
		.amdhsa_system_sgpr_workgroup_id_y 0
		.amdhsa_system_sgpr_workgroup_id_z 0
		.amdhsa_system_sgpr_workgroup_info 0
		.amdhsa_system_vgpr_workitem_id 0
		.amdhsa_next_free_vgpr 1
		.amdhsa_next_free_sgpr 1
		.amdhsa_reserve_vcc 0
		.amdhsa_float_round_mode_32 0
		.amdhsa_float_round_mode_16_64 0
		.amdhsa_float_denorm_mode_32 3
		.amdhsa_float_denorm_mode_16_64 3
		.amdhsa_dx10_clamp 1
		.amdhsa_ieee_mode 1
		.amdhsa_fp16_overflow 0
		.amdhsa_workgroup_processor_mode 1
		.amdhsa_memory_ordered 1
		.amdhsa_forward_progress 0
		.amdhsa_shared_vgpr_count 0
		.amdhsa_exception_fp_ieee_invalid_op 0
		.amdhsa_exception_fp_denorm_src 0
		.amdhsa_exception_fp_ieee_div_zero 0
		.amdhsa_exception_fp_ieee_overflow 0
		.amdhsa_exception_fp_ieee_underflow 0
		.amdhsa_exception_fp_ieee_inexact 0
		.amdhsa_exception_int_div_zero 0
	.end_amdhsa_kernel
	.section	.text._ZN7rocprim17ROCPRIM_400000_NS6detail17trampoline_kernelINS0_14default_configENS1_25partition_config_selectorILNS1_17partition_subalgoE9EtjbEEZZNS1_14partition_implILS5_9ELb0ES3_jN6thrust23THRUST_200600_302600_NS6detail15normal_iteratorINS9_10device_ptrItEEEENSB_INSC_IjEEEEPNS0_10empty_typeENS0_5tupleIJSE_SH_EEENSJ_IJSG_SI_EEENS0_18inequality_wrapperINS9_8equal_toItEEEEPmJSH_EEE10hipError_tPvRmT3_T4_T5_T6_T7_T9_mT8_P12ihipStream_tbDpT10_ENKUlT_T0_E_clISt17integral_constantIbLb0EES1A_EEDaS15_S16_EUlS15_E_NS1_11comp_targetILNS1_3genE3ELNS1_11target_archE908ELNS1_3gpuE7ELNS1_3repE0EEENS1_30default_config_static_selectorELNS0_4arch9wavefront6targetE0EEEvT1_,"axG",@progbits,_ZN7rocprim17ROCPRIM_400000_NS6detail17trampoline_kernelINS0_14default_configENS1_25partition_config_selectorILNS1_17partition_subalgoE9EtjbEEZZNS1_14partition_implILS5_9ELb0ES3_jN6thrust23THRUST_200600_302600_NS6detail15normal_iteratorINS9_10device_ptrItEEEENSB_INSC_IjEEEEPNS0_10empty_typeENS0_5tupleIJSE_SH_EEENSJ_IJSG_SI_EEENS0_18inequality_wrapperINS9_8equal_toItEEEEPmJSH_EEE10hipError_tPvRmT3_T4_T5_T6_T7_T9_mT8_P12ihipStream_tbDpT10_ENKUlT_T0_E_clISt17integral_constantIbLb0EES1A_EEDaS15_S16_EUlS15_E_NS1_11comp_targetILNS1_3genE3ELNS1_11target_archE908ELNS1_3gpuE7ELNS1_3repE0EEENS1_30default_config_static_selectorELNS0_4arch9wavefront6targetE0EEEvT1_,comdat
.Lfunc_end568:
	.size	_ZN7rocprim17ROCPRIM_400000_NS6detail17trampoline_kernelINS0_14default_configENS1_25partition_config_selectorILNS1_17partition_subalgoE9EtjbEEZZNS1_14partition_implILS5_9ELb0ES3_jN6thrust23THRUST_200600_302600_NS6detail15normal_iteratorINS9_10device_ptrItEEEENSB_INSC_IjEEEEPNS0_10empty_typeENS0_5tupleIJSE_SH_EEENSJ_IJSG_SI_EEENS0_18inequality_wrapperINS9_8equal_toItEEEEPmJSH_EEE10hipError_tPvRmT3_T4_T5_T6_T7_T9_mT8_P12ihipStream_tbDpT10_ENKUlT_T0_E_clISt17integral_constantIbLb0EES1A_EEDaS15_S16_EUlS15_E_NS1_11comp_targetILNS1_3genE3ELNS1_11target_archE908ELNS1_3gpuE7ELNS1_3repE0EEENS1_30default_config_static_selectorELNS0_4arch9wavefront6targetE0EEEvT1_, .Lfunc_end568-_ZN7rocprim17ROCPRIM_400000_NS6detail17trampoline_kernelINS0_14default_configENS1_25partition_config_selectorILNS1_17partition_subalgoE9EtjbEEZZNS1_14partition_implILS5_9ELb0ES3_jN6thrust23THRUST_200600_302600_NS6detail15normal_iteratorINS9_10device_ptrItEEEENSB_INSC_IjEEEEPNS0_10empty_typeENS0_5tupleIJSE_SH_EEENSJ_IJSG_SI_EEENS0_18inequality_wrapperINS9_8equal_toItEEEEPmJSH_EEE10hipError_tPvRmT3_T4_T5_T6_T7_T9_mT8_P12ihipStream_tbDpT10_ENKUlT_T0_E_clISt17integral_constantIbLb0EES1A_EEDaS15_S16_EUlS15_E_NS1_11comp_targetILNS1_3genE3ELNS1_11target_archE908ELNS1_3gpuE7ELNS1_3repE0EEENS1_30default_config_static_selectorELNS0_4arch9wavefront6targetE0EEEvT1_
                                        ; -- End function
	.section	.AMDGPU.csdata,"",@progbits
; Kernel info:
; codeLenInByte = 0
; NumSgprs: 0
; NumVgprs: 0
; ScratchSize: 0
; MemoryBound: 0
; FloatMode: 240
; IeeeMode: 1
; LDSByteSize: 0 bytes/workgroup (compile time only)
; SGPRBlocks: 0
; VGPRBlocks: 0
; NumSGPRsForWavesPerEU: 1
; NumVGPRsForWavesPerEU: 1
; Occupancy: 16
; WaveLimiterHint : 0
; COMPUTE_PGM_RSRC2:SCRATCH_EN: 0
; COMPUTE_PGM_RSRC2:USER_SGPR: 15
; COMPUTE_PGM_RSRC2:TRAP_HANDLER: 0
; COMPUTE_PGM_RSRC2:TGID_X_EN: 1
; COMPUTE_PGM_RSRC2:TGID_Y_EN: 0
; COMPUTE_PGM_RSRC2:TGID_Z_EN: 0
; COMPUTE_PGM_RSRC2:TIDIG_COMP_CNT: 0
	.section	.text._ZN7rocprim17ROCPRIM_400000_NS6detail17trampoline_kernelINS0_14default_configENS1_25partition_config_selectorILNS1_17partition_subalgoE9EtjbEEZZNS1_14partition_implILS5_9ELb0ES3_jN6thrust23THRUST_200600_302600_NS6detail15normal_iteratorINS9_10device_ptrItEEEENSB_INSC_IjEEEEPNS0_10empty_typeENS0_5tupleIJSE_SH_EEENSJ_IJSG_SI_EEENS0_18inequality_wrapperINS9_8equal_toItEEEEPmJSH_EEE10hipError_tPvRmT3_T4_T5_T6_T7_T9_mT8_P12ihipStream_tbDpT10_ENKUlT_T0_E_clISt17integral_constantIbLb0EES1A_EEDaS15_S16_EUlS15_E_NS1_11comp_targetILNS1_3genE2ELNS1_11target_archE906ELNS1_3gpuE6ELNS1_3repE0EEENS1_30default_config_static_selectorELNS0_4arch9wavefront6targetE0EEEvT1_,"axG",@progbits,_ZN7rocprim17ROCPRIM_400000_NS6detail17trampoline_kernelINS0_14default_configENS1_25partition_config_selectorILNS1_17partition_subalgoE9EtjbEEZZNS1_14partition_implILS5_9ELb0ES3_jN6thrust23THRUST_200600_302600_NS6detail15normal_iteratorINS9_10device_ptrItEEEENSB_INSC_IjEEEEPNS0_10empty_typeENS0_5tupleIJSE_SH_EEENSJ_IJSG_SI_EEENS0_18inequality_wrapperINS9_8equal_toItEEEEPmJSH_EEE10hipError_tPvRmT3_T4_T5_T6_T7_T9_mT8_P12ihipStream_tbDpT10_ENKUlT_T0_E_clISt17integral_constantIbLb0EES1A_EEDaS15_S16_EUlS15_E_NS1_11comp_targetILNS1_3genE2ELNS1_11target_archE906ELNS1_3gpuE6ELNS1_3repE0EEENS1_30default_config_static_selectorELNS0_4arch9wavefront6targetE0EEEvT1_,comdat
	.protected	_ZN7rocprim17ROCPRIM_400000_NS6detail17trampoline_kernelINS0_14default_configENS1_25partition_config_selectorILNS1_17partition_subalgoE9EtjbEEZZNS1_14partition_implILS5_9ELb0ES3_jN6thrust23THRUST_200600_302600_NS6detail15normal_iteratorINS9_10device_ptrItEEEENSB_INSC_IjEEEEPNS0_10empty_typeENS0_5tupleIJSE_SH_EEENSJ_IJSG_SI_EEENS0_18inequality_wrapperINS9_8equal_toItEEEEPmJSH_EEE10hipError_tPvRmT3_T4_T5_T6_T7_T9_mT8_P12ihipStream_tbDpT10_ENKUlT_T0_E_clISt17integral_constantIbLb0EES1A_EEDaS15_S16_EUlS15_E_NS1_11comp_targetILNS1_3genE2ELNS1_11target_archE906ELNS1_3gpuE6ELNS1_3repE0EEENS1_30default_config_static_selectorELNS0_4arch9wavefront6targetE0EEEvT1_ ; -- Begin function _ZN7rocprim17ROCPRIM_400000_NS6detail17trampoline_kernelINS0_14default_configENS1_25partition_config_selectorILNS1_17partition_subalgoE9EtjbEEZZNS1_14partition_implILS5_9ELb0ES3_jN6thrust23THRUST_200600_302600_NS6detail15normal_iteratorINS9_10device_ptrItEEEENSB_INSC_IjEEEEPNS0_10empty_typeENS0_5tupleIJSE_SH_EEENSJ_IJSG_SI_EEENS0_18inequality_wrapperINS9_8equal_toItEEEEPmJSH_EEE10hipError_tPvRmT3_T4_T5_T6_T7_T9_mT8_P12ihipStream_tbDpT10_ENKUlT_T0_E_clISt17integral_constantIbLb0EES1A_EEDaS15_S16_EUlS15_E_NS1_11comp_targetILNS1_3genE2ELNS1_11target_archE906ELNS1_3gpuE6ELNS1_3repE0EEENS1_30default_config_static_selectorELNS0_4arch9wavefront6targetE0EEEvT1_
	.globl	_ZN7rocprim17ROCPRIM_400000_NS6detail17trampoline_kernelINS0_14default_configENS1_25partition_config_selectorILNS1_17partition_subalgoE9EtjbEEZZNS1_14partition_implILS5_9ELb0ES3_jN6thrust23THRUST_200600_302600_NS6detail15normal_iteratorINS9_10device_ptrItEEEENSB_INSC_IjEEEEPNS0_10empty_typeENS0_5tupleIJSE_SH_EEENSJ_IJSG_SI_EEENS0_18inequality_wrapperINS9_8equal_toItEEEEPmJSH_EEE10hipError_tPvRmT3_T4_T5_T6_T7_T9_mT8_P12ihipStream_tbDpT10_ENKUlT_T0_E_clISt17integral_constantIbLb0EES1A_EEDaS15_S16_EUlS15_E_NS1_11comp_targetILNS1_3genE2ELNS1_11target_archE906ELNS1_3gpuE6ELNS1_3repE0EEENS1_30default_config_static_selectorELNS0_4arch9wavefront6targetE0EEEvT1_
	.p2align	8
	.type	_ZN7rocprim17ROCPRIM_400000_NS6detail17trampoline_kernelINS0_14default_configENS1_25partition_config_selectorILNS1_17partition_subalgoE9EtjbEEZZNS1_14partition_implILS5_9ELb0ES3_jN6thrust23THRUST_200600_302600_NS6detail15normal_iteratorINS9_10device_ptrItEEEENSB_INSC_IjEEEEPNS0_10empty_typeENS0_5tupleIJSE_SH_EEENSJ_IJSG_SI_EEENS0_18inequality_wrapperINS9_8equal_toItEEEEPmJSH_EEE10hipError_tPvRmT3_T4_T5_T6_T7_T9_mT8_P12ihipStream_tbDpT10_ENKUlT_T0_E_clISt17integral_constantIbLb0EES1A_EEDaS15_S16_EUlS15_E_NS1_11comp_targetILNS1_3genE2ELNS1_11target_archE906ELNS1_3gpuE6ELNS1_3repE0EEENS1_30default_config_static_selectorELNS0_4arch9wavefront6targetE0EEEvT1_,@function
_ZN7rocprim17ROCPRIM_400000_NS6detail17trampoline_kernelINS0_14default_configENS1_25partition_config_selectorILNS1_17partition_subalgoE9EtjbEEZZNS1_14partition_implILS5_9ELb0ES3_jN6thrust23THRUST_200600_302600_NS6detail15normal_iteratorINS9_10device_ptrItEEEENSB_INSC_IjEEEEPNS0_10empty_typeENS0_5tupleIJSE_SH_EEENSJ_IJSG_SI_EEENS0_18inequality_wrapperINS9_8equal_toItEEEEPmJSH_EEE10hipError_tPvRmT3_T4_T5_T6_T7_T9_mT8_P12ihipStream_tbDpT10_ENKUlT_T0_E_clISt17integral_constantIbLb0EES1A_EEDaS15_S16_EUlS15_E_NS1_11comp_targetILNS1_3genE2ELNS1_11target_archE906ELNS1_3gpuE6ELNS1_3repE0EEENS1_30default_config_static_selectorELNS0_4arch9wavefront6targetE0EEEvT1_: ; @_ZN7rocprim17ROCPRIM_400000_NS6detail17trampoline_kernelINS0_14default_configENS1_25partition_config_selectorILNS1_17partition_subalgoE9EtjbEEZZNS1_14partition_implILS5_9ELb0ES3_jN6thrust23THRUST_200600_302600_NS6detail15normal_iteratorINS9_10device_ptrItEEEENSB_INSC_IjEEEEPNS0_10empty_typeENS0_5tupleIJSE_SH_EEENSJ_IJSG_SI_EEENS0_18inequality_wrapperINS9_8equal_toItEEEEPmJSH_EEE10hipError_tPvRmT3_T4_T5_T6_T7_T9_mT8_P12ihipStream_tbDpT10_ENKUlT_T0_E_clISt17integral_constantIbLb0EES1A_EEDaS15_S16_EUlS15_E_NS1_11comp_targetILNS1_3genE2ELNS1_11target_archE906ELNS1_3gpuE6ELNS1_3repE0EEENS1_30default_config_static_selectorELNS0_4arch9wavefront6targetE0EEEvT1_
; %bb.0:
	.section	.rodata,"a",@progbits
	.p2align	6, 0x0
	.amdhsa_kernel _ZN7rocprim17ROCPRIM_400000_NS6detail17trampoline_kernelINS0_14default_configENS1_25partition_config_selectorILNS1_17partition_subalgoE9EtjbEEZZNS1_14partition_implILS5_9ELb0ES3_jN6thrust23THRUST_200600_302600_NS6detail15normal_iteratorINS9_10device_ptrItEEEENSB_INSC_IjEEEEPNS0_10empty_typeENS0_5tupleIJSE_SH_EEENSJ_IJSG_SI_EEENS0_18inequality_wrapperINS9_8equal_toItEEEEPmJSH_EEE10hipError_tPvRmT3_T4_T5_T6_T7_T9_mT8_P12ihipStream_tbDpT10_ENKUlT_T0_E_clISt17integral_constantIbLb0EES1A_EEDaS15_S16_EUlS15_E_NS1_11comp_targetILNS1_3genE2ELNS1_11target_archE906ELNS1_3gpuE6ELNS1_3repE0EEENS1_30default_config_static_selectorELNS0_4arch9wavefront6targetE0EEEvT1_
		.amdhsa_group_segment_fixed_size 0
		.amdhsa_private_segment_fixed_size 0
		.amdhsa_kernarg_size 112
		.amdhsa_user_sgpr_count 15
		.amdhsa_user_sgpr_dispatch_ptr 0
		.amdhsa_user_sgpr_queue_ptr 0
		.amdhsa_user_sgpr_kernarg_segment_ptr 1
		.amdhsa_user_sgpr_dispatch_id 0
		.amdhsa_user_sgpr_private_segment_size 0
		.amdhsa_wavefront_size32 1
		.amdhsa_uses_dynamic_stack 0
		.amdhsa_enable_private_segment 0
		.amdhsa_system_sgpr_workgroup_id_x 1
		.amdhsa_system_sgpr_workgroup_id_y 0
		.amdhsa_system_sgpr_workgroup_id_z 0
		.amdhsa_system_sgpr_workgroup_info 0
		.amdhsa_system_vgpr_workitem_id 0
		.amdhsa_next_free_vgpr 1
		.amdhsa_next_free_sgpr 1
		.amdhsa_reserve_vcc 0
		.amdhsa_float_round_mode_32 0
		.amdhsa_float_round_mode_16_64 0
		.amdhsa_float_denorm_mode_32 3
		.amdhsa_float_denorm_mode_16_64 3
		.amdhsa_dx10_clamp 1
		.amdhsa_ieee_mode 1
		.amdhsa_fp16_overflow 0
		.amdhsa_workgroup_processor_mode 1
		.amdhsa_memory_ordered 1
		.amdhsa_forward_progress 0
		.amdhsa_shared_vgpr_count 0
		.amdhsa_exception_fp_ieee_invalid_op 0
		.amdhsa_exception_fp_denorm_src 0
		.amdhsa_exception_fp_ieee_div_zero 0
		.amdhsa_exception_fp_ieee_overflow 0
		.amdhsa_exception_fp_ieee_underflow 0
		.amdhsa_exception_fp_ieee_inexact 0
		.amdhsa_exception_int_div_zero 0
	.end_amdhsa_kernel
	.section	.text._ZN7rocprim17ROCPRIM_400000_NS6detail17trampoline_kernelINS0_14default_configENS1_25partition_config_selectorILNS1_17partition_subalgoE9EtjbEEZZNS1_14partition_implILS5_9ELb0ES3_jN6thrust23THRUST_200600_302600_NS6detail15normal_iteratorINS9_10device_ptrItEEEENSB_INSC_IjEEEEPNS0_10empty_typeENS0_5tupleIJSE_SH_EEENSJ_IJSG_SI_EEENS0_18inequality_wrapperINS9_8equal_toItEEEEPmJSH_EEE10hipError_tPvRmT3_T4_T5_T6_T7_T9_mT8_P12ihipStream_tbDpT10_ENKUlT_T0_E_clISt17integral_constantIbLb0EES1A_EEDaS15_S16_EUlS15_E_NS1_11comp_targetILNS1_3genE2ELNS1_11target_archE906ELNS1_3gpuE6ELNS1_3repE0EEENS1_30default_config_static_selectorELNS0_4arch9wavefront6targetE0EEEvT1_,"axG",@progbits,_ZN7rocprim17ROCPRIM_400000_NS6detail17trampoline_kernelINS0_14default_configENS1_25partition_config_selectorILNS1_17partition_subalgoE9EtjbEEZZNS1_14partition_implILS5_9ELb0ES3_jN6thrust23THRUST_200600_302600_NS6detail15normal_iteratorINS9_10device_ptrItEEEENSB_INSC_IjEEEEPNS0_10empty_typeENS0_5tupleIJSE_SH_EEENSJ_IJSG_SI_EEENS0_18inequality_wrapperINS9_8equal_toItEEEEPmJSH_EEE10hipError_tPvRmT3_T4_T5_T6_T7_T9_mT8_P12ihipStream_tbDpT10_ENKUlT_T0_E_clISt17integral_constantIbLb0EES1A_EEDaS15_S16_EUlS15_E_NS1_11comp_targetILNS1_3genE2ELNS1_11target_archE906ELNS1_3gpuE6ELNS1_3repE0EEENS1_30default_config_static_selectorELNS0_4arch9wavefront6targetE0EEEvT1_,comdat
.Lfunc_end569:
	.size	_ZN7rocprim17ROCPRIM_400000_NS6detail17trampoline_kernelINS0_14default_configENS1_25partition_config_selectorILNS1_17partition_subalgoE9EtjbEEZZNS1_14partition_implILS5_9ELb0ES3_jN6thrust23THRUST_200600_302600_NS6detail15normal_iteratorINS9_10device_ptrItEEEENSB_INSC_IjEEEEPNS0_10empty_typeENS0_5tupleIJSE_SH_EEENSJ_IJSG_SI_EEENS0_18inequality_wrapperINS9_8equal_toItEEEEPmJSH_EEE10hipError_tPvRmT3_T4_T5_T6_T7_T9_mT8_P12ihipStream_tbDpT10_ENKUlT_T0_E_clISt17integral_constantIbLb0EES1A_EEDaS15_S16_EUlS15_E_NS1_11comp_targetILNS1_3genE2ELNS1_11target_archE906ELNS1_3gpuE6ELNS1_3repE0EEENS1_30default_config_static_selectorELNS0_4arch9wavefront6targetE0EEEvT1_, .Lfunc_end569-_ZN7rocprim17ROCPRIM_400000_NS6detail17trampoline_kernelINS0_14default_configENS1_25partition_config_selectorILNS1_17partition_subalgoE9EtjbEEZZNS1_14partition_implILS5_9ELb0ES3_jN6thrust23THRUST_200600_302600_NS6detail15normal_iteratorINS9_10device_ptrItEEEENSB_INSC_IjEEEEPNS0_10empty_typeENS0_5tupleIJSE_SH_EEENSJ_IJSG_SI_EEENS0_18inequality_wrapperINS9_8equal_toItEEEEPmJSH_EEE10hipError_tPvRmT3_T4_T5_T6_T7_T9_mT8_P12ihipStream_tbDpT10_ENKUlT_T0_E_clISt17integral_constantIbLb0EES1A_EEDaS15_S16_EUlS15_E_NS1_11comp_targetILNS1_3genE2ELNS1_11target_archE906ELNS1_3gpuE6ELNS1_3repE0EEENS1_30default_config_static_selectorELNS0_4arch9wavefront6targetE0EEEvT1_
                                        ; -- End function
	.section	.AMDGPU.csdata,"",@progbits
; Kernel info:
; codeLenInByte = 0
; NumSgprs: 0
; NumVgprs: 0
; ScratchSize: 0
; MemoryBound: 0
; FloatMode: 240
; IeeeMode: 1
; LDSByteSize: 0 bytes/workgroup (compile time only)
; SGPRBlocks: 0
; VGPRBlocks: 0
; NumSGPRsForWavesPerEU: 1
; NumVGPRsForWavesPerEU: 1
; Occupancy: 16
; WaveLimiterHint : 0
; COMPUTE_PGM_RSRC2:SCRATCH_EN: 0
; COMPUTE_PGM_RSRC2:USER_SGPR: 15
; COMPUTE_PGM_RSRC2:TRAP_HANDLER: 0
; COMPUTE_PGM_RSRC2:TGID_X_EN: 1
; COMPUTE_PGM_RSRC2:TGID_Y_EN: 0
; COMPUTE_PGM_RSRC2:TGID_Z_EN: 0
; COMPUTE_PGM_RSRC2:TIDIG_COMP_CNT: 0
	.section	.text._ZN7rocprim17ROCPRIM_400000_NS6detail17trampoline_kernelINS0_14default_configENS1_25partition_config_selectorILNS1_17partition_subalgoE9EtjbEEZZNS1_14partition_implILS5_9ELb0ES3_jN6thrust23THRUST_200600_302600_NS6detail15normal_iteratorINS9_10device_ptrItEEEENSB_INSC_IjEEEEPNS0_10empty_typeENS0_5tupleIJSE_SH_EEENSJ_IJSG_SI_EEENS0_18inequality_wrapperINS9_8equal_toItEEEEPmJSH_EEE10hipError_tPvRmT3_T4_T5_T6_T7_T9_mT8_P12ihipStream_tbDpT10_ENKUlT_T0_E_clISt17integral_constantIbLb0EES1A_EEDaS15_S16_EUlS15_E_NS1_11comp_targetILNS1_3genE10ELNS1_11target_archE1200ELNS1_3gpuE4ELNS1_3repE0EEENS1_30default_config_static_selectorELNS0_4arch9wavefront6targetE0EEEvT1_,"axG",@progbits,_ZN7rocprim17ROCPRIM_400000_NS6detail17trampoline_kernelINS0_14default_configENS1_25partition_config_selectorILNS1_17partition_subalgoE9EtjbEEZZNS1_14partition_implILS5_9ELb0ES3_jN6thrust23THRUST_200600_302600_NS6detail15normal_iteratorINS9_10device_ptrItEEEENSB_INSC_IjEEEEPNS0_10empty_typeENS0_5tupleIJSE_SH_EEENSJ_IJSG_SI_EEENS0_18inequality_wrapperINS9_8equal_toItEEEEPmJSH_EEE10hipError_tPvRmT3_T4_T5_T6_T7_T9_mT8_P12ihipStream_tbDpT10_ENKUlT_T0_E_clISt17integral_constantIbLb0EES1A_EEDaS15_S16_EUlS15_E_NS1_11comp_targetILNS1_3genE10ELNS1_11target_archE1200ELNS1_3gpuE4ELNS1_3repE0EEENS1_30default_config_static_selectorELNS0_4arch9wavefront6targetE0EEEvT1_,comdat
	.protected	_ZN7rocprim17ROCPRIM_400000_NS6detail17trampoline_kernelINS0_14default_configENS1_25partition_config_selectorILNS1_17partition_subalgoE9EtjbEEZZNS1_14partition_implILS5_9ELb0ES3_jN6thrust23THRUST_200600_302600_NS6detail15normal_iteratorINS9_10device_ptrItEEEENSB_INSC_IjEEEEPNS0_10empty_typeENS0_5tupleIJSE_SH_EEENSJ_IJSG_SI_EEENS0_18inequality_wrapperINS9_8equal_toItEEEEPmJSH_EEE10hipError_tPvRmT3_T4_T5_T6_T7_T9_mT8_P12ihipStream_tbDpT10_ENKUlT_T0_E_clISt17integral_constantIbLb0EES1A_EEDaS15_S16_EUlS15_E_NS1_11comp_targetILNS1_3genE10ELNS1_11target_archE1200ELNS1_3gpuE4ELNS1_3repE0EEENS1_30default_config_static_selectorELNS0_4arch9wavefront6targetE0EEEvT1_ ; -- Begin function _ZN7rocprim17ROCPRIM_400000_NS6detail17trampoline_kernelINS0_14default_configENS1_25partition_config_selectorILNS1_17partition_subalgoE9EtjbEEZZNS1_14partition_implILS5_9ELb0ES3_jN6thrust23THRUST_200600_302600_NS6detail15normal_iteratorINS9_10device_ptrItEEEENSB_INSC_IjEEEEPNS0_10empty_typeENS0_5tupleIJSE_SH_EEENSJ_IJSG_SI_EEENS0_18inequality_wrapperINS9_8equal_toItEEEEPmJSH_EEE10hipError_tPvRmT3_T4_T5_T6_T7_T9_mT8_P12ihipStream_tbDpT10_ENKUlT_T0_E_clISt17integral_constantIbLb0EES1A_EEDaS15_S16_EUlS15_E_NS1_11comp_targetILNS1_3genE10ELNS1_11target_archE1200ELNS1_3gpuE4ELNS1_3repE0EEENS1_30default_config_static_selectorELNS0_4arch9wavefront6targetE0EEEvT1_
	.globl	_ZN7rocprim17ROCPRIM_400000_NS6detail17trampoline_kernelINS0_14default_configENS1_25partition_config_selectorILNS1_17partition_subalgoE9EtjbEEZZNS1_14partition_implILS5_9ELb0ES3_jN6thrust23THRUST_200600_302600_NS6detail15normal_iteratorINS9_10device_ptrItEEEENSB_INSC_IjEEEEPNS0_10empty_typeENS0_5tupleIJSE_SH_EEENSJ_IJSG_SI_EEENS0_18inequality_wrapperINS9_8equal_toItEEEEPmJSH_EEE10hipError_tPvRmT3_T4_T5_T6_T7_T9_mT8_P12ihipStream_tbDpT10_ENKUlT_T0_E_clISt17integral_constantIbLb0EES1A_EEDaS15_S16_EUlS15_E_NS1_11comp_targetILNS1_3genE10ELNS1_11target_archE1200ELNS1_3gpuE4ELNS1_3repE0EEENS1_30default_config_static_selectorELNS0_4arch9wavefront6targetE0EEEvT1_
	.p2align	8
	.type	_ZN7rocprim17ROCPRIM_400000_NS6detail17trampoline_kernelINS0_14default_configENS1_25partition_config_selectorILNS1_17partition_subalgoE9EtjbEEZZNS1_14partition_implILS5_9ELb0ES3_jN6thrust23THRUST_200600_302600_NS6detail15normal_iteratorINS9_10device_ptrItEEEENSB_INSC_IjEEEEPNS0_10empty_typeENS0_5tupleIJSE_SH_EEENSJ_IJSG_SI_EEENS0_18inequality_wrapperINS9_8equal_toItEEEEPmJSH_EEE10hipError_tPvRmT3_T4_T5_T6_T7_T9_mT8_P12ihipStream_tbDpT10_ENKUlT_T0_E_clISt17integral_constantIbLb0EES1A_EEDaS15_S16_EUlS15_E_NS1_11comp_targetILNS1_3genE10ELNS1_11target_archE1200ELNS1_3gpuE4ELNS1_3repE0EEENS1_30default_config_static_selectorELNS0_4arch9wavefront6targetE0EEEvT1_,@function
_ZN7rocprim17ROCPRIM_400000_NS6detail17trampoline_kernelINS0_14default_configENS1_25partition_config_selectorILNS1_17partition_subalgoE9EtjbEEZZNS1_14partition_implILS5_9ELb0ES3_jN6thrust23THRUST_200600_302600_NS6detail15normal_iteratorINS9_10device_ptrItEEEENSB_INSC_IjEEEEPNS0_10empty_typeENS0_5tupleIJSE_SH_EEENSJ_IJSG_SI_EEENS0_18inequality_wrapperINS9_8equal_toItEEEEPmJSH_EEE10hipError_tPvRmT3_T4_T5_T6_T7_T9_mT8_P12ihipStream_tbDpT10_ENKUlT_T0_E_clISt17integral_constantIbLb0EES1A_EEDaS15_S16_EUlS15_E_NS1_11comp_targetILNS1_3genE10ELNS1_11target_archE1200ELNS1_3gpuE4ELNS1_3repE0EEENS1_30default_config_static_selectorELNS0_4arch9wavefront6targetE0EEEvT1_: ; @_ZN7rocprim17ROCPRIM_400000_NS6detail17trampoline_kernelINS0_14default_configENS1_25partition_config_selectorILNS1_17partition_subalgoE9EtjbEEZZNS1_14partition_implILS5_9ELb0ES3_jN6thrust23THRUST_200600_302600_NS6detail15normal_iteratorINS9_10device_ptrItEEEENSB_INSC_IjEEEEPNS0_10empty_typeENS0_5tupleIJSE_SH_EEENSJ_IJSG_SI_EEENS0_18inequality_wrapperINS9_8equal_toItEEEEPmJSH_EEE10hipError_tPvRmT3_T4_T5_T6_T7_T9_mT8_P12ihipStream_tbDpT10_ENKUlT_T0_E_clISt17integral_constantIbLb0EES1A_EEDaS15_S16_EUlS15_E_NS1_11comp_targetILNS1_3genE10ELNS1_11target_archE1200ELNS1_3gpuE4ELNS1_3repE0EEENS1_30default_config_static_selectorELNS0_4arch9wavefront6targetE0EEEvT1_
; %bb.0:
	.section	.rodata,"a",@progbits
	.p2align	6, 0x0
	.amdhsa_kernel _ZN7rocprim17ROCPRIM_400000_NS6detail17trampoline_kernelINS0_14default_configENS1_25partition_config_selectorILNS1_17partition_subalgoE9EtjbEEZZNS1_14partition_implILS5_9ELb0ES3_jN6thrust23THRUST_200600_302600_NS6detail15normal_iteratorINS9_10device_ptrItEEEENSB_INSC_IjEEEEPNS0_10empty_typeENS0_5tupleIJSE_SH_EEENSJ_IJSG_SI_EEENS0_18inequality_wrapperINS9_8equal_toItEEEEPmJSH_EEE10hipError_tPvRmT3_T4_T5_T6_T7_T9_mT8_P12ihipStream_tbDpT10_ENKUlT_T0_E_clISt17integral_constantIbLb0EES1A_EEDaS15_S16_EUlS15_E_NS1_11comp_targetILNS1_3genE10ELNS1_11target_archE1200ELNS1_3gpuE4ELNS1_3repE0EEENS1_30default_config_static_selectorELNS0_4arch9wavefront6targetE0EEEvT1_
		.amdhsa_group_segment_fixed_size 0
		.amdhsa_private_segment_fixed_size 0
		.amdhsa_kernarg_size 112
		.amdhsa_user_sgpr_count 15
		.amdhsa_user_sgpr_dispatch_ptr 0
		.amdhsa_user_sgpr_queue_ptr 0
		.amdhsa_user_sgpr_kernarg_segment_ptr 1
		.amdhsa_user_sgpr_dispatch_id 0
		.amdhsa_user_sgpr_private_segment_size 0
		.amdhsa_wavefront_size32 1
		.amdhsa_uses_dynamic_stack 0
		.amdhsa_enable_private_segment 0
		.amdhsa_system_sgpr_workgroup_id_x 1
		.amdhsa_system_sgpr_workgroup_id_y 0
		.amdhsa_system_sgpr_workgroup_id_z 0
		.amdhsa_system_sgpr_workgroup_info 0
		.amdhsa_system_vgpr_workitem_id 0
		.amdhsa_next_free_vgpr 1
		.amdhsa_next_free_sgpr 1
		.amdhsa_reserve_vcc 0
		.amdhsa_float_round_mode_32 0
		.amdhsa_float_round_mode_16_64 0
		.amdhsa_float_denorm_mode_32 3
		.amdhsa_float_denorm_mode_16_64 3
		.amdhsa_dx10_clamp 1
		.amdhsa_ieee_mode 1
		.amdhsa_fp16_overflow 0
		.amdhsa_workgroup_processor_mode 1
		.amdhsa_memory_ordered 1
		.amdhsa_forward_progress 0
		.amdhsa_shared_vgpr_count 0
		.amdhsa_exception_fp_ieee_invalid_op 0
		.amdhsa_exception_fp_denorm_src 0
		.amdhsa_exception_fp_ieee_div_zero 0
		.amdhsa_exception_fp_ieee_overflow 0
		.amdhsa_exception_fp_ieee_underflow 0
		.amdhsa_exception_fp_ieee_inexact 0
		.amdhsa_exception_int_div_zero 0
	.end_amdhsa_kernel
	.section	.text._ZN7rocprim17ROCPRIM_400000_NS6detail17trampoline_kernelINS0_14default_configENS1_25partition_config_selectorILNS1_17partition_subalgoE9EtjbEEZZNS1_14partition_implILS5_9ELb0ES3_jN6thrust23THRUST_200600_302600_NS6detail15normal_iteratorINS9_10device_ptrItEEEENSB_INSC_IjEEEEPNS0_10empty_typeENS0_5tupleIJSE_SH_EEENSJ_IJSG_SI_EEENS0_18inequality_wrapperINS9_8equal_toItEEEEPmJSH_EEE10hipError_tPvRmT3_T4_T5_T6_T7_T9_mT8_P12ihipStream_tbDpT10_ENKUlT_T0_E_clISt17integral_constantIbLb0EES1A_EEDaS15_S16_EUlS15_E_NS1_11comp_targetILNS1_3genE10ELNS1_11target_archE1200ELNS1_3gpuE4ELNS1_3repE0EEENS1_30default_config_static_selectorELNS0_4arch9wavefront6targetE0EEEvT1_,"axG",@progbits,_ZN7rocprim17ROCPRIM_400000_NS6detail17trampoline_kernelINS0_14default_configENS1_25partition_config_selectorILNS1_17partition_subalgoE9EtjbEEZZNS1_14partition_implILS5_9ELb0ES3_jN6thrust23THRUST_200600_302600_NS6detail15normal_iteratorINS9_10device_ptrItEEEENSB_INSC_IjEEEEPNS0_10empty_typeENS0_5tupleIJSE_SH_EEENSJ_IJSG_SI_EEENS0_18inequality_wrapperINS9_8equal_toItEEEEPmJSH_EEE10hipError_tPvRmT3_T4_T5_T6_T7_T9_mT8_P12ihipStream_tbDpT10_ENKUlT_T0_E_clISt17integral_constantIbLb0EES1A_EEDaS15_S16_EUlS15_E_NS1_11comp_targetILNS1_3genE10ELNS1_11target_archE1200ELNS1_3gpuE4ELNS1_3repE0EEENS1_30default_config_static_selectorELNS0_4arch9wavefront6targetE0EEEvT1_,comdat
.Lfunc_end570:
	.size	_ZN7rocprim17ROCPRIM_400000_NS6detail17trampoline_kernelINS0_14default_configENS1_25partition_config_selectorILNS1_17partition_subalgoE9EtjbEEZZNS1_14partition_implILS5_9ELb0ES3_jN6thrust23THRUST_200600_302600_NS6detail15normal_iteratorINS9_10device_ptrItEEEENSB_INSC_IjEEEEPNS0_10empty_typeENS0_5tupleIJSE_SH_EEENSJ_IJSG_SI_EEENS0_18inequality_wrapperINS9_8equal_toItEEEEPmJSH_EEE10hipError_tPvRmT3_T4_T5_T6_T7_T9_mT8_P12ihipStream_tbDpT10_ENKUlT_T0_E_clISt17integral_constantIbLb0EES1A_EEDaS15_S16_EUlS15_E_NS1_11comp_targetILNS1_3genE10ELNS1_11target_archE1200ELNS1_3gpuE4ELNS1_3repE0EEENS1_30default_config_static_selectorELNS0_4arch9wavefront6targetE0EEEvT1_, .Lfunc_end570-_ZN7rocprim17ROCPRIM_400000_NS6detail17trampoline_kernelINS0_14default_configENS1_25partition_config_selectorILNS1_17partition_subalgoE9EtjbEEZZNS1_14partition_implILS5_9ELb0ES3_jN6thrust23THRUST_200600_302600_NS6detail15normal_iteratorINS9_10device_ptrItEEEENSB_INSC_IjEEEEPNS0_10empty_typeENS0_5tupleIJSE_SH_EEENSJ_IJSG_SI_EEENS0_18inequality_wrapperINS9_8equal_toItEEEEPmJSH_EEE10hipError_tPvRmT3_T4_T5_T6_T7_T9_mT8_P12ihipStream_tbDpT10_ENKUlT_T0_E_clISt17integral_constantIbLb0EES1A_EEDaS15_S16_EUlS15_E_NS1_11comp_targetILNS1_3genE10ELNS1_11target_archE1200ELNS1_3gpuE4ELNS1_3repE0EEENS1_30default_config_static_selectorELNS0_4arch9wavefront6targetE0EEEvT1_
                                        ; -- End function
	.section	.AMDGPU.csdata,"",@progbits
; Kernel info:
; codeLenInByte = 0
; NumSgprs: 0
; NumVgprs: 0
; ScratchSize: 0
; MemoryBound: 0
; FloatMode: 240
; IeeeMode: 1
; LDSByteSize: 0 bytes/workgroup (compile time only)
; SGPRBlocks: 0
; VGPRBlocks: 0
; NumSGPRsForWavesPerEU: 1
; NumVGPRsForWavesPerEU: 1
; Occupancy: 16
; WaveLimiterHint : 0
; COMPUTE_PGM_RSRC2:SCRATCH_EN: 0
; COMPUTE_PGM_RSRC2:USER_SGPR: 15
; COMPUTE_PGM_RSRC2:TRAP_HANDLER: 0
; COMPUTE_PGM_RSRC2:TGID_X_EN: 1
; COMPUTE_PGM_RSRC2:TGID_Y_EN: 0
; COMPUTE_PGM_RSRC2:TGID_Z_EN: 0
; COMPUTE_PGM_RSRC2:TIDIG_COMP_CNT: 0
	.section	.text._ZN7rocprim17ROCPRIM_400000_NS6detail17trampoline_kernelINS0_14default_configENS1_25partition_config_selectorILNS1_17partition_subalgoE9EtjbEEZZNS1_14partition_implILS5_9ELb0ES3_jN6thrust23THRUST_200600_302600_NS6detail15normal_iteratorINS9_10device_ptrItEEEENSB_INSC_IjEEEEPNS0_10empty_typeENS0_5tupleIJSE_SH_EEENSJ_IJSG_SI_EEENS0_18inequality_wrapperINS9_8equal_toItEEEEPmJSH_EEE10hipError_tPvRmT3_T4_T5_T6_T7_T9_mT8_P12ihipStream_tbDpT10_ENKUlT_T0_E_clISt17integral_constantIbLb0EES1A_EEDaS15_S16_EUlS15_E_NS1_11comp_targetILNS1_3genE9ELNS1_11target_archE1100ELNS1_3gpuE3ELNS1_3repE0EEENS1_30default_config_static_selectorELNS0_4arch9wavefront6targetE0EEEvT1_,"axG",@progbits,_ZN7rocprim17ROCPRIM_400000_NS6detail17trampoline_kernelINS0_14default_configENS1_25partition_config_selectorILNS1_17partition_subalgoE9EtjbEEZZNS1_14partition_implILS5_9ELb0ES3_jN6thrust23THRUST_200600_302600_NS6detail15normal_iteratorINS9_10device_ptrItEEEENSB_INSC_IjEEEEPNS0_10empty_typeENS0_5tupleIJSE_SH_EEENSJ_IJSG_SI_EEENS0_18inequality_wrapperINS9_8equal_toItEEEEPmJSH_EEE10hipError_tPvRmT3_T4_T5_T6_T7_T9_mT8_P12ihipStream_tbDpT10_ENKUlT_T0_E_clISt17integral_constantIbLb0EES1A_EEDaS15_S16_EUlS15_E_NS1_11comp_targetILNS1_3genE9ELNS1_11target_archE1100ELNS1_3gpuE3ELNS1_3repE0EEENS1_30default_config_static_selectorELNS0_4arch9wavefront6targetE0EEEvT1_,comdat
	.protected	_ZN7rocprim17ROCPRIM_400000_NS6detail17trampoline_kernelINS0_14default_configENS1_25partition_config_selectorILNS1_17partition_subalgoE9EtjbEEZZNS1_14partition_implILS5_9ELb0ES3_jN6thrust23THRUST_200600_302600_NS6detail15normal_iteratorINS9_10device_ptrItEEEENSB_INSC_IjEEEEPNS0_10empty_typeENS0_5tupleIJSE_SH_EEENSJ_IJSG_SI_EEENS0_18inequality_wrapperINS9_8equal_toItEEEEPmJSH_EEE10hipError_tPvRmT3_T4_T5_T6_T7_T9_mT8_P12ihipStream_tbDpT10_ENKUlT_T0_E_clISt17integral_constantIbLb0EES1A_EEDaS15_S16_EUlS15_E_NS1_11comp_targetILNS1_3genE9ELNS1_11target_archE1100ELNS1_3gpuE3ELNS1_3repE0EEENS1_30default_config_static_selectorELNS0_4arch9wavefront6targetE0EEEvT1_ ; -- Begin function _ZN7rocprim17ROCPRIM_400000_NS6detail17trampoline_kernelINS0_14default_configENS1_25partition_config_selectorILNS1_17partition_subalgoE9EtjbEEZZNS1_14partition_implILS5_9ELb0ES3_jN6thrust23THRUST_200600_302600_NS6detail15normal_iteratorINS9_10device_ptrItEEEENSB_INSC_IjEEEEPNS0_10empty_typeENS0_5tupleIJSE_SH_EEENSJ_IJSG_SI_EEENS0_18inequality_wrapperINS9_8equal_toItEEEEPmJSH_EEE10hipError_tPvRmT3_T4_T5_T6_T7_T9_mT8_P12ihipStream_tbDpT10_ENKUlT_T0_E_clISt17integral_constantIbLb0EES1A_EEDaS15_S16_EUlS15_E_NS1_11comp_targetILNS1_3genE9ELNS1_11target_archE1100ELNS1_3gpuE3ELNS1_3repE0EEENS1_30default_config_static_selectorELNS0_4arch9wavefront6targetE0EEEvT1_
	.globl	_ZN7rocprim17ROCPRIM_400000_NS6detail17trampoline_kernelINS0_14default_configENS1_25partition_config_selectorILNS1_17partition_subalgoE9EtjbEEZZNS1_14partition_implILS5_9ELb0ES3_jN6thrust23THRUST_200600_302600_NS6detail15normal_iteratorINS9_10device_ptrItEEEENSB_INSC_IjEEEEPNS0_10empty_typeENS0_5tupleIJSE_SH_EEENSJ_IJSG_SI_EEENS0_18inequality_wrapperINS9_8equal_toItEEEEPmJSH_EEE10hipError_tPvRmT3_T4_T5_T6_T7_T9_mT8_P12ihipStream_tbDpT10_ENKUlT_T0_E_clISt17integral_constantIbLb0EES1A_EEDaS15_S16_EUlS15_E_NS1_11comp_targetILNS1_3genE9ELNS1_11target_archE1100ELNS1_3gpuE3ELNS1_3repE0EEENS1_30default_config_static_selectorELNS0_4arch9wavefront6targetE0EEEvT1_
	.p2align	8
	.type	_ZN7rocprim17ROCPRIM_400000_NS6detail17trampoline_kernelINS0_14default_configENS1_25partition_config_selectorILNS1_17partition_subalgoE9EtjbEEZZNS1_14partition_implILS5_9ELb0ES3_jN6thrust23THRUST_200600_302600_NS6detail15normal_iteratorINS9_10device_ptrItEEEENSB_INSC_IjEEEEPNS0_10empty_typeENS0_5tupleIJSE_SH_EEENSJ_IJSG_SI_EEENS0_18inequality_wrapperINS9_8equal_toItEEEEPmJSH_EEE10hipError_tPvRmT3_T4_T5_T6_T7_T9_mT8_P12ihipStream_tbDpT10_ENKUlT_T0_E_clISt17integral_constantIbLb0EES1A_EEDaS15_S16_EUlS15_E_NS1_11comp_targetILNS1_3genE9ELNS1_11target_archE1100ELNS1_3gpuE3ELNS1_3repE0EEENS1_30default_config_static_selectorELNS0_4arch9wavefront6targetE0EEEvT1_,@function
_ZN7rocprim17ROCPRIM_400000_NS6detail17trampoline_kernelINS0_14default_configENS1_25partition_config_selectorILNS1_17partition_subalgoE9EtjbEEZZNS1_14partition_implILS5_9ELb0ES3_jN6thrust23THRUST_200600_302600_NS6detail15normal_iteratorINS9_10device_ptrItEEEENSB_INSC_IjEEEEPNS0_10empty_typeENS0_5tupleIJSE_SH_EEENSJ_IJSG_SI_EEENS0_18inequality_wrapperINS9_8equal_toItEEEEPmJSH_EEE10hipError_tPvRmT3_T4_T5_T6_T7_T9_mT8_P12ihipStream_tbDpT10_ENKUlT_T0_E_clISt17integral_constantIbLb0EES1A_EEDaS15_S16_EUlS15_E_NS1_11comp_targetILNS1_3genE9ELNS1_11target_archE1100ELNS1_3gpuE3ELNS1_3repE0EEENS1_30default_config_static_selectorELNS0_4arch9wavefront6targetE0EEEvT1_: ; @_ZN7rocprim17ROCPRIM_400000_NS6detail17trampoline_kernelINS0_14default_configENS1_25partition_config_selectorILNS1_17partition_subalgoE9EtjbEEZZNS1_14partition_implILS5_9ELb0ES3_jN6thrust23THRUST_200600_302600_NS6detail15normal_iteratorINS9_10device_ptrItEEEENSB_INSC_IjEEEEPNS0_10empty_typeENS0_5tupleIJSE_SH_EEENSJ_IJSG_SI_EEENS0_18inequality_wrapperINS9_8equal_toItEEEEPmJSH_EEE10hipError_tPvRmT3_T4_T5_T6_T7_T9_mT8_P12ihipStream_tbDpT10_ENKUlT_T0_E_clISt17integral_constantIbLb0EES1A_EEDaS15_S16_EUlS15_E_NS1_11comp_targetILNS1_3genE9ELNS1_11target_archE1100ELNS1_3gpuE3ELNS1_3repE0EEENS1_30default_config_static_selectorELNS0_4arch9wavefront6targetE0EEEvT1_
; %bb.0:
	s_clause 0x4
	s_load_b128 s[4:7], s[0:1], 0x8
	s_load_b32 s14, s[0:1], 0x68
	s_load_b128 s[16:19], s[0:1], 0x40
	s_load_b64 s[2:3], s[0:1], 0x50
	s_load_b64 s[8:9], s[0:1], 0x18
	s_waitcnt lgkmcnt(0)
	s_lshl_b64 s[10:11], s[6:7], 1
	s_mul_i32 s20, s14, 0x580
	s_add_u32 s10, s4, s10
	s_addc_u32 s11, s5, s11
	s_add_i32 s4, s20, s6
	s_load_b64 s[12:13], s[18:19], 0x0
	s_sub_i32 s19, s2, s4
	s_add_i32 s14, s14, -1
	s_addk_i32 s19, 0x580
	s_add_u32 s4, s6, s20
	s_addc_u32 s5, s7, 0
	s_cmp_eq_u32 s15, s14
	v_cmp_ge_u64_e64 s2, s[4:5], s[2:3]
	s_cselect_b32 s14, -1, 0
	s_mov_b32 s5, 0
	s_mul_i32 s4, s15, 0x580
	s_delay_alu instid0(VALU_DEP_1)
	s_and_b32 s20, s14, s2
	s_lshl_b64 s[2:3], s[4:5], 1
	s_xor_b32 s18, s20, -1
	s_add_u32 s10, s10, s2
	s_addc_u32 s3, s11, s3
	s_and_b32 vcc_lo, exec_lo, s18
	s_mov_b32 s11, -1
	s_cbranch_vccz .LBB571_2
; %bb.1:
	v_lshlrev_b32_e32 v3, 1, v0
	s_mov_b32 s11, s5
	s_delay_alu instid0(VALU_DEP_1) | instskip(NEXT) | instid1(VALU_DEP_1)
	v_add_co_u32 v1, s2, s10, v3
	v_add_co_ci_u32_e64 v2, null, s3, 0, s2
	s_clause 0xa
	flat_load_u16 v4, v[1:2]
	flat_load_u16 v5, v[1:2] offset:256
	flat_load_u16 v6, v[1:2] offset:512
	;; [unrolled: 1-line block ×10, first 2 shown]
	s_waitcnt vmcnt(10) lgkmcnt(0)
	ds_store_b16 v3, v4
	s_waitcnt vmcnt(9)
	ds_store_b16 v3, v5 offset:256
	s_waitcnt vmcnt(8)
	ds_store_b16 v3, v6 offset:512
	;; [unrolled: 2-line block ×10, first 2 shown]
	s_waitcnt lgkmcnt(0)
	s_barrier
.LBB571_2:
	v_cmp_gt_u32_e64 s2, s19, v0
	s_and_not1_b32 vcc_lo, exec_lo, s11
	s_cbranch_vccnz .LBB571_26
; %bb.3:
                                        ; implicit-def: $vgpr1_vgpr2_vgpr3_vgpr4_vgpr5_vgpr6_vgpr7_vgpr8
	s_delay_alu instid0(VALU_DEP_1)
	s_and_saveexec_b32 s11, s2
	s_cbranch_execz .LBB571_5
; %bb.4:
	v_lshlrev_b32_e32 v1, 1, v0
	s_delay_alu instid0(VALU_DEP_1) | instskip(NEXT) | instid1(VALU_DEP_1)
	v_add_co_u32 v1, s2, s10, v1
	v_add_co_ci_u32_e64 v2, null, s3, 0, s2
	flat_load_d16_b16 v1, v[1:2]
.LBB571_5:
	s_or_b32 exec_lo, exec_lo, s11
	v_or_b32_e32 v7, 0x80, v0
	s_mov_b32 s2, exec_lo
	s_delay_alu instid0(VALU_DEP_1)
	v_cmpx_gt_u32_e64 s19, v7
	s_cbranch_execz .LBB571_7
; %bb.6:
	v_lshlrev_b32_e32 v7, 1, v0
	s_delay_alu instid0(VALU_DEP_1) | instskip(NEXT) | instid1(VALU_DEP_1)
	v_add_co_u32 v7, s11, s10, v7
	v_add_co_ci_u32_e64 v8, null, s3, 0, s11
	s_waitcnt vmcnt(0) lgkmcnt(0)
	flat_load_d16_hi_b16 v1, v[7:8] offset:256
.LBB571_7:
	s_or_b32 exec_lo, exec_lo, s2
	v_or_b32_e32 v7, 0x100, v0
	s_mov_b32 s2, exec_lo
	s_delay_alu instid0(VALU_DEP_1)
	v_cmpx_gt_u32_e64 s19, v7
	s_cbranch_execz .LBB571_9
; %bb.8:
	v_lshlrev_b32_e32 v7, 1, v0
	s_delay_alu instid0(VALU_DEP_1) | instskip(NEXT) | instid1(VALU_DEP_1)
	v_add_co_u32 v7, s11, s10, v7
	v_add_co_ci_u32_e64 v8, null, s3, 0, s11
	flat_load_d16_b16 v2, v[7:8] offset:512
.LBB571_9:
	s_or_b32 exec_lo, exec_lo, s2
	v_or_b32_e32 v7, 0x180, v0
	s_mov_b32 s2, exec_lo
	s_delay_alu instid0(VALU_DEP_1)
	v_cmpx_gt_u32_e64 s19, v7
	s_cbranch_execz .LBB571_11
; %bb.10:
	v_lshlrev_b32_e32 v7, 1, v0
	s_delay_alu instid0(VALU_DEP_1) | instskip(NEXT) | instid1(VALU_DEP_1)
	v_add_co_u32 v7, s11, s10, v7
	v_add_co_ci_u32_e64 v8, null, s3, 0, s11
	s_waitcnt vmcnt(0) lgkmcnt(0)
	flat_load_d16_hi_b16 v2, v[7:8] offset:768
.LBB571_11:
	s_or_b32 exec_lo, exec_lo, s2
	v_or_b32_e32 v7, 0x200, v0
	s_mov_b32 s2, exec_lo
	s_delay_alu instid0(VALU_DEP_1)
	v_cmpx_gt_u32_e64 s19, v7
	s_cbranch_execz .LBB571_13
; %bb.12:
	v_lshlrev_b32_e32 v7, 1, v0
	s_delay_alu instid0(VALU_DEP_1) | instskip(NEXT) | instid1(VALU_DEP_1)
	v_add_co_u32 v7, s11, s10, v7
	v_add_co_ci_u32_e64 v8, null, s3, 0, s11
	flat_load_d16_b16 v3, v[7:8] offset:1024
.LBB571_13:
	;; [unrolled: 27-line block ×5, first 2 shown]
	s_or_b32 exec_lo, exec_lo, s2
	v_lshlrev_b32_e32 v7, 1, v0
	s_waitcnt vmcnt(0) lgkmcnt(0)
	ds_store_b16 v7, v1
	ds_store_b16_d16_hi v7, v1 offset:256
	ds_store_b16 v7, v2 offset:512
	ds_store_b16_d16_hi v7, v2 offset:768
	ds_store_b16 v7, v3 offset:1024
	;; [unrolled: 2-line block ×5, first 2 shown]
	s_waitcnt lgkmcnt(0)
	s_barrier
.LBB571_26:
	v_mul_u32_u24_e32 v1, 11, v0
	s_waitcnt lgkmcnt(0)
	buffer_gl0_inv
	s_lshl_b64 s[22:23], s[6:7], 2
	s_delay_alu instid0(SALU_CYCLE_1)
	s_add_u32 s2, s8, s22
	v_lshlrev_b32_e32 v2, 1, v1
	s_addc_u32 s8, s9, s23
	s_lshl_b64 s[4:5], s[4:5], 2
	ds_load_b128 v[13:16], v2
	ds_load_u16 v38, v2 offset:16
	ds_load_u16 v37, v2 offset:18
	;; [unrolled: 1-line block ×3, first 2 shown]
	s_add_u32 s2, s2, s4
	s_addc_u32 s4, s8, s5
	s_and_b32 vcc_lo, exec_lo, s18
	s_mov_b32 s5, -1
	s_waitcnt lgkmcnt(0)
	s_barrier
	buffer_gl0_inv
	s_cbranch_vccz .LBB571_28
; %bb.27:
	v_lshlrev_b32_e32 v7, 2, v0
	s_delay_alu instid0(VALU_DEP_1) | instskip(NEXT) | instid1(VALU_DEP_1)
	v_add_co_u32 v3, s5, s2, v7
	v_add_co_ci_u32_e64 v4, null, s4, 0, s5
	s_mov_b32 s5, 0
	s_delay_alu instid0(VALU_DEP_2) | instskip(NEXT) | instid1(VALU_DEP_2)
	v_add_co_u32 v5, vcc_lo, 0x1000, v3
	v_add_co_ci_u32_e32 v6, vcc_lo, 0, v4, vcc_lo
	s_clause 0xa
	flat_load_b32 v8, v[3:4]
	flat_load_b32 v9, v[3:4] offset:512
	flat_load_b32 v10, v[3:4] offset:1024
	;; [unrolled: 1-line block ×7, first 2 shown]
	flat_load_b32 v4, v[5:6]
	flat_load_b32 v19, v[5:6] offset:512
	flat_load_b32 v5, v[5:6] offset:1024
	s_waitcnt vmcnt(9) lgkmcnt(9)
	ds_store_2addr_stride64_b32 v7, v8, v9 offset1:2
	s_waitcnt vmcnt(7) lgkmcnt(8)
	ds_store_2addr_stride64_b32 v7, v10, v11 offset0:4 offset1:6
	s_waitcnt vmcnt(5) lgkmcnt(7)
	ds_store_2addr_stride64_b32 v7, v12, v17 offset0:8 offset1:10
	;; [unrolled: 2-line block ×4, first 2 shown]
	s_waitcnt vmcnt(0) lgkmcnt(5)
	ds_store_b32 v7, v5 offset:5120
	s_waitcnt lgkmcnt(0)
	s_barrier
.LBB571_28:
	s_and_not1_b32 vcc_lo, exec_lo, s5
	s_cbranch_vccnz .LBB571_52
; %bb.29:
	s_mov_b32 s5, exec_lo
                                        ; implicit-def: $vgpr3
	v_cmpx_gt_u32_e64 s19, v0
	s_cbranch_execz .LBB571_31
; %bb.30:
	v_lshlrev_b32_e32 v3, 2, v0
	s_delay_alu instid0(VALU_DEP_1) | instskip(NEXT) | instid1(VALU_DEP_1)
	v_add_co_u32 v3, s8, s2, v3
	v_add_co_ci_u32_e64 v4, null, s4, 0, s8
	flat_load_b32 v3, v[3:4]
.LBB571_31:
	s_or_b32 exec_lo, exec_lo, s5
	v_or_b32_e32 v4, 0x80, v0
	s_delay_alu instid0(VALU_DEP_1)
	v_cmp_gt_u32_e32 vcc_lo, s19, v4
                                        ; implicit-def: $vgpr4
	s_and_saveexec_b32 s5, vcc_lo
	s_cbranch_execz .LBB571_33
; %bb.32:
	v_lshlrev_b32_e32 v4, 2, v0
	s_delay_alu instid0(VALU_DEP_1) | instskip(NEXT) | instid1(VALU_DEP_1)
	v_add_co_u32 v4, s8, s2, v4
	v_add_co_ci_u32_e64 v5, null, s4, 0, s8
	flat_load_b32 v4, v[4:5] offset:512
.LBB571_33:
	s_or_b32 exec_lo, exec_lo, s5
	v_or_b32_e32 v5, 0x100, v0
	s_delay_alu instid0(VALU_DEP_1)
	v_cmp_gt_u32_e32 vcc_lo, s19, v5
                                        ; implicit-def: $vgpr5
	s_and_saveexec_b32 s5, vcc_lo
	s_cbranch_execz .LBB571_35
; %bb.34:
	v_lshlrev_b32_e32 v5, 2, v0
	s_delay_alu instid0(VALU_DEP_1) | instskip(NEXT) | instid1(VALU_DEP_1)
	v_add_co_u32 v5, s8, s2, v5
	v_add_co_ci_u32_e64 v6, null, s4, 0, s8
	flat_load_b32 v5, v[5:6] offset:1024
.LBB571_35:
	s_or_b32 exec_lo, exec_lo, s5
	v_or_b32_e32 v6, 0x180, v0
	s_delay_alu instid0(VALU_DEP_1)
	v_cmp_gt_u32_e32 vcc_lo, s19, v6
                                        ; implicit-def: $vgpr6
	s_and_saveexec_b32 s5, vcc_lo
	s_cbranch_execz .LBB571_37
; %bb.36:
	v_lshlrev_b32_e32 v6, 2, v0
	s_delay_alu instid0(VALU_DEP_1) | instskip(NEXT) | instid1(VALU_DEP_1)
	v_add_co_u32 v6, s8, s2, v6
	v_add_co_ci_u32_e64 v7, null, s4, 0, s8
	flat_load_b32 v6, v[6:7] offset:1536
.LBB571_37:
	s_or_b32 exec_lo, exec_lo, s5
	v_or_b32_e32 v7, 0x200, v0
	s_delay_alu instid0(VALU_DEP_1)
	v_cmp_gt_u32_e32 vcc_lo, s19, v7
                                        ; implicit-def: $vgpr7
	s_and_saveexec_b32 s5, vcc_lo
	s_cbranch_execz .LBB571_39
; %bb.38:
	v_lshlrev_b32_e32 v7, 2, v0
	s_delay_alu instid0(VALU_DEP_1) | instskip(NEXT) | instid1(VALU_DEP_1)
	v_add_co_u32 v7, s8, s2, v7
	v_add_co_ci_u32_e64 v8, null, s4, 0, s8
	flat_load_b32 v7, v[7:8] offset:2048
.LBB571_39:
	s_or_b32 exec_lo, exec_lo, s5
	v_or_b32_e32 v8, 0x280, v0
	s_delay_alu instid0(VALU_DEP_1)
	v_cmp_gt_u32_e32 vcc_lo, s19, v8
                                        ; implicit-def: $vgpr8
	s_and_saveexec_b32 s5, vcc_lo
	s_cbranch_execz .LBB571_41
; %bb.40:
	v_lshlrev_b32_e32 v8, 2, v0
	s_delay_alu instid0(VALU_DEP_1) | instskip(NEXT) | instid1(VALU_DEP_1)
	v_add_co_u32 v8, s8, s2, v8
	v_add_co_ci_u32_e64 v9, null, s4, 0, s8
	flat_load_b32 v8, v[8:9] offset:2560
.LBB571_41:
	s_or_b32 exec_lo, exec_lo, s5
	v_or_b32_e32 v9, 0x300, v0
	s_delay_alu instid0(VALU_DEP_1)
	v_cmp_gt_u32_e32 vcc_lo, s19, v9
                                        ; implicit-def: $vgpr9
	s_and_saveexec_b32 s5, vcc_lo
	s_cbranch_execz .LBB571_43
; %bb.42:
	v_lshlrev_b32_e32 v9, 2, v0
	s_delay_alu instid0(VALU_DEP_1) | instskip(NEXT) | instid1(VALU_DEP_1)
	v_add_co_u32 v9, s8, s2, v9
	v_add_co_ci_u32_e64 v10, null, s4, 0, s8
	flat_load_b32 v9, v[9:10] offset:3072
.LBB571_43:
	s_or_b32 exec_lo, exec_lo, s5
	v_or_b32_e32 v10, 0x380, v0
	s_delay_alu instid0(VALU_DEP_1)
	v_cmp_gt_u32_e32 vcc_lo, s19, v10
                                        ; implicit-def: $vgpr10
	s_and_saveexec_b32 s5, vcc_lo
	s_cbranch_execz .LBB571_45
; %bb.44:
	v_lshlrev_b32_e32 v10, 2, v0
	s_delay_alu instid0(VALU_DEP_1) | instskip(NEXT) | instid1(VALU_DEP_1)
	v_add_co_u32 v10, s8, s2, v10
	v_add_co_ci_u32_e64 v11, null, s4, 0, s8
	flat_load_b32 v10, v[10:11] offset:3584
.LBB571_45:
	s_or_b32 exec_lo, exec_lo, s5
	v_or_b32_e32 v12, 0x400, v0
	s_mov_b32 s5, exec_lo
                                        ; implicit-def: $vgpr11
	s_delay_alu instid0(VALU_DEP_1)
	v_cmpx_gt_u32_e64 s19, v12
	s_cbranch_execz .LBB571_47
; %bb.46:
	v_lshlrev_b32_e32 v11, 2, v12
	s_delay_alu instid0(VALU_DEP_1) | instskip(NEXT) | instid1(VALU_DEP_1)
	v_add_co_u32 v11, s8, s2, v11
	v_add_co_ci_u32_e64 v12, null, s4, 0, s8
	flat_load_b32 v11, v[11:12]
.LBB571_47:
	s_or_b32 exec_lo, exec_lo, s5
	v_or_b32_e32 v17, 0x480, v0
	s_mov_b32 s5, exec_lo
                                        ; implicit-def: $vgpr12
	s_delay_alu instid0(VALU_DEP_1)
	v_cmpx_gt_u32_e64 s19, v17
	s_cbranch_execz .LBB571_49
; %bb.48:
	v_lshlrev_b32_e32 v12, 2, v17
	s_delay_alu instid0(VALU_DEP_1) | instskip(NEXT) | instid1(VALU_DEP_1)
	v_add_co_u32 v17, s8, s2, v12
	v_add_co_ci_u32_e64 v18, null, s4, 0, s8
	flat_load_b32 v12, v[17:18]
.LBB571_49:
	s_or_b32 exec_lo, exec_lo, s5
	v_or_b32_e32 v18, 0x500, v0
	s_mov_b32 s5, exec_lo
                                        ; implicit-def: $vgpr17
	s_delay_alu instid0(VALU_DEP_1)
	v_cmpx_gt_u32_e64 s19, v18
	s_cbranch_execz .LBB571_51
; %bb.50:
	v_lshlrev_b32_e32 v17, 2, v18
	s_delay_alu instid0(VALU_DEP_1) | instskip(NEXT) | instid1(VALU_DEP_1)
	v_add_co_u32 v17, s2, s2, v17
	v_add_co_ci_u32_e64 v18, null, s4, 0, s2
	flat_load_b32 v17, v[17:18]
.LBB571_51:
	s_or_b32 exec_lo, exec_lo, s5
	v_mad_i32_i24 v2, 0xffffffee, v0, v2
	s_waitcnt vmcnt(0) lgkmcnt(0)
	ds_store_2addr_stride64_b32 v2, v3, v4 offset1:2
	ds_store_2addr_stride64_b32 v2, v5, v6 offset0:4 offset1:6
	ds_store_2addr_stride64_b32 v2, v7, v8 offset0:8 offset1:10
	;; [unrolled: 1-line block ×4, first 2 shown]
	ds_store_b32 v2, v17 offset:5120
	s_waitcnt lgkmcnt(0)
	s_barrier
.LBB571_52:
	v_lshlrev_b32_e32 v44, 2, v1
	buffer_gl0_inv
	s_cmp_lg_u32 s15, 0
	v_lshrrev_b32_e32 v43, 16, v13
	s_cselect_b32 s21, -1, 0
	ds_load_2addr_b32 v[28:29], v44 offset1:1
	ds_load_2addr_b32 v[26:27], v44 offset0:2 offset1:3
	ds_load_2addr_b32 v[24:25], v44 offset0:4 offset1:5
	;; [unrolled: 1-line block ×4, first 2 shown]
	ds_load_b32 v36, v44 offset:40
	s_cmp_lg_u64 s[6:7], 0
	v_lshrrev_b32_e32 v42, 16, v14
	s_cselect_b32 s2, -1, 0
	v_lshrrev_b32_e32 v41, 16, v15
	v_lshrrev_b32_e32 v40, 16, v16
	v_add_nc_u32_e32 v5, 1, v1
	v_add_nc_u32_e32 v6, 2, v1
	v_add_nc_u32_e32 v3, 3, v1
	v_add_nc_u32_e32 v8, 4, v1
	v_add_nc_u32_e32 v7, 5, v1
	v_add_nc_u32_e32 v4, 6, v1
	v_add_nc_u32_e32 v2, 7, v1
	v_add_nc_u32_e32 v11, 8, v1
	v_add_nc_u32_e32 v10, 9, v1
	v_add_nc_u32_e32 v9, 10, v1
	s_or_b32 s2, s21, s2
	s_mov_b32 s22, 0
	s_and_b32 vcc_lo, exec_lo, s2
	s_waitcnt lgkmcnt(0)
	s_barrier
	buffer_gl0_inv
	s_cbranch_vccz .LBB571_57
; %bb.53:
	v_add_co_u32 v17, s2, -2, s10
	s_delay_alu instid0(VALU_DEP_1)
	v_add_co_ci_u32_e64 v18, null, -1, s3, s2
	s_mov_b32 s3, -1
	s_and_b32 vcc_lo, exec_lo, s18
	flat_load_u16 v17, v[17:18]
	v_lshlrev_b32_e32 v18, 1, v0
	ds_store_b16 v18, v33
	s_cbranch_vccz .LBB571_59
; %bb.54:
	s_waitcnt vmcnt(0) lgkmcnt(1)
	v_mov_b32_e32 v19, v17
	s_mov_b32 s3, 0
	s_mov_b32 s2, exec_lo
	s_waitcnt lgkmcnt(0)
	s_barrier
	buffer_gl0_inv
	v_cmpx_ne_u32_e32 0, v0
	s_cbranch_execz .LBB571_56
; %bb.55:
	v_add_nc_u32_e32 v12, -2, v18
	ds_load_u16 v19, v12
.LBB571_56:
	s_or_b32 exec_lo, exec_lo, s2
	v_cmp_ne_u16_e32 vcc_lo, v16, v40
	s_waitcnt lgkmcnt(0)
	v_cmp_ne_u16_e64 s2, v19, v13
	v_cndmask_b32_e64 v12, 0, 1, vcc_lo
	v_cmp_ne_u16_e32 vcc_lo, v41, v16
	s_delay_alu instid0(VALU_DEP_2) | instskip(SKIP_2) | instid1(VALU_DEP_2)
	v_lshlrev_b16 v12, 8, v12
	v_cndmask_b32_e64 v30, 0, 1, vcc_lo
	v_cmp_ne_u16_e32 vcc_lo, v15, v41
	v_or_b32_e32 v30, v30, v12
	v_cndmask_b32_e64 v31, 0, 1, vcc_lo
	v_cmp_ne_u16_e32 vcc_lo, v42, v15
	s_delay_alu instid0(VALU_DEP_2) | instskip(SKIP_2) | instid1(VALU_DEP_2)
	v_lshlrev_b16 v31, 8, v31
	v_cndmask_b32_e64 v32, 0, 1, vcc_lo
	v_cmp_ne_u16_e32 vcc_lo, v14, v42
	v_or_b32_e32 v31, v32, v31
	v_cndmask_b32_e64 v34, 0, 1, vcc_lo
	v_cmp_ne_u16_e32 vcc_lo, v43, v14
	s_delay_alu instid0(VALU_DEP_3) | instskip(NEXT) | instid1(VALU_DEP_3)
	v_and_b32_e32 v31, 0xffff, v31
	v_lshlrev_b16 v45, 8, v34
	v_cndmask_b32_e64 v35, 0, 1, vcc_lo
	v_cmp_ne_u16_e32 vcc_lo, v13, v43
	s_delay_alu instid0(VALU_DEP_2) | instskip(SKIP_3) | instid1(VALU_DEP_4)
	v_or_b32_e32 v35, v35, v45
	v_cndmask_b32_e64 v39, 0, 1, vcc_lo
	v_cmp_ne_u16_e32 vcc_lo, v37, v33
	v_lshlrev_b32_e32 v45, 16, v30
	v_lshlrev_b32_e32 v35, 16, v35
	s_delay_alu instid0(VALU_DEP_4) | instskip(SKIP_3) | instid1(VALU_DEP_4)
	v_lshlrev_b16 v39, 8, v39
	v_cndmask_b32_e64 v34, 0, 1, vcc_lo
	v_cmp_ne_u16_e32 vcc_lo, v38, v37
	v_or_b32_e32 v31, v31, v45
	v_and_b32_e32 v39, 0xffff, v39
	v_cndmask_b32_e64 v12, 0, 1, vcc_lo
	v_cmp_ne_u16_e32 vcc_lo, v40, v38
	s_delay_alu instid0(VALU_DEP_3)
	v_or_b32_e32 v30, v39, v35
	v_cndmask_b32_e64 v32, 0, 1, vcc_lo
	s_and_b32 vcc_lo, exec_lo, s3
	s_cbranch_vccnz .LBB571_60
	s_branch .LBB571_63
.LBB571_57:
                                        ; implicit-def: $sgpr2
                                        ; implicit-def: $vgpr34
                                        ; implicit-def: $vgpr12
                                        ; implicit-def: $vgpr32
                                        ; implicit-def: $vgpr31
	s_branch .LBB571_64
.LBB571_58:
                                        ; implicit-def: $vgpr17_vgpr18_vgpr19
	s_and_saveexec_b32 s3, s22
	s_cbranch_execnz .LBB571_72
	s_branch .LBB571_73
.LBB571_59:
                                        ; implicit-def: $sgpr2
                                        ; implicit-def: $vgpr34
                                        ; implicit-def: $vgpr12
                                        ; implicit-def: $vgpr32
                                        ; implicit-def: $vgpr31
	s_and_b32 vcc_lo, exec_lo, s3
	s_cbranch_vccz .LBB571_63
.LBB571_60:
	s_mov_b32 s2, exec_lo
	s_waitcnt vmcnt(0) lgkmcnt(0)
	s_barrier
	buffer_gl0_inv
	v_cmpx_ne_u32_e32 0, v0
	s_cbranch_execz .LBB571_62
; %bb.61:
	v_add_nc_u32_e32 v12, -2, v18
	ds_load_u16 v17, v12
.LBB571_62:
	s_or_b32 exec_lo, exec_lo, s2
	v_cmp_gt_u32_e32 vcc_lo, s19, v9
	v_cmp_ne_u16_e64 s2, v37, v33
	v_cmp_gt_u32_e64 s3, s19, v10
	v_cmp_ne_u16_e64 s4, v38, v37
	v_cmp_gt_u32_e64 s5, s19, v5
	v_cmp_ne_u16_e64 s6, v13, v43
	s_and_b32 s2, vcc_lo, s2
	v_cmp_gt_u32_e32 vcc_lo, s19, v2
	v_cndmask_b32_e64 v34, 0, 1, s2
	v_cmp_ne_u16_e64 s2, v16, v40
	s_and_b32 s3, s3, s4
	v_cmp_ne_u16_e64 s4, v41, v16
	v_cndmask_b32_e64 v12, 0, 1, s3
	v_cmp_gt_u32_e64 s3, s19, v4
	s_and_b32 s2, vcc_lo, s2
	v_cmp_gt_u32_e32 vcc_lo, s19, v7
	v_cndmask_b32_e64 v18, 0, 1, s2
	v_cmp_ne_u16_e64 s2, v15, v41
	s_and_b32 s3, s3, s4
	v_cmp_ne_u16_e64 s4, v14, v42
	v_cndmask_b32_e64 v19, 0, 1, s3
	v_cmp_gt_u32_e64 s3, s19, v3
	;; [unrolled: 8-line block ×3, first 2 shown]
	s_and_b32 s2, vcc_lo, s2
	v_lshlrev_b16 v30, 8, v30
	v_cndmask_b32_e64 v32, 0, 1, s2
	v_lshlrev_b16 v31, 8, v31
	s_and_b32 s2, s3, s4
	v_lshlrev_b16 v18, 8, v18
	v_cndmask_b32_e64 v35, 0, 1, s2
	s_and_b32 s2, s5, s6
	v_or_b32_e32 v30, v32, v30
	v_cndmask_b32_e64 v39, 0, 1, s2
	v_or_b32_e32 v18, v19, v18
	v_or_b32_e32 v31, v35, v31
	v_cmp_gt_u32_e32 vcc_lo, s19, v11
	v_cmp_ne_u16_e64 s2, v40, v38
	v_lshlrev_b16 v35, 8, v39
	v_lshlrev_b32_e32 v18, 16, v18
	v_lshlrev_b32_e32 v19, 16, v31
	s_delay_alu instid0(VALU_DEP_4) | instskip(NEXT) | instid1(VALU_DEP_3)
	s_and_b32 s2, vcc_lo, s2
	v_and_b32_e32 v31, 0xffff, v35
	v_and_b32_e32 v35, 0xffff, v30
	v_cndmask_b32_e64 v32, 0, 1, s2
	v_cmp_gt_u32_e32 vcc_lo, s19, v1
	s_waitcnt lgkmcnt(0)
	v_cmp_ne_u16_e64 s2, v17, v13
	v_or_b32_e32 v30, v31, v19
	v_or_b32_e32 v31, v35, v18
	s_delay_alu instid0(VALU_DEP_3)
	s_and_b32 s2, vcc_lo, s2
.LBB571_63:
	s_mov_b32 s22, -1
	s_cbranch_execnz .LBB571_58
.LBB571_64:
	v_mad_i32_i24 v35, 0xffffffd6, v0, v44
	v_cmp_ne_u16_e64 s2, v37, v33
	v_cmp_ne_u16_e64 s9, v38, v37
	;; [unrolled: 1-line block ×10, first 2 shown]
	s_and_b32 vcc_lo, exec_lo, s18
	ds_store_b16 v35, v33
	s_cbranch_vccz .LBB571_68
; %bb.65:
	s_waitcnt vmcnt(0) lgkmcnt(2)
	v_cndmask_b32_e64 v17, 0, 1, s11
	v_cndmask_b32_e64 v12, 0, 1, s9
	;; [unrolled: 1-line block ×5, first 2 shown]
	v_lshlrev_b16 v17, 8, v17
	v_cndmask_b32_e64 v39, 0, 1, s4
	v_cndmask_b32_e64 v32, 0, 1, s10
	;; [unrolled: 1-line block ×4, first 2 shown]
	v_lshlrev_b16 v18, 8, v18
	v_lshlrev_b16 v45, 8, v12
	v_or_b32_e32 v17, v30, v17
	v_lshlrev_b16 v30, 8, v31
	v_lshlrev_b16 v31, 8, v39
	v_or_b32_e32 v18, v19, v18
	v_or_b32_e32 v19, v32, v45
	v_and_b32_e32 v17, 0xffff, v17
	v_or_b32_e32 v30, v34, v30
	v_or_b32_e32 v31, 1, v31
	v_lshlrev_b32_e32 v18, 16, v18
	v_and_b32_e32 v19, 0xffff, v19
	v_cndmask_b32_e64 v34, 0, 1, s2
	v_lshlrev_b32_e32 v30, 16, v30
	v_and_b32_e32 v39, 0xffff, v31
	v_or_b32_e32 v31, v17, v18
	s_mov_b32 s3, 0
	v_lshl_or_b32 v19, v34, 16, v19
	s_mov_b32 s4, exec_lo
	v_or_b32_e32 v30, v39, v30
	s_waitcnt lgkmcnt(0)
	s_barrier
	buffer_gl0_inv
                                        ; implicit-def: $sgpr2
	v_cmpx_ne_u32_e32 0, v0
	s_xor_b32 s4, exec_lo, s4
	s_cbranch_execz .LBB571_67
; %bb.66:
	v_add_nc_u32_e32 v17, -2, v35
	s_or_b32 s22, s22, exec_lo
	ds_load_u16 v17, v17
	s_waitcnt lgkmcnt(0)
	v_cmp_ne_u16_e32 vcc_lo, v17, v13
                                        ; implicit-def: $vgpr17_vgpr18_vgpr19
	s_and_b32 s2, vcc_lo, exec_lo
.LBB571_67:
	s_or_b32 exec_lo, exec_lo, s4
	s_delay_alu instid0(SALU_CYCLE_1)
	s_and_b32 vcc_lo, exec_lo, s3
	s_cbranch_vccnz .LBB571_69
	s_branch .LBB571_71
.LBB571_68:
                                        ; implicit-def: $sgpr2
                                        ; implicit-def: $vgpr34
                                        ; implicit-def: $vgpr12
                                        ; implicit-def: $vgpr32
                                        ; implicit-def: $vgpr31
                                        ; implicit-def: $vgpr17_vgpr18_vgpr19
	s_cbranch_execz .LBB571_71
.LBB571_69:
	v_cmp_gt_u32_e32 vcc_lo, s19, v10
	v_cmp_ne_u16_e64 s2, v38, v37
	v_cmp_gt_u32_e64 s5, s19, v11
	v_cmp_ne_u16_e64 s6, v40, v38
	v_cmp_gt_u32_e64 s3, s19, v9
	v_cmp_ne_u16_e64 s4, v37, v33
	s_and_b32 s2, vcc_lo, s2
	v_cmp_gt_u32_e32 vcc_lo, s19, v2
	v_cndmask_b32_e64 v12, 0, 1, s2
	v_cmp_ne_u16_e64 s2, v16, v40
	s_and_b32 s5, s5, s6
	v_cmp_ne_u16_e64 s6, v41, v16
	v_cndmask_b32_e64 v32, 0, 1, s5
	v_cmp_gt_u32_e64 s5, s19, v4
	s_and_b32 s2, vcc_lo, s2
	v_cmp_gt_u32_e32 vcc_lo, s19, v7
	s_waitcnt vmcnt(0) lgkmcnt(2)
	v_cndmask_b32_e64 v17, 0, 1, s2
	v_cmp_ne_u16_e64 s2, v15, v41
	s_and_b32 s5, s5, s6
	v_cmp_ne_u16_e64 s6, v42, v15
	v_cndmask_b32_e64 v18, 0, 1, s5
	v_cmp_gt_u32_e64 s5, s19, v8
	s_and_b32 s2, vcc_lo, s2
	v_cmp_gt_u32_e32 vcc_lo, s19, v3
	v_cndmask_b32_e64 v19, 0, 1, s2
	v_cmp_ne_u16_e64 s2, v14, v42
	s_and_b32 s5, s5, s6
	v_cmp_ne_u16_e64 s6, v43, v14
	v_cndmask_b32_e64 v30, 0, 1, s5
	v_cmp_gt_u32_e64 s5, s19, v6
	s_and_b32 s2, vcc_lo, s2
	v_cmp_gt_u32_e32 vcc_lo, s19, v5
	v_cndmask_b32_e64 v31, 0, 1, s2
	v_cmp_ne_u16_e64 s2, v13, v43
	v_lshlrev_b16 v19, 8, v19
	v_lshlrev_b16 v17, 8, v17
	s_and_b32 s5, s5, s6
	v_lshlrev_b16 v45, 8, v12
	s_and_b32 s2, vcc_lo, s2
	v_cndmask_b32_e64 v34, 0, 1, s5
	v_cndmask_b32_e64 v39, 0, 1, s2
	v_or_b32_e32 v19, v30, v19
	v_or_b32_e32 v17, v18, v17
	v_lshlrev_b16 v18, 8, v31
	v_or_b32_e32 v31, v32, v45
	v_lshlrev_b16 v30, 8, v39
	s_and_b32 s2, s3, s4
	v_and_b32_e32 v19, 0xffff, v19
	v_or_b32_e32 v18, v34, v18
	v_lshlrev_b32_e32 v17, 16, v17
	v_or_b32_e32 v30, 1, v30
	v_and_b32_e32 v39, 0xffff, v31
	v_cndmask_b32_e64 v34, 0, 1, s2
	v_lshlrev_b32_e32 v18, 16, v18
	v_or_b32_e32 v31, v19, v17
	v_and_b32_e32 v30, 0xffff, v30
	s_mov_b32 s3, exec_lo
	v_lshl_or_b32 v19, v34, 16, v39
	s_waitcnt lgkmcnt(0)
	s_barrier
	v_or_b32_e32 v30, v30, v18
	buffer_gl0_inv
                                        ; implicit-def: $sgpr2
	v_cmpx_ne_u32_e32 0, v0
	s_cbranch_execz .LBB571_250
; %bb.70:
	v_add_nc_u32_e32 v17, -2, v35
	v_cmp_gt_u32_e32 vcc_lo, s19, v1
	s_or_b32 s22, s22, exec_lo
	ds_load_u16 v17, v17
	s_waitcnt lgkmcnt(0)
	v_cmp_ne_u16_e64 s2, v17, v13
                                        ; implicit-def: $vgpr17_vgpr18_vgpr19
	s_delay_alu instid0(VALU_DEP_1) | instskip(NEXT) | instid1(SALU_CYCLE_1)
	s_and_b32 s2, vcc_lo, s2
	s_and_b32 s2, s2, exec_lo
	s_or_b32 exec_lo, exec_lo, s3
.LBB571_71:
	s_and_saveexec_b32 s3, s22
	s_cbranch_execz .LBB571_73
.LBB571_72:
	v_lshrrev_b32_e32 v18, 24, v30
	v_lshrrev_b32_e32 v19, 16, v30
	;; [unrolled: 1-line block ×3, first 2 shown]
	s_waitcnt vmcnt(0) lgkmcnt(1)
	v_cndmask_b32_e64 v17, 0, 1, s2
	v_lshlrev_b16 v12, 8, v12
	v_and_b32_e32 v32, 0xff, v32
	v_lshlrev_b16 v18, 8, v18
	v_and_b32_e32 v19, 0xff, v19
	;; [unrolled: 2-line block ×3, first 2 shown]
	v_or_b32_e32 v12, v32, v12
	s_delay_alu instid0(VALU_DEP_4) | instskip(NEXT) | instid1(VALU_DEP_4)
	v_or_b32_e32 v18, v19, v18
	v_or_b32_e32 v17, v17, v30
	s_delay_alu instid0(VALU_DEP_4) | instskip(NEXT) | instid1(VALU_DEP_4)
	v_lshlrev_b32_e32 v19, 16, v34
	v_and_b32_e32 v12, 0xffff, v12
	s_delay_alu instid0(VALU_DEP_4) | instskip(NEXT) | instid1(VALU_DEP_4)
	v_lshlrev_b32_e32 v18, 16, v18
	v_and_b32_e32 v17, 0xffff, v17
	s_delay_alu instid0(VALU_DEP_3) | instskip(NEXT) | instid1(VALU_DEP_2)
	v_or_b32_e32 v19, v12, v19
	v_or_b32_e32 v30, v17, v18
.LBB571_73:
	s_or_b32 exec_lo, exec_lo, s3
	s_load_b64 s[10:11], s[0:1], 0x60
	s_and_not1_b32 vcc_lo, exec_lo, s20
	s_cbranch_vccnz .LBB571_75
; %bb.74:
	v_cmp_gt_u32_e32 vcc_lo, s19, v1
	v_cmp_gt_u32_e64 s2, s19, v5
	v_cmp_gt_u32_e64 s4, s19, v6
	v_and_b32_e32 v5, 0xffffff00, v31
	v_cmp_gt_u32_e64 s3, s19, v10
	v_dual_cndmask_b32 v1, 0, v30 :: v_dual_and_b32 v12, 0xff000000, v19
	v_cmp_gt_u32_e32 vcc_lo, s19, v11
	v_cmp_gt_u32_e64 s6, s19, v3
	v_cmp_gt_u32_e64 s5, s19, v9
	s_delay_alu instid0(VALU_DEP_4) | instskip(SKIP_1) | instid1(VALU_DEP_2)
	v_and_b32_e32 v1, 0xff, v1
	v_cndmask_b32_e32 v11, v12, v19, vcc_lo
	v_cndmask_b32_e64 v1, v1, v30, s2
	v_cmp_gt_u32_e64 s2, s19, v8
	s_delay_alu instid0(VALU_DEP_3) | instskip(NEXT) | instid1(VALU_DEP_3)
	v_and_b32_e32 v11, 0xff0000ff, v11
	v_and_b32_e32 v1, 0xffff, v1
	s_delay_alu instid0(VALU_DEP_3) | instskip(NEXT) | instid1(VALU_DEP_3)
	v_cndmask_b32_e64 v5, v5, v31, s2
	v_cndmask_b32_e64 v8, v11, v19, s3
	s_or_b32 s3, s5, s3
	s_delay_alu instid0(VALU_DEP_3) | instskip(NEXT) | instid1(VALU_DEP_3)
	v_cndmask_b32_e64 v1, v1, v30, s4
	v_and_b32_e32 v5, 0xffff00ff, v5
	s_delay_alu instid0(VALU_DEP_3) | instskip(SKIP_1) | instid1(VALU_DEP_4)
	v_and_b32_e32 v6, 0xff00ffff, v8
	v_cmp_gt_u32_e64 s4, s19, v7
	v_and_b32_e32 v1, 0xffffff, v1
	s_delay_alu instid0(VALU_DEP_3) | instskip(NEXT) | instid1(VALU_DEP_3)
	v_cndmask_b32_e64 v6, v6, v19, s5
	v_cndmask_b32_e64 v5, v5, v31, s4
	s_delay_alu instid0(VALU_DEP_3) | instskip(NEXT) | instid1(VALU_DEP_2)
	v_cndmask_b32_e64 v1, v1, v30, s6
	v_and_b32_e32 v3, 0xff00ffff, v5
	s_delay_alu instid0(VALU_DEP_4) | instskip(NEXT) | instid1(VALU_DEP_3)
	v_lshrrev_b32_e32 v5, 8, v6
	v_cndmask_b32_e64 v1, v1, v30, s2
	v_cmp_gt_u32_e64 s2, s19, v4
	s_delay_alu instid0(VALU_DEP_3) | instskip(NEXT) | instid1(VALU_DEP_3)
	v_lshlrev_b16 v5, 8, v5
	v_cndmask_b32_e64 v1, v1, v30, s4
	v_cmp_gt_u32_e64 s4, s19, v2
	s_delay_alu instid0(VALU_DEP_4) | instskip(NEXT) | instid1(VALU_DEP_3)
	v_cndmask_b32_e64 v3, v3, v31, s2
	v_cndmask_b32_e64 v1, v1, v30, s2
	s_or_b32 s2, s3, vcc_lo
	s_delay_alu instid0(VALU_DEP_3) | instid1(SALU_CYCLE_1)
	s_or_b32 vcc_lo, s2, s4
	s_delay_alu instid0(VALU_DEP_1) | instskip(NEXT) | instid1(VALU_DEP_1)
	v_dual_cndmask_b32 v1, v1, v30 :: v_dual_and_b32 v2, 0xffffff, v3
	v_dual_cndmask_b32 v31, v2, v31 :: v_dual_and_b32 v4, 0xff, v6
	s_delay_alu instid0(VALU_DEP_2) | instskip(NEXT) | instid1(VALU_DEP_2)
	v_perm_b32 v30, v1, v1, 0x3020104
	v_or_b32_e32 v3, v4, v5
	s_delay_alu instid0(VALU_DEP_1) | instskip(NEXT) | instid1(VALU_DEP_1)
	v_and_b32_e32 v2, 0xffff, v3
	v_and_or_b32 v19, 0xff0000, v6, v2
.LBB571_75:
	s_delay_alu instid0(VALU_DEP_4)
	v_and_b32_e32 v45, 0xff, v30
	v_bfe_u32 v46, v30, 8, 8
	v_alignbit_b32 v1, v31, v30, 24
	v_bfe_u32 v47, v30, 16, 8
	v_and_b32_e32 v48, 0xff, v31
	v_bfe_u32 v50, v31, 8, 8
	v_bfe_u32 v51, v31, 16, 8
	v_and_b32_e32 v49, 0xff, v1
	v_add3_u32 v1, v46, v45, v47
	v_lshrrev_b32_e32 v39, 24, v31
	v_mbcnt_lo_u32_b32 v54, -1, 0
	v_and_b32_e32 v52, 0xff, v19
	v_bfe_u32 v53, v19, 8, 8
	v_add3_u32 v1, v1, v49, v48
	v_bfe_u32 v3, v19, 16, 8
	v_and_b32_e32 v2, 15, v54
	v_or_b32_e32 v4, 31, v0
	v_and_b32_e32 v5, 16, v54
	v_add3_u32 v1, v1, v50, v51
	v_lshrrev_b32_e32 v55, 5, v0
	v_cmp_eq_u32_e64 s7, 0, v2
	v_cmp_lt_u32_e64 s6, 1, v2
	v_cmp_lt_u32_e64 s5, 3, v2
	v_add3_u32 v1, v1, v39, v52
	v_cmp_lt_u32_e64 s4, 7, v2
	v_cmp_eq_u32_e64 s3, 0, v5
	v_cmp_eq_u32_e64 s2, v4, v0
	s_and_b32 vcc_lo, exec_lo, s21
	v_add3_u32 v56, v1, v53, v3
	s_mov_b32 s8, -1
	s_waitcnt vmcnt(0) lgkmcnt(0)
	s_barrier
	buffer_gl0_inv
	s_cbranch_vccz .LBB571_101
; %bb.76:
	v_mov_b32_dpp v1, v56 row_shr:1 row_mask:0xf bank_mask:0xf
	s_delay_alu instid0(VALU_DEP_1) | instskip(NEXT) | instid1(VALU_DEP_1)
	v_cndmask_b32_e64 v1, v1, 0, s7
	v_add_nc_u32_e32 v1, v1, v56
	s_delay_alu instid0(VALU_DEP_1) | instskip(NEXT) | instid1(VALU_DEP_1)
	v_mov_b32_dpp v2, v1 row_shr:2 row_mask:0xf bank_mask:0xf
	v_cndmask_b32_e64 v2, 0, v2, s6
	s_delay_alu instid0(VALU_DEP_1) | instskip(NEXT) | instid1(VALU_DEP_1)
	v_add_nc_u32_e32 v1, v1, v2
	v_mov_b32_dpp v2, v1 row_shr:4 row_mask:0xf bank_mask:0xf
	s_delay_alu instid0(VALU_DEP_1) | instskip(NEXT) | instid1(VALU_DEP_1)
	v_cndmask_b32_e64 v2, 0, v2, s5
	v_add_nc_u32_e32 v1, v1, v2
	s_delay_alu instid0(VALU_DEP_1) | instskip(NEXT) | instid1(VALU_DEP_1)
	v_mov_b32_dpp v2, v1 row_shr:8 row_mask:0xf bank_mask:0xf
	v_cndmask_b32_e64 v2, 0, v2, s4
	s_delay_alu instid0(VALU_DEP_1) | instskip(SKIP_3) | instid1(VALU_DEP_1)
	v_add_nc_u32_e32 v1, v1, v2
	ds_swizzle_b32 v2, v1 offset:swizzle(BROADCAST,32,15)
	s_waitcnt lgkmcnt(0)
	v_cndmask_b32_e64 v2, v2, 0, s3
	v_add_nc_u32_e32 v1, v1, v2
	s_and_saveexec_b32 s8, s2
	s_cbranch_execz .LBB571_78
; %bb.77:
	v_lshlrev_b32_e32 v2, 2, v55
	ds_store_b32 v2, v1
.LBB571_78:
	s_or_b32 exec_lo, exec_lo, s8
	s_delay_alu instid0(SALU_CYCLE_1)
	s_mov_b32 s8, exec_lo
	s_waitcnt lgkmcnt(0)
	s_barrier
	buffer_gl0_inv
	v_cmpx_gt_u32_e32 4, v0
	s_cbranch_execz .LBB571_80
; %bb.79:
	v_and_b32_e32 v4, 3, v54
	s_delay_alu instid0(VALU_DEP_1) | instskip(SKIP_4) | instid1(VALU_DEP_1)
	v_cmp_ne_u32_e32 vcc_lo, 0, v4
	v_lshlrev_b32_e32 v2, 2, v0
	ds_load_b32 v3, v2
	s_waitcnt lgkmcnt(0)
	v_mov_b32_dpp v5, v3 row_shr:1 row_mask:0xf bank_mask:0xf
	v_cndmask_b32_e32 v5, 0, v5, vcc_lo
	v_cmp_lt_u32_e32 vcc_lo, 1, v4
	s_delay_alu instid0(VALU_DEP_2) | instskip(NEXT) | instid1(VALU_DEP_1)
	v_add_nc_u32_e32 v3, v5, v3
	v_mov_b32_dpp v5, v3 row_shr:2 row_mask:0xf bank_mask:0xf
	s_delay_alu instid0(VALU_DEP_1) | instskip(NEXT) | instid1(VALU_DEP_1)
	v_cndmask_b32_e32 v4, 0, v5, vcc_lo
	v_add_nc_u32_e32 v3, v3, v4
	ds_store_b32 v2, v3
.LBB571_80:
	s_or_b32 exec_lo, exec_lo, s8
	v_cmp_gt_u32_e32 vcc_lo, 32, v0
	s_mov_b32 s9, exec_lo
	s_waitcnt lgkmcnt(0)
	s_barrier
	buffer_gl0_inv
                                        ; implicit-def: $vgpr9
	v_cmpx_lt_u32_e32 31, v0
	s_cbranch_execz .LBB571_82
; %bb.81:
	v_lshl_add_u32 v2, v55, 2, -4
	ds_load_b32 v9, v2
	s_waitcnt lgkmcnt(0)
	v_add_nc_u32_e32 v1, v9, v1
.LBB571_82:
	s_or_b32 exec_lo, exec_lo, s9
	v_add_nc_u32_e32 v2, -1, v54
	s_delay_alu instid0(VALU_DEP_1) | instskip(NEXT) | instid1(VALU_DEP_1)
	v_cmp_gt_i32_e64 s8, 0, v2
	v_cndmask_b32_e64 v2, v2, v54, s8
	v_cmp_eq_u32_e64 s8, 0, v54
	s_delay_alu instid0(VALU_DEP_2)
	v_lshlrev_b32_e32 v2, 2, v2
	ds_bpermute_b32 v10, v2, v1
	s_and_saveexec_b32 s9, vcc_lo
	s_cbranch_execz .LBB571_100
; %bb.83:
	v_mov_b32_e32 v5, 0
	ds_load_b32 v1, v5 offset:12
	s_and_saveexec_b32 s19, s8
	s_cbranch_execz .LBB571_85
; %bb.84:
	s_add_i32 s20, s15, 32
	s_mov_b32 s21, 0
	v_mov_b32_e32 v2, 1
	s_lshl_b64 s[20:21], s[20:21], 3
	s_delay_alu instid0(SALU_CYCLE_1)
	s_add_u32 s20, s10, s20
	s_addc_u32 s21, s11, s21
	s_waitcnt lgkmcnt(0)
	global_store_b64 v5, v[1:2], s[20:21]
.LBB571_85:
	s_or_b32 exec_lo, exec_lo, s19
	v_xad_u32 v3, v54, -1, s15
	s_mov_b32 s20, 0
	s_mov_b32 s19, exec_lo
	s_delay_alu instid0(VALU_DEP_1) | instskip(NEXT) | instid1(VALU_DEP_1)
	v_add_nc_u32_e32 v4, 32, v3
	v_lshlrev_b64 v[4:5], 3, v[4:5]
	s_delay_alu instid0(VALU_DEP_1) | instskip(NEXT) | instid1(VALU_DEP_2)
	v_add_co_u32 v7, vcc_lo, s10, v4
	v_add_co_ci_u32_e32 v8, vcc_lo, s11, v5, vcc_lo
	global_load_b64 v[5:6], v[7:8], off glc
	s_waitcnt vmcnt(0)
	v_and_b32_e32 v2, 0xff, v6
	s_delay_alu instid0(VALU_DEP_1)
	v_cmpx_eq_u16_e32 0, v2
	s_cbranch_execz .LBB571_88
.LBB571_86:                             ; =>This Inner Loop Header: Depth=1
	global_load_b64 v[5:6], v[7:8], off glc
	s_waitcnt vmcnt(0)
	v_and_b32_e32 v2, 0xff, v6
	s_delay_alu instid0(VALU_DEP_1) | instskip(SKIP_1) | instid1(SALU_CYCLE_1)
	v_cmp_ne_u16_e32 vcc_lo, 0, v2
	s_or_b32 s20, vcc_lo, s20
	s_and_not1_b32 exec_lo, exec_lo, s20
	s_cbranch_execnz .LBB571_86
; %bb.87:
	s_or_b32 exec_lo, exec_lo, s20
.LBB571_88:
	s_delay_alu instid0(SALU_CYCLE_1)
	s_or_b32 exec_lo, exec_lo, s19
	v_cmp_ne_u32_e32 vcc_lo, 31, v54
	v_lshlrev_b32_e64 v12, v54, -1
	v_add_nc_u32_e32 v18, 2, v54
	v_add_nc_u32_e32 v34, 4, v54
	;; [unrolled: 1-line block ×3, first 2 shown]
	v_add_co_ci_u32_e32 v2, vcc_lo, 0, v54, vcc_lo
	v_add_nc_u32_e32 v59, 16, v54
	s_delay_alu instid0(VALU_DEP_2)
	v_lshlrev_b32_e32 v11, 2, v2
	v_and_b32_e32 v2, 0xff, v6
	ds_bpermute_b32 v4, v11, v5
	v_cmp_eq_u16_e32 vcc_lo, 2, v2
	v_and_or_b32 v2, vcc_lo, v12, 0x80000000
	v_cmp_gt_u32_e32 vcc_lo, 30, v54
	s_delay_alu instid0(VALU_DEP_2) | instskip(SKIP_1) | instid1(VALU_DEP_2)
	v_ctz_i32_b32_e32 v2, v2
	v_cndmask_b32_e64 v7, 0, 1, vcc_lo
	v_cmp_lt_u32_e32 vcc_lo, v54, v2
	s_waitcnt lgkmcnt(0)
	s_delay_alu instid0(VALU_DEP_2) | instskip(NEXT) | instid1(VALU_DEP_1)
	v_dual_cndmask_b32 v4, 0, v4 :: v_dual_lshlrev_b32 v7, 1, v7
	v_add_lshl_u32 v17, v7, v54, 2
	v_cmp_gt_u32_e32 vcc_lo, 28, v54
	s_delay_alu instid0(VALU_DEP_3) | instskip(SKIP_4) | instid1(VALU_DEP_1)
	v_add_nc_u32_e32 v4, v4, v5
	v_cndmask_b32_e64 v7, 0, 1, vcc_lo
	v_cmp_le_u32_e32 vcc_lo, v18, v2
	ds_bpermute_b32 v5, v17, v4
	v_lshlrev_b32_e32 v7, 2, v7
	v_add_lshl_u32 v32, v7, v54, 2
	s_waitcnt lgkmcnt(0)
	v_cndmask_b32_e32 v5, 0, v5, vcc_lo
	v_cmp_gt_u32_e32 vcc_lo, 24, v54
	s_delay_alu instid0(VALU_DEP_2) | instskip(SKIP_4) | instid1(VALU_DEP_1)
	v_add_nc_u32_e32 v4, v4, v5
	v_cndmask_b32_e64 v7, 0, 1, vcc_lo
	v_cmp_le_u32_e32 vcc_lo, v34, v2
	ds_bpermute_b32 v5, v32, v4
	v_lshlrev_b32_e32 v7, 3, v7
	v_add_lshl_u32 v35, v7, v54, 2
	s_waitcnt lgkmcnt(0)
	v_cndmask_b32_e32 v5, 0, v5, vcc_lo
	v_cmp_gt_u32_e32 vcc_lo, 16, v54
	s_delay_alu instid0(VALU_DEP_2) | instskip(SKIP_4) | instid1(VALU_DEP_1)
	v_add_nc_u32_e32 v4, v4, v5
	v_cndmask_b32_e64 v7, 0, 1, vcc_lo
	v_cmp_le_u32_e32 vcc_lo, v57, v2
	ds_bpermute_b32 v5, v35, v4
	v_lshlrev_b32_e32 v7, 4, v7
	v_add_lshl_u32 v58, v7, v54, 2
	s_waitcnt lgkmcnt(0)
	v_cndmask_b32_e32 v5, 0, v5, vcc_lo
	v_cmp_le_u32_e32 vcc_lo, v59, v2
	s_delay_alu instid0(VALU_DEP_2) | instskip(SKIP_3) | instid1(VALU_DEP_1)
	v_add_nc_u32_e32 v4, v4, v5
	ds_bpermute_b32 v5, v58, v4
	s_waitcnt lgkmcnt(0)
	v_cndmask_b32_e32 v2, 0, v5, vcc_lo
	v_dual_mov_b32 v4, 0 :: v_dual_add_nc_u32 v5, v4, v2
	s_branch .LBB571_90
.LBB571_89:                             ;   in Loop: Header=BB571_90 Depth=1
	s_or_b32 exec_lo, exec_lo, s19
	ds_bpermute_b32 v8, v11, v5
	v_and_b32_e32 v7, 0xff, v6
	v_subrev_nc_u32_e32 v3, 32, v3
	s_delay_alu instid0(VALU_DEP_2) | instskip(SKIP_1) | instid1(VALU_DEP_1)
	v_cmp_eq_u16_e32 vcc_lo, 2, v7
	v_and_or_b32 v7, vcc_lo, v12, 0x80000000
	v_ctz_i32_b32_e32 v7, v7
	s_delay_alu instid0(VALU_DEP_1) | instskip(SKIP_3) | instid1(VALU_DEP_2)
	v_cmp_lt_u32_e32 vcc_lo, v54, v7
	s_waitcnt lgkmcnt(0)
	v_cndmask_b32_e32 v8, 0, v8, vcc_lo
	v_cmp_le_u32_e32 vcc_lo, v18, v7
	v_add_nc_u32_e32 v5, v8, v5
	ds_bpermute_b32 v8, v17, v5
	s_waitcnt lgkmcnt(0)
	v_cndmask_b32_e32 v8, 0, v8, vcc_lo
	v_cmp_le_u32_e32 vcc_lo, v34, v7
	s_delay_alu instid0(VALU_DEP_2) | instskip(SKIP_4) | instid1(VALU_DEP_2)
	v_add_nc_u32_e32 v5, v5, v8
	ds_bpermute_b32 v8, v32, v5
	s_waitcnt lgkmcnt(0)
	v_cndmask_b32_e32 v8, 0, v8, vcc_lo
	v_cmp_le_u32_e32 vcc_lo, v57, v7
	v_add_nc_u32_e32 v5, v5, v8
	ds_bpermute_b32 v8, v35, v5
	s_waitcnt lgkmcnt(0)
	v_cndmask_b32_e32 v8, 0, v8, vcc_lo
	v_cmp_le_u32_e32 vcc_lo, v59, v7
	s_delay_alu instid0(VALU_DEP_2) | instskip(SKIP_3) | instid1(VALU_DEP_1)
	v_add_nc_u32_e32 v5, v5, v8
	ds_bpermute_b32 v8, v58, v5
	s_waitcnt lgkmcnt(0)
	v_cndmask_b32_e32 v7, 0, v8, vcc_lo
	v_add3_u32 v5, v7, v2, v5
.LBB571_90:                             ; =>This Loop Header: Depth=1
                                        ;     Child Loop BB571_93 Depth 2
	v_and_b32_e32 v2, 0xff, v6
	s_delay_alu instid0(VALU_DEP_1) | instskip(SKIP_2) | instid1(VALU_DEP_1)
	v_cmp_ne_u16_e32 vcc_lo, 2, v2
	v_cndmask_b32_e64 v2, 0, 1, vcc_lo
	;;#ASMSTART
	;;#ASMEND
	v_cmp_ne_u32_e32 vcc_lo, 0, v2
	v_mov_b32_e32 v2, v5
	s_cmp_lg_u32 vcc_lo, exec_lo
	s_cbranch_scc1 .LBB571_95
; %bb.91:                               ;   in Loop: Header=BB571_90 Depth=1
	v_lshlrev_b64 v[5:6], 3, v[3:4]
	s_mov_b32 s19, exec_lo
	s_delay_alu instid0(VALU_DEP_1) | instskip(NEXT) | instid1(VALU_DEP_2)
	v_add_co_u32 v7, vcc_lo, s10, v5
	v_add_co_ci_u32_e32 v8, vcc_lo, s11, v6, vcc_lo
	global_load_b64 v[5:6], v[7:8], off glc
	s_waitcnt vmcnt(0)
	v_and_b32_e32 v60, 0xff, v6
	s_delay_alu instid0(VALU_DEP_1)
	v_cmpx_eq_u16_e32 0, v60
	s_cbranch_execz .LBB571_89
; %bb.92:                               ;   in Loop: Header=BB571_90 Depth=1
	s_mov_b32 s20, 0
.LBB571_93:                             ;   Parent Loop BB571_90 Depth=1
                                        ; =>  This Inner Loop Header: Depth=2
	global_load_b64 v[5:6], v[7:8], off glc
	s_waitcnt vmcnt(0)
	v_and_b32_e32 v60, 0xff, v6
	s_delay_alu instid0(VALU_DEP_1) | instskip(SKIP_1) | instid1(SALU_CYCLE_1)
	v_cmp_ne_u16_e32 vcc_lo, 0, v60
	s_or_b32 s20, vcc_lo, s20
	s_and_not1_b32 exec_lo, exec_lo, s20
	s_cbranch_execnz .LBB571_93
; %bb.94:                               ;   in Loop: Header=BB571_90 Depth=1
	s_or_b32 exec_lo, exec_lo, s20
	s_branch .LBB571_89
.LBB571_95:                             ;   in Loop: Header=BB571_90 Depth=1
                                        ; implicit-def: $vgpr5
                                        ; implicit-def: $vgpr6
	s_cbranch_execz .LBB571_90
; %bb.96:
	s_and_saveexec_b32 s19, s8
	s_cbranch_execz .LBB571_98
; %bb.97:
	s_add_i32 s20, s15, 32
	s_mov_b32 s21, 0
	v_dual_mov_b32 v4, 2 :: v_dual_add_nc_u32 v3, v2, v1
	s_lshl_b64 s[20:21], s[20:21], 3
	v_mov_b32_e32 v5, 0
	s_add_u32 s20, s10, s20
	s_addc_u32 s21, s11, s21
	global_store_b64 v5, v[3:4], s[20:21]
	ds_store_b64 v5, v[1:2] offset:5632
.LBB571_98:
	s_or_b32 exec_lo, exec_lo, s19
	v_cmp_eq_u32_e32 vcc_lo, 0, v0
	s_and_b32 exec_lo, exec_lo, vcc_lo
	s_cbranch_execz .LBB571_100
; %bb.99:
	v_mov_b32_e32 v1, 0
	ds_store_b32 v1, v2 offset:12
.LBB571_100:
	s_or_b32 exec_lo, exec_lo, s9
	s_waitcnt lgkmcnt(0)
	v_cndmask_b32_e64 v3, v10, v9, s8
	v_cmp_ne_u32_e32 vcc_lo, 0, v0
	s_waitcnt_vscnt null, 0x0
	s_barrier
	buffer_gl0_inv
	v_cndmask_b32_e32 v3, 0, v3, vcc_lo
	v_mov_b32_e32 v1, 0
	ds_load_b32 v2, v1 offset:12
	s_waitcnt lgkmcnt(0)
	s_barrier
	buffer_gl0_inv
	v_add_nc_u32_e32 v2, v2, v3
	ds_load_b64 v[17:18], v1 offset:5632
	v_add_nc_u32_e32 v3, v2, v45
	s_delay_alu instid0(VALU_DEP_1) | instskip(SKIP_1) | instid1(VALU_DEP_1)
	v_add_nc_u32_e32 v4, v3, v46
	s_waitcnt lgkmcnt(0)
	v_dual_mov_b32 v32, v18 :: v_dual_add_nc_u32 v5, v4, v47
	s_delay_alu instid0(VALU_DEP_1) | instskip(NEXT) | instid1(VALU_DEP_1)
	v_add_nc_u32_e32 v6, v5, v49
	v_add_nc_u32_e32 v7, v6, v48
	s_delay_alu instid0(VALU_DEP_1) | instskip(NEXT) | instid1(VALU_DEP_1)
	v_add_nc_u32_e32 v8, v7, v50
	v_add_nc_u32_e32 v9, v8, v51
	;; [unrolled: 3-line block ×3, first 2 shown]
	s_delay_alu instid0(VALU_DEP_1)
	v_add_nc_u32_e32 v12, v11, v53
	v_lshrrev_b64 v[34:35], 24, v[30:31]
	s_branch .LBB571_111
.LBB571_101:
                                        ; implicit-def: $vgpr32
                                        ; implicit-def: $vgpr2_vgpr3_vgpr4_vgpr5_vgpr6_vgpr7_vgpr8_vgpr9_vgpr10_vgpr11_vgpr12
                                        ; implicit-def: $vgpr17
	v_lshrrev_b64 v[34:35], 24, v[30:31]
	s_and_b32 vcc_lo, exec_lo, s8
	s_cbranch_vccz .LBB571_111
; %bb.102:
	v_mov_b32_dpp v1, v56 row_shr:1 row_mask:0xf bank_mask:0xf
	s_delay_alu instid0(VALU_DEP_1) | instskip(NEXT) | instid1(VALU_DEP_1)
	v_cndmask_b32_e64 v1, v1, 0, s7
	v_add_nc_u32_e32 v1, v1, v56
	s_delay_alu instid0(VALU_DEP_1) | instskip(NEXT) | instid1(VALU_DEP_1)
	v_mov_b32_dpp v2, v1 row_shr:2 row_mask:0xf bank_mask:0xf
	v_cndmask_b32_e64 v2, 0, v2, s6
	s_delay_alu instid0(VALU_DEP_1) | instskip(NEXT) | instid1(VALU_DEP_1)
	v_add_nc_u32_e32 v1, v1, v2
	v_mov_b32_dpp v2, v1 row_shr:4 row_mask:0xf bank_mask:0xf
	s_delay_alu instid0(VALU_DEP_1) | instskip(NEXT) | instid1(VALU_DEP_1)
	v_cndmask_b32_e64 v2, 0, v2, s5
	v_add_nc_u32_e32 v1, v1, v2
	s_delay_alu instid0(VALU_DEP_1) | instskip(NEXT) | instid1(VALU_DEP_1)
	v_mov_b32_dpp v2, v1 row_shr:8 row_mask:0xf bank_mask:0xf
	v_cndmask_b32_e64 v2, 0, v2, s4
	s_delay_alu instid0(VALU_DEP_1) | instskip(SKIP_3) | instid1(VALU_DEP_1)
	v_add_nc_u32_e32 v1, v1, v2
	ds_swizzle_b32 v2, v1 offset:swizzle(BROADCAST,32,15)
	s_waitcnt lgkmcnt(0)
	v_cndmask_b32_e64 v2, v2, 0, s3
	v_add_nc_u32_e32 v1, v1, v2
	s_and_saveexec_b32 s3, s2
	s_cbranch_execz .LBB571_104
; %bb.103:
	v_lshlrev_b32_e32 v2, 2, v55
	ds_store_b32 v2, v1
.LBB571_104:
	s_or_b32 exec_lo, exec_lo, s3
	s_delay_alu instid0(SALU_CYCLE_1)
	s_mov_b32 s2, exec_lo
	s_waitcnt lgkmcnt(0)
	s_barrier
	buffer_gl0_inv
	v_cmpx_gt_u32_e32 4, v0
	s_cbranch_execz .LBB571_106
; %bb.105:
	v_mad_i32_i24 v2, 0xffffffd8, v0, v44
	ds_load_b32 v3, v2
	s_waitcnt lgkmcnt(0)
	v_mov_b32_dpp v5, v3 row_shr:1 row_mask:0xf bank_mask:0xf
	v_and_b32_e32 v4, 3, v54
	s_delay_alu instid0(VALU_DEP_1) | instskip(NEXT) | instid1(VALU_DEP_3)
	v_cmp_ne_u32_e32 vcc_lo, 0, v4
	v_cndmask_b32_e32 v5, 0, v5, vcc_lo
	v_cmp_lt_u32_e32 vcc_lo, 1, v4
	s_delay_alu instid0(VALU_DEP_2) | instskip(NEXT) | instid1(VALU_DEP_1)
	v_add_nc_u32_e32 v3, v5, v3
	v_mov_b32_dpp v5, v3 row_shr:2 row_mask:0xf bank_mask:0xf
	s_delay_alu instid0(VALU_DEP_1) | instskip(NEXT) | instid1(VALU_DEP_1)
	v_cndmask_b32_e32 v4, 0, v5, vcc_lo
	v_add_nc_u32_e32 v3, v3, v4
	ds_store_b32 v2, v3
.LBB571_106:
	s_or_b32 exec_lo, exec_lo, s2
	v_dual_mov_b32 v3, 0 :: v_dual_mov_b32 v2, 0
	s_mov_b32 s2, exec_lo
	s_waitcnt lgkmcnt(0)
	s_barrier
	buffer_gl0_inv
	v_cmpx_lt_u32_e32 31, v0
	s_cbranch_execz .LBB571_108
; %bb.107:
	v_lshl_add_u32 v2, v55, 2, -4
	ds_load_b32 v2, v2
.LBB571_108:
	s_or_b32 exec_lo, exec_lo, s2
	v_add_nc_u32_e32 v4, -1, v54
	ds_load_b32 v17, v3 offset:12
	s_waitcnt lgkmcnt(1)
	v_add_nc_u32_e32 v1, v2, v1
	v_cmp_gt_i32_e32 vcc_lo, 0, v4
	v_cndmask_b32_e32 v4, v4, v54, vcc_lo
	v_cmp_eq_u32_e32 vcc_lo, 0, v0
	s_delay_alu instid0(VALU_DEP_2)
	v_lshlrev_b32_e32 v4, 2, v4
	ds_bpermute_b32 v1, v4, v1
	s_and_saveexec_b32 s2, vcc_lo
	s_cbranch_execz .LBB571_110
; %bb.109:
	v_dual_mov_b32 v3, 0 :: v_dual_mov_b32 v18, 2
	s_waitcnt lgkmcnt(1)
	global_store_b64 v3, v[17:18], s[10:11] offset:256
.LBB571_110:
	s_or_b32 exec_lo, exec_lo, s2
	v_cmp_eq_u32_e64 s2, 0, v54
	s_waitcnt lgkmcnt(0)
	s_waitcnt_vscnt null, 0x0
	s_barrier
	buffer_gl0_inv
	v_mov_b32_e32 v32, 0
	v_cndmask_b32_e64 v1, v1, v2, s2
	s_delay_alu instid0(VALU_DEP_1) | instskip(NEXT) | instid1(VALU_DEP_1)
	v_cndmask_b32_e64 v2, v1, 0, vcc_lo
	v_add_nc_u32_e32 v3, v2, v45
	s_delay_alu instid0(VALU_DEP_1) | instskip(NEXT) | instid1(VALU_DEP_1)
	v_add_nc_u32_e32 v4, v3, v46
	v_add_nc_u32_e32 v5, v4, v47
	s_delay_alu instid0(VALU_DEP_1) | instskip(NEXT) | instid1(VALU_DEP_1)
	v_add_nc_u32_e32 v6, v5, v49
	;; [unrolled: 3-line block ×4, first 2 shown]
	v_add_nc_u32_e32 v11, v10, v52
	s_delay_alu instid0(VALU_DEP_1)
	v_add_nc_u32_e32 v12, v11, v53
.LBB571_111:
	s_load_b128 s[4:7], s[0:1], 0x28
	v_add_nc_u32_e32 v48, v32, v17
	v_cmp_gt_u32_e64 s0, 0x81, v17
	v_lshrrev_b32_e32 v18, 16, v19
	v_lshrrev_b32_e32 v46, 16, v30
	;; [unrolled: 1-line block ×6, first 2 shown]
	v_cmp_lt_u32_e64 s1, v2, v48
	s_and_b32 vcc_lo, exec_lo, s0
	s_mov_b32 s2, -1
	s_cbranch_vccz .LBB571_146
; %bb.112:
	s_lshl_b64 s[2:3], s[12:13], 1
	s_waitcnt lgkmcnt(0)
	s_add_u32 s2, s4, s2
	s_addc_u32 s3, s5, s3
	s_or_b32 s8, s18, s1
	s_delay_alu instid0(SALU_CYCLE_1)
	s_and_saveexec_b32 s1, s8
	s_cbranch_execz .LBB571_115
; %bb.113:
	v_and_b32_e32 v1, 1, v30
	s_delay_alu instid0(VALU_DEP_1)
	v_cmp_eq_u32_e32 vcc_lo, 1, v1
	s_and_b32 exec_lo, exec_lo, vcc_lo
	s_cbranch_execz .LBB571_115
; %bb.114:
	v_dual_mov_b32 v50, 0 :: v_dual_mov_b32 v49, v2
	s_delay_alu instid0(VALU_DEP_1) | instskip(NEXT) | instid1(VALU_DEP_1)
	v_lshlrev_b64 v[49:50], 1, v[49:50]
	v_add_co_u32 v49, vcc_lo, s2, v49
	s_delay_alu instid0(VALU_DEP_2)
	v_add_co_ci_u32_e32 v50, vcc_lo, s3, v50, vcc_lo
	global_store_b16 v[49:50], v13, off
.LBB571_115:
	s_or_b32 exec_lo, exec_lo, s1
	v_cmp_lt_u32_e32 vcc_lo, v3, v48
	s_or_b32 s8, s18, vcc_lo
	s_delay_alu instid0(SALU_CYCLE_1)
	s_and_saveexec_b32 s1, s8
	s_cbranch_execz .LBB571_118
; %bb.116:
	v_and_b32_e32 v1, 1, v47
	s_delay_alu instid0(VALU_DEP_1)
	v_cmp_eq_u32_e32 vcc_lo, 1, v1
	s_and_b32 exec_lo, exec_lo, vcc_lo
	s_cbranch_execz .LBB571_118
; %bb.117:
	v_dual_mov_b32 v50, 0 :: v_dual_mov_b32 v49, v3
	s_delay_alu instid0(VALU_DEP_1) | instskip(NEXT) | instid1(VALU_DEP_1)
	v_lshlrev_b64 v[49:50], 1, v[49:50]
	v_add_co_u32 v49, vcc_lo, s2, v49
	s_delay_alu instid0(VALU_DEP_2)
	v_add_co_ci_u32_e32 v50, vcc_lo, s3, v50, vcc_lo
	global_store_b16 v[49:50], v43, off
.LBB571_118:
	s_or_b32 exec_lo, exec_lo, s1
	v_cmp_lt_u32_e32 vcc_lo, v4, v48
	s_or_b32 s8, s18, vcc_lo
	;; [unrolled: 21-line block ×10, first 2 shown]
	s_delay_alu instid0(SALU_CYCLE_1)
	s_and_saveexec_b32 s1, s8
	s_cbranch_execz .LBB571_145
; %bb.143:
	v_and_b32_e32 v1, 1, v18
	s_delay_alu instid0(VALU_DEP_1)
	v_cmp_eq_u32_e32 vcc_lo, 1, v1
	s_and_b32 exec_lo, exec_lo, vcc_lo
	s_cbranch_execz .LBB571_145
; %bb.144:
	v_dual_mov_b32 v50, 0 :: v_dual_mov_b32 v49, v12
	s_delay_alu instid0(VALU_DEP_1) | instskip(NEXT) | instid1(VALU_DEP_1)
	v_lshlrev_b64 v[49:50], 1, v[49:50]
	v_add_co_u32 v49, vcc_lo, s2, v49
	s_delay_alu instid0(VALU_DEP_2)
	v_add_co_ci_u32_e32 v50, vcc_lo, s3, v50, vcc_lo
	global_store_b16 v[49:50], v33, off
.LBB571_145:
	s_or_b32 exec_lo, exec_lo, s1
	s_mov_b32 s2, 0
.LBB571_146:
	v_and_b32_e32 v30, 1, v30
	s_and_b32 vcc_lo, exec_lo, s2
	s_delay_alu instid0(VALU_DEP_1)
	v_cmp_eq_u32_e64 s1, 1, v30
	s_cbranch_vccz .LBB571_185
; %bb.147:
	s_delay_alu instid0(VALU_DEP_1)
	s_and_saveexec_b32 s2, s1
	s_cbranch_execz .LBB571_149
; %bb.148:
	v_sub_nc_u32_e32 v1, v2, v32
	s_delay_alu instid0(VALU_DEP_1)
	v_lshlrev_b32_e32 v1, 1, v1
	ds_store_b16 v1, v13
.LBB571_149:
	s_or_b32 exec_lo, exec_lo, s2
	v_and_b32_e32 v1, 1, v47
	s_mov_b32 s1, exec_lo
	s_delay_alu instid0(VALU_DEP_1)
	v_cmpx_eq_u32_e32 1, v1
	s_cbranch_execz .LBB571_151
; %bb.150:
	v_sub_nc_u32_e32 v1, v3, v32
	s_delay_alu instid0(VALU_DEP_1)
	v_lshlrev_b32_e32 v1, 1, v1
	ds_store_b16 v1, v43
.LBB571_151:
	s_or_b32 exec_lo, exec_lo, s1
	v_and_b32_e32 v1, 1, v46
	s_mov_b32 s1, exec_lo
	s_delay_alu instid0(VALU_DEP_1)
	v_cmpx_eq_u32_e32 1, v1
	;; [unrolled: 12-line block ×10, first 2 shown]
	s_cbranch_execz .LBB571_169
; %bb.168:
	v_sub_nc_u32_e32 v1, v12, v32
	s_delay_alu instid0(VALU_DEP_1)
	v_lshlrev_b32_e32 v1, 1, v1
	ds_store_b16 v1, v33
.LBB571_169:
	s_or_b32 exec_lo, exec_lo, s1
	s_delay_alu instid0(SALU_CYCLE_1)
	s_mov_b32 s3, exec_lo
	s_waitcnt lgkmcnt(0)
	s_waitcnt_vscnt null, 0x0
	s_barrier
	buffer_gl0_inv
	v_cmpx_lt_u32_e64 v0, v17
	s_cbranch_execz .LBB571_184
; %bb.170:
	v_mov_b32_e32 v33, 0
	s_lshl_b64 s[8:9], s[12:13], 1
	v_xad_u32 v1, v0, -1, v17
	s_add_u32 s2, s4, s8
	s_addc_u32 s4, s5, s9
	v_lshlrev_b64 v[13:14], 1, v[32:33]
	s_delay_alu instid0(VALU_DEP_2) | instskip(NEXT) | instid1(VALU_DEP_2)
	v_cmp_gt_u32_e32 vcc_lo, 0xc80, v1
	v_add_co_u32 v33, s2, s2, v13
	s_delay_alu instid0(VALU_DEP_1)
	v_add_co_ci_u32_e64 v37, s2, s4, v14, s2
	v_mov_b32_e32 v13, v0
	s_mov_b32 s2, -1
	s_mov_b32 s4, exec_lo
	v_cmpx_lt_u32_e32 0xc7f, v1
	s_cbranch_execz .LBB571_181
; %bb.171:
	v_sub_nc_u32_e32 v13, v0, v17
	s_delay_alu instid0(VALU_DEP_1) | instskip(NEXT) | instid1(VALU_DEP_1)
	v_or_b32_e32 v13, 0x7f, v13
	v_cmp_ge_u32_e64 s1, v13, v0
	v_mov_b32_e32 v13, v0
	s_delay_alu instid0(VALU_DEP_2)
	s_and_saveexec_b32 s5, s1
	s_cbranch_execz .LBB571_180
; %bb.172:
	v_lshrrev_b32_e32 v38, 7, v1
	v_or_b32_e32 v1, 0x80, v0
	v_dual_mov_b32 v49, 0 :: v_dual_lshlrev_b32 v40, 1, v0
	s_delay_alu instid0(VALU_DEP_3) | instskip(NEXT) | instid1(VALU_DEP_1)
	v_add_nc_u32_e32 v13, -1, v38
	v_lshrrev_b32_e32 v14, 1, v13
	v_cmp_lt_u32_e64 s1, 13, v13
	s_delay_alu instid0(VALU_DEP_2) | instskip(SKIP_1) | instid1(VALU_DEP_3)
	v_dual_mov_b32 v14, v1 :: v_dual_add_nc_u32 v41, 1, v14
	v_mov_b32_e32 v13, v0
	s_and_saveexec_b32 s2, s1
	s_cbranch_execz .LBB571_176
; %bb.173:
	v_mov_b32_e32 v14, v1
	v_dual_mov_b32 v43, v40 :: v_dual_and_b32 v42, -8, v41
	v_dual_mov_b32 v16, 0 :: v_dual_mov_b32 v13, v0
	s_mov_b32 s8, 0
	s_mov_b32 s9, 0
.LBB571_174:                            ; =>This Inner Loop Header: Depth=1
	s_delay_alu instid0(VALU_DEP_1) | instskip(NEXT) | instid1(VALU_DEP_2)
	v_dual_mov_b32 v15, v13 :: v_dual_add_nc_u32 v50, 0x100, v14
	v_dual_mov_b32 v63, v16 :: v_dual_add_nc_u32 v42, -8, v42
	v_dual_mov_b32 v51, v16 :: v_dual_add_nc_u32 v52, 0x200, v14
	s_delay_alu instid0(VALU_DEP_3) | instskip(SKIP_1) | instid1(VALU_DEP_4)
	v_lshlrev_b64 v[64:65], 1, v[15:16]
	v_dual_mov_b32 v53, v16 :: v_dual_add_nc_u32 v54, 0x300, v14
	v_cmp_eq_u32_e64 s1, 0, v42
	s_delay_alu instid0(VALU_DEP_4)
	v_lshlrev_b64 v[50:51], 1, v[50:51]
	v_dual_mov_b32 v55, v16 :: v_dual_add_nc_u32 v56, 0x400, v14
	s_add_i32 s9, s9, 16
	v_lshlrev_b64 v[52:53], 1, v[52:53]
	s_or_b32 s8, s1, s8
	v_add_co_u32 v64, s1, v33, v64
	v_dual_mov_b32 v57, v16 :: v_dual_add_nc_u32 v58, 0x500, v14
	v_add_co_ci_u32_e64 v65, s1, v37, v65, s1
	v_lshlrev_b64 v[54:55], 1, v[54:55]
	v_add_co_u32 v50, s1, v33, v50
	v_dual_mov_b32 v59, v16 :: v_dual_add_nc_u32 v60, 0x600, v14
	v_add_co_ci_u32_e64 v51, s1, v37, v51, s1
	v_lshlrev_b64 v[56:57], 1, v[56:57]
	;; [unrolled: 4-line block ×3, first 2 shown]
	v_add_co_u32 v54, s1, v33, v54
	v_mov_b32_e32 v15, v14
	v_add_co_ci_u32_e64 v55, s1, v37, v55, s1
	v_lshlrev_b64 v[60:61], 1, v[60:61]
	v_add_co_u32 v56, s1, v33, v56
	ds_load_u16 v1, v43
	ds_load_u16 v70, v43 offset:256
	ds_load_u16 v71, v43 offset:512
	ds_load_u16 v72, v43 offset:768
	ds_load_u16 v73, v43 offset:1024
	ds_load_u16 v74, v43 offset:1280
	ds_load_u16 v75, v43 offset:1536
	ds_load_u16 v76, v43 offset:1792
	v_add_co_ci_u32_e64 v57, s1, v37, v57, s1
	v_lshlrev_b64 v[62:63], 1, v[62:63]
	v_add_co_u32 v58, s1, v33, v58
	v_lshlrev_b64 v[66:67], 1, v[15:16]
	v_add_nc_u32_e32 v15, 0x100, v13
	v_add_co_ci_u32_e64 v59, s1, v37, v59, s1
	v_add_co_u32 v60, s1, v33, v60
	s_delay_alu instid0(VALU_DEP_1)
	v_add_co_ci_u32_e64 v61, s1, v37, v61, s1
	v_add_co_u32 v62, s1, v33, v62
	v_lshlrev_b64 v[68:69], 1, v[15:16]
	v_add_nc_u32_e32 v15, 0x200, v13
	v_add_co_ci_u32_e64 v63, s1, v37, v63, s1
	v_add_co_u32 v66, s1, v33, v66
	ds_load_u16 v77, v43 offset:2048
	ds_load_u16 v78, v43 offset:2304
	;; [unrolled: 1-line block ×8, first 2 shown]
	v_add_co_ci_u32_e64 v67, s1, v37, v67, s1
	s_waitcnt lgkmcnt(15)
	global_store_b16 v[64:65], v1, off
	v_lshlrev_b64 v[64:65], 1, v[15:16]
	v_add_nc_u32_e32 v15, 0x300, v13
	v_add_co_u32 v68, s1, v33, v68
	s_delay_alu instid0(VALU_DEP_1)
	v_add_co_ci_u32_e64 v69, s1, v37, v69, s1
	s_waitcnt lgkmcnt(14)
	global_store_b16 v[66:67], v70, off
	v_lshlrev_b64 v[66:67], 1, v[15:16]
	v_add_nc_u32_e32 v15, 0x400, v13
	s_waitcnt lgkmcnt(13)
	global_store_b16 v[68:69], v71, off
	s_waitcnt lgkmcnt(12)
	global_store_b16 v[50:51], v72, off
	v_add_co_u32 v50, s1, v33, v64
	s_delay_alu instid0(VALU_DEP_1) | instskip(SKIP_3) | instid1(VALU_DEP_1)
	v_add_co_ci_u32_e64 v51, s1, v37, v65, s1
	v_lshlrev_b64 v[64:65], 1, v[15:16]
	v_add_nc_u32_e32 v15, 0x500, v13
	v_add_co_u32 v66, s1, v33, v66
	v_add_co_ci_u32_e64 v67, s1, v37, v67, s1
	s_waitcnt lgkmcnt(11)
	global_store_b16 v[50:51], v73, off
	s_waitcnt lgkmcnt(10)
	global_store_b16 v[52:53], v74, off
	v_lshlrev_b64 v[50:51], 1, v[15:16]
	v_add_nc_u32_e32 v15, 0x600, v13
	v_add_co_u32 v52, s1, v33, v64
	s_waitcnt lgkmcnt(9)
	global_store_b16 v[66:67], v75, off
	s_waitcnt lgkmcnt(8)
	global_store_b16 v[54:55], v76, off
	v_add_co_ci_u32_e64 v53, s1, v37, v65, s1
	v_lshlrev_b64 v[54:55], 1, v[15:16]
	v_add_nc_u32_e32 v15, 0x700, v13
	v_add_co_u32 v50, s1, v33, v50
	s_delay_alu instid0(VALU_DEP_1)
	v_add_co_ci_u32_e64 v51, s1, v37, v51, s1
	s_waitcnt lgkmcnt(7)
	global_store_b16 v[52:53], v77, off
	s_waitcnt lgkmcnt(6)
	global_store_b16 v[56:57], v78, off
	v_lshlrev_b64 v[52:53], 1, v[15:16]
	v_add_nc_u32_e32 v43, 0x1000, v43
	s_waitcnt lgkmcnt(5)
	global_store_b16 v[50:51], v79, off
	v_add_co_u32 v50, s1, v33, v54
	v_dual_mov_b32 v49, s9 :: v_dual_add_nc_u32 v14, 0x800, v14
	v_add_nc_u32_e32 v13, 0x800, v13
	v_add_co_ci_u32_e64 v51, s1, v37, v55, s1
	v_add_co_u32 v52, s1, v33, v52
	s_delay_alu instid0(VALU_DEP_1)
	v_add_co_ci_u32_e64 v53, s1, v37, v53, s1
	s_waitcnt lgkmcnt(4)
	global_store_b16 v[58:59], v80, off
	s_waitcnt lgkmcnt(3)
	global_store_b16 v[50:51], v81, off
	;; [unrolled: 2-line block ×5, first 2 shown]
	s_and_not1_b32 exec_lo, exec_lo, s8
	s_cbranch_execnz .LBB571_174
; %bb.175:
	s_or_b32 exec_lo, exec_lo, s8
.LBB571_176:
	s_delay_alu instid0(SALU_CYCLE_1) | instskip(SKIP_3) | instid1(VALU_DEP_1)
	s_or_b32 exec_lo, exec_lo, s2
	v_and_b32_e32 v1, 7, v41
	s_mov_b32 s9, 0
	s_mov_b32 s8, exec_lo
	v_cmpx_ne_u32_e32 0, v1
	s_cbranch_execz .LBB571_179
; %bb.177:
	v_lshl_or_b32 v40, v49, 8, v40
	v_mov_b32_e32 v16, 0
	s_set_inst_prefetch_distance 0x1
	.p2align	6
.LBB571_178:                            ; =>This Inner Loop Header: Depth=1
	v_mov_b32_e32 v15, v13
	ds_load_u16 v43, v40
	ds_load_u16 v51, v40 offset:256
	v_add_nc_u32_e32 v40, 0x200, v40
	v_add_nc_u32_e32 v1, -1, v1
	v_add_nc_u32_e32 v13, 0x100, v13
	v_lshlrev_b64 v[41:42], 1, v[15:16]
	v_dual_mov_b32 v15, v14 :: v_dual_add_nc_u32 v14, 0x100, v14
	s_delay_alu instid0(VALU_DEP_4) | instskip(NEXT) | instid1(VALU_DEP_2)
	v_cmp_eq_u32_e64 s1, 0, v1
	v_lshlrev_b64 v[49:50], 1, v[15:16]
	s_delay_alu instid0(VALU_DEP_4) | instskip(NEXT) | instid1(VALU_DEP_1)
	v_add_co_u32 v41, s2, v33, v41
	v_add_co_ci_u32_e64 v42, s2, v37, v42, s2
	s_delay_alu instid0(VALU_DEP_4) | instskip(NEXT) | instid1(VALU_DEP_3)
	s_or_b32 s9, s1, s9
	v_add_co_u32 v49, s2, v33, v49
	s_delay_alu instid0(VALU_DEP_1)
	v_add_co_ci_u32_e64 v50, s2, v37, v50, s2
	s_waitcnt lgkmcnt(1)
	global_store_b16 v[41:42], v43, off
	s_waitcnt lgkmcnt(0)
	global_store_b16 v[49:50], v51, off
	s_and_not1_b32 exec_lo, exec_lo, s9
	s_cbranch_execnz .LBB571_178
.LBB571_179:
	s_set_inst_prefetch_distance 0x2
	s_or_b32 exec_lo, exec_lo, s8
	v_add_nc_u32_e32 v1, 1, v38
	s_delay_alu instid0(VALU_DEP_1) | instskip(NEXT) | instid1(VALU_DEP_1)
	v_and_b32_e32 v13, 0x3fffffe, v1
	v_cmp_ne_u32_e64 s1, v1, v13
	v_lshl_or_b32 v13, v13, 7, v0
	s_delay_alu instid0(VALU_DEP_2)
	s_or_not1_b32 s2, s1, exec_lo
.LBB571_180:
	s_or_b32 exec_lo, exec_lo, s5
	s_delay_alu instid0(SALU_CYCLE_1) | instskip(SKIP_1) | instid1(SALU_CYCLE_1)
	s_and_not1_b32 s1, vcc_lo, exec_lo
	s_and_b32 s2, s2, exec_lo
	s_or_b32 vcc_lo, s1, s2
.LBB571_181:
	s_or_b32 exec_lo, exec_lo, s4
	s_delay_alu instid0(SALU_CYCLE_1)
	s_and_b32 exec_lo, exec_lo, vcc_lo
	s_cbranch_execz .LBB571_184
; %bb.182:
	v_dual_mov_b32 v14, 0 :: v_dual_lshlrev_b32 v1, 1, v13
	s_mov_b32 s2, 0
	.p2align	6
.LBB571_183:                            ; =>This Inner Loop Header: Depth=1
	ds_load_u16 v38, v1
	v_lshlrev_b64 v[15:16], 1, v[13:14]
	v_add_nc_u32_e32 v13, 0x80, v13
	v_add_nc_u32_e32 v1, 0x100, v1
	s_delay_alu instid0(VALU_DEP_2) | instskip(NEXT) | instid1(VALU_DEP_4)
	v_cmp_ge_u32_e32 vcc_lo, v13, v17
	v_add_co_u32 v15, s1, v33, v15
	s_delay_alu instid0(VALU_DEP_1)
	v_add_co_ci_u32_e64 v16, s1, v37, v16, s1
	s_or_b32 s2, vcc_lo, s2
	s_waitcnt lgkmcnt(0)
	global_store_b16 v[15:16], v38, off
	s_and_not1_b32 exec_lo, exec_lo, s2
	s_cbranch_execnz .LBB571_183
.LBB571_184:
	s_or_b32 exec_lo, exec_lo, s3
.LBB571_185:
	s_delay_alu instid0(SALU_CYCLE_1)
	s_and_b32 vcc_lo, exec_lo, s0
	s_mov_b32 s0, -1
	s_waitcnt lgkmcnt(0)
	s_waitcnt_vscnt null, 0x0
	s_barrier
	buffer_gl0_inv
	s_cbranch_vccnz .LBB571_189
; %bb.186:
	s_and_b32 vcc_lo, exec_lo, s0
	s_cbranch_vccnz .LBB571_223
.LBB571_187:
	v_cmp_eq_u32_e32 vcc_lo, 0, v0
	s_and_b32 s0, vcc_lo, s14
	s_delay_alu instid0(SALU_CYCLE_1)
	s_and_saveexec_b32 s1, s0
	s_cbranch_execnz .LBB571_249
.LBB571_188:
	s_nop 0
	s_sendmsg sendmsg(MSG_DEALLOC_VGPRS)
	s_endpgm
.LBB571_189:
	v_cmp_lt_u32_e32 vcc_lo, v2, v48
	s_lshl_b64 s[0:1], s[12:13], 2
	s_delay_alu instid0(SALU_CYCLE_1) | instskip(SKIP_2) | instid1(SALU_CYCLE_1)
	s_add_u32 s0, s6, s0
	s_addc_u32 s1, s7, s1
	s_or_b32 s3, s18, vcc_lo
	s_and_saveexec_b32 s2, s3
	s_cbranch_execz .LBB571_192
; %bb.190:
	v_cmp_eq_u32_e32 vcc_lo, 1, v30
	s_and_b32 exec_lo, exec_lo, vcc_lo
	s_cbranch_execz .LBB571_192
; %bb.191:
	v_dual_mov_b32 v14, 0 :: v_dual_mov_b32 v13, v2
	s_delay_alu instid0(VALU_DEP_1) | instskip(NEXT) | instid1(VALU_DEP_1)
	v_lshlrev_b64 v[13:14], 2, v[13:14]
	v_add_co_u32 v13, vcc_lo, s0, v13
	s_delay_alu instid0(VALU_DEP_2)
	v_add_co_ci_u32_e32 v14, vcc_lo, s1, v14, vcc_lo
	global_store_b32 v[13:14], v28, off
.LBB571_192:
	s_or_b32 exec_lo, exec_lo, s2
	v_cmp_lt_u32_e32 vcc_lo, v3, v48
	s_or_b32 s3, s18, vcc_lo
	s_delay_alu instid0(SALU_CYCLE_1)
	s_and_saveexec_b32 s2, s3
	s_cbranch_execz .LBB571_195
; %bb.193:
	v_and_b32_e32 v1, 1, v47
	s_delay_alu instid0(VALU_DEP_1)
	v_cmp_eq_u32_e32 vcc_lo, 1, v1
	s_and_b32 exec_lo, exec_lo, vcc_lo
	s_cbranch_execz .LBB571_195
; %bb.194:
	v_dual_mov_b32 v14, 0 :: v_dual_mov_b32 v13, v3
	s_delay_alu instid0(VALU_DEP_1) | instskip(NEXT) | instid1(VALU_DEP_1)
	v_lshlrev_b64 v[13:14], 2, v[13:14]
	v_add_co_u32 v13, vcc_lo, s0, v13
	s_delay_alu instid0(VALU_DEP_2)
	v_add_co_ci_u32_e32 v14, vcc_lo, s1, v14, vcc_lo
	global_store_b32 v[13:14], v29, off
.LBB571_195:
	s_or_b32 exec_lo, exec_lo, s2
	v_cmp_lt_u32_e32 vcc_lo, v4, v48
	s_or_b32 s3, s18, vcc_lo
	s_delay_alu instid0(SALU_CYCLE_1)
	s_and_saveexec_b32 s2, s3
	s_cbranch_execz .LBB571_198
; %bb.196:
	v_and_b32_e32 v1, 1, v46
	s_delay_alu instid0(VALU_DEP_1)
	v_cmp_eq_u32_e32 vcc_lo, 1, v1
	s_and_b32 exec_lo, exec_lo, vcc_lo
	s_cbranch_execz .LBB571_198
; %bb.197:
	v_dual_mov_b32 v14, 0 :: v_dual_mov_b32 v13, v4
	s_delay_alu instid0(VALU_DEP_1) | instskip(NEXT) | instid1(VALU_DEP_1)
	v_lshlrev_b64 v[13:14], 2, v[13:14]
	v_add_co_u32 v13, vcc_lo, s0, v13
	s_delay_alu instid0(VALU_DEP_2)
	v_add_co_ci_u32_e32 v14, vcc_lo, s1, v14, vcc_lo
	global_store_b32 v[13:14], v26, off
.LBB571_198:
	;; [unrolled: 21-line block ×10, first 2 shown]
	s_or_b32 exec_lo, exec_lo, s2
	s_branch .LBB571_187
.LBB571_223:
	s_mov_b32 s0, exec_lo
	v_cmpx_eq_u32_e32 1, v30
	s_cbranch_execz .LBB571_225
; %bb.224:
	v_sub_nc_u32_e32 v1, v2, v32
	s_delay_alu instid0(VALU_DEP_1)
	v_lshlrev_b32_e32 v1, 2, v1
	ds_store_b32 v1, v28
.LBB571_225:
	s_or_b32 exec_lo, exec_lo, s0
	v_and_b32_e32 v1, 1, v47
	s_mov_b32 s0, exec_lo
	s_delay_alu instid0(VALU_DEP_1)
	v_cmpx_eq_u32_e32 1, v1
	s_cbranch_execz .LBB571_227
; %bb.226:
	v_sub_nc_u32_e32 v1, v3, v32
	s_delay_alu instid0(VALU_DEP_1)
	v_lshlrev_b32_e32 v1, 2, v1
	ds_store_b32 v1, v29
.LBB571_227:
	s_or_b32 exec_lo, exec_lo, s0
	v_and_b32_e32 v1, 1, v46
	s_mov_b32 s0, exec_lo
	s_delay_alu instid0(VALU_DEP_1)
	;; [unrolled: 12-line block ×10, first 2 shown]
	v_cmpx_eq_u32_e32 1, v1
	s_cbranch_execz .LBB571_245
; %bb.244:
	v_sub_nc_u32_e32 v1, v12, v32
	s_delay_alu instid0(VALU_DEP_1)
	v_lshlrev_b32_e32 v1, 2, v1
	ds_store_b32 v1, v36
.LBB571_245:
	s_or_b32 exec_lo, exec_lo, s0
	s_delay_alu instid0(SALU_CYCLE_1)
	s_mov_b32 s1, exec_lo
	s_waitcnt lgkmcnt(0)
	s_waitcnt_vscnt null, 0x0
	s_barrier
	buffer_gl0_inv
	v_cmpx_lt_u32_e64 v0, v17
	s_cbranch_execz .LBB571_248
; %bb.246:
	v_dual_mov_b32 v2, 0 :: v_dual_lshlrev_b32 v3, 2, v0
	s_lshl_b64 s[2:3], s[12:13], 2
	v_mov_b32_e32 v1, v0
	s_add_u32 s0, s6, s2
	s_delay_alu instid0(VALU_DEP_2) | instskip(SKIP_1) | instid1(VALU_DEP_1)
	v_mov_b32_e32 v33, v2
	s_addc_u32 s2, s7, s3
	v_lshlrev_b64 v[4:5], 2, v[32:33]
	s_delay_alu instid0(VALU_DEP_1) | instskip(NEXT) | instid1(VALU_DEP_2)
	v_add_co_u32 v4, vcc_lo, s0, v4
	v_add_co_ci_u32_e32 v5, vcc_lo, s2, v5, vcc_lo
	s_mov_b32 s2, 0
	.p2align	6
.LBB571_247:                            ; =>This Inner Loop Header: Depth=1
	ds_load_b32 v8, v3
	v_lshlrev_b64 v[6:7], 2, v[1:2]
	v_add_nc_u32_e32 v1, 0x80, v1
	v_add_nc_u32_e32 v3, 0x200, v3
	s_delay_alu instid0(VALU_DEP_2) | instskip(NEXT) | instid1(VALU_DEP_4)
	v_cmp_ge_u32_e32 vcc_lo, v1, v17
	v_add_co_u32 v6, s0, v4, v6
	s_delay_alu instid0(VALU_DEP_1)
	v_add_co_ci_u32_e64 v7, s0, v5, v7, s0
	s_or_b32 s2, vcc_lo, s2
	s_waitcnt lgkmcnt(0)
	global_store_b32 v[6:7], v8, off
	s_and_not1_b32 exec_lo, exec_lo, s2
	s_cbranch_execnz .LBB571_247
.LBB571_248:
	s_or_b32 exec_lo, exec_lo, s1
	v_cmp_eq_u32_e32 vcc_lo, 0, v0
	s_and_b32 s0, vcc_lo, s14
	s_delay_alu instid0(SALU_CYCLE_1)
	s_and_saveexec_b32 s1, s0
	s_cbranch_execz .LBB571_188
.LBB571_249:
	v_add_co_u32 v0, s0, s12, v17
	s_delay_alu instid0(VALU_DEP_1) | instskip(SKIP_1) | instid1(VALU_DEP_3)
	v_add_co_ci_u32_e64 v1, null, s13, 0, s0
	v_mov_b32_e32 v2, 0
	v_add_co_u32 v0, vcc_lo, v0, v32
	s_delay_alu instid0(VALU_DEP_3)
	v_add_co_ci_u32_e32 v1, vcc_lo, 0, v1, vcc_lo
	global_store_b64 v2, v[0:1], s[16:17]
	s_nop 0
	s_sendmsg sendmsg(MSG_DEALLOC_VGPRS)
	s_endpgm
.LBB571_250:
	s_or_b32 exec_lo, exec_lo, s3
	s_and_saveexec_b32 s3, s22
	s_cbranch_execnz .LBB571_72
	s_branch .LBB571_73
	.section	.rodata,"a",@progbits
	.p2align	6, 0x0
	.amdhsa_kernel _ZN7rocprim17ROCPRIM_400000_NS6detail17trampoline_kernelINS0_14default_configENS1_25partition_config_selectorILNS1_17partition_subalgoE9EtjbEEZZNS1_14partition_implILS5_9ELb0ES3_jN6thrust23THRUST_200600_302600_NS6detail15normal_iteratorINS9_10device_ptrItEEEENSB_INSC_IjEEEEPNS0_10empty_typeENS0_5tupleIJSE_SH_EEENSJ_IJSG_SI_EEENS0_18inequality_wrapperINS9_8equal_toItEEEEPmJSH_EEE10hipError_tPvRmT3_T4_T5_T6_T7_T9_mT8_P12ihipStream_tbDpT10_ENKUlT_T0_E_clISt17integral_constantIbLb0EES1A_EEDaS15_S16_EUlS15_E_NS1_11comp_targetILNS1_3genE9ELNS1_11target_archE1100ELNS1_3gpuE3ELNS1_3repE0EEENS1_30default_config_static_selectorELNS0_4arch9wavefront6targetE0EEEvT1_
		.amdhsa_group_segment_fixed_size 5640
		.amdhsa_private_segment_fixed_size 0
		.amdhsa_kernarg_size 112
		.amdhsa_user_sgpr_count 15
		.amdhsa_user_sgpr_dispatch_ptr 0
		.amdhsa_user_sgpr_queue_ptr 0
		.amdhsa_user_sgpr_kernarg_segment_ptr 1
		.amdhsa_user_sgpr_dispatch_id 0
		.amdhsa_user_sgpr_private_segment_size 0
		.amdhsa_wavefront_size32 1
		.amdhsa_uses_dynamic_stack 0
		.amdhsa_enable_private_segment 0
		.amdhsa_system_sgpr_workgroup_id_x 1
		.amdhsa_system_sgpr_workgroup_id_y 0
		.amdhsa_system_sgpr_workgroup_id_z 0
		.amdhsa_system_sgpr_workgroup_info 0
		.amdhsa_system_vgpr_workitem_id 0
		.amdhsa_next_free_vgpr 85
		.amdhsa_next_free_sgpr 24
		.amdhsa_reserve_vcc 1
		.amdhsa_float_round_mode_32 0
		.amdhsa_float_round_mode_16_64 0
		.amdhsa_float_denorm_mode_32 3
		.amdhsa_float_denorm_mode_16_64 3
		.amdhsa_dx10_clamp 1
		.amdhsa_ieee_mode 1
		.amdhsa_fp16_overflow 0
		.amdhsa_workgroup_processor_mode 1
		.amdhsa_memory_ordered 1
		.amdhsa_forward_progress 0
		.amdhsa_shared_vgpr_count 0
		.amdhsa_exception_fp_ieee_invalid_op 0
		.amdhsa_exception_fp_denorm_src 0
		.amdhsa_exception_fp_ieee_div_zero 0
		.amdhsa_exception_fp_ieee_overflow 0
		.amdhsa_exception_fp_ieee_underflow 0
		.amdhsa_exception_fp_ieee_inexact 0
		.amdhsa_exception_int_div_zero 0
	.end_amdhsa_kernel
	.section	.text._ZN7rocprim17ROCPRIM_400000_NS6detail17trampoline_kernelINS0_14default_configENS1_25partition_config_selectorILNS1_17partition_subalgoE9EtjbEEZZNS1_14partition_implILS5_9ELb0ES3_jN6thrust23THRUST_200600_302600_NS6detail15normal_iteratorINS9_10device_ptrItEEEENSB_INSC_IjEEEEPNS0_10empty_typeENS0_5tupleIJSE_SH_EEENSJ_IJSG_SI_EEENS0_18inequality_wrapperINS9_8equal_toItEEEEPmJSH_EEE10hipError_tPvRmT3_T4_T5_T6_T7_T9_mT8_P12ihipStream_tbDpT10_ENKUlT_T0_E_clISt17integral_constantIbLb0EES1A_EEDaS15_S16_EUlS15_E_NS1_11comp_targetILNS1_3genE9ELNS1_11target_archE1100ELNS1_3gpuE3ELNS1_3repE0EEENS1_30default_config_static_selectorELNS0_4arch9wavefront6targetE0EEEvT1_,"axG",@progbits,_ZN7rocprim17ROCPRIM_400000_NS6detail17trampoline_kernelINS0_14default_configENS1_25partition_config_selectorILNS1_17partition_subalgoE9EtjbEEZZNS1_14partition_implILS5_9ELb0ES3_jN6thrust23THRUST_200600_302600_NS6detail15normal_iteratorINS9_10device_ptrItEEEENSB_INSC_IjEEEEPNS0_10empty_typeENS0_5tupleIJSE_SH_EEENSJ_IJSG_SI_EEENS0_18inequality_wrapperINS9_8equal_toItEEEEPmJSH_EEE10hipError_tPvRmT3_T4_T5_T6_T7_T9_mT8_P12ihipStream_tbDpT10_ENKUlT_T0_E_clISt17integral_constantIbLb0EES1A_EEDaS15_S16_EUlS15_E_NS1_11comp_targetILNS1_3genE9ELNS1_11target_archE1100ELNS1_3gpuE3ELNS1_3repE0EEENS1_30default_config_static_selectorELNS0_4arch9wavefront6targetE0EEEvT1_,comdat
.Lfunc_end571:
	.size	_ZN7rocprim17ROCPRIM_400000_NS6detail17trampoline_kernelINS0_14default_configENS1_25partition_config_selectorILNS1_17partition_subalgoE9EtjbEEZZNS1_14partition_implILS5_9ELb0ES3_jN6thrust23THRUST_200600_302600_NS6detail15normal_iteratorINS9_10device_ptrItEEEENSB_INSC_IjEEEEPNS0_10empty_typeENS0_5tupleIJSE_SH_EEENSJ_IJSG_SI_EEENS0_18inequality_wrapperINS9_8equal_toItEEEEPmJSH_EEE10hipError_tPvRmT3_T4_T5_T6_T7_T9_mT8_P12ihipStream_tbDpT10_ENKUlT_T0_E_clISt17integral_constantIbLb0EES1A_EEDaS15_S16_EUlS15_E_NS1_11comp_targetILNS1_3genE9ELNS1_11target_archE1100ELNS1_3gpuE3ELNS1_3repE0EEENS1_30default_config_static_selectorELNS0_4arch9wavefront6targetE0EEEvT1_, .Lfunc_end571-_ZN7rocprim17ROCPRIM_400000_NS6detail17trampoline_kernelINS0_14default_configENS1_25partition_config_selectorILNS1_17partition_subalgoE9EtjbEEZZNS1_14partition_implILS5_9ELb0ES3_jN6thrust23THRUST_200600_302600_NS6detail15normal_iteratorINS9_10device_ptrItEEEENSB_INSC_IjEEEEPNS0_10empty_typeENS0_5tupleIJSE_SH_EEENSJ_IJSG_SI_EEENS0_18inequality_wrapperINS9_8equal_toItEEEEPmJSH_EEE10hipError_tPvRmT3_T4_T5_T6_T7_T9_mT8_P12ihipStream_tbDpT10_ENKUlT_T0_E_clISt17integral_constantIbLb0EES1A_EEDaS15_S16_EUlS15_E_NS1_11comp_targetILNS1_3genE9ELNS1_11target_archE1100ELNS1_3gpuE3ELNS1_3repE0EEENS1_30default_config_static_selectorELNS0_4arch9wavefront6targetE0EEEvT1_
                                        ; -- End function
	.section	.AMDGPU.csdata,"",@progbits
; Kernel info:
; codeLenInByte = 11868
; NumSgprs: 26
; NumVgprs: 85
; ScratchSize: 0
; MemoryBound: 0
; FloatMode: 240
; IeeeMode: 1
; LDSByteSize: 5640 bytes/workgroup (compile time only)
; SGPRBlocks: 3
; VGPRBlocks: 10
; NumSGPRsForWavesPerEU: 26
; NumVGPRsForWavesPerEU: 85
; Occupancy: 16
; WaveLimiterHint : 1
; COMPUTE_PGM_RSRC2:SCRATCH_EN: 0
; COMPUTE_PGM_RSRC2:USER_SGPR: 15
; COMPUTE_PGM_RSRC2:TRAP_HANDLER: 0
; COMPUTE_PGM_RSRC2:TGID_X_EN: 1
; COMPUTE_PGM_RSRC2:TGID_Y_EN: 0
; COMPUTE_PGM_RSRC2:TGID_Z_EN: 0
; COMPUTE_PGM_RSRC2:TIDIG_COMP_CNT: 0
	.section	.text._ZN7rocprim17ROCPRIM_400000_NS6detail17trampoline_kernelINS0_14default_configENS1_25partition_config_selectorILNS1_17partition_subalgoE9EtjbEEZZNS1_14partition_implILS5_9ELb0ES3_jN6thrust23THRUST_200600_302600_NS6detail15normal_iteratorINS9_10device_ptrItEEEENSB_INSC_IjEEEEPNS0_10empty_typeENS0_5tupleIJSE_SH_EEENSJ_IJSG_SI_EEENS0_18inequality_wrapperINS9_8equal_toItEEEEPmJSH_EEE10hipError_tPvRmT3_T4_T5_T6_T7_T9_mT8_P12ihipStream_tbDpT10_ENKUlT_T0_E_clISt17integral_constantIbLb0EES1A_EEDaS15_S16_EUlS15_E_NS1_11comp_targetILNS1_3genE8ELNS1_11target_archE1030ELNS1_3gpuE2ELNS1_3repE0EEENS1_30default_config_static_selectorELNS0_4arch9wavefront6targetE0EEEvT1_,"axG",@progbits,_ZN7rocprim17ROCPRIM_400000_NS6detail17trampoline_kernelINS0_14default_configENS1_25partition_config_selectorILNS1_17partition_subalgoE9EtjbEEZZNS1_14partition_implILS5_9ELb0ES3_jN6thrust23THRUST_200600_302600_NS6detail15normal_iteratorINS9_10device_ptrItEEEENSB_INSC_IjEEEEPNS0_10empty_typeENS0_5tupleIJSE_SH_EEENSJ_IJSG_SI_EEENS0_18inequality_wrapperINS9_8equal_toItEEEEPmJSH_EEE10hipError_tPvRmT3_T4_T5_T6_T7_T9_mT8_P12ihipStream_tbDpT10_ENKUlT_T0_E_clISt17integral_constantIbLb0EES1A_EEDaS15_S16_EUlS15_E_NS1_11comp_targetILNS1_3genE8ELNS1_11target_archE1030ELNS1_3gpuE2ELNS1_3repE0EEENS1_30default_config_static_selectorELNS0_4arch9wavefront6targetE0EEEvT1_,comdat
	.protected	_ZN7rocprim17ROCPRIM_400000_NS6detail17trampoline_kernelINS0_14default_configENS1_25partition_config_selectorILNS1_17partition_subalgoE9EtjbEEZZNS1_14partition_implILS5_9ELb0ES3_jN6thrust23THRUST_200600_302600_NS6detail15normal_iteratorINS9_10device_ptrItEEEENSB_INSC_IjEEEEPNS0_10empty_typeENS0_5tupleIJSE_SH_EEENSJ_IJSG_SI_EEENS0_18inequality_wrapperINS9_8equal_toItEEEEPmJSH_EEE10hipError_tPvRmT3_T4_T5_T6_T7_T9_mT8_P12ihipStream_tbDpT10_ENKUlT_T0_E_clISt17integral_constantIbLb0EES1A_EEDaS15_S16_EUlS15_E_NS1_11comp_targetILNS1_3genE8ELNS1_11target_archE1030ELNS1_3gpuE2ELNS1_3repE0EEENS1_30default_config_static_selectorELNS0_4arch9wavefront6targetE0EEEvT1_ ; -- Begin function _ZN7rocprim17ROCPRIM_400000_NS6detail17trampoline_kernelINS0_14default_configENS1_25partition_config_selectorILNS1_17partition_subalgoE9EtjbEEZZNS1_14partition_implILS5_9ELb0ES3_jN6thrust23THRUST_200600_302600_NS6detail15normal_iteratorINS9_10device_ptrItEEEENSB_INSC_IjEEEEPNS0_10empty_typeENS0_5tupleIJSE_SH_EEENSJ_IJSG_SI_EEENS0_18inequality_wrapperINS9_8equal_toItEEEEPmJSH_EEE10hipError_tPvRmT3_T4_T5_T6_T7_T9_mT8_P12ihipStream_tbDpT10_ENKUlT_T0_E_clISt17integral_constantIbLb0EES1A_EEDaS15_S16_EUlS15_E_NS1_11comp_targetILNS1_3genE8ELNS1_11target_archE1030ELNS1_3gpuE2ELNS1_3repE0EEENS1_30default_config_static_selectorELNS0_4arch9wavefront6targetE0EEEvT1_
	.globl	_ZN7rocprim17ROCPRIM_400000_NS6detail17trampoline_kernelINS0_14default_configENS1_25partition_config_selectorILNS1_17partition_subalgoE9EtjbEEZZNS1_14partition_implILS5_9ELb0ES3_jN6thrust23THRUST_200600_302600_NS6detail15normal_iteratorINS9_10device_ptrItEEEENSB_INSC_IjEEEEPNS0_10empty_typeENS0_5tupleIJSE_SH_EEENSJ_IJSG_SI_EEENS0_18inequality_wrapperINS9_8equal_toItEEEEPmJSH_EEE10hipError_tPvRmT3_T4_T5_T6_T7_T9_mT8_P12ihipStream_tbDpT10_ENKUlT_T0_E_clISt17integral_constantIbLb0EES1A_EEDaS15_S16_EUlS15_E_NS1_11comp_targetILNS1_3genE8ELNS1_11target_archE1030ELNS1_3gpuE2ELNS1_3repE0EEENS1_30default_config_static_selectorELNS0_4arch9wavefront6targetE0EEEvT1_
	.p2align	8
	.type	_ZN7rocprim17ROCPRIM_400000_NS6detail17trampoline_kernelINS0_14default_configENS1_25partition_config_selectorILNS1_17partition_subalgoE9EtjbEEZZNS1_14partition_implILS5_9ELb0ES3_jN6thrust23THRUST_200600_302600_NS6detail15normal_iteratorINS9_10device_ptrItEEEENSB_INSC_IjEEEEPNS0_10empty_typeENS0_5tupleIJSE_SH_EEENSJ_IJSG_SI_EEENS0_18inequality_wrapperINS9_8equal_toItEEEEPmJSH_EEE10hipError_tPvRmT3_T4_T5_T6_T7_T9_mT8_P12ihipStream_tbDpT10_ENKUlT_T0_E_clISt17integral_constantIbLb0EES1A_EEDaS15_S16_EUlS15_E_NS1_11comp_targetILNS1_3genE8ELNS1_11target_archE1030ELNS1_3gpuE2ELNS1_3repE0EEENS1_30default_config_static_selectorELNS0_4arch9wavefront6targetE0EEEvT1_,@function
_ZN7rocprim17ROCPRIM_400000_NS6detail17trampoline_kernelINS0_14default_configENS1_25partition_config_selectorILNS1_17partition_subalgoE9EtjbEEZZNS1_14partition_implILS5_9ELb0ES3_jN6thrust23THRUST_200600_302600_NS6detail15normal_iteratorINS9_10device_ptrItEEEENSB_INSC_IjEEEEPNS0_10empty_typeENS0_5tupleIJSE_SH_EEENSJ_IJSG_SI_EEENS0_18inequality_wrapperINS9_8equal_toItEEEEPmJSH_EEE10hipError_tPvRmT3_T4_T5_T6_T7_T9_mT8_P12ihipStream_tbDpT10_ENKUlT_T0_E_clISt17integral_constantIbLb0EES1A_EEDaS15_S16_EUlS15_E_NS1_11comp_targetILNS1_3genE8ELNS1_11target_archE1030ELNS1_3gpuE2ELNS1_3repE0EEENS1_30default_config_static_selectorELNS0_4arch9wavefront6targetE0EEEvT1_: ; @_ZN7rocprim17ROCPRIM_400000_NS6detail17trampoline_kernelINS0_14default_configENS1_25partition_config_selectorILNS1_17partition_subalgoE9EtjbEEZZNS1_14partition_implILS5_9ELb0ES3_jN6thrust23THRUST_200600_302600_NS6detail15normal_iteratorINS9_10device_ptrItEEEENSB_INSC_IjEEEEPNS0_10empty_typeENS0_5tupleIJSE_SH_EEENSJ_IJSG_SI_EEENS0_18inequality_wrapperINS9_8equal_toItEEEEPmJSH_EEE10hipError_tPvRmT3_T4_T5_T6_T7_T9_mT8_P12ihipStream_tbDpT10_ENKUlT_T0_E_clISt17integral_constantIbLb0EES1A_EEDaS15_S16_EUlS15_E_NS1_11comp_targetILNS1_3genE8ELNS1_11target_archE1030ELNS1_3gpuE2ELNS1_3repE0EEENS1_30default_config_static_selectorELNS0_4arch9wavefront6targetE0EEEvT1_
; %bb.0:
	.section	.rodata,"a",@progbits
	.p2align	6, 0x0
	.amdhsa_kernel _ZN7rocprim17ROCPRIM_400000_NS6detail17trampoline_kernelINS0_14default_configENS1_25partition_config_selectorILNS1_17partition_subalgoE9EtjbEEZZNS1_14partition_implILS5_9ELb0ES3_jN6thrust23THRUST_200600_302600_NS6detail15normal_iteratorINS9_10device_ptrItEEEENSB_INSC_IjEEEEPNS0_10empty_typeENS0_5tupleIJSE_SH_EEENSJ_IJSG_SI_EEENS0_18inequality_wrapperINS9_8equal_toItEEEEPmJSH_EEE10hipError_tPvRmT3_T4_T5_T6_T7_T9_mT8_P12ihipStream_tbDpT10_ENKUlT_T0_E_clISt17integral_constantIbLb0EES1A_EEDaS15_S16_EUlS15_E_NS1_11comp_targetILNS1_3genE8ELNS1_11target_archE1030ELNS1_3gpuE2ELNS1_3repE0EEENS1_30default_config_static_selectorELNS0_4arch9wavefront6targetE0EEEvT1_
		.amdhsa_group_segment_fixed_size 0
		.amdhsa_private_segment_fixed_size 0
		.amdhsa_kernarg_size 112
		.amdhsa_user_sgpr_count 15
		.amdhsa_user_sgpr_dispatch_ptr 0
		.amdhsa_user_sgpr_queue_ptr 0
		.amdhsa_user_sgpr_kernarg_segment_ptr 1
		.amdhsa_user_sgpr_dispatch_id 0
		.amdhsa_user_sgpr_private_segment_size 0
		.amdhsa_wavefront_size32 1
		.amdhsa_uses_dynamic_stack 0
		.amdhsa_enable_private_segment 0
		.amdhsa_system_sgpr_workgroup_id_x 1
		.amdhsa_system_sgpr_workgroup_id_y 0
		.amdhsa_system_sgpr_workgroup_id_z 0
		.amdhsa_system_sgpr_workgroup_info 0
		.amdhsa_system_vgpr_workitem_id 0
		.amdhsa_next_free_vgpr 1
		.amdhsa_next_free_sgpr 1
		.amdhsa_reserve_vcc 0
		.amdhsa_float_round_mode_32 0
		.amdhsa_float_round_mode_16_64 0
		.amdhsa_float_denorm_mode_32 3
		.amdhsa_float_denorm_mode_16_64 3
		.amdhsa_dx10_clamp 1
		.amdhsa_ieee_mode 1
		.amdhsa_fp16_overflow 0
		.amdhsa_workgroup_processor_mode 1
		.amdhsa_memory_ordered 1
		.amdhsa_forward_progress 0
		.amdhsa_shared_vgpr_count 0
		.amdhsa_exception_fp_ieee_invalid_op 0
		.amdhsa_exception_fp_denorm_src 0
		.amdhsa_exception_fp_ieee_div_zero 0
		.amdhsa_exception_fp_ieee_overflow 0
		.amdhsa_exception_fp_ieee_underflow 0
		.amdhsa_exception_fp_ieee_inexact 0
		.amdhsa_exception_int_div_zero 0
	.end_amdhsa_kernel
	.section	.text._ZN7rocprim17ROCPRIM_400000_NS6detail17trampoline_kernelINS0_14default_configENS1_25partition_config_selectorILNS1_17partition_subalgoE9EtjbEEZZNS1_14partition_implILS5_9ELb0ES3_jN6thrust23THRUST_200600_302600_NS6detail15normal_iteratorINS9_10device_ptrItEEEENSB_INSC_IjEEEEPNS0_10empty_typeENS0_5tupleIJSE_SH_EEENSJ_IJSG_SI_EEENS0_18inequality_wrapperINS9_8equal_toItEEEEPmJSH_EEE10hipError_tPvRmT3_T4_T5_T6_T7_T9_mT8_P12ihipStream_tbDpT10_ENKUlT_T0_E_clISt17integral_constantIbLb0EES1A_EEDaS15_S16_EUlS15_E_NS1_11comp_targetILNS1_3genE8ELNS1_11target_archE1030ELNS1_3gpuE2ELNS1_3repE0EEENS1_30default_config_static_selectorELNS0_4arch9wavefront6targetE0EEEvT1_,"axG",@progbits,_ZN7rocprim17ROCPRIM_400000_NS6detail17trampoline_kernelINS0_14default_configENS1_25partition_config_selectorILNS1_17partition_subalgoE9EtjbEEZZNS1_14partition_implILS5_9ELb0ES3_jN6thrust23THRUST_200600_302600_NS6detail15normal_iteratorINS9_10device_ptrItEEEENSB_INSC_IjEEEEPNS0_10empty_typeENS0_5tupleIJSE_SH_EEENSJ_IJSG_SI_EEENS0_18inequality_wrapperINS9_8equal_toItEEEEPmJSH_EEE10hipError_tPvRmT3_T4_T5_T6_T7_T9_mT8_P12ihipStream_tbDpT10_ENKUlT_T0_E_clISt17integral_constantIbLb0EES1A_EEDaS15_S16_EUlS15_E_NS1_11comp_targetILNS1_3genE8ELNS1_11target_archE1030ELNS1_3gpuE2ELNS1_3repE0EEENS1_30default_config_static_selectorELNS0_4arch9wavefront6targetE0EEEvT1_,comdat
.Lfunc_end572:
	.size	_ZN7rocprim17ROCPRIM_400000_NS6detail17trampoline_kernelINS0_14default_configENS1_25partition_config_selectorILNS1_17partition_subalgoE9EtjbEEZZNS1_14partition_implILS5_9ELb0ES3_jN6thrust23THRUST_200600_302600_NS6detail15normal_iteratorINS9_10device_ptrItEEEENSB_INSC_IjEEEEPNS0_10empty_typeENS0_5tupleIJSE_SH_EEENSJ_IJSG_SI_EEENS0_18inequality_wrapperINS9_8equal_toItEEEEPmJSH_EEE10hipError_tPvRmT3_T4_T5_T6_T7_T9_mT8_P12ihipStream_tbDpT10_ENKUlT_T0_E_clISt17integral_constantIbLb0EES1A_EEDaS15_S16_EUlS15_E_NS1_11comp_targetILNS1_3genE8ELNS1_11target_archE1030ELNS1_3gpuE2ELNS1_3repE0EEENS1_30default_config_static_selectorELNS0_4arch9wavefront6targetE0EEEvT1_, .Lfunc_end572-_ZN7rocprim17ROCPRIM_400000_NS6detail17trampoline_kernelINS0_14default_configENS1_25partition_config_selectorILNS1_17partition_subalgoE9EtjbEEZZNS1_14partition_implILS5_9ELb0ES3_jN6thrust23THRUST_200600_302600_NS6detail15normal_iteratorINS9_10device_ptrItEEEENSB_INSC_IjEEEEPNS0_10empty_typeENS0_5tupleIJSE_SH_EEENSJ_IJSG_SI_EEENS0_18inequality_wrapperINS9_8equal_toItEEEEPmJSH_EEE10hipError_tPvRmT3_T4_T5_T6_T7_T9_mT8_P12ihipStream_tbDpT10_ENKUlT_T0_E_clISt17integral_constantIbLb0EES1A_EEDaS15_S16_EUlS15_E_NS1_11comp_targetILNS1_3genE8ELNS1_11target_archE1030ELNS1_3gpuE2ELNS1_3repE0EEENS1_30default_config_static_selectorELNS0_4arch9wavefront6targetE0EEEvT1_
                                        ; -- End function
	.section	.AMDGPU.csdata,"",@progbits
; Kernel info:
; codeLenInByte = 0
; NumSgprs: 0
; NumVgprs: 0
; ScratchSize: 0
; MemoryBound: 0
; FloatMode: 240
; IeeeMode: 1
; LDSByteSize: 0 bytes/workgroup (compile time only)
; SGPRBlocks: 0
; VGPRBlocks: 0
; NumSGPRsForWavesPerEU: 1
; NumVGPRsForWavesPerEU: 1
; Occupancy: 16
; WaveLimiterHint : 0
; COMPUTE_PGM_RSRC2:SCRATCH_EN: 0
; COMPUTE_PGM_RSRC2:USER_SGPR: 15
; COMPUTE_PGM_RSRC2:TRAP_HANDLER: 0
; COMPUTE_PGM_RSRC2:TGID_X_EN: 1
; COMPUTE_PGM_RSRC2:TGID_Y_EN: 0
; COMPUTE_PGM_RSRC2:TGID_Z_EN: 0
; COMPUTE_PGM_RSRC2:TIDIG_COMP_CNT: 0
	.section	.text._ZN7rocprim17ROCPRIM_400000_NS6detail17trampoline_kernelINS0_14default_configENS1_25partition_config_selectorILNS1_17partition_subalgoE9EtjbEEZZNS1_14partition_implILS5_9ELb0ES3_jN6thrust23THRUST_200600_302600_NS6detail15normal_iteratorINS9_10device_ptrItEEEENSB_INSC_IjEEEEPNS0_10empty_typeENS0_5tupleIJSE_SH_EEENSJ_IJSG_SI_EEENS0_18inequality_wrapperINS9_8equal_toItEEEEPmJSH_EEE10hipError_tPvRmT3_T4_T5_T6_T7_T9_mT8_P12ihipStream_tbDpT10_ENKUlT_T0_E_clISt17integral_constantIbLb1EES1A_EEDaS15_S16_EUlS15_E_NS1_11comp_targetILNS1_3genE0ELNS1_11target_archE4294967295ELNS1_3gpuE0ELNS1_3repE0EEENS1_30default_config_static_selectorELNS0_4arch9wavefront6targetE0EEEvT1_,"axG",@progbits,_ZN7rocprim17ROCPRIM_400000_NS6detail17trampoline_kernelINS0_14default_configENS1_25partition_config_selectorILNS1_17partition_subalgoE9EtjbEEZZNS1_14partition_implILS5_9ELb0ES3_jN6thrust23THRUST_200600_302600_NS6detail15normal_iteratorINS9_10device_ptrItEEEENSB_INSC_IjEEEEPNS0_10empty_typeENS0_5tupleIJSE_SH_EEENSJ_IJSG_SI_EEENS0_18inequality_wrapperINS9_8equal_toItEEEEPmJSH_EEE10hipError_tPvRmT3_T4_T5_T6_T7_T9_mT8_P12ihipStream_tbDpT10_ENKUlT_T0_E_clISt17integral_constantIbLb1EES1A_EEDaS15_S16_EUlS15_E_NS1_11comp_targetILNS1_3genE0ELNS1_11target_archE4294967295ELNS1_3gpuE0ELNS1_3repE0EEENS1_30default_config_static_selectorELNS0_4arch9wavefront6targetE0EEEvT1_,comdat
	.protected	_ZN7rocprim17ROCPRIM_400000_NS6detail17trampoline_kernelINS0_14default_configENS1_25partition_config_selectorILNS1_17partition_subalgoE9EtjbEEZZNS1_14partition_implILS5_9ELb0ES3_jN6thrust23THRUST_200600_302600_NS6detail15normal_iteratorINS9_10device_ptrItEEEENSB_INSC_IjEEEEPNS0_10empty_typeENS0_5tupleIJSE_SH_EEENSJ_IJSG_SI_EEENS0_18inequality_wrapperINS9_8equal_toItEEEEPmJSH_EEE10hipError_tPvRmT3_T4_T5_T6_T7_T9_mT8_P12ihipStream_tbDpT10_ENKUlT_T0_E_clISt17integral_constantIbLb1EES1A_EEDaS15_S16_EUlS15_E_NS1_11comp_targetILNS1_3genE0ELNS1_11target_archE4294967295ELNS1_3gpuE0ELNS1_3repE0EEENS1_30default_config_static_selectorELNS0_4arch9wavefront6targetE0EEEvT1_ ; -- Begin function _ZN7rocprim17ROCPRIM_400000_NS6detail17trampoline_kernelINS0_14default_configENS1_25partition_config_selectorILNS1_17partition_subalgoE9EtjbEEZZNS1_14partition_implILS5_9ELb0ES3_jN6thrust23THRUST_200600_302600_NS6detail15normal_iteratorINS9_10device_ptrItEEEENSB_INSC_IjEEEEPNS0_10empty_typeENS0_5tupleIJSE_SH_EEENSJ_IJSG_SI_EEENS0_18inequality_wrapperINS9_8equal_toItEEEEPmJSH_EEE10hipError_tPvRmT3_T4_T5_T6_T7_T9_mT8_P12ihipStream_tbDpT10_ENKUlT_T0_E_clISt17integral_constantIbLb1EES1A_EEDaS15_S16_EUlS15_E_NS1_11comp_targetILNS1_3genE0ELNS1_11target_archE4294967295ELNS1_3gpuE0ELNS1_3repE0EEENS1_30default_config_static_selectorELNS0_4arch9wavefront6targetE0EEEvT1_
	.globl	_ZN7rocprim17ROCPRIM_400000_NS6detail17trampoline_kernelINS0_14default_configENS1_25partition_config_selectorILNS1_17partition_subalgoE9EtjbEEZZNS1_14partition_implILS5_9ELb0ES3_jN6thrust23THRUST_200600_302600_NS6detail15normal_iteratorINS9_10device_ptrItEEEENSB_INSC_IjEEEEPNS0_10empty_typeENS0_5tupleIJSE_SH_EEENSJ_IJSG_SI_EEENS0_18inequality_wrapperINS9_8equal_toItEEEEPmJSH_EEE10hipError_tPvRmT3_T4_T5_T6_T7_T9_mT8_P12ihipStream_tbDpT10_ENKUlT_T0_E_clISt17integral_constantIbLb1EES1A_EEDaS15_S16_EUlS15_E_NS1_11comp_targetILNS1_3genE0ELNS1_11target_archE4294967295ELNS1_3gpuE0ELNS1_3repE0EEENS1_30default_config_static_selectorELNS0_4arch9wavefront6targetE0EEEvT1_
	.p2align	8
	.type	_ZN7rocprim17ROCPRIM_400000_NS6detail17trampoline_kernelINS0_14default_configENS1_25partition_config_selectorILNS1_17partition_subalgoE9EtjbEEZZNS1_14partition_implILS5_9ELb0ES3_jN6thrust23THRUST_200600_302600_NS6detail15normal_iteratorINS9_10device_ptrItEEEENSB_INSC_IjEEEEPNS0_10empty_typeENS0_5tupleIJSE_SH_EEENSJ_IJSG_SI_EEENS0_18inequality_wrapperINS9_8equal_toItEEEEPmJSH_EEE10hipError_tPvRmT3_T4_T5_T6_T7_T9_mT8_P12ihipStream_tbDpT10_ENKUlT_T0_E_clISt17integral_constantIbLb1EES1A_EEDaS15_S16_EUlS15_E_NS1_11comp_targetILNS1_3genE0ELNS1_11target_archE4294967295ELNS1_3gpuE0ELNS1_3repE0EEENS1_30default_config_static_selectorELNS0_4arch9wavefront6targetE0EEEvT1_,@function
_ZN7rocprim17ROCPRIM_400000_NS6detail17trampoline_kernelINS0_14default_configENS1_25partition_config_selectorILNS1_17partition_subalgoE9EtjbEEZZNS1_14partition_implILS5_9ELb0ES3_jN6thrust23THRUST_200600_302600_NS6detail15normal_iteratorINS9_10device_ptrItEEEENSB_INSC_IjEEEEPNS0_10empty_typeENS0_5tupleIJSE_SH_EEENSJ_IJSG_SI_EEENS0_18inequality_wrapperINS9_8equal_toItEEEEPmJSH_EEE10hipError_tPvRmT3_T4_T5_T6_T7_T9_mT8_P12ihipStream_tbDpT10_ENKUlT_T0_E_clISt17integral_constantIbLb1EES1A_EEDaS15_S16_EUlS15_E_NS1_11comp_targetILNS1_3genE0ELNS1_11target_archE4294967295ELNS1_3gpuE0ELNS1_3repE0EEENS1_30default_config_static_selectorELNS0_4arch9wavefront6targetE0EEEvT1_: ; @_ZN7rocprim17ROCPRIM_400000_NS6detail17trampoline_kernelINS0_14default_configENS1_25partition_config_selectorILNS1_17partition_subalgoE9EtjbEEZZNS1_14partition_implILS5_9ELb0ES3_jN6thrust23THRUST_200600_302600_NS6detail15normal_iteratorINS9_10device_ptrItEEEENSB_INSC_IjEEEEPNS0_10empty_typeENS0_5tupleIJSE_SH_EEENSJ_IJSG_SI_EEENS0_18inequality_wrapperINS9_8equal_toItEEEEPmJSH_EEE10hipError_tPvRmT3_T4_T5_T6_T7_T9_mT8_P12ihipStream_tbDpT10_ENKUlT_T0_E_clISt17integral_constantIbLb1EES1A_EEDaS15_S16_EUlS15_E_NS1_11comp_targetILNS1_3genE0ELNS1_11target_archE4294967295ELNS1_3gpuE0ELNS1_3repE0EEENS1_30default_config_static_selectorELNS0_4arch9wavefront6targetE0EEEvT1_
; %bb.0:
	.section	.rodata,"a",@progbits
	.p2align	6, 0x0
	.amdhsa_kernel _ZN7rocprim17ROCPRIM_400000_NS6detail17trampoline_kernelINS0_14default_configENS1_25partition_config_selectorILNS1_17partition_subalgoE9EtjbEEZZNS1_14partition_implILS5_9ELb0ES3_jN6thrust23THRUST_200600_302600_NS6detail15normal_iteratorINS9_10device_ptrItEEEENSB_INSC_IjEEEEPNS0_10empty_typeENS0_5tupleIJSE_SH_EEENSJ_IJSG_SI_EEENS0_18inequality_wrapperINS9_8equal_toItEEEEPmJSH_EEE10hipError_tPvRmT3_T4_T5_T6_T7_T9_mT8_P12ihipStream_tbDpT10_ENKUlT_T0_E_clISt17integral_constantIbLb1EES1A_EEDaS15_S16_EUlS15_E_NS1_11comp_targetILNS1_3genE0ELNS1_11target_archE4294967295ELNS1_3gpuE0ELNS1_3repE0EEENS1_30default_config_static_selectorELNS0_4arch9wavefront6targetE0EEEvT1_
		.amdhsa_group_segment_fixed_size 0
		.amdhsa_private_segment_fixed_size 0
		.amdhsa_kernarg_size 128
		.amdhsa_user_sgpr_count 15
		.amdhsa_user_sgpr_dispatch_ptr 0
		.amdhsa_user_sgpr_queue_ptr 0
		.amdhsa_user_sgpr_kernarg_segment_ptr 1
		.amdhsa_user_sgpr_dispatch_id 0
		.amdhsa_user_sgpr_private_segment_size 0
		.amdhsa_wavefront_size32 1
		.amdhsa_uses_dynamic_stack 0
		.amdhsa_enable_private_segment 0
		.amdhsa_system_sgpr_workgroup_id_x 1
		.amdhsa_system_sgpr_workgroup_id_y 0
		.amdhsa_system_sgpr_workgroup_id_z 0
		.amdhsa_system_sgpr_workgroup_info 0
		.amdhsa_system_vgpr_workitem_id 0
		.amdhsa_next_free_vgpr 1
		.amdhsa_next_free_sgpr 1
		.amdhsa_reserve_vcc 0
		.amdhsa_float_round_mode_32 0
		.amdhsa_float_round_mode_16_64 0
		.amdhsa_float_denorm_mode_32 3
		.amdhsa_float_denorm_mode_16_64 3
		.amdhsa_dx10_clamp 1
		.amdhsa_ieee_mode 1
		.amdhsa_fp16_overflow 0
		.amdhsa_workgroup_processor_mode 1
		.amdhsa_memory_ordered 1
		.amdhsa_forward_progress 0
		.amdhsa_shared_vgpr_count 0
		.amdhsa_exception_fp_ieee_invalid_op 0
		.amdhsa_exception_fp_denorm_src 0
		.amdhsa_exception_fp_ieee_div_zero 0
		.amdhsa_exception_fp_ieee_overflow 0
		.amdhsa_exception_fp_ieee_underflow 0
		.amdhsa_exception_fp_ieee_inexact 0
		.amdhsa_exception_int_div_zero 0
	.end_amdhsa_kernel
	.section	.text._ZN7rocprim17ROCPRIM_400000_NS6detail17trampoline_kernelINS0_14default_configENS1_25partition_config_selectorILNS1_17partition_subalgoE9EtjbEEZZNS1_14partition_implILS5_9ELb0ES3_jN6thrust23THRUST_200600_302600_NS6detail15normal_iteratorINS9_10device_ptrItEEEENSB_INSC_IjEEEEPNS0_10empty_typeENS0_5tupleIJSE_SH_EEENSJ_IJSG_SI_EEENS0_18inequality_wrapperINS9_8equal_toItEEEEPmJSH_EEE10hipError_tPvRmT3_T4_T5_T6_T7_T9_mT8_P12ihipStream_tbDpT10_ENKUlT_T0_E_clISt17integral_constantIbLb1EES1A_EEDaS15_S16_EUlS15_E_NS1_11comp_targetILNS1_3genE0ELNS1_11target_archE4294967295ELNS1_3gpuE0ELNS1_3repE0EEENS1_30default_config_static_selectorELNS0_4arch9wavefront6targetE0EEEvT1_,"axG",@progbits,_ZN7rocprim17ROCPRIM_400000_NS6detail17trampoline_kernelINS0_14default_configENS1_25partition_config_selectorILNS1_17partition_subalgoE9EtjbEEZZNS1_14partition_implILS5_9ELb0ES3_jN6thrust23THRUST_200600_302600_NS6detail15normal_iteratorINS9_10device_ptrItEEEENSB_INSC_IjEEEEPNS0_10empty_typeENS0_5tupleIJSE_SH_EEENSJ_IJSG_SI_EEENS0_18inequality_wrapperINS9_8equal_toItEEEEPmJSH_EEE10hipError_tPvRmT3_T4_T5_T6_T7_T9_mT8_P12ihipStream_tbDpT10_ENKUlT_T0_E_clISt17integral_constantIbLb1EES1A_EEDaS15_S16_EUlS15_E_NS1_11comp_targetILNS1_3genE0ELNS1_11target_archE4294967295ELNS1_3gpuE0ELNS1_3repE0EEENS1_30default_config_static_selectorELNS0_4arch9wavefront6targetE0EEEvT1_,comdat
.Lfunc_end573:
	.size	_ZN7rocprim17ROCPRIM_400000_NS6detail17trampoline_kernelINS0_14default_configENS1_25partition_config_selectorILNS1_17partition_subalgoE9EtjbEEZZNS1_14partition_implILS5_9ELb0ES3_jN6thrust23THRUST_200600_302600_NS6detail15normal_iteratorINS9_10device_ptrItEEEENSB_INSC_IjEEEEPNS0_10empty_typeENS0_5tupleIJSE_SH_EEENSJ_IJSG_SI_EEENS0_18inequality_wrapperINS9_8equal_toItEEEEPmJSH_EEE10hipError_tPvRmT3_T4_T5_T6_T7_T9_mT8_P12ihipStream_tbDpT10_ENKUlT_T0_E_clISt17integral_constantIbLb1EES1A_EEDaS15_S16_EUlS15_E_NS1_11comp_targetILNS1_3genE0ELNS1_11target_archE4294967295ELNS1_3gpuE0ELNS1_3repE0EEENS1_30default_config_static_selectorELNS0_4arch9wavefront6targetE0EEEvT1_, .Lfunc_end573-_ZN7rocprim17ROCPRIM_400000_NS6detail17trampoline_kernelINS0_14default_configENS1_25partition_config_selectorILNS1_17partition_subalgoE9EtjbEEZZNS1_14partition_implILS5_9ELb0ES3_jN6thrust23THRUST_200600_302600_NS6detail15normal_iteratorINS9_10device_ptrItEEEENSB_INSC_IjEEEEPNS0_10empty_typeENS0_5tupleIJSE_SH_EEENSJ_IJSG_SI_EEENS0_18inequality_wrapperINS9_8equal_toItEEEEPmJSH_EEE10hipError_tPvRmT3_T4_T5_T6_T7_T9_mT8_P12ihipStream_tbDpT10_ENKUlT_T0_E_clISt17integral_constantIbLb1EES1A_EEDaS15_S16_EUlS15_E_NS1_11comp_targetILNS1_3genE0ELNS1_11target_archE4294967295ELNS1_3gpuE0ELNS1_3repE0EEENS1_30default_config_static_selectorELNS0_4arch9wavefront6targetE0EEEvT1_
                                        ; -- End function
	.section	.AMDGPU.csdata,"",@progbits
; Kernel info:
; codeLenInByte = 0
; NumSgprs: 0
; NumVgprs: 0
; ScratchSize: 0
; MemoryBound: 0
; FloatMode: 240
; IeeeMode: 1
; LDSByteSize: 0 bytes/workgroup (compile time only)
; SGPRBlocks: 0
; VGPRBlocks: 0
; NumSGPRsForWavesPerEU: 1
; NumVGPRsForWavesPerEU: 1
; Occupancy: 16
; WaveLimiterHint : 0
; COMPUTE_PGM_RSRC2:SCRATCH_EN: 0
; COMPUTE_PGM_RSRC2:USER_SGPR: 15
; COMPUTE_PGM_RSRC2:TRAP_HANDLER: 0
; COMPUTE_PGM_RSRC2:TGID_X_EN: 1
; COMPUTE_PGM_RSRC2:TGID_Y_EN: 0
; COMPUTE_PGM_RSRC2:TGID_Z_EN: 0
; COMPUTE_PGM_RSRC2:TIDIG_COMP_CNT: 0
	.section	.text._ZN7rocprim17ROCPRIM_400000_NS6detail17trampoline_kernelINS0_14default_configENS1_25partition_config_selectorILNS1_17partition_subalgoE9EtjbEEZZNS1_14partition_implILS5_9ELb0ES3_jN6thrust23THRUST_200600_302600_NS6detail15normal_iteratorINS9_10device_ptrItEEEENSB_INSC_IjEEEEPNS0_10empty_typeENS0_5tupleIJSE_SH_EEENSJ_IJSG_SI_EEENS0_18inequality_wrapperINS9_8equal_toItEEEEPmJSH_EEE10hipError_tPvRmT3_T4_T5_T6_T7_T9_mT8_P12ihipStream_tbDpT10_ENKUlT_T0_E_clISt17integral_constantIbLb1EES1A_EEDaS15_S16_EUlS15_E_NS1_11comp_targetILNS1_3genE5ELNS1_11target_archE942ELNS1_3gpuE9ELNS1_3repE0EEENS1_30default_config_static_selectorELNS0_4arch9wavefront6targetE0EEEvT1_,"axG",@progbits,_ZN7rocprim17ROCPRIM_400000_NS6detail17trampoline_kernelINS0_14default_configENS1_25partition_config_selectorILNS1_17partition_subalgoE9EtjbEEZZNS1_14partition_implILS5_9ELb0ES3_jN6thrust23THRUST_200600_302600_NS6detail15normal_iteratorINS9_10device_ptrItEEEENSB_INSC_IjEEEEPNS0_10empty_typeENS0_5tupleIJSE_SH_EEENSJ_IJSG_SI_EEENS0_18inequality_wrapperINS9_8equal_toItEEEEPmJSH_EEE10hipError_tPvRmT3_T4_T5_T6_T7_T9_mT8_P12ihipStream_tbDpT10_ENKUlT_T0_E_clISt17integral_constantIbLb1EES1A_EEDaS15_S16_EUlS15_E_NS1_11comp_targetILNS1_3genE5ELNS1_11target_archE942ELNS1_3gpuE9ELNS1_3repE0EEENS1_30default_config_static_selectorELNS0_4arch9wavefront6targetE0EEEvT1_,comdat
	.protected	_ZN7rocprim17ROCPRIM_400000_NS6detail17trampoline_kernelINS0_14default_configENS1_25partition_config_selectorILNS1_17partition_subalgoE9EtjbEEZZNS1_14partition_implILS5_9ELb0ES3_jN6thrust23THRUST_200600_302600_NS6detail15normal_iteratorINS9_10device_ptrItEEEENSB_INSC_IjEEEEPNS0_10empty_typeENS0_5tupleIJSE_SH_EEENSJ_IJSG_SI_EEENS0_18inequality_wrapperINS9_8equal_toItEEEEPmJSH_EEE10hipError_tPvRmT3_T4_T5_T6_T7_T9_mT8_P12ihipStream_tbDpT10_ENKUlT_T0_E_clISt17integral_constantIbLb1EES1A_EEDaS15_S16_EUlS15_E_NS1_11comp_targetILNS1_3genE5ELNS1_11target_archE942ELNS1_3gpuE9ELNS1_3repE0EEENS1_30default_config_static_selectorELNS0_4arch9wavefront6targetE0EEEvT1_ ; -- Begin function _ZN7rocprim17ROCPRIM_400000_NS6detail17trampoline_kernelINS0_14default_configENS1_25partition_config_selectorILNS1_17partition_subalgoE9EtjbEEZZNS1_14partition_implILS5_9ELb0ES3_jN6thrust23THRUST_200600_302600_NS6detail15normal_iteratorINS9_10device_ptrItEEEENSB_INSC_IjEEEEPNS0_10empty_typeENS0_5tupleIJSE_SH_EEENSJ_IJSG_SI_EEENS0_18inequality_wrapperINS9_8equal_toItEEEEPmJSH_EEE10hipError_tPvRmT3_T4_T5_T6_T7_T9_mT8_P12ihipStream_tbDpT10_ENKUlT_T0_E_clISt17integral_constantIbLb1EES1A_EEDaS15_S16_EUlS15_E_NS1_11comp_targetILNS1_3genE5ELNS1_11target_archE942ELNS1_3gpuE9ELNS1_3repE0EEENS1_30default_config_static_selectorELNS0_4arch9wavefront6targetE0EEEvT1_
	.globl	_ZN7rocprim17ROCPRIM_400000_NS6detail17trampoline_kernelINS0_14default_configENS1_25partition_config_selectorILNS1_17partition_subalgoE9EtjbEEZZNS1_14partition_implILS5_9ELb0ES3_jN6thrust23THRUST_200600_302600_NS6detail15normal_iteratorINS9_10device_ptrItEEEENSB_INSC_IjEEEEPNS0_10empty_typeENS0_5tupleIJSE_SH_EEENSJ_IJSG_SI_EEENS0_18inequality_wrapperINS9_8equal_toItEEEEPmJSH_EEE10hipError_tPvRmT3_T4_T5_T6_T7_T9_mT8_P12ihipStream_tbDpT10_ENKUlT_T0_E_clISt17integral_constantIbLb1EES1A_EEDaS15_S16_EUlS15_E_NS1_11comp_targetILNS1_3genE5ELNS1_11target_archE942ELNS1_3gpuE9ELNS1_3repE0EEENS1_30default_config_static_selectorELNS0_4arch9wavefront6targetE0EEEvT1_
	.p2align	8
	.type	_ZN7rocprim17ROCPRIM_400000_NS6detail17trampoline_kernelINS0_14default_configENS1_25partition_config_selectorILNS1_17partition_subalgoE9EtjbEEZZNS1_14partition_implILS5_9ELb0ES3_jN6thrust23THRUST_200600_302600_NS6detail15normal_iteratorINS9_10device_ptrItEEEENSB_INSC_IjEEEEPNS0_10empty_typeENS0_5tupleIJSE_SH_EEENSJ_IJSG_SI_EEENS0_18inequality_wrapperINS9_8equal_toItEEEEPmJSH_EEE10hipError_tPvRmT3_T4_T5_T6_T7_T9_mT8_P12ihipStream_tbDpT10_ENKUlT_T0_E_clISt17integral_constantIbLb1EES1A_EEDaS15_S16_EUlS15_E_NS1_11comp_targetILNS1_3genE5ELNS1_11target_archE942ELNS1_3gpuE9ELNS1_3repE0EEENS1_30default_config_static_selectorELNS0_4arch9wavefront6targetE0EEEvT1_,@function
_ZN7rocprim17ROCPRIM_400000_NS6detail17trampoline_kernelINS0_14default_configENS1_25partition_config_selectorILNS1_17partition_subalgoE9EtjbEEZZNS1_14partition_implILS5_9ELb0ES3_jN6thrust23THRUST_200600_302600_NS6detail15normal_iteratorINS9_10device_ptrItEEEENSB_INSC_IjEEEEPNS0_10empty_typeENS0_5tupleIJSE_SH_EEENSJ_IJSG_SI_EEENS0_18inequality_wrapperINS9_8equal_toItEEEEPmJSH_EEE10hipError_tPvRmT3_T4_T5_T6_T7_T9_mT8_P12ihipStream_tbDpT10_ENKUlT_T0_E_clISt17integral_constantIbLb1EES1A_EEDaS15_S16_EUlS15_E_NS1_11comp_targetILNS1_3genE5ELNS1_11target_archE942ELNS1_3gpuE9ELNS1_3repE0EEENS1_30default_config_static_selectorELNS0_4arch9wavefront6targetE0EEEvT1_: ; @_ZN7rocprim17ROCPRIM_400000_NS6detail17trampoline_kernelINS0_14default_configENS1_25partition_config_selectorILNS1_17partition_subalgoE9EtjbEEZZNS1_14partition_implILS5_9ELb0ES3_jN6thrust23THRUST_200600_302600_NS6detail15normal_iteratorINS9_10device_ptrItEEEENSB_INSC_IjEEEEPNS0_10empty_typeENS0_5tupleIJSE_SH_EEENSJ_IJSG_SI_EEENS0_18inequality_wrapperINS9_8equal_toItEEEEPmJSH_EEE10hipError_tPvRmT3_T4_T5_T6_T7_T9_mT8_P12ihipStream_tbDpT10_ENKUlT_T0_E_clISt17integral_constantIbLb1EES1A_EEDaS15_S16_EUlS15_E_NS1_11comp_targetILNS1_3genE5ELNS1_11target_archE942ELNS1_3gpuE9ELNS1_3repE0EEENS1_30default_config_static_selectorELNS0_4arch9wavefront6targetE0EEEvT1_
; %bb.0:
	.section	.rodata,"a",@progbits
	.p2align	6, 0x0
	.amdhsa_kernel _ZN7rocprim17ROCPRIM_400000_NS6detail17trampoline_kernelINS0_14default_configENS1_25partition_config_selectorILNS1_17partition_subalgoE9EtjbEEZZNS1_14partition_implILS5_9ELb0ES3_jN6thrust23THRUST_200600_302600_NS6detail15normal_iteratorINS9_10device_ptrItEEEENSB_INSC_IjEEEEPNS0_10empty_typeENS0_5tupleIJSE_SH_EEENSJ_IJSG_SI_EEENS0_18inequality_wrapperINS9_8equal_toItEEEEPmJSH_EEE10hipError_tPvRmT3_T4_T5_T6_T7_T9_mT8_P12ihipStream_tbDpT10_ENKUlT_T0_E_clISt17integral_constantIbLb1EES1A_EEDaS15_S16_EUlS15_E_NS1_11comp_targetILNS1_3genE5ELNS1_11target_archE942ELNS1_3gpuE9ELNS1_3repE0EEENS1_30default_config_static_selectorELNS0_4arch9wavefront6targetE0EEEvT1_
		.amdhsa_group_segment_fixed_size 0
		.amdhsa_private_segment_fixed_size 0
		.amdhsa_kernarg_size 128
		.amdhsa_user_sgpr_count 15
		.amdhsa_user_sgpr_dispatch_ptr 0
		.amdhsa_user_sgpr_queue_ptr 0
		.amdhsa_user_sgpr_kernarg_segment_ptr 1
		.amdhsa_user_sgpr_dispatch_id 0
		.amdhsa_user_sgpr_private_segment_size 0
		.amdhsa_wavefront_size32 1
		.amdhsa_uses_dynamic_stack 0
		.amdhsa_enable_private_segment 0
		.amdhsa_system_sgpr_workgroup_id_x 1
		.amdhsa_system_sgpr_workgroup_id_y 0
		.amdhsa_system_sgpr_workgroup_id_z 0
		.amdhsa_system_sgpr_workgroup_info 0
		.amdhsa_system_vgpr_workitem_id 0
		.amdhsa_next_free_vgpr 1
		.amdhsa_next_free_sgpr 1
		.amdhsa_reserve_vcc 0
		.amdhsa_float_round_mode_32 0
		.amdhsa_float_round_mode_16_64 0
		.amdhsa_float_denorm_mode_32 3
		.amdhsa_float_denorm_mode_16_64 3
		.amdhsa_dx10_clamp 1
		.amdhsa_ieee_mode 1
		.amdhsa_fp16_overflow 0
		.amdhsa_workgroup_processor_mode 1
		.amdhsa_memory_ordered 1
		.amdhsa_forward_progress 0
		.amdhsa_shared_vgpr_count 0
		.amdhsa_exception_fp_ieee_invalid_op 0
		.amdhsa_exception_fp_denorm_src 0
		.amdhsa_exception_fp_ieee_div_zero 0
		.amdhsa_exception_fp_ieee_overflow 0
		.amdhsa_exception_fp_ieee_underflow 0
		.amdhsa_exception_fp_ieee_inexact 0
		.amdhsa_exception_int_div_zero 0
	.end_amdhsa_kernel
	.section	.text._ZN7rocprim17ROCPRIM_400000_NS6detail17trampoline_kernelINS0_14default_configENS1_25partition_config_selectorILNS1_17partition_subalgoE9EtjbEEZZNS1_14partition_implILS5_9ELb0ES3_jN6thrust23THRUST_200600_302600_NS6detail15normal_iteratorINS9_10device_ptrItEEEENSB_INSC_IjEEEEPNS0_10empty_typeENS0_5tupleIJSE_SH_EEENSJ_IJSG_SI_EEENS0_18inequality_wrapperINS9_8equal_toItEEEEPmJSH_EEE10hipError_tPvRmT3_T4_T5_T6_T7_T9_mT8_P12ihipStream_tbDpT10_ENKUlT_T0_E_clISt17integral_constantIbLb1EES1A_EEDaS15_S16_EUlS15_E_NS1_11comp_targetILNS1_3genE5ELNS1_11target_archE942ELNS1_3gpuE9ELNS1_3repE0EEENS1_30default_config_static_selectorELNS0_4arch9wavefront6targetE0EEEvT1_,"axG",@progbits,_ZN7rocprim17ROCPRIM_400000_NS6detail17trampoline_kernelINS0_14default_configENS1_25partition_config_selectorILNS1_17partition_subalgoE9EtjbEEZZNS1_14partition_implILS5_9ELb0ES3_jN6thrust23THRUST_200600_302600_NS6detail15normal_iteratorINS9_10device_ptrItEEEENSB_INSC_IjEEEEPNS0_10empty_typeENS0_5tupleIJSE_SH_EEENSJ_IJSG_SI_EEENS0_18inequality_wrapperINS9_8equal_toItEEEEPmJSH_EEE10hipError_tPvRmT3_T4_T5_T6_T7_T9_mT8_P12ihipStream_tbDpT10_ENKUlT_T0_E_clISt17integral_constantIbLb1EES1A_EEDaS15_S16_EUlS15_E_NS1_11comp_targetILNS1_3genE5ELNS1_11target_archE942ELNS1_3gpuE9ELNS1_3repE0EEENS1_30default_config_static_selectorELNS0_4arch9wavefront6targetE0EEEvT1_,comdat
.Lfunc_end574:
	.size	_ZN7rocprim17ROCPRIM_400000_NS6detail17trampoline_kernelINS0_14default_configENS1_25partition_config_selectorILNS1_17partition_subalgoE9EtjbEEZZNS1_14partition_implILS5_9ELb0ES3_jN6thrust23THRUST_200600_302600_NS6detail15normal_iteratorINS9_10device_ptrItEEEENSB_INSC_IjEEEEPNS0_10empty_typeENS0_5tupleIJSE_SH_EEENSJ_IJSG_SI_EEENS0_18inequality_wrapperINS9_8equal_toItEEEEPmJSH_EEE10hipError_tPvRmT3_T4_T5_T6_T7_T9_mT8_P12ihipStream_tbDpT10_ENKUlT_T0_E_clISt17integral_constantIbLb1EES1A_EEDaS15_S16_EUlS15_E_NS1_11comp_targetILNS1_3genE5ELNS1_11target_archE942ELNS1_3gpuE9ELNS1_3repE0EEENS1_30default_config_static_selectorELNS0_4arch9wavefront6targetE0EEEvT1_, .Lfunc_end574-_ZN7rocprim17ROCPRIM_400000_NS6detail17trampoline_kernelINS0_14default_configENS1_25partition_config_selectorILNS1_17partition_subalgoE9EtjbEEZZNS1_14partition_implILS5_9ELb0ES3_jN6thrust23THRUST_200600_302600_NS6detail15normal_iteratorINS9_10device_ptrItEEEENSB_INSC_IjEEEEPNS0_10empty_typeENS0_5tupleIJSE_SH_EEENSJ_IJSG_SI_EEENS0_18inequality_wrapperINS9_8equal_toItEEEEPmJSH_EEE10hipError_tPvRmT3_T4_T5_T6_T7_T9_mT8_P12ihipStream_tbDpT10_ENKUlT_T0_E_clISt17integral_constantIbLb1EES1A_EEDaS15_S16_EUlS15_E_NS1_11comp_targetILNS1_3genE5ELNS1_11target_archE942ELNS1_3gpuE9ELNS1_3repE0EEENS1_30default_config_static_selectorELNS0_4arch9wavefront6targetE0EEEvT1_
                                        ; -- End function
	.section	.AMDGPU.csdata,"",@progbits
; Kernel info:
; codeLenInByte = 0
; NumSgprs: 0
; NumVgprs: 0
; ScratchSize: 0
; MemoryBound: 0
; FloatMode: 240
; IeeeMode: 1
; LDSByteSize: 0 bytes/workgroup (compile time only)
; SGPRBlocks: 0
; VGPRBlocks: 0
; NumSGPRsForWavesPerEU: 1
; NumVGPRsForWavesPerEU: 1
; Occupancy: 16
; WaveLimiterHint : 0
; COMPUTE_PGM_RSRC2:SCRATCH_EN: 0
; COMPUTE_PGM_RSRC2:USER_SGPR: 15
; COMPUTE_PGM_RSRC2:TRAP_HANDLER: 0
; COMPUTE_PGM_RSRC2:TGID_X_EN: 1
; COMPUTE_PGM_RSRC2:TGID_Y_EN: 0
; COMPUTE_PGM_RSRC2:TGID_Z_EN: 0
; COMPUTE_PGM_RSRC2:TIDIG_COMP_CNT: 0
	.section	.text._ZN7rocprim17ROCPRIM_400000_NS6detail17trampoline_kernelINS0_14default_configENS1_25partition_config_selectorILNS1_17partition_subalgoE9EtjbEEZZNS1_14partition_implILS5_9ELb0ES3_jN6thrust23THRUST_200600_302600_NS6detail15normal_iteratorINS9_10device_ptrItEEEENSB_INSC_IjEEEEPNS0_10empty_typeENS0_5tupleIJSE_SH_EEENSJ_IJSG_SI_EEENS0_18inequality_wrapperINS9_8equal_toItEEEEPmJSH_EEE10hipError_tPvRmT3_T4_T5_T6_T7_T9_mT8_P12ihipStream_tbDpT10_ENKUlT_T0_E_clISt17integral_constantIbLb1EES1A_EEDaS15_S16_EUlS15_E_NS1_11comp_targetILNS1_3genE4ELNS1_11target_archE910ELNS1_3gpuE8ELNS1_3repE0EEENS1_30default_config_static_selectorELNS0_4arch9wavefront6targetE0EEEvT1_,"axG",@progbits,_ZN7rocprim17ROCPRIM_400000_NS6detail17trampoline_kernelINS0_14default_configENS1_25partition_config_selectorILNS1_17partition_subalgoE9EtjbEEZZNS1_14partition_implILS5_9ELb0ES3_jN6thrust23THRUST_200600_302600_NS6detail15normal_iteratorINS9_10device_ptrItEEEENSB_INSC_IjEEEEPNS0_10empty_typeENS0_5tupleIJSE_SH_EEENSJ_IJSG_SI_EEENS0_18inequality_wrapperINS9_8equal_toItEEEEPmJSH_EEE10hipError_tPvRmT3_T4_T5_T6_T7_T9_mT8_P12ihipStream_tbDpT10_ENKUlT_T0_E_clISt17integral_constantIbLb1EES1A_EEDaS15_S16_EUlS15_E_NS1_11comp_targetILNS1_3genE4ELNS1_11target_archE910ELNS1_3gpuE8ELNS1_3repE0EEENS1_30default_config_static_selectorELNS0_4arch9wavefront6targetE0EEEvT1_,comdat
	.protected	_ZN7rocprim17ROCPRIM_400000_NS6detail17trampoline_kernelINS0_14default_configENS1_25partition_config_selectorILNS1_17partition_subalgoE9EtjbEEZZNS1_14partition_implILS5_9ELb0ES3_jN6thrust23THRUST_200600_302600_NS6detail15normal_iteratorINS9_10device_ptrItEEEENSB_INSC_IjEEEEPNS0_10empty_typeENS0_5tupleIJSE_SH_EEENSJ_IJSG_SI_EEENS0_18inequality_wrapperINS9_8equal_toItEEEEPmJSH_EEE10hipError_tPvRmT3_T4_T5_T6_T7_T9_mT8_P12ihipStream_tbDpT10_ENKUlT_T0_E_clISt17integral_constantIbLb1EES1A_EEDaS15_S16_EUlS15_E_NS1_11comp_targetILNS1_3genE4ELNS1_11target_archE910ELNS1_3gpuE8ELNS1_3repE0EEENS1_30default_config_static_selectorELNS0_4arch9wavefront6targetE0EEEvT1_ ; -- Begin function _ZN7rocprim17ROCPRIM_400000_NS6detail17trampoline_kernelINS0_14default_configENS1_25partition_config_selectorILNS1_17partition_subalgoE9EtjbEEZZNS1_14partition_implILS5_9ELb0ES3_jN6thrust23THRUST_200600_302600_NS6detail15normal_iteratorINS9_10device_ptrItEEEENSB_INSC_IjEEEEPNS0_10empty_typeENS0_5tupleIJSE_SH_EEENSJ_IJSG_SI_EEENS0_18inequality_wrapperINS9_8equal_toItEEEEPmJSH_EEE10hipError_tPvRmT3_T4_T5_T6_T7_T9_mT8_P12ihipStream_tbDpT10_ENKUlT_T0_E_clISt17integral_constantIbLb1EES1A_EEDaS15_S16_EUlS15_E_NS1_11comp_targetILNS1_3genE4ELNS1_11target_archE910ELNS1_3gpuE8ELNS1_3repE0EEENS1_30default_config_static_selectorELNS0_4arch9wavefront6targetE0EEEvT1_
	.globl	_ZN7rocprim17ROCPRIM_400000_NS6detail17trampoline_kernelINS0_14default_configENS1_25partition_config_selectorILNS1_17partition_subalgoE9EtjbEEZZNS1_14partition_implILS5_9ELb0ES3_jN6thrust23THRUST_200600_302600_NS6detail15normal_iteratorINS9_10device_ptrItEEEENSB_INSC_IjEEEEPNS0_10empty_typeENS0_5tupleIJSE_SH_EEENSJ_IJSG_SI_EEENS0_18inequality_wrapperINS9_8equal_toItEEEEPmJSH_EEE10hipError_tPvRmT3_T4_T5_T6_T7_T9_mT8_P12ihipStream_tbDpT10_ENKUlT_T0_E_clISt17integral_constantIbLb1EES1A_EEDaS15_S16_EUlS15_E_NS1_11comp_targetILNS1_3genE4ELNS1_11target_archE910ELNS1_3gpuE8ELNS1_3repE0EEENS1_30default_config_static_selectorELNS0_4arch9wavefront6targetE0EEEvT1_
	.p2align	8
	.type	_ZN7rocprim17ROCPRIM_400000_NS6detail17trampoline_kernelINS0_14default_configENS1_25partition_config_selectorILNS1_17partition_subalgoE9EtjbEEZZNS1_14partition_implILS5_9ELb0ES3_jN6thrust23THRUST_200600_302600_NS6detail15normal_iteratorINS9_10device_ptrItEEEENSB_INSC_IjEEEEPNS0_10empty_typeENS0_5tupleIJSE_SH_EEENSJ_IJSG_SI_EEENS0_18inequality_wrapperINS9_8equal_toItEEEEPmJSH_EEE10hipError_tPvRmT3_T4_T5_T6_T7_T9_mT8_P12ihipStream_tbDpT10_ENKUlT_T0_E_clISt17integral_constantIbLb1EES1A_EEDaS15_S16_EUlS15_E_NS1_11comp_targetILNS1_3genE4ELNS1_11target_archE910ELNS1_3gpuE8ELNS1_3repE0EEENS1_30default_config_static_selectorELNS0_4arch9wavefront6targetE0EEEvT1_,@function
_ZN7rocprim17ROCPRIM_400000_NS6detail17trampoline_kernelINS0_14default_configENS1_25partition_config_selectorILNS1_17partition_subalgoE9EtjbEEZZNS1_14partition_implILS5_9ELb0ES3_jN6thrust23THRUST_200600_302600_NS6detail15normal_iteratorINS9_10device_ptrItEEEENSB_INSC_IjEEEEPNS0_10empty_typeENS0_5tupleIJSE_SH_EEENSJ_IJSG_SI_EEENS0_18inequality_wrapperINS9_8equal_toItEEEEPmJSH_EEE10hipError_tPvRmT3_T4_T5_T6_T7_T9_mT8_P12ihipStream_tbDpT10_ENKUlT_T0_E_clISt17integral_constantIbLb1EES1A_EEDaS15_S16_EUlS15_E_NS1_11comp_targetILNS1_3genE4ELNS1_11target_archE910ELNS1_3gpuE8ELNS1_3repE0EEENS1_30default_config_static_selectorELNS0_4arch9wavefront6targetE0EEEvT1_: ; @_ZN7rocprim17ROCPRIM_400000_NS6detail17trampoline_kernelINS0_14default_configENS1_25partition_config_selectorILNS1_17partition_subalgoE9EtjbEEZZNS1_14partition_implILS5_9ELb0ES3_jN6thrust23THRUST_200600_302600_NS6detail15normal_iteratorINS9_10device_ptrItEEEENSB_INSC_IjEEEEPNS0_10empty_typeENS0_5tupleIJSE_SH_EEENSJ_IJSG_SI_EEENS0_18inequality_wrapperINS9_8equal_toItEEEEPmJSH_EEE10hipError_tPvRmT3_T4_T5_T6_T7_T9_mT8_P12ihipStream_tbDpT10_ENKUlT_T0_E_clISt17integral_constantIbLb1EES1A_EEDaS15_S16_EUlS15_E_NS1_11comp_targetILNS1_3genE4ELNS1_11target_archE910ELNS1_3gpuE8ELNS1_3repE0EEENS1_30default_config_static_selectorELNS0_4arch9wavefront6targetE0EEEvT1_
; %bb.0:
	.section	.rodata,"a",@progbits
	.p2align	6, 0x0
	.amdhsa_kernel _ZN7rocprim17ROCPRIM_400000_NS6detail17trampoline_kernelINS0_14default_configENS1_25partition_config_selectorILNS1_17partition_subalgoE9EtjbEEZZNS1_14partition_implILS5_9ELb0ES3_jN6thrust23THRUST_200600_302600_NS6detail15normal_iteratorINS9_10device_ptrItEEEENSB_INSC_IjEEEEPNS0_10empty_typeENS0_5tupleIJSE_SH_EEENSJ_IJSG_SI_EEENS0_18inequality_wrapperINS9_8equal_toItEEEEPmJSH_EEE10hipError_tPvRmT3_T4_T5_T6_T7_T9_mT8_P12ihipStream_tbDpT10_ENKUlT_T0_E_clISt17integral_constantIbLb1EES1A_EEDaS15_S16_EUlS15_E_NS1_11comp_targetILNS1_3genE4ELNS1_11target_archE910ELNS1_3gpuE8ELNS1_3repE0EEENS1_30default_config_static_selectorELNS0_4arch9wavefront6targetE0EEEvT1_
		.amdhsa_group_segment_fixed_size 0
		.amdhsa_private_segment_fixed_size 0
		.amdhsa_kernarg_size 128
		.amdhsa_user_sgpr_count 15
		.amdhsa_user_sgpr_dispatch_ptr 0
		.amdhsa_user_sgpr_queue_ptr 0
		.amdhsa_user_sgpr_kernarg_segment_ptr 1
		.amdhsa_user_sgpr_dispatch_id 0
		.amdhsa_user_sgpr_private_segment_size 0
		.amdhsa_wavefront_size32 1
		.amdhsa_uses_dynamic_stack 0
		.amdhsa_enable_private_segment 0
		.amdhsa_system_sgpr_workgroup_id_x 1
		.amdhsa_system_sgpr_workgroup_id_y 0
		.amdhsa_system_sgpr_workgroup_id_z 0
		.amdhsa_system_sgpr_workgroup_info 0
		.amdhsa_system_vgpr_workitem_id 0
		.amdhsa_next_free_vgpr 1
		.amdhsa_next_free_sgpr 1
		.amdhsa_reserve_vcc 0
		.amdhsa_float_round_mode_32 0
		.amdhsa_float_round_mode_16_64 0
		.amdhsa_float_denorm_mode_32 3
		.amdhsa_float_denorm_mode_16_64 3
		.amdhsa_dx10_clamp 1
		.amdhsa_ieee_mode 1
		.amdhsa_fp16_overflow 0
		.amdhsa_workgroup_processor_mode 1
		.amdhsa_memory_ordered 1
		.amdhsa_forward_progress 0
		.amdhsa_shared_vgpr_count 0
		.amdhsa_exception_fp_ieee_invalid_op 0
		.amdhsa_exception_fp_denorm_src 0
		.amdhsa_exception_fp_ieee_div_zero 0
		.amdhsa_exception_fp_ieee_overflow 0
		.amdhsa_exception_fp_ieee_underflow 0
		.amdhsa_exception_fp_ieee_inexact 0
		.amdhsa_exception_int_div_zero 0
	.end_amdhsa_kernel
	.section	.text._ZN7rocprim17ROCPRIM_400000_NS6detail17trampoline_kernelINS0_14default_configENS1_25partition_config_selectorILNS1_17partition_subalgoE9EtjbEEZZNS1_14partition_implILS5_9ELb0ES3_jN6thrust23THRUST_200600_302600_NS6detail15normal_iteratorINS9_10device_ptrItEEEENSB_INSC_IjEEEEPNS0_10empty_typeENS0_5tupleIJSE_SH_EEENSJ_IJSG_SI_EEENS0_18inequality_wrapperINS9_8equal_toItEEEEPmJSH_EEE10hipError_tPvRmT3_T4_T5_T6_T7_T9_mT8_P12ihipStream_tbDpT10_ENKUlT_T0_E_clISt17integral_constantIbLb1EES1A_EEDaS15_S16_EUlS15_E_NS1_11comp_targetILNS1_3genE4ELNS1_11target_archE910ELNS1_3gpuE8ELNS1_3repE0EEENS1_30default_config_static_selectorELNS0_4arch9wavefront6targetE0EEEvT1_,"axG",@progbits,_ZN7rocprim17ROCPRIM_400000_NS6detail17trampoline_kernelINS0_14default_configENS1_25partition_config_selectorILNS1_17partition_subalgoE9EtjbEEZZNS1_14partition_implILS5_9ELb0ES3_jN6thrust23THRUST_200600_302600_NS6detail15normal_iteratorINS9_10device_ptrItEEEENSB_INSC_IjEEEEPNS0_10empty_typeENS0_5tupleIJSE_SH_EEENSJ_IJSG_SI_EEENS0_18inequality_wrapperINS9_8equal_toItEEEEPmJSH_EEE10hipError_tPvRmT3_T4_T5_T6_T7_T9_mT8_P12ihipStream_tbDpT10_ENKUlT_T0_E_clISt17integral_constantIbLb1EES1A_EEDaS15_S16_EUlS15_E_NS1_11comp_targetILNS1_3genE4ELNS1_11target_archE910ELNS1_3gpuE8ELNS1_3repE0EEENS1_30default_config_static_selectorELNS0_4arch9wavefront6targetE0EEEvT1_,comdat
.Lfunc_end575:
	.size	_ZN7rocprim17ROCPRIM_400000_NS6detail17trampoline_kernelINS0_14default_configENS1_25partition_config_selectorILNS1_17partition_subalgoE9EtjbEEZZNS1_14partition_implILS5_9ELb0ES3_jN6thrust23THRUST_200600_302600_NS6detail15normal_iteratorINS9_10device_ptrItEEEENSB_INSC_IjEEEEPNS0_10empty_typeENS0_5tupleIJSE_SH_EEENSJ_IJSG_SI_EEENS0_18inequality_wrapperINS9_8equal_toItEEEEPmJSH_EEE10hipError_tPvRmT3_T4_T5_T6_T7_T9_mT8_P12ihipStream_tbDpT10_ENKUlT_T0_E_clISt17integral_constantIbLb1EES1A_EEDaS15_S16_EUlS15_E_NS1_11comp_targetILNS1_3genE4ELNS1_11target_archE910ELNS1_3gpuE8ELNS1_3repE0EEENS1_30default_config_static_selectorELNS0_4arch9wavefront6targetE0EEEvT1_, .Lfunc_end575-_ZN7rocprim17ROCPRIM_400000_NS6detail17trampoline_kernelINS0_14default_configENS1_25partition_config_selectorILNS1_17partition_subalgoE9EtjbEEZZNS1_14partition_implILS5_9ELb0ES3_jN6thrust23THRUST_200600_302600_NS6detail15normal_iteratorINS9_10device_ptrItEEEENSB_INSC_IjEEEEPNS0_10empty_typeENS0_5tupleIJSE_SH_EEENSJ_IJSG_SI_EEENS0_18inequality_wrapperINS9_8equal_toItEEEEPmJSH_EEE10hipError_tPvRmT3_T4_T5_T6_T7_T9_mT8_P12ihipStream_tbDpT10_ENKUlT_T0_E_clISt17integral_constantIbLb1EES1A_EEDaS15_S16_EUlS15_E_NS1_11comp_targetILNS1_3genE4ELNS1_11target_archE910ELNS1_3gpuE8ELNS1_3repE0EEENS1_30default_config_static_selectorELNS0_4arch9wavefront6targetE0EEEvT1_
                                        ; -- End function
	.section	.AMDGPU.csdata,"",@progbits
; Kernel info:
; codeLenInByte = 0
; NumSgprs: 0
; NumVgprs: 0
; ScratchSize: 0
; MemoryBound: 0
; FloatMode: 240
; IeeeMode: 1
; LDSByteSize: 0 bytes/workgroup (compile time only)
; SGPRBlocks: 0
; VGPRBlocks: 0
; NumSGPRsForWavesPerEU: 1
; NumVGPRsForWavesPerEU: 1
; Occupancy: 15
; WaveLimiterHint : 0
; COMPUTE_PGM_RSRC2:SCRATCH_EN: 0
; COMPUTE_PGM_RSRC2:USER_SGPR: 15
; COMPUTE_PGM_RSRC2:TRAP_HANDLER: 0
; COMPUTE_PGM_RSRC2:TGID_X_EN: 1
; COMPUTE_PGM_RSRC2:TGID_Y_EN: 0
; COMPUTE_PGM_RSRC2:TGID_Z_EN: 0
; COMPUTE_PGM_RSRC2:TIDIG_COMP_CNT: 0
	.section	.text._ZN7rocprim17ROCPRIM_400000_NS6detail17trampoline_kernelINS0_14default_configENS1_25partition_config_selectorILNS1_17partition_subalgoE9EtjbEEZZNS1_14partition_implILS5_9ELb0ES3_jN6thrust23THRUST_200600_302600_NS6detail15normal_iteratorINS9_10device_ptrItEEEENSB_INSC_IjEEEEPNS0_10empty_typeENS0_5tupleIJSE_SH_EEENSJ_IJSG_SI_EEENS0_18inequality_wrapperINS9_8equal_toItEEEEPmJSH_EEE10hipError_tPvRmT3_T4_T5_T6_T7_T9_mT8_P12ihipStream_tbDpT10_ENKUlT_T0_E_clISt17integral_constantIbLb1EES1A_EEDaS15_S16_EUlS15_E_NS1_11comp_targetILNS1_3genE3ELNS1_11target_archE908ELNS1_3gpuE7ELNS1_3repE0EEENS1_30default_config_static_selectorELNS0_4arch9wavefront6targetE0EEEvT1_,"axG",@progbits,_ZN7rocprim17ROCPRIM_400000_NS6detail17trampoline_kernelINS0_14default_configENS1_25partition_config_selectorILNS1_17partition_subalgoE9EtjbEEZZNS1_14partition_implILS5_9ELb0ES3_jN6thrust23THRUST_200600_302600_NS6detail15normal_iteratorINS9_10device_ptrItEEEENSB_INSC_IjEEEEPNS0_10empty_typeENS0_5tupleIJSE_SH_EEENSJ_IJSG_SI_EEENS0_18inequality_wrapperINS9_8equal_toItEEEEPmJSH_EEE10hipError_tPvRmT3_T4_T5_T6_T7_T9_mT8_P12ihipStream_tbDpT10_ENKUlT_T0_E_clISt17integral_constantIbLb1EES1A_EEDaS15_S16_EUlS15_E_NS1_11comp_targetILNS1_3genE3ELNS1_11target_archE908ELNS1_3gpuE7ELNS1_3repE0EEENS1_30default_config_static_selectorELNS0_4arch9wavefront6targetE0EEEvT1_,comdat
	.protected	_ZN7rocprim17ROCPRIM_400000_NS6detail17trampoline_kernelINS0_14default_configENS1_25partition_config_selectorILNS1_17partition_subalgoE9EtjbEEZZNS1_14partition_implILS5_9ELb0ES3_jN6thrust23THRUST_200600_302600_NS6detail15normal_iteratorINS9_10device_ptrItEEEENSB_INSC_IjEEEEPNS0_10empty_typeENS0_5tupleIJSE_SH_EEENSJ_IJSG_SI_EEENS0_18inequality_wrapperINS9_8equal_toItEEEEPmJSH_EEE10hipError_tPvRmT3_T4_T5_T6_T7_T9_mT8_P12ihipStream_tbDpT10_ENKUlT_T0_E_clISt17integral_constantIbLb1EES1A_EEDaS15_S16_EUlS15_E_NS1_11comp_targetILNS1_3genE3ELNS1_11target_archE908ELNS1_3gpuE7ELNS1_3repE0EEENS1_30default_config_static_selectorELNS0_4arch9wavefront6targetE0EEEvT1_ ; -- Begin function _ZN7rocprim17ROCPRIM_400000_NS6detail17trampoline_kernelINS0_14default_configENS1_25partition_config_selectorILNS1_17partition_subalgoE9EtjbEEZZNS1_14partition_implILS5_9ELb0ES3_jN6thrust23THRUST_200600_302600_NS6detail15normal_iteratorINS9_10device_ptrItEEEENSB_INSC_IjEEEEPNS0_10empty_typeENS0_5tupleIJSE_SH_EEENSJ_IJSG_SI_EEENS0_18inequality_wrapperINS9_8equal_toItEEEEPmJSH_EEE10hipError_tPvRmT3_T4_T5_T6_T7_T9_mT8_P12ihipStream_tbDpT10_ENKUlT_T0_E_clISt17integral_constantIbLb1EES1A_EEDaS15_S16_EUlS15_E_NS1_11comp_targetILNS1_3genE3ELNS1_11target_archE908ELNS1_3gpuE7ELNS1_3repE0EEENS1_30default_config_static_selectorELNS0_4arch9wavefront6targetE0EEEvT1_
	.globl	_ZN7rocprim17ROCPRIM_400000_NS6detail17trampoline_kernelINS0_14default_configENS1_25partition_config_selectorILNS1_17partition_subalgoE9EtjbEEZZNS1_14partition_implILS5_9ELb0ES3_jN6thrust23THRUST_200600_302600_NS6detail15normal_iteratorINS9_10device_ptrItEEEENSB_INSC_IjEEEEPNS0_10empty_typeENS0_5tupleIJSE_SH_EEENSJ_IJSG_SI_EEENS0_18inequality_wrapperINS9_8equal_toItEEEEPmJSH_EEE10hipError_tPvRmT3_T4_T5_T6_T7_T9_mT8_P12ihipStream_tbDpT10_ENKUlT_T0_E_clISt17integral_constantIbLb1EES1A_EEDaS15_S16_EUlS15_E_NS1_11comp_targetILNS1_3genE3ELNS1_11target_archE908ELNS1_3gpuE7ELNS1_3repE0EEENS1_30default_config_static_selectorELNS0_4arch9wavefront6targetE0EEEvT1_
	.p2align	8
	.type	_ZN7rocprim17ROCPRIM_400000_NS6detail17trampoline_kernelINS0_14default_configENS1_25partition_config_selectorILNS1_17partition_subalgoE9EtjbEEZZNS1_14partition_implILS5_9ELb0ES3_jN6thrust23THRUST_200600_302600_NS6detail15normal_iteratorINS9_10device_ptrItEEEENSB_INSC_IjEEEEPNS0_10empty_typeENS0_5tupleIJSE_SH_EEENSJ_IJSG_SI_EEENS0_18inequality_wrapperINS9_8equal_toItEEEEPmJSH_EEE10hipError_tPvRmT3_T4_T5_T6_T7_T9_mT8_P12ihipStream_tbDpT10_ENKUlT_T0_E_clISt17integral_constantIbLb1EES1A_EEDaS15_S16_EUlS15_E_NS1_11comp_targetILNS1_3genE3ELNS1_11target_archE908ELNS1_3gpuE7ELNS1_3repE0EEENS1_30default_config_static_selectorELNS0_4arch9wavefront6targetE0EEEvT1_,@function
_ZN7rocprim17ROCPRIM_400000_NS6detail17trampoline_kernelINS0_14default_configENS1_25partition_config_selectorILNS1_17partition_subalgoE9EtjbEEZZNS1_14partition_implILS5_9ELb0ES3_jN6thrust23THRUST_200600_302600_NS6detail15normal_iteratorINS9_10device_ptrItEEEENSB_INSC_IjEEEEPNS0_10empty_typeENS0_5tupleIJSE_SH_EEENSJ_IJSG_SI_EEENS0_18inequality_wrapperINS9_8equal_toItEEEEPmJSH_EEE10hipError_tPvRmT3_T4_T5_T6_T7_T9_mT8_P12ihipStream_tbDpT10_ENKUlT_T0_E_clISt17integral_constantIbLb1EES1A_EEDaS15_S16_EUlS15_E_NS1_11comp_targetILNS1_3genE3ELNS1_11target_archE908ELNS1_3gpuE7ELNS1_3repE0EEENS1_30default_config_static_selectorELNS0_4arch9wavefront6targetE0EEEvT1_: ; @_ZN7rocprim17ROCPRIM_400000_NS6detail17trampoline_kernelINS0_14default_configENS1_25partition_config_selectorILNS1_17partition_subalgoE9EtjbEEZZNS1_14partition_implILS5_9ELb0ES3_jN6thrust23THRUST_200600_302600_NS6detail15normal_iteratorINS9_10device_ptrItEEEENSB_INSC_IjEEEEPNS0_10empty_typeENS0_5tupleIJSE_SH_EEENSJ_IJSG_SI_EEENS0_18inequality_wrapperINS9_8equal_toItEEEEPmJSH_EEE10hipError_tPvRmT3_T4_T5_T6_T7_T9_mT8_P12ihipStream_tbDpT10_ENKUlT_T0_E_clISt17integral_constantIbLb1EES1A_EEDaS15_S16_EUlS15_E_NS1_11comp_targetILNS1_3genE3ELNS1_11target_archE908ELNS1_3gpuE7ELNS1_3repE0EEENS1_30default_config_static_selectorELNS0_4arch9wavefront6targetE0EEEvT1_
; %bb.0:
	.section	.rodata,"a",@progbits
	.p2align	6, 0x0
	.amdhsa_kernel _ZN7rocprim17ROCPRIM_400000_NS6detail17trampoline_kernelINS0_14default_configENS1_25partition_config_selectorILNS1_17partition_subalgoE9EtjbEEZZNS1_14partition_implILS5_9ELb0ES3_jN6thrust23THRUST_200600_302600_NS6detail15normal_iteratorINS9_10device_ptrItEEEENSB_INSC_IjEEEEPNS0_10empty_typeENS0_5tupleIJSE_SH_EEENSJ_IJSG_SI_EEENS0_18inequality_wrapperINS9_8equal_toItEEEEPmJSH_EEE10hipError_tPvRmT3_T4_T5_T6_T7_T9_mT8_P12ihipStream_tbDpT10_ENKUlT_T0_E_clISt17integral_constantIbLb1EES1A_EEDaS15_S16_EUlS15_E_NS1_11comp_targetILNS1_3genE3ELNS1_11target_archE908ELNS1_3gpuE7ELNS1_3repE0EEENS1_30default_config_static_selectorELNS0_4arch9wavefront6targetE0EEEvT1_
		.amdhsa_group_segment_fixed_size 0
		.amdhsa_private_segment_fixed_size 0
		.amdhsa_kernarg_size 128
		.amdhsa_user_sgpr_count 15
		.amdhsa_user_sgpr_dispatch_ptr 0
		.amdhsa_user_sgpr_queue_ptr 0
		.amdhsa_user_sgpr_kernarg_segment_ptr 1
		.amdhsa_user_sgpr_dispatch_id 0
		.amdhsa_user_sgpr_private_segment_size 0
		.amdhsa_wavefront_size32 1
		.amdhsa_uses_dynamic_stack 0
		.amdhsa_enable_private_segment 0
		.amdhsa_system_sgpr_workgroup_id_x 1
		.amdhsa_system_sgpr_workgroup_id_y 0
		.amdhsa_system_sgpr_workgroup_id_z 0
		.amdhsa_system_sgpr_workgroup_info 0
		.amdhsa_system_vgpr_workitem_id 0
		.amdhsa_next_free_vgpr 1
		.amdhsa_next_free_sgpr 1
		.amdhsa_reserve_vcc 0
		.amdhsa_float_round_mode_32 0
		.amdhsa_float_round_mode_16_64 0
		.amdhsa_float_denorm_mode_32 3
		.amdhsa_float_denorm_mode_16_64 3
		.amdhsa_dx10_clamp 1
		.amdhsa_ieee_mode 1
		.amdhsa_fp16_overflow 0
		.amdhsa_workgroup_processor_mode 1
		.amdhsa_memory_ordered 1
		.amdhsa_forward_progress 0
		.amdhsa_shared_vgpr_count 0
		.amdhsa_exception_fp_ieee_invalid_op 0
		.amdhsa_exception_fp_denorm_src 0
		.amdhsa_exception_fp_ieee_div_zero 0
		.amdhsa_exception_fp_ieee_overflow 0
		.amdhsa_exception_fp_ieee_underflow 0
		.amdhsa_exception_fp_ieee_inexact 0
		.amdhsa_exception_int_div_zero 0
	.end_amdhsa_kernel
	.section	.text._ZN7rocprim17ROCPRIM_400000_NS6detail17trampoline_kernelINS0_14default_configENS1_25partition_config_selectorILNS1_17partition_subalgoE9EtjbEEZZNS1_14partition_implILS5_9ELb0ES3_jN6thrust23THRUST_200600_302600_NS6detail15normal_iteratorINS9_10device_ptrItEEEENSB_INSC_IjEEEEPNS0_10empty_typeENS0_5tupleIJSE_SH_EEENSJ_IJSG_SI_EEENS0_18inequality_wrapperINS9_8equal_toItEEEEPmJSH_EEE10hipError_tPvRmT3_T4_T5_T6_T7_T9_mT8_P12ihipStream_tbDpT10_ENKUlT_T0_E_clISt17integral_constantIbLb1EES1A_EEDaS15_S16_EUlS15_E_NS1_11comp_targetILNS1_3genE3ELNS1_11target_archE908ELNS1_3gpuE7ELNS1_3repE0EEENS1_30default_config_static_selectorELNS0_4arch9wavefront6targetE0EEEvT1_,"axG",@progbits,_ZN7rocprim17ROCPRIM_400000_NS6detail17trampoline_kernelINS0_14default_configENS1_25partition_config_selectorILNS1_17partition_subalgoE9EtjbEEZZNS1_14partition_implILS5_9ELb0ES3_jN6thrust23THRUST_200600_302600_NS6detail15normal_iteratorINS9_10device_ptrItEEEENSB_INSC_IjEEEEPNS0_10empty_typeENS0_5tupleIJSE_SH_EEENSJ_IJSG_SI_EEENS0_18inequality_wrapperINS9_8equal_toItEEEEPmJSH_EEE10hipError_tPvRmT3_T4_T5_T6_T7_T9_mT8_P12ihipStream_tbDpT10_ENKUlT_T0_E_clISt17integral_constantIbLb1EES1A_EEDaS15_S16_EUlS15_E_NS1_11comp_targetILNS1_3genE3ELNS1_11target_archE908ELNS1_3gpuE7ELNS1_3repE0EEENS1_30default_config_static_selectorELNS0_4arch9wavefront6targetE0EEEvT1_,comdat
.Lfunc_end576:
	.size	_ZN7rocprim17ROCPRIM_400000_NS6detail17trampoline_kernelINS0_14default_configENS1_25partition_config_selectorILNS1_17partition_subalgoE9EtjbEEZZNS1_14partition_implILS5_9ELb0ES3_jN6thrust23THRUST_200600_302600_NS6detail15normal_iteratorINS9_10device_ptrItEEEENSB_INSC_IjEEEEPNS0_10empty_typeENS0_5tupleIJSE_SH_EEENSJ_IJSG_SI_EEENS0_18inequality_wrapperINS9_8equal_toItEEEEPmJSH_EEE10hipError_tPvRmT3_T4_T5_T6_T7_T9_mT8_P12ihipStream_tbDpT10_ENKUlT_T0_E_clISt17integral_constantIbLb1EES1A_EEDaS15_S16_EUlS15_E_NS1_11comp_targetILNS1_3genE3ELNS1_11target_archE908ELNS1_3gpuE7ELNS1_3repE0EEENS1_30default_config_static_selectorELNS0_4arch9wavefront6targetE0EEEvT1_, .Lfunc_end576-_ZN7rocprim17ROCPRIM_400000_NS6detail17trampoline_kernelINS0_14default_configENS1_25partition_config_selectorILNS1_17partition_subalgoE9EtjbEEZZNS1_14partition_implILS5_9ELb0ES3_jN6thrust23THRUST_200600_302600_NS6detail15normal_iteratorINS9_10device_ptrItEEEENSB_INSC_IjEEEEPNS0_10empty_typeENS0_5tupleIJSE_SH_EEENSJ_IJSG_SI_EEENS0_18inequality_wrapperINS9_8equal_toItEEEEPmJSH_EEE10hipError_tPvRmT3_T4_T5_T6_T7_T9_mT8_P12ihipStream_tbDpT10_ENKUlT_T0_E_clISt17integral_constantIbLb1EES1A_EEDaS15_S16_EUlS15_E_NS1_11comp_targetILNS1_3genE3ELNS1_11target_archE908ELNS1_3gpuE7ELNS1_3repE0EEENS1_30default_config_static_selectorELNS0_4arch9wavefront6targetE0EEEvT1_
                                        ; -- End function
	.section	.AMDGPU.csdata,"",@progbits
; Kernel info:
; codeLenInByte = 0
; NumSgprs: 0
; NumVgprs: 0
; ScratchSize: 0
; MemoryBound: 0
; FloatMode: 240
; IeeeMode: 1
; LDSByteSize: 0 bytes/workgroup (compile time only)
; SGPRBlocks: 0
; VGPRBlocks: 0
; NumSGPRsForWavesPerEU: 1
; NumVGPRsForWavesPerEU: 1
; Occupancy: 16
; WaveLimiterHint : 0
; COMPUTE_PGM_RSRC2:SCRATCH_EN: 0
; COMPUTE_PGM_RSRC2:USER_SGPR: 15
; COMPUTE_PGM_RSRC2:TRAP_HANDLER: 0
; COMPUTE_PGM_RSRC2:TGID_X_EN: 1
; COMPUTE_PGM_RSRC2:TGID_Y_EN: 0
; COMPUTE_PGM_RSRC2:TGID_Z_EN: 0
; COMPUTE_PGM_RSRC2:TIDIG_COMP_CNT: 0
	.section	.text._ZN7rocprim17ROCPRIM_400000_NS6detail17trampoline_kernelINS0_14default_configENS1_25partition_config_selectorILNS1_17partition_subalgoE9EtjbEEZZNS1_14partition_implILS5_9ELb0ES3_jN6thrust23THRUST_200600_302600_NS6detail15normal_iteratorINS9_10device_ptrItEEEENSB_INSC_IjEEEEPNS0_10empty_typeENS0_5tupleIJSE_SH_EEENSJ_IJSG_SI_EEENS0_18inequality_wrapperINS9_8equal_toItEEEEPmJSH_EEE10hipError_tPvRmT3_T4_T5_T6_T7_T9_mT8_P12ihipStream_tbDpT10_ENKUlT_T0_E_clISt17integral_constantIbLb1EES1A_EEDaS15_S16_EUlS15_E_NS1_11comp_targetILNS1_3genE2ELNS1_11target_archE906ELNS1_3gpuE6ELNS1_3repE0EEENS1_30default_config_static_selectorELNS0_4arch9wavefront6targetE0EEEvT1_,"axG",@progbits,_ZN7rocprim17ROCPRIM_400000_NS6detail17trampoline_kernelINS0_14default_configENS1_25partition_config_selectorILNS1_17partition_subalgoE9EtjbEEZZNS1_14partition_implILS5_9ELb0ES3_jN6thrust23THRUST_200600_302600_NS6detail15normal_iteratorINS9_10device_ptrItEEEENSB_INSC_IjEEEEPNS0_10empty_typeENS0_5tupleIJSE_SH_EEENSJ_IJSG_SI_EEENS0_18inequality_wrapperINS9_8equal_toItEEEEPmJSH_EEE10hipError_tPvRmT3_T4_T5_T6_T7_T9_mT8_P12ihipStream_tbDpT10_ENKUlT_T0_E_clISt17integral_constantIbLb1EES1A_EEDaS15_S16_EUlS15_E_NS1_11comp_targetILNS1_3genE2ELNS1_11target_archE906ELNS1_3gpuE6ELNS1_3repE0EEENS1_30default_config_static_selectorELNS0_4arch9wavefront6targetE0EEEvT1_,comdat
	.protected	_ZN7rocprim17ROCPRIM_400000_NS6detail17trampoline_kernelINS0_14default_configENS1_25partition_config_selectorILNS1_17partition_subalgoE9EtjbEEZZNS1_14partition_implILS5_9ELb0ES3_jN6thrust23THRUST_200600_302600_NS6detail15normal_iteratorINS9_10device_ptrItEEEENSB_INSC_IjEEEEPNS0_10empty_typeENS0_5tupleIJSE_SH_EEENSJ_IJSG_SI_EEENS0_18inequality_wrapperINS9_8equal_toItEEEEPmJSH_EEE10hipError_tPvRmT3_T4_T5_T6_T7_T9_mT8_P12ihipStream_tbDpT10_ENKUlT_T0_E_clISt17integral_constantIbLb1EES1A_EEDaS15_S16_EUlS15_E_NS1_11comp_targetILNS1_3genE2ELNS1_11target_archE906ELNS1_3gpuE6ELNS1_3repE0EEENS1_30default_config_static_selectorELNS0_4arch9wavefront6targetE0EEEvT1_ ; -- Begin function _ZN7rocprim17ROCPRIM_400000_NS6detail17trampoline_kernelINS0_14default_configENS1_25partition_config_selectorILNS1_17partition_subalgoE9EtjbEEZZNS1_14partition_implILS5_9ELb0ES3_jN6thrust23THRUST_200600_302600_NS6detail15normal_iteratorINS9_10device_ptrItEEEENSB_INSC_IjEEEEPNS0_10empty_typeENS0_5tupleIJSE_SH_EEENSJ_IJSG_SI_EEENS0_18inequality_wrapperINS9_8equal_toItEEEEPmJSH_EEE10hipError_tPvRmT3_T4_T5_T6_T7_T9_mT8_P12ihipStream_tbDpT10_ENKUlT_T0_E_clISt17integral_constantIbLb1EES1A_EEDaS15_S16_EUlS15_E_NS1_11comp_targetILNS1_3genE2ELNS1_11target_archE906ELNS1_3gpuE6ELNS1_3repE0EEENS1_30default_config_static_selectorELNS0_4arch9wavefront6targetE0EEEvT1_
	.globl	_ZN7rocprim17ROCPRIM_400000_NS6detail17trampoline_kernelINS0_14default_configENS1_25partition_config_selectorILNS1_17partition_subalgoE9EtjbEEZZNS1_14partition_implILS5_9ELb0ES3_jN6thrust23THRUST_200600_302600_NS6detail15normal_iteratorINS9_10device_ptrItEEEENSB_INSC_IjEEEEPNS0_10empty_typeENS0_5tupleIJSE_SH_EEENSJ_IJSG_SI_EEENS0_18inequality_wrapperINS9_8equal_toItEEEEPmJSH_EEE10hipError_tPvRmT3_T4_T5_T6_T7_T9_mT8_P12ihipStream_tbDpT10_ENKUlT_T0_E_clISt17integral_constantIbLb1EES1A_EEDaS15_S16_EUlS15_E_NS1_11comp_targetILNS1_3genE2ELNS1_11target_archE906ELNS1_3gpuE6ELNS1_3repE0EEENS1_30default_config_static_selectorELNS0_4arch9wavefront6targetE0EEEvT1_
	.p2align	8
	.type	_ZN7rocprim17ROCPRIM_400000_NS6detail17trampoline_kernelINS0_14default_configENS1_25partition_config_selectorILNS1_17partition_subalgoE9EtjbEEZZNS1_14partition_implILS5_9ELb0ES3_jN6thrust23THRUST_200600_302600_NS6detail15normal_iteratorINS9_10device_ptrItEEEENSB_INSC_IjEEEEPNS0_10empty_typeENS0_5tupleIJSE_SH_EEENSJ_IJSG_SI_EEENS0_18inequality_wrapperINS9_8equal_toItEEEEPmJSH_EEE10hipError_tPvRmT3_T4_T5_T6_T7_T9_mT8_P12ihipStream_tbDpT10_ENKUlT_T0_E_clISt17integral_constantIbLb1EES1A_EEDaS15_S16_EUlS15_E_NS1_11comp_targetILNS1_3genE2ELNS1_11target_archE906ELNS1_3gpuE6ELNS1_3repE0EEENS1_30default_config_static_selectorELNS0_4arch9wavefront6targetE0EEEvT1_,@function
_ZN7rocprim17ROCPRIM_400000_NS6detail17trampoline_kernelINS0_14default_configENS1_25partition_config_selectorILNS1_17partition_subalgoE9EtjbEEZZNS1_14partition_implILS5_9ELb0ES3_jN6thrust23THRUST_200600_302600_NS6detail15normal_iteratorINS9_10device_ptrItEEEENSB_INSC_IjEEEEPNS0_10empty_typeENS0_5tupleIJSE_SH_EEENSJ_IJSG_SI_EEENS0_18inequality_wrapperINS9_8equal_toItEEEEPmJSH_EEE10hipError_tPvRmT3_T4_T5_T6_T7_T9_mT8_P12ihipStream_tbDpT10_ENKUlT_T0_E_clISt17integral_constantIbLb1EES1A_EEDaS15_S16_EUlS15_E_NS1_11comp_targetILNS1_3genE2ELNS1_11target_archE906ELNS1_3gpuE6ELNS1_3repE0EEENS1_30default_config_static_selectorELNS0_4arch9wavefront6targetE0EEEvT1_: ; @_ZN7rocprim17ROCPRIM_400000_NS6detail17trampoline_kernelINS0_14default_configENS1_25partition_config_selectorILNS1_17partition_subalgoE9EtjbEEZZNS1_14partition_implILS5_9ELb0ES3_jN6thrust23THRUST_200600_302600_NS6detail15normal_iteratorINS9_10device_ptrItEEEENSB_INSC_IjEEEEPNS0_10empty_typeENS0_5tupleIJSE_SH_EEENSJ_IJSG_SI_EEENS0_18inequality_wrapperINS9_8equal_toItEEEEPmJSH_EEE10hipError_tPvRmT3_T4_T5_T6_T7_T9_mT8_P12ihipStream_tbDpT10_ENKUlT_T0_E_clISt17integral_constantIbLb1EES1A_EEDaS15_S16_EUlS15_E_NS1_11comp_targetILNS1_3genE2ELNS1_11target_archE906ELNS1_3gpuE6ELNS1_3repE0EEENS1_30default_config_static_selectorELNS0_4arch9wavefront6targetE0EEEvT1_
; %bb.0:
	.section	.rodata,"a",@progbits
	.p2align	6, 0x0
	.amdhsa_kernel _ZN7rocprim17ROCPRIM_400000_NS6detail17trampoline_kernelINS0_14default_configENS1_25partition_config_selectorILNS1_17partition_subalgoE9EtjbEEZZNS1_14partition_implILS5_9ELb0ES3_jN6thrust23THRUST_200600_302600_NS6detail15normal_iteratorINS9_10device_ptrItEEEENSB_INSC_IjEEEEPNS0_10empty_typeENS0_5tupleIJSE_SH_EEENSJ_IJSG_SI_EEENS0_18inequality_wrapperINS9_8equal_toItEEEEPmJSH_EEE10hipError_tPvRmT3_T4_T5_T6_T7_T9_mT8_P12ihipStream_tbDpT10_ENKUlT_T0_E_clISt17integral_constantIbLb1EES1A_EEDaS15_S16_EUlS15_E_NS1_11comp_targetILNS1_3genE2ELNS1_11target_archE906ELNS1_3gpuE6ELNS1_3repE0EEENS1_30default_config_static_selectorELNS0_4arch9wavefront6targetE0EEEvT1_
		.amdhsa_group_segment_fixed_size 0
		.amdhsa_private_segment_fixed_size 0
		.amdhsa_kernarg_size 128
		.amdhsa_user_sgpr_count 15
		.amdhsa_user_sgpr_dispatch_ptr 0
		.amdhsa_user_sgpr_queue_ptr 0
		.amdhsa_user_sgpr_kernarg_segment_ptr 1
		.amdhsa_user_sgpr_dispatch_id 0
		.amdhsa_user_sgpr_private_segment_size 0
		.amdhsa_wavefront_size32 1
		.amdhsa_uses_dynamic_stack 0
		.amdhsa_enable_private_segment 0
		.amdhsa_system_sgpr_workgroup_id_x 1
		.amdhsa_system_sgpr_workgroup_id_y 0
		.amdhsa_system_sgpr_workgroup_id_z 0
		.amdhsa_system_sgpr_workgroup_info 0
		.amdhsa_system_vgpr_workitem_id 0
		.amdhsa_next_free_vgpr 1
		.amdhsa_next_free_sgpr 1
		.amdhsa_reserve_vcc 0
		.amdhsa_float_round_mode_32 0
		.amdhsa_float_round_mode_16_64 0
		.amdhsa_float_denorm_mode_32 3
		.amdhsa_float_denorm_mode_16_64 3
		.amdhsa_dx10_clamp 1
		.amdhsa_ieee_mode 1
		.amdhsa_fp16_overflow 0
		.amdhsa_workgroup_processor_mode 1
		.amdhsa_memory_ordered 1
		.amdhsa_forward_progress 0
		.amdhsa_shared_vgpr_count 0
		.amdhsa_exception_fp_ieee_invalid_op 0
		.amdhsa_exception_fp_denorm_src 0
		.amdhsa_exception_fp_ieee_div_zero 0
		.amdhsa_exception_fp_ieee_overflow 0
		.amdhsa_exception_fp_ieee_underflow 0
		.amdhsa_exception_fp_ieee_inexact 0
		.amdhsa_exception_int_div_zero 0
	.end_amdhsa_kernel
	.section	.text._ZN7rocprim17ROCPRIM_400000_NS6detail17trampoline_kernelINS0_14default_configENS1_25partition_config_selectorILNS1_17partition_subalgoE9EtjbEEZZNS1_14partition_implILS5_9ELb0ES3_jN6thrust23THRUST_200600_302600_NS6detail15normal_iteratorINS9_10device_ptrItEEEENSB_INSC_IjEEEEPNS0_10empty_typeENS0_5tupleIJSE_SH_EEENSJ_IJSG_SI_EEENS0_18inequality_wrapperINS9_8equal_toItEEEEPmJSH_EEE10hipError_tPvRmT3_T4_T5_T6_T7_T9_mT8_P12ihipStream_tbDpT10_ENKUlT_T0_E_clISt17integral_constantIbLb1EES1A_EEDaS15_S16_EUlS15_E_NS1_11comp_targetILNS1_3genE2ELNS1_11target_archE906ELNS1_3gpuE6ELNS1_3repE0EEENS1_30default_config_static_selectorELNS0_4arch9wavefront6targetE0EEEvT1_,"axG",@progbits,_ZN7rocprim17ROCPRIM_400000_NS6detail17trampoline_kernelINS0_14default_configENS1_25partition_config_selectorILNS1_17partition_subalgoE9EtjbEEZZNS1_14partition_implILS5_9ELb0ES3_jN6thrust23THRUST_200600_302600_NS6detail15normal_iteratorINS9_10device_ptrItEEEENSB_INSC_IjEEEEPNS0_10empty_typeENS0_5tupleIJSE_SH_EEENSJ_IJSG_SI_EEENS0_18inequality_wrapperINS9_8equal_toItEEEEPmJSH_EEE10hipError_tPvRmT3_T4_T5_T6_T7_T9_mT8_P12ihipStream_tbDpT10_ENKUlT_T0_E_clISt17integral_constantIbLb1EES1A_EEDaS15_S16_EUlS15_E_NS1_11comp_targetILNS1_3genE2ELNS1_11target_archE906ELNS1_3gpuE6ELNS1_3repE0EEENS1_30default_config_static_selectorELNS0_4arch9wavefront6targetE0EEEvT1_,comdat
.Lfunc_end577:
	.size	_ZN7rocprim17ROCPRIM_400000_NS6detail17trampoline_kernelINS0_14default_configENS1_25partition_config_selectorILNS1_17partition_subalgoE9EtjbEEZZNS1_14partition_implILS5_9ELb0ES3_jN6thrust23THRUST_200600_302600_NS6detail15normal_iteratorINS9_10device_ptrItEEEENSB_INSC_IjEEEEPNS0_10empty_typeENS0_5tupleIJSE_SH_EEENSJ_IJSG_SI_EEENS0_18inequality_wrapperINS9_8equal_toItEEEEPmJSH_EEE10hipError_tPvRmT3_T4_T5_T6_T7_T9_mT8_P12ihipStream_tbDpT10_ENKUlT_T0_E_clISt17integral_constantIbLb1EES1A_EEDaS15_S16_EUlS15_E_NS1_11comp_targetILNS1_3genE2ELNS1_11target_archE906ELNS1_3gpuE6ELNS1_3repE0EEENS1_30default_config_static_selectorELNS0_4arch9wavefront6targetE0EEEvT1_, .Lfunc_end577-_ZN7rocprim17ROCPRIM_400000_NS6detail17trampoline_kernelINS0_14default_configENS1_25partition_config_selectorILNS1_17partition_subalgoE9EtjbEEZZNS1_14partition_implILS5_9ELb0ES3_jN6thrust23THRUST_200600_302600_NS6detail15normal_iteratorINS9_10device_ptrItEEEENSB_INSC_IjEEEEPNS0_10empty_typeENS0_5tupleIJSE_SH_EEENSJ_IJSG_SI_EEENS0_18inequality_wrapperINS9_8equal_toItEEEEPmJSH_EEE10hipError_tPvRmT3_T4_T5_T6_T7_T9_mT8_P12ihipStream_tbDpT10_ENKUlT_T0_E_clISt17integral_constantIbLb1EES1A_EEDaS15_S16_EUlS15_E_NS1_11comp_targetILNS1_3genE2ELNS1_11target_archE906ELNS1_3gpuE6ELNS1_3repE0EEENS1_30default_config_static_selectorELNS0_4arch9wavefront6targetE0EEEvT1_
                                        ; -- End function
	.section	.AMDGPU.csdata,"",@progbits
; Kernel info:
; codeLenInByte = 0
; NumSgprs: 0
; NumVgprs: 0
; ScratchSize: 0
; MemoryBound: 0
; FloatMode: 240
; IeeeMode: 1
; LDSByteSize: 0 bytes/workgroup (compile time only)
; SGPRBlocks: 0
; VGPRBlocks: 0
; NumSGPRsForWavesPerEU: 1
; NumVGPRsForWavesPerEU: 1
; Occupancy: 16
; WaveLimiterHint : 0
; COMPUTE_PGM_RSRC2:SCRATCH_EN: 0
; COMPUTE_PGM_RSRC2:USER_SGPR: 15
; COMPUTE_PGM_RSRC2:TRAP_HANDLER: 0
; COMPUTE_PGM_RSRC2:TGID_X_EN: 1
; COMPUTE_PGM_RSRC2:TGID_Y_EN: 0
; COMPUTE_PGM_RSRC2:TGID_Z_EN: 0
; COMPUTE_PGM_RSRC2:TIDIG_COMP_CNT: 0
	.section	.text._ZN7rocprim17ROCPRIM_400000_NS6detail17trampoline_kernelINS0_14default_configENS1_25partition_config_selectorILNS1_17partition_subalgoE9EtjbEEZZNS1_14partition_implILS5_9ELb0ES3_jN6thrust23THRUST_200600_302600_NS6detail15normal_iteratorINS9_10device_ptrItEEEENSB_INSC_IjEEEEPNS0_10empty_typeENS0_5tupleIJSE_SH_EEENSJ_IJSG_SI_EEENS0_18inequality_wrapperINS9_8equal_toItEEEEPmJSH_EEE10hipError_tPvRmT3_T4_T5_T6_T7_T9_mT8_P12ihipStream_tbDpT10_ENKUlT_T0_E_clISt17integral_constantIbLb1EES1A_EEDaS15_S16_EUlS15_E_NS1_11comp_targetILNS1_3genE10ELNS1_11target_archE1200ELNS1_3gpuE4ELNS1_3repE0EEENS1_30default_config_static_selectorELNS0_4arch9wavefront6targetE0EEEvT1_,"axG",@progbits,_ZN7rocprim17ROCPRIM_400000_NS6detail17trampoline_kernelINS0_14default_configENS1_25partition_config_selectorILNS1_17partition_subalgoE9EtjbEEZZNS1_14partition_implILS5_9ELb0ES3_jN6thrust23THRUST_200600_302600_NS6detail15normal_iteratorINS9_10device_ptrItEEEENSB_INSC_IjEEEEPNS0_10empty_typeENS0_5tupleIJSE_SH_EEENSJ_IJSG_SI_EEENS0_18inequality_wrapperINS9_8equal_toItEEEEPmJSH_EEE10hipError_tPvRmT3_T4_T5_T6_T7_T9_mT8_P12ihipStream_tbDpT10_ENKUlT_T0_E_clISt17integral_constantIbLb1EES1A_EEDaS15_S16_EUlS15_E_NS1_11comp_targetILNS1_3genE10ELNS1_11target_archE1200ELNS1_3gpuE4ELNS1_3repE0EEENS1_30default_config_static_selectorELNS0_4arch9wavefront6targetE0EEEvT1_,comdat
	.protected	_ZN7rocprim17ROCPRIM_400000_NS6detail17trampoline_kernelINS0_14default_configENS1_25partition_config_selectorILNS1_17partition_subalgoE9EtjbEEZZNS1_14partition_implILS5_9ELb0ES3_jN6thrust23THRUST_200600_302600_NS6detail15normal_iteratorINS9_10device_ptrItEEEENSB_INSC_IjEEEEPNS0_10empty_typeENS0_5tupleIJSE_SH_EEENSJ_IJSG_SI_EEENS0_18inequality_wrapperINS9_8equal_toItEEEEPmJSH_EEE10hipError_tPvRmT3_T4_T5_T6_T7_T9_mT8_P12ihipStream_tbDpT10_ENKUlT_T0_E_clISt17integral_constantIbLb1EES1A_EEDaS15_S16_EUlS15_E_NS1_11comp_targetILNS1_3genE10ELNS1_11target_archE1200ELNS1_3gpuE4ELNS1_3repE0EEENS1_30default_config_static_selectorELNS0_4arch9wavefront6targetE0EEEvT1_ ; -- Begin function _ZN7rocprim17ROCPRIM_400000_NS6detail17trampoline_kernelINS0_14default_configENS1_25partition_config_selectorILNS1_17partition_subalgoE9EtjbEEZZNS1_14partition_implILS5_9ELb0ES3_jN6thrust23THRUST_200600_302600_NS6detail15normal_iteratorINS9_10device_ptrItEEEENSB_INSC_IjEEEEPNS0_10empty_typeENS0_5tupleIJSE_SH_EEENSJ_IJSG_SI_EEENS0_18inequality_wrapperINS9_8equal_toItEEEEPmJSH_EEE10hipError_tPvRmT3_T4_T5_T6_T7_T9_mT8_P12ihipStream_tbDpT10_ENKUlT_T0_E_clISt17integral_constantIbLb1EES1A_EEDaS15_S16_EUlS15_E_NS1_11comp_targetILNS1_3genE10ELNS1_11target_archE1200ELNS1_3gpuE4ELNS1_3repE0EEENS1_30default_config_static_selectorELNS0_4arch9wavefront6targetE0EEEvT1_
	.globl	_ZN7rocprim17ROCPRIM_400000_NS6detail17trampoline_kernelINS0_14default_configENS1_25partition_config_selectorILNS1_17partition_subalgoE9EtjbEEZZNS1_14partition_implILS5_9ELb0ES3_jN6thrust23THRUST_200600_302600_NS6detail15normal_iteratorINS9_10device_ptrItEEEENSB_INSC_IjEEEEPNS0_10empty_typeENS0_5tupleIJSE_SH_EEENSJ_IJSG_SI_EEENS0_18inequality_wrapperINS9_8equal_toItEEEEPmJSH_EEE10hipError_tPvRmT3_T4_T5_T6_T7_T9_mT8_P12ihipStream_tbDpT10_ENKUlT_T0_E_clISt17integral_constantIbLb1EES1A_EEDaS15_S16_EUlS15_E_NS1_11comp_targetILNS1_3genE10ELNS1_11target_archE1200ELNS1_3gpuE4ELNS1_3repE0EEENS1_30default_config_static_selectorELNS0_4arch9wavefront6targetE0EEEvT1_
	.p2align	8
	.type	_ZN7rocprim17ROCPRIM_400000_NS6detail17trampoline_kernelINS0_14default_configENS1_25partition_config_selectorILNS1_17partition_subalgoE9EtjbEEZZNS1_14partition_implILS5_9ELb0ES3_jN6thrust23THRUST_200600_302600_NS6detail15normal_iteratorINS9_10device_ptrItEEEENSB_INSC_IjEEEEPNS0_10empty_typeENS0_5tupleIJSE_SH_EEENSJ_IJSG_SI_EEENS0_18inequality_wrapperINS9_8equal_toItEEEEPmJSH_EEE10hipError_tPvRmT3_T4_T5_T6_T7_T9_mT8_P12ihipStream_tbDpT10_ENKUlT_T0_E_clISt17integral_constantIbLb1EES1A_EEDaS15_S16_EUlS15_E_NS1_11comp_targetILNS1_3genE10ELNS1_11target_archE1200ELNS1_3gpuE4ELNS1_3repE0EEENS1_30default_config_static_selectorELNS0_4arch9wavefront6targetE0EEEvT1_,@function
_ZN7rocprim17ROCPRIM_400000_NS6detail17trampoline_kernelINS0_14default_configENS1_25partition_config_selectorILNS1_17partition_subalgoE9EtjbEEZZNS1_14partition_implILS5_9ELb0ES3_jN6thrust23THRUST_200600_302600_NS6detail15normal_iteratorINS9_10device_ptrItEEEENSB_INSC_IjEEEEPNS0_10empty_typeENS0_5tupleIJSE_SH_EEENSJ_IJSG_SI_EEENS0_18inequality_wrapperINS9_8equal_toItEEEEPmJSH_EEE10hipError_tPvRmT3_T4_T5_T6_T7_T9_mT8_P12ihipStream_tbDpT10_ENKUlT_T0_E_clISt17integral_constantIbLb1EES1A_EEDaS15_S16_EUlS15_E_NS1_11comp_targetILNS1_3genE10ELNS1_11target_archE1200ELNS1_3gpuE4ELNS1_3repE0EEENS1_30default_config_static_selectorELNS0_4arch9wavefront6targetE0EEEvT1_: ; @_ZN7rocprim17ROCPRIM_400000_NS6detail17trampoline_kernelINS0_14default_configENS1_25partition_config_selectorILNS1_17partition_subalgoE9EtjbEEZZNS1_14partition_implILS5_9ELb0ES3_jN6thrust23THRUST_200600_302600_NS6detail15normal_iteratorINS9_10device_ptrItEEEENSB_INSC_IjEEEEPNS0_10empty_typeENS0_5tupleIJSE_SH_EEENSJ_IJSG_SI_EEENS0_18inequality_wrapperINS9_8equal_toItEEEEPmJSH_EEE10hipError_tPvRmT3_T4_T5_T6_T7_T9_mT8_P12ihipStream_tbDpT10_ENKUlT_T0_E_clISt17integral_constantIbLb1EES1A_EEDaS15_S16_EUlS15_E_NS1_11comp_targetILNS1_3genE10ELNS1_11target_archE1200ELNS1_3gpuE4ELNS1_3repE0EEENS1_30default_config_static_selectorELNS0_4arch9wavefront6targetE0EEEvT1_
; %bb.0:
	.section	.rodata,"a",@progbits
	.p2align	6, 0x0
	.amdhsa_kernel _ZN7rocprim17ROCPRIM_400000_NS6detail17trampoline_kernelINS0_14default_configENS1_25partition_config_selectorILNS1_17partition_subalgoE9EtjbEEZZNS1_14partition_implILS5_9ELb0ES3_jN6thrust23THRUST_200600_302600_NS6detail15normal_iteratorINS9_10device_ptrItEEEENSB_INSC_IjEEEEPNS0_10empty_typeENS0_5tupleIJSE_SH_EEENSJ_IJSG_SI_EEENS0_18inequality_wrapperINS9_8equal_toItEEEEPmJSH_EEE10hipError_tPvRmT3_T4_T5_T6_T7_T9_mT8_P12ihipStream_tbDpT10_ENKUlT_T0_E_clISt17integral_constantIbLb1EES1A_EEDaS15_S16_EUlS15_E_NS1_11comp_targetILNS1_3genE10ELNS1_11target_archE1200ELNS1_3gpuE4ELNS1_3repE0EEENS1_30default_config_static_selectorELNS0_4arch9wavefront6targetE0EEEvT1_
		.amdhsa_group_segment_fixed_size 0
		.amdhsa_private_segment_fixed_size 0
		.amdhsa_kernarg_size 128
		.amdhsa_user_sgpr_count 15
		.amdhsa_user_sgpr_dispatch_ptr 0
		.amdhsa_user_sgpr_queue_ptr 0
		.amdhsa_user_sgpr_kernarg_segment_ptr 1
		.amdhsa_user_sgpr_dispatch_id 0
		.amdhsa_user_sgpr_private_segment_size 0
		.amdhsa_wavefront_size32 1
		.amdhsa_uses_dynamic_stack 0
		.amdhsa_enable_private_segment 0
		.amdhsa_system_sgpr_workgroup_id_x 1
		.amdhsa_system_sgpr_workgroup_id_y 0
		.amdhsa_system_sgpr_workgroup_id_z 0
		.amdhsa_system_sgpr_workgroup_info 0
		.amdhsa_system_vgpr_workitem_id 0
		.amdhsa_next_free_vgpr 1
		.amdhsa_next_free_sgpr 1
		.amdhsa_reserve_vcc 0
		.amdhsa_float_round_mode_32 0
		.amdhsa_float_round_mode_16_64 0
		.amdhsa_float_denorm_mode_32 3
		.amdhsa_float_denorm_mode_16_64 3
		.amdhsa_dx10_clamp 1
		.amdhsa_ieee_mode 1
		.amdhsa_fp16_overflow 0
		.amdhsa_workgroup_processor_mode 1
		.amdhsa_memory_ordered 1
		.amdhsa_forward_progress 0
		.amdhsa_shared_vgpr_count 0
		.amdhsa_exception_fp_ieee_invalid_op 0
		.amdhsa_exception_fp_denorm_src 0
		.amdhsa_exception_fp_ieee_div_zero 0
		.amdhsa_exception_fp_ieee_overflow 0
		.amdhsa_exception_fp_ieee_underflow 0
		.amdhsa_exception_fp_ieee_inexact 0
		.amdhsa_exception_int_div_zero 0
	.end_amdhsa_kernel
	.section	.text._ZN7rocprim17ROCPRIM_400000_NS6detail17trampoline_kernelINS0_14default_configENS1_25partition_config_selectorILNS1_17partition_subalgoE9EtjbEEZZNS1_14partition_implILS5_9ELb0ES3_jN6thrust23THRUST_200600_302600_NS6detail15normal_iteratorINS9_10device_ptrItEEEENSB_INSC_IjEEEEPNS0_10empty_typeENS0_5tupleIJSE_SH_EEENSJ_IJSG_SI_EEENS0_18inequality_wrapperINS9_8equal_toItEEEEPmJSH_EEE10hipError_tPvRmT3_T4_T5_T6_T7_T9_mT8_P12ihipStream_tbDpT10_ENKUlT_T0_E_clISt17integral_constantIbLb1EES1A_EEDaS15_S16_EUlS15_E_NS1_11comp_targetILNS1_3genE10ELNS1_11target_archE1200ELNS1_3gpuE4ELNS1_3repE0EEENS1_30default_config_static_selectorELNS0_4arch9wavefront6targetE0EEEvT1_,"axG",@progbits,_ZN7rocprim17ROCPRIM_400000_NS6detail17trampoline_kernelINS0_14default_configENS1_25partition_config_selectorILNS1_17partition_subalgoE9EtjbEEZZNS1_14partition_implILS5_9ELb0ES3_jN6thrust23THRUST_200600_302600_NS6detail15normal_iteratorINS9_10device_ptrItEEEENSB_INSC_IjEEEEPNS0_10empty_typeENS0_5tupleIJSE_SH_EEENSJ_IJSG_SI_EEENS0_18inequality_wrapperINS9_8equal_toItEEEEPmJSH_EEE10hipError_tPvRmT3_T4_T5_T6_T7_T9_mT8_P12ihipStream_tbDpT10_ENKUlT_T0_E_clISt17integral_constantIbLb1EES1A_EEDaS15_S16_EUlS15_E_NS1_11comp_targetILNS1_3genE10ELNS1_11target_archE1200ELNS1_3gpuE4ELNS1_3repE0EEENS1_30default_config_static_selectorELNS0_4arch9wavefront6targetE0EEEvT1_,comdat
.Lfunc_end578:
	.size	_ZN7rocprim17ROCPRIM_400000_NS6detail17trampoline_kernelINS0_14default_configENS1_25partition_config_selectorILNS1_17partition_subalgoE9EtjbEEZZNS1_14partition_implILS5_9ELb0ES3_jN6thrust23THRUST_200600_302600_NS6detail15normal_iteratorINS9_10device_ptrItEEEENSB_INSC_IjEEEEPNS0_10empty_typeENS0_5tupleIJSE_SH_EEENSJ_IJSG_SI_EEENS0_18inequality_wrapperINS9_8equal_toItEEEEPmJSH_EEE10hipError_tPvRmT3_T4_T5_T6_T7_T9_mT8_P12ihipStream_tbDpT10_ENKUlT_T0_E_clISt17integral_constantIbLb1EES1A_EEDaS15_S16_EUlS15_E_NS1_11comp_targetILNS1_3genE10ELNS1_11target_archE1200ELNS1_3gpuE4ELNS1_3repE0EEENS1_30default_config_static_selectorELNS0_4arch9wavefront6targetE0EEEvT1_, .Lfunc_end578-_ZN7rocprim17ROCPRIM_400000_NS6detail17trampoline_kernelINS0_14default_configENS1_25partition_config_selectorILNS1_17partition_subalgoE9EtjbEEZZNS1_14partition_implILS5_9ELb0ES3_jN6thrust23THRUST_200600_302600_NS6detail15normal_iteratorINS9_10device_ptrItEEEENSB_INSC_IjEEEEPNS0_10empty_typeENS0_5tupleIJSE_SH_EEENSJ_IJSG_SI_EEENS0_18inequality_wrapperINS9_8equal_toItEEEEPmJSH_EEE10hipError_tPvRmT3_T4_T5_T6_T7_T9_mT8_P12ihipStream_tbDpT10_ENKUlT_T0_E_clISt17integral_constantIbLb1EES1A_EEDaS15_S16_EUlS15_E_NS1_11comp_targetILNS1_3genE10ELNS1_11target_archE1200ELNS1_3gpuE4ELNS1_3repE0EEENS1_30default_config_static_selectorELNS0_4arch9wavefront6targetE0EEEvT1_
                                        ; -- End function
	.section	.AMDGPU.csdata,"",@progbits
; Kernel info:
; codeLenInByte = 0
; NumSgprs: 0
; NumVgprs: 0
; ScratchSize: 0
; MemoryBound: 0
; FloatMode: 240
; IeeeMode: 1
; LDSByteSize: 0 bytes/workgroup (compile time only)
; SGPRBlocks: 0
; VGPRBlocks: 0
; NumSGPRsForWavesPerEU: 1
; NumVGPRsForWavesPerEU: 1
; Occupancy: 16
; WaveLimiterHint : 0
; COMPUTE_PGM_RSRC2:SCRATCH_EN: 0
; COMPUTE_PGM_RSRC2:USER_SGPR: 15
; COMPUTE_PGM_RSRC2:TRAP_HANDLER: 0
; COMPUTE_PGM_RSRC2:TGID_X_EN: 1
; COMPUTE_PGM_RSRC2:TGID_Y_EN: 0
; COMPUTE_PGM_RSRC2:TGID_Z_EN: 0
; COMPUTE_PGM_RSRC2:TIDIG_COMP_CNT: 0
	.section	.text._ZN7rocprim17ROCPRIM_400000_NS6detail17trampoline_kernelINS0_14default_configENS1_25partition_config_selectorILNS1_17partition_subalgoE9EtjbEEZZNS1_14partition_implILS5_9ELb0ES3_jN6thrust23THRUST_200600_302600_NS6detail15normal_iteratorINS9_10device_ptrItEEEENSB_INSC_IjEEEEPNS0_10empty_typeENS0_5tupleIJSE_SH_EEENSJ_IJSG_SI_EEENS0_18inequality_wrapperINS9_8equal_toItEEEEPmJSH_EEE10hipError_tPvRmT3_T4_T5_T6_T7_T9_mT8_P12ihipStream_tbDpT10_ENKUlT_T0_E_clISt17integral_constantIbLb1EES1A_EEDaS15_S16_EUlS15_E_NS1_11comp_targetILNS1_3genE9ELNS1_11target_archE1100ELNS1_3gpuE3ELNS1_3repE0EEENS1_30default_config_static_selectorELNS0_4arch9wavefront6targetE0EEEvT1_,"axG",@progbits,_ZN7rocprim17ROCPRIM_400000_NS6detail17trampoline_kernelINS0_14default_configENS1_25partition_config_selectorILNS1_17partition_subalgoE9EtjbEEZZNS1_14partition_implILS5_9ELb0ES3_jN6thrust23THRUST_200600_302600_NS6detail15normal_iteratorINS9_10device_ptrItEEEENSB_INSC_IjEEEEPNS0_10empty_typeENS0_5tupleIJSE_SH_EEENSJ_IJSG_SI_EEENS0_18inequality_wrapperINS9_8equal_toItEEEEPmJSH_EEE10hipError_tPvRmT3_T4_T5_T6_T7_T9_mT8_P12ihipStream_tbDpT10_ENKUlT_T0_E_clISt17integral_constantIbLb1EES1A_EEDaS15_S16_EUlS15_E_NS1_11comp_targetILNS1_3genE9ELNS1_11target_archE1100ELNS1_3gpuE3ELNS1_3repE0EEENS1_30default_config_static_selectorELNS0_4arch9wavefront6targetE0EEEvT1_,comdat
	.protected	_ZN7rocprim17ROCPRIM_400000_NS6detail17trampoline_kernelINS0_14default_configENS1_25partition_config_selectorILNS1_17partition_subalgoE9EtjbEEZZNS1_14partition_implILS5_9ELb0ES3_jN6thrust23THRUST_200600_302600_NS6detail15normal_iteratorINS9_10device_ptrItEEEENSB_INSC_IjEEEEPNS0_10empty_typeENS0_5tupleIJSE_SH_EEENSJ_IJSG_SI_EEENS0_18inequality_wrapperINS9_8equal_toItEEEEPmJSH_EEE10hipError_tPvRmT3_T4_T5_T6_T7_T9_mT8_P12ihipStream_tbDpT10_ENKUlT_T0_E_clISt17integral_constantIbLb1EES1A_EEDaS15_S16_EUlS15_E_NS1_11comp_targetILNS1_3genE9ELNS1_11target_archE1100ELNS1_3gpuE3ELNS1_3repE0EEENS1_30default_config_static_selectorELNS0_4arch9wavefront6targetE0EEEvT1_ ; -- Begin function _ZN7rocprim17ROCPRIM_400000_NS6detail17trampoline_kernelINS0_14default_configENS1_25partition_config_selectorILNS1_17partition_subalgoE9EtjbEEZZNS1_14partition_implILS5_9ELb0ES3_jN6thrust23THRUST_200600_302600_NS6detail15normal_iteratorINS9_10device_ptrItEEEENSB_INSC_IjEEEEPNS0_10empty_typeENS0_5tupleIJSE_SH_EEENSJ_IJSG_SI_EEENS0_18inequality_wrapperINS9_8equal_toItEEEEPmJSH_EEE10hipError_tPvRmT3_T4_T5_T6_T7_T9_mT8_P12ihipStream_tbDpT10_ENKUlT_T0_E_clISt17integral_constantIbLb1EES1A_EEDaS15_S16_EUlS15_E_NS1_11comp_targetILNS1_3genE9ELNS1_11target_archE1100ELNS1_3gpuE3ELNS1_3repE0EEENS1_30default_config_static_selectorELNS0_4arch9wavefront6targetE0EEEvT1_
	.globl	_ZN7rocprim17ROCPRIM_400000_NS6detail17trampoline_kernelINS0_14default_configENS1_25partition_config_selectorILNS1_17partition_subalgoE9EtjbEEZZNS1_14partition_implILS5_9ELb0ES3_jN6thrust23THRUST_200600_302600_NS6detail15normal_iteratorINS9_10device_ptrItEEEENSB_INSC_IjEEEEPNS0_10empty_typeENS0_5tupleIJSE_SH_EEENSJ_IJSG_SI_EEENS0_18inequality_wrapperINS9_8equal_toItEEEEPmJSH_EEE10hipError_tPvRmT3_T4_T5_T6_T7_T9_mT8_P12ihipStream_tbDpT10_ENKUlT_T0_E_clISt17integral_constantIbLb1EES1A_EEDaS15_S16_EUlS15_E_NS1_11comp_targetILNS1_3genE9ELNS1_11target_archE1100ELNS1_3gpuE3ELNS1_3repE0EEENS1_30default_config_static_selectorELNS0_4arch9wavefront6targetE0EEEvT1_
	.p2align	8
	.type	_ZN7rocprim17ROCPRIM_400000_NS6detail17trampoline_kernelINS0_14default_configENS1_25partition_config_selectorILNS1_17partition_subalgoE9EtjbEEZZNS1_14partition_implILS5_9ELb0ES3_jN6thrust23THRUST_200600_302600_NS6detail15normal_iteratorINS9_10device_ptrItEEEENSB_INSC_IjEEEEPNS0_10empty_typeENS0_5tupleIJSE_SH_EEENSJ_IJSG_SI_EEENS0_18inequality_wrapperINS9_8equal_toItEEEEPmJSH_EEE10hipError_tPvRmT3_T4_T5_T6_T7_T9_mT8_P12ihipStream_tbDpT10_ENKUlT_T0_E_clISt17integral_constantIbLb1EES1A_EEDaS15_S16_EUlS15_E_NS1_11comp_targetILNS1_3genE9ELNS1_11target_archE1100ELNS1_3gpuE3ELNS1_3repE0EEENS1_30default_config_static_selectorELNS0_4arch9wavefront6targetE0EEEvT1_,@function
_ZN7rocprim17ROCPRIM_400000_NS6detail17trampoline_kernelINS0_14default_configENS1_25partition_config_selectorILNS1_17partition_subalgoE9EtjbEEZZNS1_14partition_implILS5_9ELb0ES3_jN6thrust23THRUST_200600_302600_NS6detail15normal_iteratorINS9_10device_ptrItEEEENSB_INSC_IjEEEEPNS0_10empty_typeENS0_5tupleIJSE_SH_EEENSJ_IJSG_SI_EEENS0_18inequality_wrapperINS9_8equal_toItEEEEPmJSH_EEE10hipError_tPvRmT3_T4_T5_T6_T7_T9_mT8_P12ihipStream_tbDpT10_ENKUlT_T0_E_clISt17integral_constantIbLb1EES1A_EEDaS15_S16_EUlS15_E_NS1_11comp_targetILNS1_3genE9ELNS1_11target_archE1100ELNS1_3gpuE3ELNS1_3repE0EEENS1_30default_config_static_selectorELNS0_4arch9wavefront6targetE0EEEvT1_: ; @_ZN7rocprim17ROCPRIM_400000_NS6detail17trampoline_kernelINS0_14default_configENS1_25partition_config_selectorILNS1_17partition_subalgoE9EtjbEEZZNS1_14partition_implILS5_9ELb0ES3_jN6thrust23THRUST_200600_302600_NS6detail15normal_iteratorINS9_10device_ptrItEEEENSB_INSC_IjEEEEPNS0_10empty_typeENS0_5tupleIJSE_SH_EEENSJ_IJSG_SI_EEENS0_18inequality_wrapperINS9_8equal_toItEEEEPmJSH_EEE10hipError_tPvRmT3_T4_T5_T6_T7_T9_mT8_P12ihipStream_tbDpT10_ENKUlT_T0_E_clISt17integral_constantIbLb1EES1A_EEDaS15_S16_EUlS15_E_NS1_11comp_targetILNS1_3genE9ELNS1_11target_archE1100ELNS1_3gpuE3ELNS1_3repE0EEENS1_30default_config_static_selectorELNS0_4arch9wavefront6targetE0EEEvT1_
; %bb.0:
	s_clause 0x4
	s_load_b128 s[4:7], s[0:1], 0x8
	s_load_b64 s[8:9], s[0:1], 0x18
	s_load_b128 s[12:15], s[0:1], 0x40
	s_load_b64 s[10:11], s[0:1], 0x50
	s_load_b64 s[20:21], s[0:1], 0x60
	v_cmp_ne_u32_e64 s3, 0, v0
	v_cmp_eq_u32_e64 s2, 0, v0
	s_delay_alu instid0(VALU_DEP_1)
	s_and_saveexec_b32 s16, s2
	s_cbranch_execz .LBB579_4
; %bb.1:
	s_mov_b32 s18, exec_lo
	s_mov_b32 s17, exec_lo
	v_mbcnt_lo_u32_b32 v1, s18, 0
                                        ; implicit-def: $vgpr2
	s_delay_alu instid0(VALU_DEP_1)
	v_cmpx_eq_u32_e32 0, v1
	s_cbranch_execz .LBB579_3
; %bb.2:
	s_load_b64 s[22:23], s[0:1], 0x70
	s_bcnt1_i32_b32 s18, s18
	s_delay_alu instid0(SALU_CYCLE_1)
	v_dual_mov_b32 v2, 0 :: v_dual_mov_b32 v3, s18
	s_waitcnt lgkmcnt(0)
	global_atomic_add_u32 v2, v2, v3, s[22:23] glc
.LBB579_3:
	s_or_b32 exec_lo, exec_lo, s17
	s_waitcnt vmcnt(0)
	v_readfirstlane_b32 s17, v2
	s_delay_alu instid0(VALU_DEP_1)
	v_dual_mov_b32 v2, 0 :: v_dual_add_nc_u32 v1, s17, v1
	ds_store_b32 v2, v1
.LBB579_4:
	s_or_b32 exec_lo, exec_lo, s16
	v_mov_b32_e32 v1, 0
	s_clause 0x1
	s_load_b128 s[16:19], s[0:1], 0x28
	s_load_b32 s0, s[0:1], 0x68
	s_waitcnt lgkmcnt(0)
	s_barrier
	buffer_gl0_inv
	ds_load_b32 v3, v1
	s_waitcnt lgkmcnt(0)
	s_barrier
	buffer_gl0_inv
	global_load_b64 v[1:2], v1, s[14:15]
	s_lshl_b64 s[14:15], s[6:7], 1
	s_delay_alu instid0(SALU_CYCLE_1) | instskip(SKIP_3) | instid1(SALU_CYCLE_1)
	s_add_u32 s14, s4, s14
	s_addc_u32 s15, s5, s15
	s_mov_b32 s5, 0
	s_mul_i32 s1, s0, 0x580
	s_add_i32 s4, s1, s6
	s_delay_alu instid0(SALU_CYCLE_1)
	s_sub_i32 s25, s10, s4
	s_add_i32 s4, s0, -1
	s_addk_i32 s25, 0x580
	s_add_u32 s0, s6, s1
	v_readfirstlane_b32 s24, v3
	s_addc_u32 s1, s7, 0
	s_delay_alu instid0(SALU_CYCLE_1) | instskip(SKIP_1) | instid1(VALU_DEP_2)
	v_cmp_ge_u64_e64 s0, s[0:1], s[10:11]
	s_mov_b32 s11, -1
	s_cmp_eq_u32 s24, s4
	s_mul_i32 s4, s24, 0x580
	s_cselect_b32 s22, -1, 0
	s_delay_alu instid0(VALU_DEP_1) | instid1(SALU_CYCLE_1)
	s_and_b32 s26, s0, s22
	s_lshl_b64 s[0:1], s[4:5], 1
	s_xor_b32 s23, s26, -1
	s_add_u32 s10, s14, s0
	s_addc_u32 s1, s15, s1
	s_and_b32 vcc_lo, exec_lo, s23
	s_waitcnt vmcnt(0)
	v_readfirstlane_b32 s14, v1
	v_readfirstlane_b32 s15, v2
	s_cbranch_vccz .LBB579_6
; %bb.5:
	v_lshlrev_b32_e32 v3, 1, v0
	s_mov_b32 s11, s5
	s_delay_alu instid0(VALU_DEP_1) | instskip(NEXT) | instid1(VALU_DEP_1)
	v_add_co_u32 v1, s0, s10, v3
	v_add_co_ci_u32_e64 v2, null, s1, 0, s0
	s_clause 0xa
	flat_load_u16 v4, v[1:2]
	flat_load_u16 v5, v[1:2] offset:256
	flat_load_u16 v6, v[1:2] offset:512
	flat_load_u16 v7, v[1:2] offset:768
	flat_load_u16 v8, v[1:2] offset:1024
	flat_load_u16 v9, v[1:2] offset:1280
	flat_load_u16 v10, v[1:2] offset:1536
	flat_load_u16 v11, v[1:2] offset:1792
	flat_load_u16 v12, v[1:2] offset:2048
	flat_load_u16 v13, v[1:2] offset:2304
	flat_load_u16 v1, v[1:2] offset:2560
	s_waitcnt vmcnt(10) lgkmcnt(10)
	ds_store_b16 v3, v4
	s_waitcnt vmcnt(9) lgkmcnt(10)
	ds_store_b16 v3, v5 offset:256
	s_waitcnt vmcnt(8) lgkmcnt(10)
	ds_store_b16 v3, v6 offset:512
	;; [unrolled: 2-line block ×10, first 2 shown]
	s_waitcnt lgkmcnt(0)
	s_barrier
.LBB579_6:
	v_cmp_gt_u32_e64 s0, s25, v0
	s_and_not1_b32 vcc_lo, exec_lo, s11
	s_cbranch_vccnz .LBB579_30
; %bb.7:
                                        ; implicit-def: $vgpr1_vgpr2_vgpr3_vgpr4_vgpr5_vgpr6_vgpr7_vgpr8
	s_delay_alu instid0(VALU_DEP_1)
	s_and_saveexec_b32 s11, s0
	s_cbranch_execz .LBB579_9
; %bb.8:
	v_lshlrev_b32_e32 v1, 1, v0
	s_delay_alu instid0(VALU_DEP_1) | instskip(NEXT) | instid1(VALU_DEP_1)
	v_add_co_u32 v1, s0, s10, v1
	v_add_co_ci_u32_e64 v2, null, s1, 0, s0
	flat_load_d16_b16 v1, v[1:2]
.LBB579_9:
	s_or_b32 exec_lo, exec_lo, s11
	v_or_b32_e32 v7, 0x80, v0
	s_mov_b32 s0, exec_lo
	s_delay_alu instid0(VALU_DEP_1)
	v_cmpx_gt_u32_e64 s25, v7
	s_cbranch_execz .LBB579_11
; %bb.10:
	v_lshlrev_b32_e32 v7, 1, v0
	s_delay_alu instid0(VALU_DEP_1) | instskip(NEXT) | instid1(VALU_DEP_1)
	v_add_co_u32 v7, s11, s10, v7
	v_add_co_ci_u32_e64 v8, null, s1, 0, s11
	s_waitcnt vmcnt(0) lgkmcnt(0)
	flat_load_d16_hi_b16 v1, v[7:8] offset:256
.LBB579_11:
	s_or_b32 exec_lo, exec_lo, s0
	v_or_b32_e32 v7, 0x100, v0
	s_mov_b32 s0, exec_lo
	s_delay_alu instid0(VALU_DEP_1)
	v_cmpx_gt_u32_e64 s25, v7
	s_cbranch_execz .LBB579_13
; %bb.12:
	v_lshlrev_b32_e32 v7, 1, v0
	s_delay_alu instid0(VALU_DEP_1) | instskip(NEXT) | instid1(VALU_DEP_1)
	v_add_co_u32 v7, s11, s10, v7
	v_add_co_ci_u32_e64 v8, null, s1, 0, s11
	flat_load_d16_b16 v2, v[7:8] offset:512
.LBB579_13:
	s_or_b32 exec_lo, exec_lo, s0
	v_or_b32_e32 v7, 0x180, v0
	s_mov_b32 s0, exec_lo
	s_delay_alu instid0(VALU_DEP_1)
	v_cmpx_gt_u32_e64 s25, v7
	s_cbranch_execz .LBB579_15
; %bb.14:
	v_lshlrev_b32_e32 v7, 1, v0
	s_delay_alu instid0(VALU_DEP_1) | instskip(NEXT) | instid1(VALU_DEP_1)
	v_add_co_u32 v7, s11, s10, v7
	v_add_co_ci_u32_e64 v8, null, s1, 0, s11
	s_waitcnt vmcnt(0) lgkmcnt(0)
	flat_load_d16_hi_b16 v2, v[7:8] offset:768
.LBB579_15:
	s_or_b32 exec_lo, exec_lo, s0
	v_or_b32_e32 v7, 0x200, v0
	s_mov_b32 s0, exec_lo
	s_delay_alu instid0(VALU_DEP_1)
	v_cmpx_gt_u32_e64 s25, v7
	s_cbranch_execz .LBB579_17
; %bb.16:
	v_lshlrev_b32_e32 v7, 1, v0
	s_delay_alu instid0(VALU_DEP_1) | instskip(NEXT) | instid1(VALU_DEP_1)
	v_add_co_u32 v7, s11, s10, v7
	v_add_co_ci_u32_e64 v8, null, s1, 0, s11
	flat_load_d16_b16 v3, v[7:8] offset:1024
.LBB579_17:
	;; [unrolled: 27-line block ×5, first 2 shown]
	s_or_b32 exec_lo, exec_lo, s0
	v_lshlrev_b32_e32 v7, 1, v0
	s_waitcnt vmcnt(0) lgkmcnt(0)
	ds_store_b16 v7, v1
	ds_store_b16_d16_hi v7, v1 offset:256
	ds_store_b16 v7, v2 offset:512
	ds_store_b16_d16_hi v7, v2 offset:768
	ds_store_b16 v7, v3 offset:1024
	;; [unrolled: 2-line block ×5, first 2 shown]
	s_waitcnt lgkmcnt(0)
	s_barrier
.LBB579_30:
	v_mul_u32_u24_e32 v1, 11, v0
	buffer_gl0_inv
	s_lshl_b64 s[28:29], s[6:7], 2
	s_delay_alu instid0(SALU_CYCLE_1)
	s_add_u32 s0, s8, s28
	v_lshlrev_b32_e32 v2, 1, v1
	s_addc_u32 s8, s9, s29
	s_lshl_b64 s[4:5], s[4:5], 2
	ds_load_b128 v[13:16], v2
	ds_load_u16 v38, v2 offset:16
	ds_load_u16 v37, v2 offset:18
	;; [unrolled: 1-line block ×3, first 2 shown]
	s_add_u32 s0, s0, s4
	s_addc_u32 s4, s8, s5
	s_and_b32 vcc_lo, exec_lo, s23
	s_mov_b32 s5, -1
	s_waitcnt lgkmcnt(0)
	s_barrier
	buffer_gl0_inv
	s_cbranch_vccz .LBB579_32
; %bb.31:
	v_lshlrev_b32_e32 v7, 2, v0
	s_delay_alu instid0(VALU_DEP_1) | instskip(NEXT) | instid1(VALU_DEP_1)
	v_add_co_u32 v3, s5, s0, v7
	v_add_co_ci_u32_e64 v4, null, s4, 0, s5
	s_mov_b32 s5, 0
	s_delay_alu instid0(VALU_DEP_2) | instskip(NEXT) | instid1(VALU_DEP_2)
	v_add_co_u32 v5, vcc_lo, 0x1000, v3
	v_add_co_ci_u32_e32 v6, vcc_lo, 0, v4, vcc_lo
	s_clause 0xa
	flat_load_b32 v8, v[3:4]
	flat_load_b32 v9, v[3:4] offset:512
	flat_load_b32 v10, v[3:4] offset:1024
	;; [unrolled: 1-line block ×7, first 2 shown]
	flat_load_b32 v4, v[5:6]
	flat_load_b32 v19, v[5:6] offset:512
	flat_load_b32 v5, v[5:6] offset:1024
	s_waitcnt vmcnt(9) lgkmcnt(9)
	ds_store_2addr_stride64_b32 v7, v8, v9 offset1:2
	s_waitcnt vmcnt(7) lgkmcnt(8)
	ds_store_2addr_stride64_b32 v7, v10, v11 offset0:4 offset1:6
	s_waitcnt vmcnt(5) lgkmcnt(7)
	ds_store_2addr_stride64_b32 v7, v12, v17 offset0:8 offset1:10
	;; [unrolled: 2-line block ×4, first 2 shown]
	s_waitcnt vmcnt(0) lgkmcnt(5)
	ds_store_b32 v7, v5 offset:5120
	s_waitcnt lgkmcnt(0)
	s_barrier
.LBB579_32:
	s_and_not1_b32 vcc_lo, exec_lo, s5
	s_cbranch_vccnz .LBB579_56
; %bb.33:
	s_mov_b32 s5, exec_lo
                                        ; implicit-def: $vgpr3
	v_cmpx_gt_u32_e64 s25, v0
	s_cbranch_execz .LBB579_35
; %bb.34:
	v_lshlrev_b32_e32 v3, 2, v0
	s_delay_alu instid0(VALU_DEP_1) | instskip(NEXT) | instid1(VALU_DEP_1)
	v_add_co_u32 v3, s8, s0, v3
	v_add_co_ci_u32_e64 v4, null, s4, 0, s8
	flat_load_b32 v3, v[3:4]
.LBB579_35:
	s_or_b32 exec_lo, exec_lo, s5
	v_or_b32_e32 v4, 0x80, v0
	s_delay_alu instid0(VALU_DEP_1)
	v_cmp_gt_u32_e32 vcc_lo, s25, v4
                                        ; implicit-def: $vgpr4
	s_and_saveexec_b32 s5, vcc_lo
	s_cbranch_execz .LBB579_37
; %bb.36:
	v_lshlrev_b32_e32 v4, 2, v0
	s_delay_alu instid0(VALU_DEP_1) | instskip(NEXT) | instid1(VALU_DEP_1)
	v_add_co_u32 v4, s8, s0, v4
	v_add_co_ci_u32_e64 v5, null, s4, 0, s8
	flat_load_b32 v4, v[4:5] offset:512
.LBB579_37:
	s_or_b32 exec_lo, exec_lo, s5
	v_or_b32_e32 v5, 0x100, v0
	s_delay_alu instid0(VALU_DEP_1)
	v_cmp_gt_u32_e32 vcc_lo, s25, v5
                                        ; implicit-def: $vgpr5
	s_and_saveexec_b32 s5, vcc_lo
	s_cbranch_execz .LBB579_39
; %bb.38:
	v_lshlrev_b32_e32 v5, 2, v0
	s_delay_alu instid0(VALU_DEP_1) | instskip(NEXT) | instid1(VALU_DEP_1)
	v_add_co_u32 v5, s8, s0, v5
	v_add_co_ci_u32_e64 v6, null, s4, 0, s8
	flat_load_b32 v5, v[5:6] offset:1024
.LBB579_39:
	s_or_b32 exec_lo, exec_lo, s5
	v_or_b32_e32 v6, 0x180, v0
	s_delay_alu instid0(VALU_DEP_1)
	v_cmp_gt_u32_e32 vcc_lo, s25, v6
                                        ; implicit-def: $vgpr6
	s_and_saveexec_b32 s5, vcc_lo
	s_cbranch_execz .LBB579_41
; %bb.40:
	v_lshlrev_b32_e32 v6, 2, v0
	s_delay_alu instid0(VALU_DEP_1) | instskip(NEXT) | instid1(VALU_DEP_1)
	v_add_co_u32 v6, s8, s0, v6
	v_add_co_ci_u32_e64 v7, null, s4, 0, s8
	flat_load_b32 v6, v[6:7] offset:1536
.LBB579_41:
	s_or_b32 exec_lo, exec_lo, s5
	v_or_b32_e32 v7, 0x200, v0
	s_delay_alu instid0(VALU_DEP_1)
	v_cmp_gt_u32_e32 vcc_lo, s25, v7
                                        ; implicit-def: $vgpr7
	s_and_saveexec_b32 s5, vcc_lo
	s_cbranch_execz .LBB579_43
; %bb.42:
	v_lshlrev_b32_e32 v7, 2, v0
	s_delay_alu instid0(VALU_DEP_1) | instskip(NEXT) | instid1(VALU_DEP_1)
	v_add_co_u32 v7, s8, s0, v7
	v_add_co_ci_u32_e64 v8, null, s4, 0, s8
	flat_load_b32 v7, v[7:8] offset:2048
.LBB579_43:
	s_or_b32 exec_lo, exec_lo, s5
	v_or_b32_e32 v8, 0x280, v0
	s_delay_alu instid0(VALU_DEP_1)
	v_cmp_gt_u32_e32 vcc_lo, s25, v8
                                        ; implicit-def: $vgpr8
	s_and_saveexec_b32 s5, vcc_lo
	s_cbranch_execz .LBB579_45
; %bb.44:
	v_lshlrev_b32_e32 v8, 2, v0
	s_delay_alu instid0(VALU_DEP_1) | instskip(NEXT) | instid1(VALU_DEP_1)
	v_add_co_u32 v8, s8, s0, v8
	v_add_co_ci_u32_e64 v9, null, s4, 0, s8
	flat_load_b32 v8, v[8:9] offset:2560
.LBB579_45:
	s_or_b32 exec_lo, exec_lo, s5
	v_or_b32_e32 v9, 0x300, v0
	s_delay_alu instid0(VALU_DEP_1)
	v_cmp_gt_u32_e32 vcc_lo, s25, v9
                                        ; implicit-def: $vgpr9
	s_and_saveexec_b32 s5, vcc_lo
	s_cbranch_execz .LBB579_47
; %bb.46:
	v_lshlrev_b32_e32 v9, 2, v0
	s_delay_alu instid0(VALU_DEP_1) | instskip(NEXT) | instid1(VALU_DEP_1)
	v_add_co_u32 v9, s8, s0, v9
	v_add_co_ci_u32_e64 v10, null, s4, 0, s8
	flat_load_b32 v9, v[9:10] offset:3072
.LBB579_47:
	s_or_b32 exec_lo, exec_lo, s5
	v_or_b32_e32 v10, 0x380, v0
	s_delay_alu instid0(VALU_DEP_1)
	v_cmp_gt_u32_e32 vcc_lo, s25, v10
                                        ; implicit-def: $vgpr10
	s_and_saveexec_b32 s5, vcc_lo
	s_cbranch_execz .LBB579_49
; %bb.48:
	v_lshlrev_b32_e32 v10, 2, v0
	s_delay_alu instid0(VALU_DEP_1) | instskip(NEXT) | instid1(VALU_DEP_1)
	v_add_co_u32 v10, s8, s0, v10
	v_add_co_ci_u32_e64 v11, null, s4, 0, s8
	flat_load_b32 v10, v[10:11] offset:3584
.LBB579_49:
	s_or_b32 exec_lo, exec_lo, s5
	v_or_b32_e32 v12, 0x400, v0
	s_mov_b32 s5, exec_lo
                                        ; implicit-def: $vgpr11
	s_delay_alu instid0(VALU_DEP_1)
	v_cmpx_gt_u32_e64 s25, v12
	s_cbranch_execz .LBB579_51
; %bb.50:
	v_lshlrev_b32_e32 v11, 2, v12
	s_delay_alu instid0(VALU_DEP_1) | instskip(NEXT) | instid1(VALU_DEP_1)
	v_add_co_u32 v11, s8, s0, v11
	v_add_co_ci_u32_e64 v12, null, s4, 0, s8
	flat_load_b32 v11, v[11:12]
.LBB579_51:
	s_or_b32 exec_lo, exec_lo, s5
	v_or_b32_e32 v17, 0x480, v0
	s_mov_b32 s5, exec_lo
                                        ; implicit-def: $vgpr12
	s_delay_alu instid0(VALU_DEP_1)
	v_cmpx_gt_u32_e64 s25, v17
	s_cbranch_execz .LBB579_53
; %bb.52:
	v_lshlrev_b32_e32 v12, 2, v17
	s_delay_alu instid0(VALU_DEP_1) | instskip(NEXT) | instid1(VALU_DEP_1)
	v_add_co_u32 v17, s8, s0, v12
	v_add_co_ci_u32_e64 v18, null, s4, 0, s8
	flat_load_b32 v12, v[17:18]
.LBB579_53:
	s_or_b32 exec_lo, exec_lo, s5
	v_or_b32_e32 v18, 0x500, v0
	s_mov_b32 s5, exec_lo
                                        ; implicit-def: $vgpr17
	s_delay_alu instid0(VALU_DEP_1)
	v_cmpx_gt_u32_e64 s25, v18
	s_cbranch_execz .LBB579_55
; %bb.54:
	v_lshlrev_b32_e32 v17, 2, v18
	s_delay_alu instid0(VALU_DEP_1) | instskip(NEXT) | instid1(VALU_DEP_1)
	v_add_co_u32 v17, s0, s0, v17
	v_add_co_ci_u32_e64 v18, null, s4, 0, s0
	flat_load_b32 v17, v[17:18]
.LBB579_55:
	s_or_b32 exec_lo, exec_lo, s5
	v_mad_i32_i24 v2, 0xffffffee, v0, v2
	s_waitcnt vmcnt(0) lgkmcnt(0)
	ds_store_2addr_stride64_b32 v2, v3, v4 offset1:2
	ds_store_2addr_stride64_b32 v2, v5, v6 offset0:4 offset1:6
	ds_store_2addr_stride64_b32 v2, v7, v8 offset0:8 offset1:10
	;; [unrolled: 1-line block ×4, first 2 shown]
	ds_store_b32 v2, v17 offset:5120
	s_waitcnt lgkmcnt(0)
	s_barrier
.LBB579_56:
	v_lshlrev_b32_e32 v44, 2, v1
	buffer_gl0_inv
	s_cmp_lg_u32 s24, 0
	v_lshrrev_b32_e32 v43, 16, v13
	s_cselect_b32 s27, -1, 0
	ds_load_2addr_b32 v[28:29], v44 offset1:1
	ds_load_2addr_b32 v[26:27], v44 offset0:2 offset1:3
	ds_load_2addr_b32 v[24:25], v44 offset0:4 offset1:5
	;; [unrolled: 1-line block ×4, first 2 shown]
	ds_load_b32 v36, v44 offset:40
	s_cmp_lg_u64 s[6:7], 0
	v_lshrrev_b32_e32 v42, 16, v14
	s_cselect_b32 s0, -1, 0
	v_lshrrev_b32_e32 v41, 16, v15
	v_lshrrev_b32_e32 v40, 16, v16
	v_add_nc_u32_e32 v5, 1, v1
	v_add_nc_u32_e32 v6, 2, v1
	;; [unrolled: 1-line block ×10, first 2 shown]
	s_or_b32 s0, s0, s27
	s_mov_b32 s28, 0
	s_and_b32 vcc_lo, exec_lo, s0
	s_waitcnt lgkmcnt(0)
	s_barrier
	buffer_gl0_inv
	s_cbranch_vccz .LBB579_61
; %bb.57:
	v_add_co_u32 v17, s0, -2, s10
	s_delay_alu instid0(VALU_DEP_1)
	v_add_co_ci_u32_e64 v18, null, -1, s1, s0
	s_mov_b32 s1, -1
	s_and_b32 vcc_lo, exec_lo, s23
	flat_load_u16 v17, v[17:18]
	v_lshlrev_b32_e32 v18, 1, v0
	ds_store_b16 v18, v33
	s_cbranch_vccz .LBB579_63
; %bb.58:
	s_waitcnt vmcnt(0) lgkmcnt(1)
	v_mov_b32_e32 v19, v17
	s_waitcnt lgkmcnt(0)
	s_barrier
	buffer_gl0_inv
	s_and_saveexec_b32 s0, s3
	s_cbranch_execz .LBB579_60
; %bb.59:
	v_add_nc_u32_e32 v12, -2, v18
	ds_load_u16 v19, v12
.LBB579_60:
	s_or_b32 exec_lo, exec_lo, s0
	v_cmp_ne_u16_e32 vcc_lo, v16, v40
	s_waitcnt lgkmcnt(0)
	v_cmp_ne_u16_e64 s0, v19, v13
	v_cndmask_b32_e64 v12, 0, 1, vcc_lo
	v_cmp_ne_u16_e32 vcc_lo, v41, v16
	s_delay_alu instid0(VALU_DEP_2) | instskip(SKIP_2) | instid1(VALU_DEP_2)
	v_lshlrev_b16 v12, 8, v12
	v_cndmask_b32_e64 v30, 0, 1, vcc_lo
	v_cmp_ne_u16_e32 vcc_lo, v15, v41
	v_or_b32_e32 v30, v30, v12
	v_cndmask_b32_e64 v31, 0, 1, vcc_lo
	v_cmp_ne_u16_e32 vcc_lo, v42, v15
	s_delay_alu instid0(VALU_DEP_2) | instskip(SKIP_2) | instid1(VALU_DEP_2)
	v_lshlrev_b16 v31, 8, v31
	v_cndmask_b32_e64 v32, 0, 1, vcc_lo
	v_cmp_ne_u16_e32 vcc_lo, v14, v42
	v_or_b32_e32 v31, v32, v31
	v_cndmask_b32_e64 v34, 0, 1, vcc_lo
	v_cmp_ne_u16_e32 vcc_lo, v43, v14
	s_delay_alu instid0(VALU_DEP_3) | instskip(NEXT) | instid1(VALU_DEP_3)
	v_and_b32_e32 v31, 0xffff, v31
	v_lshlrev_b16 v45, 8, v34
	v_cndmask_b32_e64 v35, 0, 1, vcc_lo
	v_cmp_ne_u16_e32 vcc_lo, v13, v43
	s_delay_alu instid0(VALU_DEP_2) | instskip(SKIP_3) | instid1(VALU_DEP_4)
	v_or_b32_e32 v35, v35, v45
	v_cndmask_b32_e64 v39, 0, 1, vcc_lo
	v_cmp_ne_u16_e32 vcc_lo, v37, v33
	v_lshlrev_b32_e32 v45, 16, v30
	v_lshlrev_b32_e32 v35, 16, v35
	s_delay_alu instid0(VALU_DEP_4) | instskip(SKIP_3) | instid1(VALU_DEP_4)
	v_lshlrev_b16 v39, 8, v39
	v_cndmask_b32_e64 v34, 0, 1, vcc_lo
	v_cmp_ne_u16_e32 vcc_lo, v38, v37
	v_or_b32_e32 v31, v31, v45
	v_and_b32_e32 v39, 0xffff, v39
	v_cndmask_b32_e64 v12, 0, 1, vcc_lo
	v_cmp_ne_u16_e32 vcc_lo, v40, v38
	s_delay_alu instid0(VALU_DEP_3)
	v_or_b32_e32 v30, v39, v35
	v_cndmask_b32_e64 v32, 0, 1, vcc_lo
	s_branch .LBB579_67
.LBB579_61:
                                        ; implicit-def: $sgpr0
                                        ; implicit-def: $vgpr34
                                        ; implicit-def: $vgpr12
                                        ; implicit-def: $vgpr32
                                        ; implicit-def: $vgpr31
	s_branch .LBB579_68
.LBB579_62:
                                        ; implicit-def: $vgpr17_vgpr18_vgpr19
	s_and_saveexec_b32 s1, s28
	s_cbranch_execnz .LBB579_76
	s_branch .LBB579_77
.LBB579_63:
                                        ; implicit-def: $sgpr0
                                        ; implicit-def: $vgpr34
                                        ; implicit-def: $vgpr12
                                        ; implicit-def: $vgpr32
                                        ; implicit-def: $vgpr31
	s_and_b32 vcc_lo, exec_lo, s1
	s_cbranch_vccz .LBB579_67
; %bb.64:
	s_waitcnt vmcnt(0) lgkmcnt(0)
	s_barrier
	buffer_gl0_inv
	s_and_saveexec_b32 s0, s3
	s_cbranch_execz .LBB579_66
; %bb.65:
	v_add_nc_u32_e32 v12, -2, v18
	ds_load_u16 v17, v12
.LBB579_66:
	s_or_b32 exec_lo, exec_lo, s0
	v_cmp_gt_u32_e32 vcc_lo, s25, v9
	v_cmp_ne_u16_e64 s0, v37, v33
	v_cmp_gt_u32_e64 s1, s25, v10
	v_cmp_ne_u16_e64 s4, v38, v37
	v_cmp_gt_u32_e64 s5, s25, v5
	v_cmp_ne_u16_e64 s6, v13, v43
	s_and_b32 s0, vcc_lo, s0
	v_cmp_gt_u32_e32 vcc_lo, s25, v2
	v_cndmask_b32_e64 v34, 0, 1, s0
	v_cmp_ne_u16_e64 s0, v16, v40
	s_and_b32 s1, s1, s4
	v_cmp_ne_u16_e64 s4, v41, v16
	v_cndmask_b32_e64 v12, 0, 1, s1
	v_cmp_gt_u32_e64 s1, s25, v4
	s_and_b32 s0, vcc_lo, s0
	v_cmp_gt_u32_e32 vcc_lo, s25, v7
	v_cndmask_b32_e64 v18, 0, 1, s0
	v_cmp_ne_u16_e64 s0, v15, v41
	s_and_b32 s1, s1, s4
	v_cmp_ne_u16_e64 s4, v14, v42
	v_cndmask_b32_e64 v19, 0, 1, s1
	v_cmp_gt_u32_e64 s1, s25, v3
	;; [unrolled: 8-line block ×3, first 2 shown]
	s_and_b32 s0, vcc_lo, s0
	v_lshlrev_b16 v30, 8, v30
	v_cndmask_b32_e64 v32, 0, 1, s0
	v_lshlrev_b16 v31, 8, v31
	s_and_b32 s0, s1, s4
	v_lshlrev_b16 v18, 8, v18
	v_cndmask_b32_e64 v35, 0, 1, s0
	s_and_b32 s0, s5, s6
	v_or_b32_e32 v30, v32, v30
	v_cndmask_b32_e64 v39, 0, 1, s0
	v_or_b32_e32 v18, v19, v18
	v_or_b32_e32 v31, v35, v31
	v_cmp_gt_u32_e32 vcc_lo, s25, v11
	v_cmp_ne_u16_e64 s0, v40, v38
	v_lshlrev_b16 v35, 8, v39
	v_lshlrev_b32_e32 v18, 16, v18
	v_lshlrev_b32_e32 v19, 16, v31
	s_delay_alu instid0(VALU_DEP_4) | instskip(NEXT) | instid1(VALU_DEP_3)
	s_and_b32 s0, vcc_lo, s0
	v_and_b32_e32 v31, 0xffff, v35
	v_and_b32_e32 v35, 0xffff, v30
	v_cndmask_b32_e64 v32, 0, 1, s0
	v_cmp_gt_u32_e32 vcc_lo, s25, v1
	s_waitcnt lgkmcnt(0)
	v_cmp_ne_u16_e64 s0, v17, v13
	v_or_b32_e32 v30, v31, v19
	v_or_b32_e32 v31, v35, v18
	s_delay_alu instid0(VALU_DEP_3)
	s_and_b32 s0, vcc_lo, s0
.LBB579_67:
	s_mov_b32 s28, -1
	s_cbranch_execnz .LBB579_62
.LBB579_68:
	v_mad_i32_i24 v35, 0xffffffd6, v0, v44
	v_cmp_ne_u16_e64 s0, v37, v33
	v_cmp_ne_u16_e64 s9, v38, v37
	v_cmp_ne_u16_e64 s10, v40, v38
	v_cmp_ne_u16_e64 s5, v16, v40
	v_cmp_ne_u16_e64 s6, v41, v16
	v_cmp_ne_u16_e64 s11, v15, v41
	v_cmp_ne_u16_e64 s7, v42, v15
	v_cmp_ne_u16_e64 s8, v14, v42
	v_cmp_ne_u16_e64 s1, v43, v14
	v_cmp_ne_u16_e64 s4, v13, v43
	s_and_b32 vcc_lo, exec_lo, s23
	ds_store_b16 v35, v33
	s_cbranch_vccz .LBB579_72
; %bb.69:
	s_waitcnt vmcnt(0) lgkmcnt(2)
	v_cndmask_b32_e64 v17, 0, 1, s11
	v_cndmask_b32_e64 v12, 0, 1, s9
	;; [unrolled: 1-line block ×5, first 2 shown]
	v_lshlrev_b16 v17, 8, v17
	v_cndmask_b32_e64 v39, 0, 1, s4
	v_cndmask_b32_e64 v32, 0, 1, s10
	;; [unrolled: 1-line block ×4, first 2 shown]
	v_lshlrev_b16 v18, 8, v18
	v_lshlrev_b16 v45, 8, v12
	v_or_b32_e32 v17, v30, v17
	v_lshlrev_b16 v30, 8, v31
	v_lshlrev_b16 v31, 8, v39
	v_or_b32_e32 v18, v19, v18
	v_or_b32_e32 v19, v32, v45
	v_and_b32_e32 v17, 0xffff, v17
	v_or_b32_e32 v30, v34, v30
	v_or_b32_e32 v31, 1, v31
	v_lshlrev_b32_e32 v18, 16, v18
	v_and_b32_e32 v19, 0xffff, v19
	v_cndmask_b32_e64 v34, 0, 1, s0
	v_lshlrev_b32_e32 v30, 16, v30
	v_and_b32_e32 v39, 0xffff, v31
	v_or_b32_e32 v31, v17, v18
	s_waitcnt lgkmcnt(0)
	v_lshl_or_b32 v19, v34, 16, v19
	s_barrier
	v_or_b32_e32 v30, v39, v30
	buffer_gl0_inv
                                        ; implicit-def: $sgpr0
	s_and_saveexec_b32 s1, s3
	s_delay_alu instid0(SALU_CYCLE_1)
	s_xor_b32 s1, exec_lo, s1
	s_cbranch_execz .LBB579_71
; %bb.70:
	v_add_nc_u32_e32 v17, -2, v35
	s_or_b32 s28, s28, exec_lo
	ds_load_u16 v17, v17
	s_waitcnt lgkmcnt(0)
	v_cmp_ne_u16_e32 vcc_lo, v17, v13
                                        ; implicit-def: $vgpr17_vgpr18_vgpr19
	s_and_b32 s0, vcc_lo, exec_lo
.LBB579_71:
	s_or_b32 exec_lo, exec_lo, s1
	s_branch .LBB579_75
.LBB579_72:
                                        ; implicit-def: $sgpr0
                                        ; implicit-def: $vgpr34
                                        ; implicit-def: $vgpr12
                                        ; implicit-def: $vgpr32
                                        ; implicit-def: $vgpr31
                                        ; implicit-def: $vgpr17_vgpr18_vgpr19
	s_cbranch_execz .LBB579_75
; %bb.73:
	v_cmp_gt_u32_e32 vcc_lo, s25, v10
	v_cmp_ne_u16_e64 s0, v38, v37
	v_cmp_gt_u32_e64 s5, s25, v11
	v_cmp_ne_u16_e64 s6, v40, v38
	v_cmp_gt_u32_e64 s1, s25, v9
	v_cmp_ne_u16_e64 s4, v37, v33
	s_and_b32 s0, vcc_lo, s0
	v_cmp_gt_u32_e32 vcc_lo, s25, v2
	v_cndmask_b32_e64 v12, 0, 1, s0
	v_cmp_ne_u16_e64 s0, v16, v40
	s_and_b32 s5, s5, s6
	v_cmp_ne_u16_e64 s6, v41, v16
	v_cndmask_b32_e64 v32, 0, 1, s5
	v_cmp_gt_u32_e64 s5, s25, v4
	s_and_b32 s0, vcc_lo, s0
	v_cmp_gt_u32_e32 vcc_lo, s25, v7
	s_waitcnt vmcnt(0) lgkmcnt(2)
	v_cndmask_b32_e64 v17, 0, 1, s0
	v_cmp_ne_u16_e64 s0, v15, v41
	s_and_b32 s5, s5, s6
	v_cmp_ne_u16_e64 s6, v42, v15
	v_cndmask_b32_e64 v18, 0, 1, s5
	v_cmp_gt_u32_e64 s5, s25, v8
	s_and_b32 s0, vcc_lo, s0
	v_cmp_gt_u32_e32 vcc_lo, s25, v3
	v_cndmask_b32_e64 v19, 0, 1, s0
	v_cmp_ne_u16_e64 s0, v14, v42
	s_and_b32 s5, s5, s6
	v_cmp_ne_u16_e64 s6, v43, v14
	v_cndmask_b32_e64 v30, 0, 1, s5
	v_cmp_gt_u32_e64 s5, s25, v6
	s_and_b32 s0, vcc_lo, s0
	v_cmp_gt_u32_e32 vcc_lo, s25, v5
	v_cndmask_b32_e64 v31, 0, 1, s0
	v_cmp_ne_u16_e64 s0, v13, v43
	v_lshlrev_b16 v19, 8, v19
	v_lshlrev_b16 v17, 8, v17
	s_and_b32 s5, s5, s6
	v_lshlrev_b16 v45, 8, v12
	s_and_b32 s0, vcc_lo, s0
	v_cndmask_b32_e64 v34, 0, 1, s5
	v_cndmask_b32_e64 v39, 0, 1, s0
	v_or_b32_e32 v19, v30, v19
	v_or_b32_e32 v17, v18, v17
	v_lshlrev_b16 v18, 8, v31
	v_or_b32_e32 v31, v32, v45
	v_lshlrev_b16 v30, 8, v39
	s_and_b32 s0, s1, s4
	v_and_b32_e32 v19, 0xffff, v19
	v_or_b32_e32 v18, v34, v18
	v_lshlrev_b32_e32 v17, 16, v17
	v_or_b32_e32 v30, 1, v30
	v_and_b32_e32 v39, 0xffff, v31
	v_cndmask_b32_e64 v34, 0, 1, s0
	v_lshlrev_b32_e32 v18, 16, v18
	v_or_b32_e32 v31, v19, v17
	v_and_b32_e32 v30, 0xffff, v30
	s_waitcnt lgkmcnt(0)
	v_lshl_or_b32 v19, v34, 16, v39
	s_barrier
	buffer_gl0_inv
	v_or_b32_e32 v30, v30, v18
                                        ; implicit-def: $sgpr0
	s_and_saveexec_b32 s1, s3
	s_cbranch_execz .LBB579_259
; %bb.74:
	v_add_nc_u32_e32 v17, -2, v35
	v_cmp_gt_u32_e32 vcc_lo, s25, v1
	s_or_b32 s28, s28, exec_lo
	ds_load_u16 v17, v17
	s_waitcnt lgkmcnt(0)
	v_cmp_ne_u16_e64 s0, v17, v13
                                        ; implicit-def: $vgpr17_vgpr18_vgpr19
	s_delay_alu instid0(VALU_DEP_1) | instskip(NEXT) | instid1(SALU_CYCLE_1)
	s_and_b32 s0, vcc_lo, s0
	s_and_b32 s0, s0, exec_lo
	s_or_b32 exec_lo, exec_lo, s1
.LBB579_75:
	s_and_saveexec_b32 s1, s28
	s_cbranch_execz .LBB579_77
.LBB579_76:
	v_lshrrev_b32_e32 v18, 24, v30
	v_lshrrev_b32_e32 v19, 16, v30
	;; [unrolled: 1-line block ×3, first 2 shown]
	s_waitcnt vmcnt(0) lgkmcnt(1)
	v_cndmask_b32_e64 v17, 0, 1, s0
	v_lshlrev_b16 v12, 8, v12
	v_and_b32_e32 v32, 0xff, v32
	v_lshlrev_b16 v18, 8, v18
	v_and_b32_e32 v19, 0xff, v19
	;; [unrolled: 2-line block ×3, first 2 shown]
	v_or_b32_e32 v12, v32, v12
	s_delay_alu instid0(VALU_DEP_4) | instskip(NEXT) | instid1(VALU_DEP_4)
	v_or_b32_e32 v18, v19, v18
	v_or_b32_e32 v17, v17, v30
	s_delay_alu instid0(VALU_DEP_4) | instskip(NEXT) | instid1(VALU_DEP_4)
	v_lshlrev_b32_e32 v19, 16, v34
	v_and_b32_e32 v12, 0xffff, v12
	s_delay_alu instid0(VALU_DEP_4) | instskip(NEXT) | instid1(VALU_DEP_4)
	v_lshlrev_b32_e32 v18, 16, v18
	v_and_b32_e32 v17, 0xffff, v17
	s_delay_alu instid0(VALU_DEP_3) | instskip(NEXT) | instid1(VALU_DEP_2)
	v_or_b32_e32 v19, v12, v19
	v_or_b32_e32 v30, v17, v18
.LBB579_77:
	s_or_b32 exec_lo, exec_lo, s1
	s_delay_alu instid0(SALU_CYCLE_1)
	s_and_not1_b32 vcc_lo, exec_lo, s26
	s_cbranch_vccnz .LBB579_79
; %bb.78:
	v_cmp_gt_u32_e32 vcc_lo, s25, v1
	v_cmp_gt_u32_e64 s0, s25, v5
	v_cmp_gt_u32_e64 s3, s25, v6
	v_and_b32_e32 v5, 0xffffff00, v31
	v_cmp_gt_u32_e64 s1, s25, v10
	v_dual_cndmask_b32 v1, 0, v30 :: v_dual_and_b32 v12, 0xff000000, v19
	v_cmp_gt_u32_e32 vcc_lo, s25, v11
	v_cmp_gt_u32_e64 s5, s25, v3
	v_cmp_gt_u32_e64 s4, s25, v9
	s_delay_alu instid0(VALU_DEP_4) | instskip(SKIP_1) | instid1(VALU_DEP_2)
	v_and_b32_e32 v1, 0xff, v1
	v_cndmask_b32_e32 v11, v12, v19, vcc_lo
	v_cndmask_b32_e64 v1, v1, v30, s0
	v_cmp_gt_u32_e64 s0, s25, v8
	s_delay_alu instid0(VALU_DEP_3) | instskip(NEXT) | instid1(VALU_DEP_3)
	v_and_b32_e32 v11, 0xff0000ff, v11
	v_and_b32_e32 v1, 0xffff, v1
	s_delay_alu instid0(VALU_DEP_3) | instskip(NEXT) | instid1(VALU_DEP_3)
	v_cndmask_b32_e64 v5, v5, v31, s0
	v_cndmask_b32_e64 v8, v11, v19, s1
	s_or_b32 s1, s4, s1
	s_delay_alu instid0(VALU_DEP_3) | instskip(NEXT) | instid1(VALU_DEP_3)
	v_cndmask_b32_e64 v1, v1, v30, s3
	v_and_b32_e32 v5, 0xffff00ff, v5
	s_delay_alu instid0(VALU_DEP_3) | instskip(SKIP_1) | instid1(VALU_DEP_4)
	v_and_b32_e32 v6, 0xff00ffff, v8
	v_cmp_gt_u32_e64 s3, s25, v7
	v_and_b32_e32 v1, 0xffffff, v1
	s_delay_alu instid0(VALU_DEP_3) | instskip(NEXT) | instid1(VALU_DEP_3)
	v_cndmask_b32_e64 v6, v6, v19, s4
	v_cndmask_b32_e64 v5, v5, v31, s3
	s_delay_alu instid0(VALU_DEP_3) | instskip(NEXT) | instid1(VALU_DEP_2)
	v_cndmask_b32_e64 v1, v1, v30, s5
	v_and_b32_e32 v3, 0xff00ffff, v5
	s_delay_alu instid0(VALU_DEP_4) | instskip(NEXT) | instid1(VALU_DEP_3)
	v_lshrrev_b32_e32 v5, 8, v6
	v_cndmask_b32_e64 v1, v1, v30, s0
	v_cmp_gt_u32_e64 s0, s25, v4
	s_delay_alu instid0(VALU_DEP_3) | instskip(NEXT) | instid1(VALU_DEP_3)
	v_lshlrev_b16 v5, 8, v5
	v_cndmask_b32_e64 v1, v1, v30, s3
	v_cmp_gt_u32_e64 s3, s25, v2
	s_delay_alu instid0(VALU_DEP_4) | instskip(NEXT) | instid1(VALU_DEP_3)
	v_cndmask_b32_e64 v3, v3, v31, s0
	v_cndmask_b32_e64 v1, v1, v30, s0
	s_or_b32 s0, s1, vcc_lo
	s_delay_alu instid0(VALU_DEP_3) | instid1(SALU_CYCLE_1)
	s_or_b32 vcc_lo, s0, s3
	s_delay_alu instid0(VALU_DEP_1) | instskip(NEXT) | instid1(VALU_DEP_1)
	v_dual_cndmask_b32 v1, v1, v30 :: v_dual_and_b32 v2, 0xffffff, v3
	v_dual_cndmask_b32 v31, v2, v31 :: v_dual_and_b32 v4, 0xff, v6
	s_delay_alu instid0(VALU_DEP_2) | instskip(NEXT) | instid1(VALU_DEP_2)
	v_perm_b32 v30, v1, v1, 0x3020104
	v_or_b32_e32 v3, v4, v5
	s_delay_alu instid0(VALU_DEP_1) | instskip(NEXT) | instid1(VALU_DEP_1)
	v_and_b32_e32 v2, 0xffff, v3
	v_and_or_b32 v19, 0xff0000, v6, v2
.LBB579_79:
	s_delay_alu instid0(VALU_DEP_1)
	v_and_b32_e32 v45, 0xff, v30
	v_bfe_u32 v46, v30, 8, 8
	v_alignbit_b32 v1, v31, v30, 24
	v_bfe_u32 v47, v30, 16, 8
	v_and_b32_e32 v48, 0xff, v31
	v_bfe_u32 v50, v31, 8, 8
	v_bfe_u32 v51, v31, 16, 8
	v_and_b32_e32 v49, 0xff, v1
	v_add3_u32 v1, v46, v45, v47
	v_lshrrev_b32_e32 v39, 24, v31
	v_mbcnt_lo_u32_b32 v54, -1, 0
	v_and_b32_e32 v52, 0xff, v19
	v_bfe_u32 v53, v19, 8, 8
	v_add3_u32 v1, v1, v49, v48
	v_bfe_u32 v3, v19, 16, 8
	v_and_b32_e32 v2, 15, v54
	v_or_b32_e32 v4, 31, v0
	v_and_b32_e32 v5, 16, v54
	v_add3_u32 v1, v1, v50, v51
	v_lshrrev_b32_e32 v55, 5, v0
	v_cmp_eq_u32_e64 s6, 0, v2
	v_cmp_lt_u32_e64 s5, 1, v2
	v_cmp_lt_u32_e64 s4, 3, v2
	v_add3_u32 v1, v1, v39, v52
	v_cmp_lt_u32_e64 s3, 7, v2
	v_cmp_eq_u32_e64 s1, 0, v5
	v_cmp_eq_u32_e64 s0, v4, v0
	s_and_b32 vcc_lo, exec_lo, s27
	v_add3_u32 v56, v1, v53, v3
	s_mov_b32 s7, -1
	s_waitcnt vmcnt(0) lgkmcnt(0)
	s_barrier
	buffer_gl0_inv
	s_cbranch_vccz .LBB579_110
; %bb.80:
	v_mov_b32_dpp v1, v56 row_shr:1 row_mask:0xf bank_mask:0xf
	s_delay_alu instid0(VALU_DEP_1) | instskip(NEXT) | instid1(VALU_DEP_1)
	v_cndmask_b32_e64 v1, v1, 0, s6
	v_add_nc_u32_e32 v1, v1, v56
	s_delay_alu instid0(VALU_DEP_1) | instskip(NEXT) | instid1(VALU_DEP_1)
	v_mov_b32_dpp v2, v1 row_shr:2 row_mask:0xf bank_mask:0xf
	v_cndmask_b32_e64 v2, 0, v2, s5
	s_delay_alu instid0(VALU_DEP_1) | instskip(NEXT) | instid1(VALU_DEP_1)
	v_add_nc_u32_e32 v1, v1, v2
	v_mov_b32_dpp v2, v1 row_shr:4 row_mask:0xf bank_mask:0xf
	s_delay_alu instid0(VALU_DEP_1) | instskip(NEXT) | instid1(VALU_DEP_1)
	v_cndmask_b32_e64 v2, 0, v2, s4
	v_add_nc_u32_e32 v1, v1, v2
	s_delay_alu instid0(VALU_DEP_1) | instskip(NEXT) | instid1(VALU_DEP_1)
	v_mov_b32_dpp v2, v1 row_shr:8 row_mask:0xf bank_mask:0xf
	v_cndmask_b32_e64 v2, 0, v2, s3
	s_delay_alu instid0(VALU_DEP_1) | instskip(SKIP_3) | instid1(VALU_DEP_1)
	v_add_nc_u32_e32 v1, v1, v2
	ds_swizzle_b32 v2, v1 offset:swizzle(BROADCAST,32,15)
	s_waitcnt lgkmcnt(0)
	v_cndmask_b32_e64 v2, v2, 0, s1
	v_add_nc_u32_e32 v1, v1, v2
	s_and_saveexec_b32 s7, s0
	s_cbranch_execz .LBB579_82
; %bb.81:
	v_lshlrev_b32_e32 v2, 2, v55
	ds_store_b32 v2, v1
.LBB579_82:
	s_or_b32 exec_lo, exec_lo, s7
	s_delay_alu instid0(SALU_CYCLE_1)
	s_mov_b32 s7, exec_lo
	s_waitcnt lgkmcnt(0)
	s_barrier
	buffer_gl0_inv
	v_cmpx_gt_u32_e32 4, v0
	s_cbranch_execz .LBB579_84
; %bb.83:
	v_and_b32_e32 v4, 3, v54
	s_delay_alu instid0(VALU_DEP_1) | instskip(SKIP_4) | instid1(VALU_DEP_1)
	v_cmp_ne_u32_e32 vcc_lo, 0, v4
	v_lshlrev_b32_e32 v2, 2, v0
	ds_load_b32 v3, v2
	s_waitcnt lgkmcnt(0)
	v_mov_b32_dpp v5, v3 row_shr:1 row_mask:0xf bank_mask:0xf
	v_cndmask_b32_e32 v5, 0, v5, vcc_lo
	v_cmp_lt_u32_e32 vcc_lo, 1, v4
	s_delay_alu instid0(VALU_DEP_2) | instskip(NEXT) | instid1(VALU_DEP_1)
	v_add_nc_u32_e32 v3, v5, v3
	v_mov_b32_dpp v5, v3 row_shr:2 row_mask:0xf bank_mask:0xf
	s_delay_alu instid0(VALU_DEP_1) | instskip(NEXT) | instid1(VALU_DEP_1)
	v_cndmask_b32_e32 v4, 0, v5, vcc_lo
	v_add_nc_u32_e32 v3, v3, v4
	ds_store_b32 v2, v3
.LBB579_84:
	s_or_b32 exec_lo, exec_lo, s7
	v_cmp_gt_u32_e32 vcc_lo, 32, v0
	s_mov_b32 s8, exec_lo
	s_waitcnt lgkmcnt(0)
	s_barrier
	buffer_gl0_inv
                                        ; implicit-def: $vgpr9
	v_cmpx_lt_u32_e32 31, v0
	s_cbranch_execz .LBB579_86
; %bb.85:
	v_lshl_add_u32 v2, v55, 2, -4
	ds_load_b32 v9, v2
	s_waitcnt lgkmcnt(0)
	v_add_nc_u32_e32 v1, v9, v1
.LBB579_86:
	s_or_b32 exec_lo, exec_lo, s8
	v_add_nc_u32_e32 v2, -1, v54
	s_delay_alu instid0(VALU_DEP_1) | instskip(NEXT) | instid1(VALU_DEP_1)
	v_cmp_gt_i32_e64 s7, 0, v2
	v_cndmask_b32_e64 v2, v2, v54, s7
	v_cmp_eq_u32_e64 s7, 0, v54
	s_delay_alu instid0(VALU_DEP_2)
	v_lshlrev_b32_e32 v2, 2, v2
	ds_bpermute_b32 v10, v2, v1
	s_and_saveexec_b32 s8, vcc_lo
	s_cbranch_execz .LBB579_109
; %bb.87:
	v_mov_b32_e32 v5, 0
	ds_load_b32 v1, v5 offset:12
	s_and_saveexec_b32 s9, s7
	s_cbranch_execz .LBB579_89
; %bb.88:
	s_add_i32 s10, s24, 32
	s_mov_b32 s11, 0
	v_mov_b32_e32 v2, 1
	s_lshl_b64 s[10:11], s[10:11], 3
	s_delay_alu instid0(SALU_CYCLE_1)
	s_add_u32 s10, s20, s10
	s_addc_u32 s11, s21, s11
	s_waitcnt lgkmcnt(0)
	global_store_b64 v5, v[1:2], s[10:11]
.LBB579_89:
	s_or_b32 exec_lo, exec_lo, s9
	v_xad_u32 v3, v54, -1, s24
	s_mov_b32 s10, 0
	s_mov_b32 s9, exec_lo
	s_delay_alu instid0(VALU_DEP_1) | instskip(NEXT) | instid1(VALU_DEP_1)
	v_add_nc_u32_e32 v4, 32, v3
	v_lshlrev_b64 v[4:5], 3, v[4:5]
	s_delay_alu instid0(VALU_DEP_1) | instskip(NEXT) | instid1(VALU_DEP_2)
	v_add_co_u32 v7, vcc_lo, s20, v4
	v_add_co_ci_u32_e32 v8, vcc_lo, s21, v5, vcc_lo
	global_load_b64 v[5:6], v[7:8], off glc
	s_waitcnt vmcnt(0)
	v_and_b32_e32 v2, 0xff, v6
	s_delay_alu instid0(VALU_DEP_1)
	v_cmpx_eq_u16_e32 0, v2
	s_cbranch_execz .LBB579_95
; %bb.90:
	s_mov_b32 s11, 1
	.p2align	6
.LBB579_91:                             ; =>This Loop Header: Depth=1
                                        ;     Child Loop BB579_92 Depth 2
	s_delay_alu instid0(SALU_CYCLE_1)
	s_max_u32 s25, s11, 1
.LBB579_92:                             ;   Parent Loop BB579_91 Depth=1
                                        ; =>  This Inner Loop Header: Depth=2
	s_delay_alu instid0(SALU_CYCLE_1)
	s_add_i32 s25, s25, -1
	s_sleep 1
	s_cmp_eq_u32 s25, 0
	s_cbranch_scc0 .LBB579_92
; %bb.93:                               ;   in Loop: Header=BB579_91 Depth=1
	global_load_b64 v[5:6], v[7:8], off glc
	s_cmp_lt_u32 s11, 32
	s_cselect_b32 s25, -1, 0
	s_delay_alu instid0(SALU_CYCLE_1) | instskip(SKIP_3) | instid1(VALU_DEP_1)
	s_cmp_lg_u32 s25, 0
	s_addc_u32 s11, s11, 0
	s_waitcnt vmcnt(0)
	v_and_b32_e32 v2, 0xff, v6
	v_cmp_ne_u16_e32 vcc_lo, 0, v2
	s_or_b32 s10, vcc_lo, s10
	s_delay_alu instid0(SALU_CYCLE_1)
	s_and_not1_b32 exec_lo, exec_lo, s10
	s_cbranch_execnz .LBB579_91
; %bb.94:
	s_or_b32 exec_lo, exec_lo, s10
.LBB579_95:
	s_delay_alu instid0(SALU_CYCLE_1)
	s_or_b32 exec_lo, exec_lo, s9
	v_cmp_ne_u32_e32 vcc_lo, 31, v54
	v_lshlrev_b32_e64 v12, v54, -1
	v_add_nc_u32_e32 v18, 2, v54
	v_add_nc_u32_e32 v34, 4, v54
	;; [unrolled: 1-line block ×3, first 2 shown]
	v_add_co_ci_u32_e32 v2, vcc_lo, 0, v54, vcc_lo
	v_add_nc_u32_e32 v59, 16, v54
	s_delay_alu instid0(VALU_DEP_2)
	v_lshlrev_b32_e32 v11, 2, v2
	v_and_b32_e32 v2, 0xff, v6
	ds_bpermute_b32 v4, v11, v5
	v_cmp_eq_u16_e32 vcc_lo, 2, v2
	v_and_or_b32 v2, vcc_lo, v12, 0x80000000
	v_cmp_gt_u32_e32 vcc_lo, 30, v54
	s_delay_alu instid0(VALU_DEP_2) | instskip(SKIP_1) | instid1(VALU_DEP_2)
	v_ctz_i32_b32_e32 v2, v2
	v_cndmask_b32_e64 v7, 0, 1, vcc_lo
	v_cmp_lt_u32_e32 vcc_lo, v54, v2
	s_waitcnt lgkmcnt(0)
	s_delay_alu instid0(VALU_DEP_2) | instskip(NEXT) | instid1(VALU_DEP_1)
	v_dual_cndmask_b32 v4, 0, v4 :: v_dual_lshlrev_b32 v7, 1, v7
	v_add_lshl_u32 v17, v7, v54, 2
	v_cmp_gt_u32_e32 vcc_lo, 28, v54
	s_delay_alu instid0(VALU_DEP_3) | instskip(SKIP_4) | instid1(VALU_DEP_1)
	v_add_nc_u32_e32 v4, v4, v5
	v_cndmask_b32_e64 v7, 0, 1, vcc_lo
	v_cmp_le_u32_e32 vcc_lo, v18, v2
	ds_bpermute_b32 v5, v17, v4
	v_lshlrev_b32_e32 v7, 2, v7
	v_add_lshl_u32 v32, v7, v54, 2
	s_waitcnt lgkmcnt(0)
	v_cndmask_b32_e32 v5, 0, v5, vcc_lo
	v_cmp_gt_u32_e32 vcc_lo, 24, v54
	s_delay_alu instid0(VALU_DEP_2) | instskip(SKIP_4) | instid1(VALU_DEP_1)
	v_add_nc_u32_e32 v4, v4, v5
	v_cndmask_b32_e64 v7, 0, 1, vcc_lo
	v_cmp_le_u32_e32 vcc_lo, v34, v2
	ds_bpermute_b32 v5, v32, v4
	v_lshlrev_b32_e32 v7, 3, v7
	v_add_lshl_u32 v35, v7, v54, 2
	s_waitcnt lgkmcnt(0)
	v_cndmask_b32_e32 v5, 0, v5, vcc_lo
	v_cmp_gt_u32_e32 vcc_lo, 16, v54
	s_delay_alu instid0(VALU_DEP_2) | instskip(SKIP_4) | instid1(VALU_DEP_1)
	v_add_nc_u32_e32 v4, v4, v5
	v_cndmask_b32_e64 v7, 0, 1, vcc_lo
	v_cmp_le_u32_e32 vcc_lo, v57, v2
	ds_bpermute_b32 v5, v35, v4
	v_lshlrev_b32_e32 v7, 4, v7
	v_add_lshl_u32 v58, v7, v54, 2
	s_waitcnt lgkmcnt(0)
	v_cndmask_b32_e32 v5, 0, v5, vcc_lo
	v_cmp_le_u32_e32 vcc_lo, v59, v2
	s_delay_alu instid0(VALU_DEP_2) | instskip(SKIP_3) | instid1(VALU_DEP_1)
	v_add_nc_u32_e32 v4, v4, v5
	ds_bpermute_b32 v5, v58, v4
	s_waitcnt lgkmcnt(0)
	v_cndmask_b32_e32 v2, 0, v5, vcc_lo
	v_dual_mov_b32 v4, 0 :: v_dual_add_nc_u32 v5, v4, v2
	s_branch .LBB579_97
.LBB579_96:                             ;   in Loop: Header=BB579_97 Depth=1
	s_or_b32 exec_lo, exec_lo, s9
	ds_bpermute_b32 v8, v11, v5
	v_and_b32_e32 v7, 0xff, v6
	v_subrev_nc_u32_e32 v3, 32, v3
	s_delay_alu instid0(VALU_DEP_2) | instskip(SKIP_1) | instid1(VALU_DEP_1)
	v_cmp_eq_u16_e32 vcc_lo, 2, v7
	v_and_or_b32 v7, vcc_lo, v12, 0x80000000
	v_ctz_i32_b32_e32 v7, v7
	s_delay_alu instid0(VALU_DEP_1) | instskip(SKIP_3) | instid1(VALU_DEP_2)
	v_cmp_lt_u32_e32 vcc_lo, v54, v7
	s_waitcnt lgkmcnt(0)
	v_cndmask_b32_e32 v8, 0, v8, vcc_lo
	v_cmp_le_u32_e32 vcc_lo, v18, v7
	v_add_nc_u32_e32 v5, v8, v5
	ds_bpermute_b32 v8, v17, v5
	s_waitcnt lgkmcnt(0)
	v_cndmask_b32_e32 v8, 0, v8, vcc_lo
	v_cmp_le_u32_e32 vcc_lo, v34, v7
	s_delay_alu instid0(VALU_DEP_2) | instskip(SKIP_4) | instid1(VALU_DEP_2)
	v_add_nc_u32_e32 v5, v5, v8
	ds_bpermute_b32 v8, v32, v5
	s_waitcnt lgkmcnt(0)
	v_cndmask_b32_e32 v8, 0, v8, vcc_lo
	v_cmp_le_u32_e32 vcc_lo, v57, v7
	v_add_nc_u32_e32 v5, v5, v8
	ds_bpermute_b32 v8, v35, v5
	s_waitcnt lgkmcnt(0)
	v_cndmask_b32_e32 v8, 0, v8, vcc_lo
	v_cmp_le_u32_e32 vcc_lo, v59, v7
	s_delay_alu instid0(VALU_DEP_2) | instskip(SKIP_3) | instid1(VALU_DEP_1)
	v_add_nc_u32_e32 v5, v5, v8
	ds_bpermute_b32 v8, v58, v5
	s_waitcnt lgkmcnt(0)
	v_cndmask_b32_e32 v7, 0, v8, vcc_lo
	v_add3_u32 v5, v7, v2, v5
.LBB579_97:                             ; =>This Loop Header: Depth=1
                                        ;     Child Loop BB579_100 Depth 2
                                        ;       Child Loop BB579_101 Depth 3
	v_and_b32_e32 v2, 0xff, v6
	s_delay_alu instid0(VALU_DEP_1) | instskip(SKIP_2) | instid1(VALU_DEP_1)
	v_cmp_ne_u16_e32 vcc_lo, 2, v2
	v_cndmask_b32_e64 v2, 0, 1, vcc_lo
	;;#ASMSTART
	;;#ASMEND
	v_cmp_ne_u32_e32 vcc_lo, 0, v2
	v_mov_b32_e32 v2, v5
	s_cmp_lg_u32 vcc_lo, exec_lo
	s_cbranch_scc1 .LBB579_104
; %bb.98:                               ;   in Loop: Header=BB579_97 Depth=1
	v_lshlrev_b64 v[5:6], 3, v[3:4]
	s_mov_b32 s9, exec_lo
	s_delay_alu instid0(VALU_DEP_1) | instskip(NEXT) | instid1(VALU_DEP_2)
	v_add_co_u32 v7, vcc_lo, s20, v5
	v_add_co_ci_u32_e32 v8, vcc_lo, s21, v6, vcc_lo
	global_load_b64 v[5:6], v[7:8], off glc
	s_waitcnt vmcnt(0)
	v_and_b32_e32 v60, 0xff, v6
	s_delay_alu instid0(VALU_DEP_1)
	v_cmpx_eq_u16_e32 0, v60
	s_cbranch_execz .LBB579_96
; %bb.99:                               ;   in Loop: Header=BB579_97 Depth=1
	s_mov_b32 s11, 1
	s_mov_b32 s10, 0
	.p2align	6
.LBB579_100:                            ;   Parent Loop BB579_97 Depth=1
                                        ; =>  This Loop Header: Depth=2
                                        ;       Child Loop BB579_101 Depth 3
	s_max_u32 s25, s11, 1
.LBB579_101:                            ;   Parent Loop BB579_97 Depth=1
                                        ;     Parent Loop BB579_100 Depth=2
                                        ; =>    This Inner Loop Header: Depth=3
	s_delay_alu instid0(SALU_CYCLE_1)
	s_add_i32 s25, s25, -1
	s_sleep 1
	s_cmp_eq_u32 s25, 0
	s_cbranch_scc0 .LBB579_101
; %bb.102:                              ;   in Loop: Header=BB579_100 Depth=2
	global_load_b64 v[5:6], v[7:8], off glc
	s_cmp_lt_u32 s11, 32
	s_cselect_b32 s25, -1, 0
	s_delay_alu instid0(SALU_CYCLE_1) | instskip(SKIP_3) | instid1(VALU_DEP_1)
	s_cmp_lg_u32 s25, 0
	s_addc_u32 s11, s11, 0
	s_waitcnt vmcnt(0)
	v_and_b32_e32 v60, 0xff, v6
	v_cmp_ne_u16_e32 vcc_lo, 0, v60
	s_or_b32 s10, vcc_lo, s10
	s_delay_alu instid0(SALU_CYCLE_1)
	s_and_not1_b32 exec_lo, exec_lo, s10
	s_cbranch_execnz .LBB579_100
; %bb.103:                              ;   in Loop: Header=BB579_97 Depth=1
	s_or_b32 exec_lo, exec_lo, s10
	s_branch .LBB579_96
.LBB579_104:                            ;   in Loop: Header=BB579_97 Depth=1
                                        ; implicit-def: $vgpr5
                                        ; implicit-def: $vgpr6
	s_cbranch_execz .LBB579_97
; %bb.105:
	s_and_saveexec_b32 s9, s7
	s_cbranch_execz .LBB579_107
; %bb.106:
	s_add_i32 s10, s24, 32
	s_mov_b32 s11, 0
	v_dual_mov_b32 v4, 2 :: v_dual_add_nc_u32 v3, v2, v1
	s_lshl_b64 s[10:11], s[10:11], 3
	v_mov_b32_e32 v5, 0
	s_add_u32 s10, s20, s10
	s_addc_u32 s11, s21, s11
	global_store_b64 v5, v[3:4], s[10:11]
	ds_store_b64 v5, v[1:2] offset:5632
.LBB579_107:
	s_or_b32 exec_lo, exec_lo, s9
	s_delay_alu instid0(SALU_CYCLE_1)
	s_and_b32 exec_lo, exec_lo, s2
	s_cbranch_execz .LBB579_109
; %bb.108:
	v_mov_b32_e32 v1, 0
	ds_store_b32 v1, v2 offset:12
.LBB579_109:
	s_or_b32 exec_lo, exec_lo, s8
	s_waitcnt lgkmcnt(0)
	v_cndmask_b32_e64 v3, v10, v9, s7
	s_waitcnt_vscnt null, 0x0
	s_barrier
	buffer_gl0_inv
	v_cndmask_b32_e64 v3, v3, 0, s2
	v_mov_b32_e32 v1, 0
	ds_load_b32 v2, v1 offset:12
	s_waitcnt lgkmcnt(0)
	s_barrier
	buffer_gl0_inv
	v_add_nc_u32_e32 v2, v2, v3
	ds_load_b64 v[17:18], v1 offset:5632
	v_add_nc_u32_e32 v3, v2, v45
	s_delay_alu instid0(VALU_DEP_1) | instskip(SKIP_1) | instid1(VALU_DEP_1)
	v_add_nc_u32_e32 v4, v3, v46
	s_waitcnt lgkmcnt(0)
	v_dual_mov_b32 v32, v18 :: v_dual_add_nc_u32 v5, v4, v47
	s_delay_alu instid0(VALU_DEP_1) | instskip(NEXT) | instid1(VALU_DEP_1)
	v_add_nc_u32_e32 v6, v5, v49
	v_add_nc_u32_e32 v7, v6, v48
	s_delay_alu instid0(VALU_DEP_1) | instskip(NEXT) | instid1(VALU_DEP_1)
	v_add_nc_u32_e32 v8, v7, v50
	v_add_nc_u32_e32 v9, v8, v51
	;; [unrolled: 3-line block ×3, first 2 shown]
	s_delay_alu instid0(VALU_DEP_1)
	v_add_nc_u32_e32 v12, v11, v53
	v_lshrrev_b64 v[34:35], 24, v[30:31]
	s_branch .LBB579_120
.LBB579_110:
                                        ; implicit-def: $vgpr32
                                        ; implicit-def: $vgpr2_vgpr3_vgpr4_vgpr5_vgpr6_vgpr7_vgpr8_vgpr9_vgpr10_vgpr11_vgpr12
                                        ; implicit-def: $vgpr17
	v_lshrrev_b64 v[34:35], 24, v[30:31]
	s_and_b32 vcc_lo, exec_lo, s7
	s_cbranch_vccz .LBB579_120
; %bb.111:
	v_mov_b32_dpp v1, v56 row_shr:1 row_mask:0xf bank_mask:0xf
	s_delay_alu instid0(VALU_DEP_1) | instskip(NEXT) | instid1(VALU_DEP_1)
	v_cndmask_b32_e64 v1, v1, 0, s6
	v_add_nc_u32_e32 v1, v1, v56
	s_delay_alu instid0(VALU_DEP_1) | instskip(NEXT) | instid1(VALU_DEP_1)
	v_mov_b32_dpp v2, v1 row_shr:2 row_mask:0xf bank_mask:0xf
	v_cndmask_b32_e64 v2, 0, v2, s5
	s_delay_alu instid0(VALU_DEP_1) | instskip(NEXT) | instid1(VALU_DEP_1)
	v_add_nc_u32_e32 v1, v1, v2
	v_mov_b32_dpp v2, v1 row_shr:4 row_mask:0xf bank_mask:0xf
	s_delay_alu instid0(VALU_DEP_1) | instskip(NEXT) | instid1(VALU_DEP_1)
	v_cndmask_b32_e64 v2, 0, v2, s4
	v_add_nc_u32_e32 v1, v1, v2
	s_delay_alu instid0(VALU_DEP_1) | instskip(NEXT) | instid1(VALU_DEP_1)
	v_mov_b32_dpp v2, v1 row_shr:8 row_mask:0xf bank_mask:0xf
	v_cndmask_b32_e64 v2, 0, v2, s3
	s_delay_alu instid0(VALU_DEP_1) | instskip(SKIP_3) | instid1(VALU_DEP_1)
	v_add_nc_u32_e32 v1, v1, v2
	ds_swizzle_b32 v2, v1 offset:swizzle(BROADCAST,32,15)
	s_waitcnt lgkmcnt(0)
	v_cndmask_b32_e64 v2, v2, 0, s1
	v_add_nc_u32_e32 v1, v1, v2
	s_and_saveexec_b32 s1, s0
	s_cbranch_execz .LBB579_113
; %bb.112:
	v_lshlrev_b32_e32 v2, 2, v55
	ds_store_b32 v2, v1
.LBB579_113:
	s_or_b32 exec_lo, exec_lo, s1
	s_delay_alu instid0(SALU_CYCLE_1)
	s_mov_b32 s0, exec_lo
	s_waitcnt lgkmcnt(0)
	s_barrier
	buffer_gl0_inv
	v_cmpx_gt_u32_e32 4, v0
	s_cbranch_execz .LBB579_115
; %bb.114:
	v_mad_i32_i24 v2, 0xffffffd8, v0, v44
	ds_load_b32 v3, v2
	s_waitcnt lgkmcnt(0)
	v_mov_b32_dpp v5, v3 row_shr:1 row_mask:0xf bank_mask:0xf
	v_and_b32_e32 v4, 3, v54
	s_delay_alu instid0(VALU_DEP_1) | instskip(NEXT) | instid1(VALU_DEP_3)
	v_cmp_ne_u32_e32 vcc_lo, 0, v4
	v_cndmask_b32_e32 v5, 0, v5, vcc_lo
	v_cmp_lt_u32_e32 vcc_lo, 1, v4
	s_delay_alu instid0(VALU_DEP_2) | instskip(NEXT) | instid1(VALU_DEP_1)
	v_add_nc_u32_e32 v3, v5, v3
	v_mov_b32_dpp v5, v3 row_shr:2 row_mask:0xf bank_mask:0xf
	s_delay_alu instid0(VALU_DEP_1) | instskip(NEXT) | instid1(VALU_DEP_1)
	v_cndmask_b32_e32 v4, 0, v5, vcc_lo
	v_add_nc_u32_e32 v3, v3, v4
	ds_store_b32 v2, v3
.LBB579_115:
	s_or_b32 exec_lo, exec_lo, s0
	v_dual_mov_b32 v3, 0 :: v_dual_mov_b32 v2, 0
	s_mov_b32 s0, exec_lo
	s_waitcnt lgkmcnt(0)
	s_barrier
	buffer_gl0_inv
	v_cmpx_lt_u32_e32 31, v0
	s_cbranch_execz .LBB579_117
; %bb.116:
	v_lshl_add_u32 v2, v55, 2, -4
	ds_load_b32 v2, v2
.LBB579_117:
	s_or_b32 exec_lo, exec_lo, s0
	v_add_nc_u32_e32 v4, -1, v54
	ds_load_b32 v17, v3 offset:12
	s_waitcnt lgkmcnt(1)
	v_add_nc_u32_e32 v1, v2, v1
	v_cmp_gt_i32_e32 vcc_lo, 0, v4
	v_cndmask_b32_e32 v4, v4, v54, vcc_lo
	s_delay_alu instid0(VALU_DEP_1)
	v_lshlrev_b32_e32 v4, 2, v4
	ds_bpermute_b32 v1, v4, v1
	s_and_saveexec_b32 s0, s2
	s_cbranch_execz .LBB579_119
; %bb.118:
	v_dual_mov_b32 v3, 0 :: v_dual_mov_b32 v18, 2
	s_waitcnt lgkmcnt(1)
	global_store_b64 v3, v[17:18], s[20:21] offset:256
.LBB579_119:
	s_or_b32 exec_lo, exec_lo, s0
	v_cmp_eq_u32_e32 vcc_lo, 0, v54
	s_waitcnt lgkmcnt(0)
	s_waitcnt_vscnt null, 0x0
	s_barrier
	buffer_gl0_inv
	v_dual_mov_b32 v32, 0 :: v_dual_cndmask_b32 v1, v1, v2
	s_delay_alu instid0(VALU_DEP_1) | instskip(NEXT) | instid1(VALU_DEP_1)
	v_cndmask_b32_e64 v2, v1, 0, s2
	v_add_nc_u32_e32 v3, v2, v45
	s_delay_alu instid0(VALU_DEP_1) | instskip(NEXT) | instid1(VALU_DEP_1)
	v_add_nc_u32_e32 v4, v3, v46
	v_add_nc_u32_e32 v5, v4, v47
	s_delay_alu instid0(VALU_DEP_1) | instskip(NEXT) | instid1(VALU_DEP_1)
	v_add_nc_u32_e32 v6, v5, v49
	;; [unrolled: 3-line block ×4, first 2 shown]
	v_add_nc_u32_e32 v11, v10, v52
	s_delay_alu instid0(VALU_DEP_1)
	v_add_nc_u32_e32 v12, v11, v53
.LBB579_120:
	v_add_nc_u32_e32 v48, v32, v17
	v_cmp_gt_u32_e64 s0, 0x81, v17
	v_lshrrev_b32_e32 v18, 16, v19
	v_lshrrev_b32_e32 v46, 16, v30
	;; [unrolled: 1-line block ×6, first 2 shown]
	v_cmp_lt_u32_e64 s1, v2, v48
	s_and_b32 vcc_lo, exec_lo, s0
	s_mov_b32 s3, -1
	s_cbranch_vccz .LBB579_155
; %bb.121:
	s_lshl_b64 s[4:5], s[14:15], 1
	s_delay_alu instid0(SALU_CYCLE_1) | instskip(SKIP_2) | instid1(SALU_CYCLE_1)
	s_add_u32 s3, s16, s4
	s_addc_u32 s4, s17, s5
	s_or_b32 s5, s23, s1
	s_and_saveexec_b32 s1, s5
	s_cbranch_execz .LBB579_124
; %bb.122:
	v_and_b32_e32 v1, 1, v30
	s_delay_alu instid0(VALU_DEP_1)
	v_cmp_eq_u32_e32 vcc_lo, 1, v1
	s_and_b32 exec_lo, exec_lo, vcc_lo
	s_cbranch_execz .LBB579_124
; %bb.123:
	v_dual_mov_b32 v50, 0 :: v_dual_mov_b32 v49, v2
	s_delay_alu instid0(VALU_DEP_1) | instskip(NEXT) | instid1(VALU_DEP_1)
	v_lshlrev_b64 v[49:50], 1, v[49:50]
	v_add_co_u32 v49, vcc_lo, s3, v49
	s_delay_alu instid0(VALU_DEP_2)
	v_add_co_ci_u32_e32 v50, vcc_lo, s4, v50, vcc_lo
	global_store_b16 v[49:50], v13, off
.LBB579_124:
	s_or_b32 exec_lo, exec_lo, s1
	v_cmp_lt_u32_e32 vcc_lo, v3, v48
	s_or_b32 s5, s23, vcc_lo
	s_delay_alu instid0(SALU_CYCLE_1)
	s_and_saveexec_b32 s1, s5
	s_cbranch_execz .LBB579_127
; %bb.125:
	v_and_b32_e32 v1, 1, v47
	s_delay_alu instid0(VALU_DEP_1)
	v_cmp_eq_u32_e32 vcc_lo, 1, v1
	s_and_b32 exec_lo, exec_lo, vcc_lo
	s_cbranch_execz .LBB579_127
; %bb.126:
	v_dual_mov_b32 v50, 0 :: v_dual_mov_b32 v49, v3
	s_delay_alu instid0(VALU_DEP_1) | instskip(NEXT) | instid1(VALU_DEP_1)
	v_lshlrev_b64 v[49:50], 1, v[49:50]
	v_add_co_u32 v49, vcc_lo, s3, v49
	s_delay_alu instid0(VALU_DEP_2)
	v_add_co_ci_u32_e32 v50, vcc_lo, s4, v50, vcc_lo
	global_store_b16 v[49:50], v43, off
.LBB579_127:
	s_or_b32 exec_lo, exec_lo, s1
	v_cmp_lt_u32_e32 vcc_lo, v4, v48
	s_or_b32 s5, s23, vcc_lo
	s_delay_alu instid0(SALU_CYCLE_1)
	;; [unrolled: 21-line block ×10, first 2 shown]
	s_and_saveexec_b32 s1, s5
	s_cbranch_execz .LBB579_154
; %bb.152:
	v_and_b32_e32 v1, 1, v18
	s_delay_alu instid0(VALU_DEP_1)
	v_cmp_eq_u32_e32 vcc_lo, 1, v1
	s_and_b32 exec_lo, exec_lo, vcc_lo
	s_cbranch_execz .LBB579_154
; %bb.153:
	v_dual_mov_b32 v50, 0 :: v_dual_mov_b32 v49, v12
	s_delay_alu instid0(VALU_DEP_1) | instskip(NEXT) | instid1(VALU_DEP_1)
	v_lshlrev_b64 v[49:50], 1, v[49:50]
	v_add_co_u32 v49, vcc_lo, s3, v49
	s_delay_alu instid0(VALU_DEP_2)
	v_add_co_ci_u32_e32 v50, vcc_lo, s4, v50, vcc_lo
	global_store_b16 v[49:50], v33, off
.LBB579_154:
	s_or_b32 exec_lo, exec_lo, s1
	s_mov_b32 s3, 0
.LBB579_155:
	v_and_b32_e32 v30, 1, v30
	s_and_b32 vcc_lo, exec_lo, s3
	s_delay_alu instid0(VALU_DEP_1)
	v_cmp_eq_u32_e64 s1, 1, v30
	s_cbranch_vccz .LBB579_194
; %bb.156:
	s_delay_alu instid0(VALU_DEP_1)
	s_and_saveexec_b32 s3, s1
	s_cbranch_execz .LBB579_158
; %bb.157:
	v_sub_nc_u32_e32 v1, v2, v32
	s_delay_alu instid0(VALU_DEP_1)
	v_lshlrev_b32_e32 v1, 1, v1
	ds_store_b16 v1, v13
.LBB579_158:
	s_or_b32 exec_lo, exec_lo, s3
	v_and_b32_e32 v1, 1, v47
	s_mov_b32 s1, exec_lo
	s_delay_alu instid0(VALU_DEP_1)
	v_cmpx_eq_u32_e32 1, v1
	s_cbranch_execz .LBB579_160
; %bb.159:
	v_sub_nc_u32_e32 v1, v3, v32
	s_delay_alu instid0(VALU_DEP_1)
	v_lshlrev_b32_e32 v1, 1, v1
	ds_store_b16 v1, v43
.LBB579_160:
	s_or_b32 exec_lo, exec_lo, s1
	v_and_b32_e32 v1, 1, v46
	s_mov_b32 s1, exec_lo
	s_delay_alu instid0(VALU_DEP_1)
	v_cmpx_eq_u32_e32 1, v1
	;; [unrolled: 12-line block ×10, first 2 shown]
	s_cbranch_execz .LBB579_178
; %bb.177:
	v_sub_nc_u32_e32 v1, v12, v32
	s_delay_alu instid0(VALU_DEP_1)
	v_lshlrev_b32_e32 v1, 1, v1
	ds_store_b16 v1, v33
.LBB579_178:
	s_or_b32 exec_lo, exec_lo, s1
	s_delay_alu instid0(SALU_CYCLE_1)
	s_mov_b32 s4, exec_lo
	s_waitcnt lgkmcnt(0)
	s_waitcnt_vscnt null, 0x0
	s_barrier
	buffer_gl0_inv
	v_cmpx_lt_u32_e64 v0, v17
	s_cbranch_execz .LBB579_193
; %bb.179:
	v_mov_b32_e32 v33, 0
	s_lshl_b64 s[6:7], s[14:15], 1
	v_xad_u32 v1, v0, -1, v17
	s_add_u32 s3, s16, s6
	s_addc_u32 s5, s17, s7
	v_lshlrev_b64 v[13:14], 1, v[32:33]
	s_delay_alu instid0(VALU_DEP_2) | instskip(NEXT) | instid1(VALU_DEP_2)
	v_cmp_gt_u32_e32 vcc_lo, 0xc80, v1
	v_add_co_u32 v33, s3, s3, v13
	s_delay_alu instid0(VALU_DEP_1)
	v_add_co_ci_u32_e64 v37, s3, s5, v14, s3
	v_mov_b32_e32 v13, v0
	s_mov_b32 s3, -1
	s_mov_b32 s5, exec_lo
	v_cmpx_lt_u32_e32 0xc7f, v1
	s_cbranch_execz .LBB579_190
; %bb.180:
	v_sub_nc_u32_e32 v13, v0, v17
	s_delay_alu instid0(VALU_DEP_1) | instskip(NEXT) | instid1(VALU_DEP_1)
	v_or_b32_e32 v13, 0x7f, v13
	v_cmp_ge_u32_e64 s1, v13, v0
	v_mov_b32_e32 v13, v0
	s_delay_alu instid0(VALU_DEP_2)
	s_and_saveexec_b32 s6, s1
	s_cbranch_execz .LBB579_189
; %bb.181:
	v_lshrrev_b32_e32 v38, 7, v1
	v_or_b32_e32 v1, 0x80, v0
	v_dual_mov_b32 v49, 0 :: v_dual_lshlrev_b32 v40, 1, v0
	s_delay_alu instid0(VALU_DEP_3) | instskip(NEXT) | instid1(VALU_DEP_1)
	v_add_nc_u32_e32 v13, -1, v38
	v_lshrrev_b32_e32 v14, 1, v13
	v_cmp_lt_u32_e64 s1, 13, v13
	s_delay_alu instid0(VALU_DEP_2) | instskip(SKIP_1) | instid1(VALU_DEP_3)
	v_dual_mov_b32 v14, v1 :: v_dual_add_nc_u32 v41, 1, v14
	v_mov_b32_e32 v13, v0
	s_and_saveexec_b32 s3, s1
	s_cbranch_execz .LBB579_185
; %bb.182:
	v_mov_b32_e32 v14, v1
	v_dual_mov_b32 v43, v40 :: v_dual_and_b32 v42, -8, v41
	v_dual_mov_b32 v16, 0 :: v_dual_mov_b32 v13, v0
	s_mov_b32 s7, 0
	s_mov_b32 s8, 0
.LBB579_183:                            ; =>This Inner Loop Header: Depth=1
	s_delay_alu instid0(VALU_DEP_1) | instskip(NEXT) | instid1(VALU_DEP_2)
	v_dual_mov_b32 v15, v13 :: v_dual_add_nc_u32 v50, 0x100, v14
	v_dual_mov_b32 v63, v16 :: v_dual_add_nc_u32 v42, -8, v42
	v_dual_mov_b32 v51, v16 :: v_dual_add_nc_u32 v52, 0x200, v14
	s_delay_alu instid0(VALU_DEP_3) | instskip(SKIP_1) | instid1(VALU_DEP_4)
	v_lshlrev_b64 v[64:65], 1, v[15:16]
	v_dual_mov_b32 v53, v16 :: v_dual_add_nc_u32 v54, 0x300, v14
	v_cmp_eq_u32_e64 s1, 0, v42
	s_delay_alu instid0(VALU_DEP_4)
	v_lshlrev_b64 v[50:51], 1, v[50:51]
	v_dual_mov_b32 v55, v16 :: v_dual_add_nc_u32 v56, 0x400, v14
	s_add_i32 s8, s8, 16
	v_lshlrev_b64 v[52:53], 1, v[52:53]
	s_or_b32 s7, s1, s7
	v_add_co_u32 v64, s1, v33, v64
	v_dual_mov_b32 v57, v16 :: v_dual_add_nc_u32 v58, 0x500, v14
	v_add_co_ci_u32_e64 v65, s1, v37, v65, s1
	v_lshlrev_b64 v[54:55], 1, v[54:55]
	v_add_co_u32 v50, s1, v33, v50
	v_dual_mov_b32 v59, v16 :: v_dual_add_nc_u32 v60, 0x600, v14
	v_add_co_ci_u32_e64 v51, s1, v37, v51, s1
	v_lshlrev_b64 v[56:57], 1, v[56:57]
	;; [unrolled: 4-line block ×3, first 2 shown]
	v_add_co_u32 v54, s1, v33, v54
	v_mov_b32_e32 v15, v14
	v_add_co_ci_u32_e64 v55, s1, v37, v55, s1
	v_lshlrev_b64 v[60:61], 1, v[60:61]
	v_add_co_u32 v56, s1, v33, v56
	ds_load_u16 v1, v43
	ds_load_u16 v70, v43 offset:256
	ds_load_u16 v71, v43 offset:512
	;; [unrolled: 1-line block ×7, first 2 shown]
	v_add_co_ci_u32_e64 v57, s1, v37, v57, s1
	v_lshlrev_b64 v[62:63], 1, v[62:63]
	v_add_co_u32 v58, s1, v33, v58
	v_lshlrev_b64 v[66:67], 1, v[15:16]
	v_add_nc_u32_e32 v15, 0x100, v13
	v_add_co_ci_u32_e64 v59, s1, v37, v59, s1
	v_add_co_u32 v60, s1, v33, v60
	s_delay_alu instid0(VALU_DEP_1)
	v_add_co_ci_u32_e64 v61, s1, v37, v61, s1
	v_add_co_u32 v62, s1, v33, v62
	v_lshlrev_b64 v[68:69], 1, v[15:16]
	v_add_nc_u32_e32 v15, 0x200, v13
	v_add_co_ci_u32_e64 v63, s1, v37, v63, s1
	v_add_co_u32 v66, s1, v33, v66
	ds_load_u16 v77, v43 offset:2048
	ds_load_u16 v78, v43 offset:2304
	;; [unrolled: 1-line block ×8, first 2 shown]
	v_add_co_ci_u32_e64 v67, s1, v37, v67, s1
	s_waitcnt lgkmcnt(15)
	global_store_b16 v[64:65], v1, off
	v_lshlrev_b64 v[64:65], 1, v[15:16]
	v_add_nc_u32_e32 v15, 0x300, v13
	v_add_co_u32 v68, s1, v33, v68
	s_delay_alu instid0(VALU_DEP_1)
	v_add_co_ci_u32_e64 v69, s1, v37, v69, s1
	s_waitcnt lgkmcnt(14)
	global_store_b16 v[66:67], v70, off
	v_lshlrev_b64 v[66:67], 1, v[15:16]
	v_add_nc_u32_e32 v15, 0x400, v13
	s_waitcnt lgkmcnt(13)
	global_store_b16 v[68:69], v71, off
	s_waitcnt lgkmcnt(12)
	global_store_b16 v[50:51], v72, off
	v_add_co_u32 v50, s1, v33, v64
	s_delay_alu instid0(VALU_DEP_1) | instskip(SKIP_3) | instid1(VALU_DEP_1)
	v_add_co_ci_u32_e64 v51, s1, v37, v65, s1
	v_lshlrev_b64 v[64:65], 1, v[15:16]
	v_add_nc_u32_e32 v15, 0x500, v13
	v_add_co_u32 v66, s1, v33, v66
	v_add_co_ci_u32_e64 v67, s1, v37, v67, s1
	s_waitcnt lgkmcnt(11)
	global_store_b16 v[50:51], v73, off
	s_waitcnt lgkmcnt(10)
	global_store_b16 v[52:53], v74, off
	v_lshlrev_b64 v[50:51], 1, v[15:16]
	v_add_nc_u32_e32 v15, 0x600, v13
	v_add_co_u32 v52, s1, v33, v64
	s_waitcnt lgkmcnt(9)
	global_store_b16 v[66:67], v75, off
	s_waitcnt lgkmcnt(8)
	global_store_b16 v[54:55], v76, off
	v_add_co_ci_u32_e64 v53, s1, v37, v65, s1
	v_lshlrev_b64 v[54:55], 1, v[15:16]
	v_add_nc_u32_e32 v15, 0x700, v13
	v_add_co_u32 v50, s1, v33, v50
	s_delay_alu instid0(VALU_DEP_1)
	v_add_co_ci_u32_e64 v51, s1, v37, v51, s1
	s_waitcnt lgkmcnt(7)
	global_store_b16 v[52:53], v77, off
	s_waitcnt lgkmcnt(6)
	global_store_b16 v[56:57], v78, off
	v_lshlrev_b64 v[52:53], 1, v[15:16]
	v_add_nc_u32_e32 v43, 0x1000, v43
	s_waitcnt lgkmcnt(5)
	global_store_b16 v[50:51], v79, off
	v_add_co_u32 v50, s1, v33, v54
	v_dual_mov_b32 v49, s8 :: v_dual_add_nc_u32 v14, 0x800, v14
	v_add_nc_u32_e32 v13, 0x800, v13
	v_add_co_ci_u32_e64 v51, s1, v37, v55, s1
	v_add_co_u32 v52, s1, v33, v52
	s_delay_alu instid0(VALU_DEP_1)
	v_add_co_ci_u32_e64 v53, s1, v37, v53, s1
	s_waitcnt lgkmcnt(4)
	global_store_b16 v[58:59], v80, off
	s_waitcnt lgkmcnt(3)
	global_store_b16 v[50:51], v81, off
	s_waitcnt lgkmcnt(2)
	global_store_b16 v[60:61], v82, off
	s_waitcnt lgkmcnt(1)
	global_store_b16 v[52:53], v83, off
	s_waitcnt lgkmcnt(0)
	global_store_b16 v[62:63], v84, off
	s_and_not1_b32 exec_lo, exec_lo, s7
	s_cbranch_execnz .LBB579_183
; %bb.184:
	s_or_b32 exec_lo, exec_lo, s7
.LBB579_185:
	s_delay_alu instid0(SALU_CYCLE_1) | instskip(SKIP_3) | instid1(VALU_DEP_1)
	s_or_b32 exec_lo, exec_lo, s3
	v_and_b32_e32 v1, 7, v41
	s_mov_b32 s8, 0
	s_mov_b32 s7, exec_lo
	v_cmpx_ne_u32_e32 0, v1
	s_cbranch_execz .LBB579_188
; %bb.186:
	v_lshl_or_b32 v40, v49, 8, v40
	v_mov_b32_e32 v16, 0
	s_set_inst_prefetch_distance 0x1
	.p2align	6
.LBB579_187:                            ; =>This Inner Loop Header: Depth=1
	v_mov_b32_e32 v15, v13
	ds_load_u16 v43, v40
	ds_load_u16 v51, v40 offset:256
	v_add_nc_u32_e32 v40, 0x200, v40
	v_add_nc_u32_e32 v1, -1, v1
	v_add_nc_u32_e32 v13, 0x100, v13
	v_lshlrev_b64 v[41:42], 1, v[15:16]
	v_dual_mov_b32 v15, v14 :: v_dual_add_nc_u32 v14, 0x100, v14
	s_delay_alu instid0(VALU_DEP_4) | instskip(NEXT) | instid1(VALU_DEP_2)
	v_cmp_eq_u32_e64 s1, 0, v1
	v_lshlrev_b64 v[49:50], 1, v[15:16]
	s_delay_alu instid0(VALU_DEP_4) | instskip(NEXT) | instid1(VALU_DEP_1)
	v_add_co_u32 v41, s3, v33, v41
	v_add_co_ci_u32_e64 v42, s3, v37, v42, s3
	s_delay_alu instid0(VALU_DEP_4) | instskip(NEXT) | instid1(VALU_DEP_3)
	s_or_b32 s8, s1, s8
	v_add_co_u32 v49, s3, v33, v49
	s_delay_alu instid0(VALU_DEP_1)
	v_add_co_ci_u32_e64 v50, s3, v37, v50, s3
	s_waitcnt lgkmcnt(1)
	global_store_b16 v[41:42], v43, off
	s_waitcnt lgkmcnt(0)
	global_store_b16 v[49:50], v51, off
	s_and_not1_b32 exec_lo, exec_lo, s8
	s_cbranch_execnz .LBB579_187
.LBB579_188:
	s_set_inst_prefetch_distance 0x2
	s_or_b32 exec_lo, exec_lo, s7
	v_add_nc_u32_e32 v1, 1, v38
	s_delay_alu instid0(VALU_DEP_1) | instskip(NEXT) | instid1(VALU_DEP_1)
	v_and_b32_e32 v13, 0x3fffffe, v1
	v_cmp_ne_u32_e64 s1, v1, v13
	v_lshl_or_b32 v13, v13, 7, v0
	s_delay_alu instid0(VALU_DEP_2)
	s_or_not1_b32 s3, s1, exec_lo
.LBB579_189:
	s_or_b32 exec_lo, exec_lo, s6
	s_delay_alu instid0(SALU_CYCLE_1) | instskip(SKIP_1) | instid1(SALU_CYCLE_1)
	s_and_not1_b32 s1, vcc_lo, exec_lo
	s_and_b32 s3, s3, exec_lo
	s_or_b32 vcc_lo, s1, s3
.LBB579_190:
	s_or_b32 exec_lo, exec_lo, s5
	s_delay_alu instid0(SALU_CYCLE_1)
	s_and_b32 exec_lo, exec_lo, vcc_lo
	s_cbranch_execz .LBB579_193
; %bb.191:
	v_dual_mov_b32 v14, 0 :: v_dual_lshlrev_b32 v1, 1, v13
	s_mov_b32 s3, 0
	.p2align	6
.LBB579_192:                            ; =>This Inner Loop Header: Depth=1
	ds_load_u16 v38, v1
	v_lshlrev_b64 v[15:16], 1, v[13:14]
	v_add_nc_u32_e32 v13, 0x80, v13
	v_add_nc_u32_e32 v1, 0x100, v1
	s_delay_alu instid0(VALU_DEP_2) | instskip(NEXT) | instid1(VALU_DEP_4)
	v_cmp_ge_u32_e32 vcc_lo, v13, v17
	v_add_co_u32 v15, s1, v33, v15
	s_delay_alu instid0(VALU_DEP_1)
	v_add_co_ci_u32_e64 v16, s1, v37, v16, s1
	s_or_b32 s3, vcc_lo, s3
	s_waitcnt lgkmcnt(0)
	global_store_b16 v[15:16], v38, off
	s_and_not1_b32 exec_lo, exec_lo, s3
	s_cbranch_execnz .LBB579_192
.LBB579_193:
	s_or_b32 exec_lo, exec_lo, s4
.LBB579_194:
	s_delay_alu instid0(SALU_CYCLE_1)
	s_and_b32 vcc_lo, exec_lo, s0
	s_mov_b32 s0, -1
	s_waitcnt_vscnt null, 0x0
	s_barrier
	buffer_gl0_inv
	s_cbranch_vccnz .LBB579_198
; %bb.195:
	s_and_b32 vcc_lo, exec_lo, s0
	s_cbranch_vccnz .LBB579_232
.LBB579_196:
	s_and_b32 s0, s2, s22
	s_delay_alu instid0(SALU_CYCLE_1)
	s_and_saveexec_b32 s1, s0
	s_cbranch_execnz .LBB579_258
.LBB579_197:
	s_nop 0
	s_sendmsg sendmsg(MSG_DEALLOC_VGPRS)
	s_endpgm
.LBB579_198:
	v_cmp_lt_u32_e32 vcc_lo, v2, v48
	s_lshl_b64 s[0:1], s[14:15], 2
	s_delay_alu instid0(SALU_CYCLE_1) | instskip(SKIP_2) | instid1(SALU_CYCLE_1)
	s_add_u32 s0, s18, s0
	s_addc_u32 s1, s19, s1
	s_or_b32 s4, s23, vcc_lo
	s_and_saveexec_b32 s3, s4
	s_cbranch_execz .LBB579_201
; %bb.199:
	v_cmp_eq_u32_e32 vcc_lo, 1, v30
	s_and_b32 exec_lo, exec_lo, vcc_lo
	s_cbranch_execz .LBB579_201
; %bb.200:
	v_dual_mov_b32 v14, 0 :: v_dual_mov_b32 v13, v2
	s_delay_alu instid0(VALU_DEP_1) | instskip(NEXT) | instid1(VALU_DEP_1)
	v_lshlrev_b64 v[13:14], 2, v[13:14]
	v_add_co_u32 v13, vcc_lo, s0, v13
	s_delay_alu instid0(VALU_DEP_2)
	v_add_co_ci_u32_e32 v14, vcc_lo, s1, v14, vcc_lo
	global_store_b32 v[13:14], v28, off
.LBB579_201:
	s_or_b32 exec_lo, exec_lo, s3
	v_cmp_lt_u32_e32 vcc_lo, v3, v48
	s_or_b32 s4, s23, vcc_lo
	s_delay_alu instid0(SALU_CYCLE_1)
	s_and_saveexec_b32 s3, s4
	s_cbranch_execz .LBB579_204
; %bb.202:
	v_and_b32_e32 v1, 1, v47
	s_delay_alu instid0(VALU_DEP_1)
	v_cmp_eq_u32_e32 vcc_lo, 1, v1
	s_and_b32 exec_lo, exec_lo, vcc_lo
	s_cbranch_execz .LBB579_204
; %bb.203:
	v_dual_mov_b32 v14, 0 :: v_dual_mov_b32 v13, v3
	s_delay_alu instid0(VALU_DEP_1) | instskip(NEXT) | instid1(VALU_DEP_1)
	v_lshlrev_b64 v[13:14], 2, v[13:14]
	v_add_co_u32 v13, vcc_lo, s0, v13
	s_delay_alu instid0(VALU_DEP_2)
	v_add_co_ci_u32_e32 v14, vcc_lo, s1, v14, vcc_lo
	global_store_b32 v[13:14], v29, off
.LBB579_204:
	s_or_b32 exec_lo, exec_lo, s3
	v_cmp_lt_u32_e32 vcc_lo, v4, v48
	s_or_b32 s4, s23, vcc_lo
	s_delay_alu instid0(SALU_CYCLE_1)
	s_and_saveexec_b32 s3, s4
	s_cbranch_execz .LBB579_207
; %bb.205:
	v_and_b32_e32 v1, 1, v46
	s_delay_alu instid0(VALU_DEP_1)
	v_cmp_eq_u32_e32 vcc_lo, 1, v1
	s_and_b32 exec_lo, exec_lo, vcc_lo
	s_cbranch_execz .LBB579_207
; %bb.206:
	v_dual_mov_b32 v14, 0 :: v_dual_mov_b32 v13, v4
	s_delay_alu instid0(VALU_DEP_1) | instskip(NEXT) | instid1(VALU_DEP_1)
	v_lshlrev_b64 v[13:14], 2, v[13:14]
	v_add_co_u32 v13, vcc_lo, s0, v13
	s_delay_alu instid0(VALU_DEP_2)
	v_add_co_ci_u32_e32 v14, vcc_lo, s1, v14, vcc_lo
	global_store_b32 v[13:14], v26, off
.LBB579_207:
	;; [unrolled: 21-line block ×10, first 2 shown]
	s_or_b32 exec_lo, exec_lo, s3
	s_branch .LBB579_196
.LBB579_232:
	s_mov_b32 s0, exec_lo
	v_cmpx_eq_u32_e32 1, v30
	s_cbranch_execz .LBB579_234
; %bb.233:
	v_sub_nc_u32_e32 v1, v2, v32
	s_delay_alu instid0(VALU_DEP_1)
	v_lshlrev_b32_e32 v1, 2, v1
	ds_store_b32 v1, v28
.LBB579_234:
	s_or_b32 exec_lo, exec_lo, s0
	v_and_b32_e32 v1, 1, v47
	s_mov_b32 s0, exec_lo
	s_delay_alu instid0(VALU_DEP_1)
	v_cmpx_eq_u32_e32 1, v1
	s_cbranch_execz .LBB579_236
; %bb.235:
	v_sub_nc_u32_e32 v1, v3, v32
	s_delay_alu instid0(VALU_DEP_1)
	v_lshlrev_b32_e32 v1, 2, v1
	ds_store_b32 v1, v29
.LBB579_236:
	s_or_b32 exec_lo, exec_lo, s0
	v_and_b32_e32 v1, 1, v46
	s_mov_b32 s0, exec_lo
	s_delay_alu instid0(VALU_DEP_1)
	;; [unrolled: 12-line block ×10, first 2 shown]
	v_cmpx_eq_u32_e32 1, v1
	s_cbranch_execz .LBB579_254
; %bb.253:
	v_sub_nc_u32_e32 v1, v12, v32
	s_delay_alu instid0(VALU_DEP_1)
	v_lshlrev_b32_e32 v1, 2, v1
	ds_store_b32 v1, v36
.LBB579_254:
	s_or_b32 exec_lo, exec_lo, s0
	s_delay_alu instid0(SALU_CYCLE_1)
	s_mov_b32 s1, exec_lo
	s_waitcnt lgkmcnt(0)
	s_waitcnt_vscnt null, 0x0
	s_barrier
	buffer_gl0_inv
	v_cmpx_lt_u32_e64 v0, v17
	s_cbranch_execz .LBB579_257
; %bb.255:
	v_dual_mov_b32 v1, 0 :: v_dual_lshlrev_b32 v4, 2, v0
	s_lshl_b64 s[4:5], s[14:15], 2
	s_delay_alu instid0(SALU_CYCLE_1) | instskip(NEXT) | instid1(VALU_DEP_1)
	s_add_u32 s0, s18, s4
	v_mov_b32_e32 v33, v1
	s_addc_u32 s3, s19, s5
	s_delay_alu instid0(VALU_DEP_1) | instskip(NEXT) | instid1(VALU_DEP_1)
	v_lshlrev_b64 v[2:3], 2, v[32:33]
	v_add_co_u32 v2, vcc_lo, s0, v2
	s_delay_alu instid0(VALU_DEP_2)
	v_add_co_ci_u32_e32 v3, vcc_lo, s3, v3, vcc_lo
	s_mov_b32 s3, 0
	.p2align	6
.LBB579_256:                            ; =>This Inner Loop Header: Depth=1
	ds_load_b32 v7, v4
	v_lshlrev_b64 v[5:6], 2, v[0:1]
	v_add_nc_u32_e32 v0, 0x80, v0
	v_add_nc_u32_e32 v4, 0x200, v4
	s_delay_alu instid0(VALU_DEP_2) | instskip(NEXT) | instid1(VALU_DEP_4)
	v_cmp_ge_u32_e32 vcc_lo, v0, v17
	v_add_co_u32 v5, s0, v2, v5
	s_delay_alu instid0(VALU_DEP_1)
	v_add_co_ci_u32_e64 v6, s0, v3, v6, s0
	s_or_b32 s3, vcc_lo, s3
	s_waitcnt lgkmcnt(0)
	global_store_b32 v[5:6], v7, off
	s_and_not1_b32 exec_lo, exec_lo, s3
	s_cbranch_execnz .LBB579_256
.LBB579_257:
	s_or_b32 exec_lo, exec_lo, s1
	s_and_b32 s0, s2, s22
	s_delay_alu instid0(SALU_CYCLE_1)
	s_and_saveexec_b32 s1, s0
	s_cbranch_execz .LBB579_197
.LBB579_258:
	v_add_co_u32 v0, s0, s14, v17
	s_delay_alu instid0(VALU_DEP_1) | instskip(SKIP_1) | instid1(VALU_DEP_3)
	v_add_co_ci_u32_e64 v1, null, s15, 0, s0
	v_mov_b32_e32 v2, 0
	v_add_co_u32 v0, vcc_lo, v0, v32
	s_delay_alu instid0(VALU_DEP_3)
	v_add_co_ci_u32_e32 v1, vcc_lo, 0, v1, vcc_lo
	global_store_b64 v2, v[0:1], s[12:13]
	s_nop 0
	s_sendmsg sendmsg(MSG_DEALLOC_VGPRS)
	s_endpgm
.LBB579_259:
	s_or_b32 exec_lo, exec_lo, s1
	s_and_saveexec_b32 s1, s28
	s_cbranch_execnz .LBB579_76
	s_branch .LBB579_77
	.section	.rodata,"a",@progbits
	.p2align	6, 0x0
	.amdhsa_kernel _ZN7rocprim17ROCPRIM_400000_NS6detail17trampoline_kernelINS0_14default_configENS1_25partition_config_selectorILNS1_17partition_subalgoE9EtjbEEZZNS1_14partition_implILS5_9ELb0ES3_jN6thrust23THRUST_200600_302600_NS6detail15normal_iteratorINS9_10device_ptrItEEEENSB_INSC_IjEEEEPNS0_10empty_typeENS0_5tupleIJSE_SH_EEENSJ_IJSG_SI_EEENS0_18inequality_wrapperINS9_8equal_toItEEEEPmJSH_EEE10hipError_tPvRmT3_T4_T5_T6_T7_T9_mT8_P12ihipStream_tbDpT10_ENKUlT_T0_E_clISt17integral_constantIbLb1EES1A_EEDaS15_S16_EUlS15_E_NS1_11comp_targetILNS1_3genE9ELNS1_11target_archE1100ELNS1_3gpuE3ELNS1_3repE0EEENS1_30default_config_static_selectorELNS0_4arch9wavefront6targetE0EEEvT1_
		.amdhsa_group_segment_fixed_size 5640
		.amdhsa_private_segment_fixed_size 0
		.amdhsa_kernarg_size 128
		.amdhsa_user_sgpr_count 15
		.amdhsa_user_sgpr_dispatch_ptr 0
		.amdhsa_user_sgpr_queue_ptr 0
		.amdhsa_user_sgpr_kernarg_segment_ptr 1
		.amdhsa_user_sgpr_dispatch_id 0
		.amdhsa_user_sgpr_private_segment_size 0
		.amdhsa_wavefront_size32 1
		.amdhsa_uses_dynamic_stack 0
		.amdhsa_enable_private_segment 0
		.amdhsa_system_sgpr_workgroup_id_x 1
		.amdhsa_system_sgpr_workgroup_id_y 0
		.amdhsa_system_sgpr_workgroup_id_z 0
		.amdhsa_system_sgpr_workgroup_info 0
		.amdhsa_system_vgpr_workitem_id 0
		.amdhsa_next_free_vgpr 85
		.amdhsa_next_free_sgpr 30
		.amdhsa_reserve_vcc 1
		.amdhsa_float_round_mode_32 0
		.amdhsa_float_round_mode_16_64 0
		.amdhsa_float_denorm_mode_32 3
		.amdhsa_float_denorm_mode_16_64 3
		.amdhsa_dx10_clamp 1
		.amdhsa_ieee_mode 1
		.amdhsa_fp16_overflow 0
		.amdhsa_workgroup_processor_mode 1
		.amdhsa_memory_ordered 1
		.amdhsa_forward_progress 0
		.amdhsa_shared_vgpr_count 0
		.amdhsa_exception_fp_ieee_invalid_op 0
		.amdhsa_exception_fp_denorm_src 0
		.amdhsa_exception_fp_ieee_div_zero 0
		.amdhsa_exception_fp_ieee_overflow 0
		.amdhsa_exception_fp_ieee_underflow 0
		.amdhsa_exception_fp_ieee_inexact 0
		.amdhsa_exception_int_div_zero 0
	.end_amdhsa_kernel
	.section	.text._ZN7rocprim17ROCPRIM_400000_NS6detail17trampoline_kernelINS0_14default_configENS1_25partition_config_selectorILNS1_17partition_subalgoE9EtjbEEZZNS1_14partition_implILS5_9ELb0ES3_jN6thrust23THRUST_200600_302600_NS6detail15normal_iteratorINS9_10device_ptrItEEEENSB_INSC_IjEEEEPNS0_10empty_typeENS0_5tupleIJSE_SH_EEENSJ_IJSG_SI_EEENS0_18inequality_wrapperINS9_8equal_toItEEEEPmJSH_EEE10hipError_tPvRmT3_T4_T5_T6_T7_T9_mT8_P12ihipStream_tbDpT10_ENKUlT_T0_E_clISt17integral_constantIbLb1EES1A_EEDaS15_S16_EUlS15_E_NS1_11comp_targetILNS1_3genE9ELNS1_11target_archE1100ELNS1_3gpuE3ELNS1_3repE0EEENS1_30default_config_static_selectorELNS0_4arch9wavefront6targetE0EEEvT1_,"axG",@progbits,_ZN7rocprim17ROCPRIM_400000_NS6detail17trampoline_kernelINS0_14default_configENS1_25partition_config_selectorILNS1_17partition_subalgoE9EtjbEEZZNS1_14partition_implILS5_9ELb0ES3_jN6thrust23THRUST_200600_302600_NS6detail15normal_iteratorINS9_10device_ptrItEEEENSB_INSC_IjEEEEPNS0_10empty_typeENS0_5tupleIJSE_SH_EEENSJ_IJSG_SI_EEENS0_18inequality_wrapperINS9_8equal_toItEEEEPmJSH_EEE10hipError_tPvRmT3_T4_T5_T6_T7_T9_mT8_P12ihipStream_tbDpT10_ENKUlT_T0_E_clISt17integral_constantIbLb1EES1A_EEDaS15_S16_EUlS15_E_NS1_11comp_targetILNS1_3genE9ELNS1_11target_archE1100ELNS1_3gpuE3ELNS1_3repE0EEENS1_30default_config_static_selectorELNS0_4arch9wavefront6targetE0EEEvT1_,comdat
.Lfunc_end579:
	.size	_ZN7rocprim17ROCPRIM_400000_NS6detail17trampoline_kernelINS0_14default_configENS1_25partition_config_selectorILNS1_17partition_subalgoE9EtjbEEZZNS1_14partition_implILS5_9ELb0ES3_jN6thrust23THRUST_200600_302600_NS6detail15normal_iteratorINS9_10device_ptrItEEEENSB_INSC_IjEEEEPNS0_10empty_typeENS0_5tupleIJSE_SH_EEENSJ_IJSG_SI_EEENS0_18inequality_wrapperINS9_8equal_toItEEEEPmJSH_EEE10hipError_tPvRmT3_T4_T5_T6_T7_T9_mT8_P12ihipStream_tbDpT10_ENKUlT_T0_E_clISt17integral_constantIbLb1EES1A_EEDaS15_S16_EUlS15_E_NS1_11comp_targetILNS1_3genE9ELNS1_11target_archE1100ELNS1_3gpuE3ELNS1_3repE0EEENS1_30default_config_static_selectorELNS0_4arch9wavefront6targetE0EEEvT1_, .Lfunc_end579-_ZN7rocprim17ROCPRIM_400000_NS6detail17trampoline_kernelINS0_14default_configENS1_25partition_config_selectorILNS1_17partition_subalgoE9EtjbEEZZNS1_14partition_implILS5_9ELb0ES3_jN6thrust23THRUST_200600_302600_NS6detail15normal_iteratorINS9_10device_ptrItEEEENSB_INSC_IjEEEEPNS0_10empty_typeENS0_5tupleIJSE_SH_EEENSJ_IJSG_SI_EEENS0_18inequality_wrapperINS9_8equal_toItEEEEPmJSH_EEE10hipError_tPvRmT3_T4_T5_T6_T7_T9_mT8_P12ihipStream_tbDpT10_ENKUlT_T0_E_clISt17integral_constantIbLb1EES1A_EEDaS15_S16_EUlS15_E_NS1_11comp_targetILNS1_3genE9ELNS1_11target_archE1100ELNS1_3gpuE3ELNS1_3repE0EEENS1_30default_config_static_selectorELNS0_4arch9wavefront6targetE0EEEvT1_
                                        ; -- End function
	.section	.AMDGPU.csdata,"",@progbits
; Kernel info:
; codeLenInByte = 12100
; NumSgprs: 32
; NumVgprs: 85
; ScratchSize: 0
; MemoryBound: 0
; FloatMode: 240
; IeeeMode: 1
; LDSByteSize: 5640 bytes/workgroup (compile time only)
; SGPRBlocks: 3
; VGPRBlocks: 10
; NumSGPRsForWavesPerEU: 32
; NumVGPRsForWavesPerEU: 85
; Occupancy: 16
; WaveLimiterHint : 1
; COMPUTE_PGM_RSRC2:SCRATCH_EN: 0
; COMPUTE_PGM_RSRC2:USER_SGPR: 15
; COMPUTE_PGM_RSRC2:TRAP_HANDLER: 0
; COMPUTE_PGM_RSRC2:TGID_X_EN: 1
; COMPUTE_PGM_RSRC2:TGID_Y_EN: 0
; COMPUTE_PGM_RSRC2:TGID_Z_EN: 0
; COMPUTE_PGM_RSRC2:TIDIG_COMP_CNT: 0
	.section	.text._ZN7rocprim17ROCPRIM_400000_NS6detail17trampoline_kernelINS0_14default_configENS1_25partition_config_selectorILNS1_17partition_subalgoE9EtjbEEZZNS1_14partition_implILS5_9ELb0ES3_jN6thrust23THRUST_200600_302600_NS6detail15normal_iteratorINS9_10device_ptrItEEEENSB_INSC_IjEEEEPNS0_10empty_typeENS0_5tupleIJSE_SH_EEENSJ_IJSG_SI_EEENS0_18inequality_wrapperINS9_8equal_toItEEEEPmJSH_EEE10hipError_tPvRmT3_T4_T5_T6_T7_T9_mT8_P12ihipStream_tbDpT10_ENKUlT_T0_E_clISt17integral_constantIbLb1EES1A_EEDaS15_S16_EUlS15_E_NS1_11comp_targetILNS1_3genE8ELNS1_11target_archE1030ELNS1_3gpuE2ELNS1_3repE0EEENS1_30default_config_static_selectorELNS0_4arch9wavefront6targetE0EEEvT1_,"axG",@progbits,_ZN7rocprim17ROCPRIM_400000_NS6detail17trampoline_kernelINS0_14default_configENS1_25partition_config_selectorILNS1_17partition_subalgoE9EtjbEEZZNS1_14partition_implILS5_9ELb0ES3_jN6thrust23THRUST_200600_302600_NS6detail15normal_iteratorINS9_10device_ptrItEEEENSB_INSC_IjEEEEPNS0_10empty_typeENS0_5tupleIJSE_SH_EEENSJ_IJSG_SI_EEENS0_18inequality_wrapperINS9_8equal_toItEEEEPmJSH_EEE10hipError_tPvRmT3_T4_T5_T6_T7_T9_mT8_P12ihipStream_tbDpT10_ENKUlT_T0_E_clISt17integral_constantIbLb1EES1A_EEDaS15_S16_EUlS15_E_NS1_11comp_targetILNS1_3genE8ELNS1_11target_archE1030ELNS1_3gpuE2ELNS1_3repE0EEENS1_30default_config_static_selectorELNS0_4arch9wavefront6targetE0EEEvT1_,comdat
	.protected	_ZN7rocprim17ROCPRIM_400000_NS6detail17trampoline_kernelINS0_14default_configENS1_25partition_config_selectorILNS1_17partition_subalgoE9EtjbEEZZNS1_14partition_implILS5_9ELb0ES3_jN6thrust23THRUST_200600_302600_NS6detail15normal_iteratorINS9_10device_ptrItEEEENSB_INSC_IjEEEEPNS0_10empty_typeENS0_5tupleIJSE_SH_EEENSJ_IJSG_SI_EEENS0_18inequality_wrapperINS9_8equal_toItEEEEPmJSH_EEE10hipError_tPvRmT3_T4_T5_T6_T7_T9_mT8_P12ihipStream_tbDpT10_ENKUlT_T0_E_clISt17integral_constantIbLb1EES1A_EEDaS15_S16_EUlS15_E_NS1_11comp_targetILNS1_3genE8ELNS1_11target_archE1030ELNS1_3gpuE2ELNS1_3repE0EEENS1_30default_config_static_selectorELNS0_4arch9wavefront6targetE0EEEvT1_ ; -- Begin function _ZN7rocprim17ROCPRIM_400000_NS6detail17trampoline_kernelINS0_14default_configENS1_25partition_config_selectorILNS1_17partition_subalgoE9EtjbEEZZNS1_14partition_implILS5_9ELb0ES3_jN6thrust23THRUST_200600_302600_NS6detail15normal_iteratorINS9_10device_ptrItEEEENSB_INSC_IjEEEEPNS0_10empty_typeENS0_5tupleIJSE_SH_EEENSJ_IJSG_SI_EEENS0_18inequality_wrapperINS9_8equal_toItEEEEPmJSH_EEE10hipError_tPvRmT3_T4_T5_T6_T7_T9_mT8_P12ihipStream_tbDpT10_ENKUlT_T0_E_clISt17integral_constantIbLb1EES1A_EEDaS15_S16_EUlS15_E_NS1_11comp_targetILNS1_3genE8ELNS1_11target_archE1030ELNS1_3gpuE2ELNS1_3repE0EEENS1_30default_config_static_selectorELNS0_4arch9wavefront6targetE0EEEvT1_
	.globl	_ZN7rocprim17ROCPRIM_400000_NS6detail17trampoline_kernelINS0_14default_configENS1_25partition_config_selectorILNS1_17partition_subalgoE9EtjbEEZZNS1_14partition_implILS5_9ELb0ES3_jN6thrust23THRUST_200600_302600_NS6detail15normal_iteratorINS9_10device_ptrItEEEENSB_INSC_IjEEEEPNS0_10empty_typeENS0_5tupleIJSE_SH_EEENSJ_IJSG_SI_EEENS0_18inequality_wrapperINS9_8equal_toItEEEEPmJSH_EEE10hipError_tPvRmT3_T4_T5_T6_T7_T9_mT8_P12ihipStream_tbDpT10_ENKUlT_T0_E_clISt17integral_constantIbLb1EES1A_EEDaS15_S16_EUlS15_E_NS1_11comp_targetILNS1_3genE8ELNS1_11target_archE1030ELNS1_3gpuE2ELNS1_3repE0EEENS1_30default_config_static_selectorELNS0_4arch9wavefront6targetE0EEEvT1_
	.p2align	8
	.type	_ZN7rocprim17ROCPRIM_400000_NS6detail17trampoline_kernelINS0_14default_configENS1_25partition_config_selectorILNS1_17partition_subalgoE9EtjbEEZZNS1_14partition_implILS5_9ELb0ES3_jN6thrust23THRUST_200600_302600_NS6detail15normal_iteratorINS9_10device_ptrItEEEENSB_INSC_IjEEEEPNS0_10empty_typeENS0_5tupleIJSE_SH_EEENSJ_IJSG_SI_EEENS0_18inequality_wrapperINS9_8equal_toItEEEEPmJSH_EEE10hipError_tPvRmT3_T4_T5_T6_T7_T9_mT8_P12ihipStream_tbDpT10_ENKUlT_T0_E_clISt17integral_constantIbLb1EES1A_EEDaS15_S16_EUlS15_E_NS1_11comp_targetILNS1_3genE8ELNS1_11target_archE1030ELNS1_3gpuE2ELNS1_3repE0EEENS1_30default_config_static_selectorELNS0_4arch9wavefront6targetE0EEEvT1_,@function
_ZN7rocprim17ROCPRIM_400000_NS6detail17trampoline_kernelINS0_14default_configENS1_25partition_config_selectorILNS1_17partition_subalgoE9EtjbEEZZNS1_14partition_implILS5_9ELb0ES3_jN6thrust23THRUST_200600_302600_NS6detail15normal_iteratorINS9_10device_ptrItEEEENSB_INSC_IjEEEEPNS0_10empty_typeENS0_5tupleIJSE_SH_EEENSJ_IJSG_SI_EEENS0_18inequality_wrapperINS9_8equal_toItEEEEPmJSH_EEE10hipError_tPvRmT3_T4_T5_T6_T7_T9_mT8_P12ihipStream_tbDpT10_ENKUlT_T0_E_clISt17integral_constantIbLb1EES1A_EEDaS15_S16_EUlS15_E_NS1_11comp_targetILNS1_3genE8ELNS1_11target_archE1030ELNS1_3gpuE2ELNS1_3repE0EEENS1_30default_config_static_selectorELNS0_4arch9wavefront6targetE0EEEvT1_: ; @_ZN7rocprim17ROCPRIM_400000_NS6detail17trampoline_kernelINS0_14default_configENS1_25partition_config_selectorILNS1_17partition_subalgoE9EtjbEEZZNS1_14partition_implILS5_9ELb0ES3_jN6thrust23THRUST_200600_302600_NS6detail15normal_iteratorINS9_10device_ptrItEEEENSB_INSC_IjEEEEPNS0_10empty_typeENS0_5tupleIJSE_SH_EEENSJ_IJSG_SI_EEENS0_18inequality_wrapperINS9_8equal_toItEEEEPmJSH_EEE10hipError_tPvRmT3_T4_T5_T6_T7_T9_mT8_P12ihipStream_tbDpT10_ENKUlT_T0_E_clISt17integral_constantIbLb1EES1A_EEDaS15_S16_EUlS15_E_NS1_11comp_targetILNS1_3genE8ELNS1_11target_archE1030ELNS1_3gpuE2ELNS1_3repE0EEENS1_30default_config_static_selectorELNS0_4arch9wavefront6targetE0EEEvT1_
; %bb.0:
	.section	.rodata,"a",@progbits
	.p2align	6, 0x0
	.amdhsa_kernel _ZN7rocprim17ROCPRIM_400000_NS6detail17trampoline_kernelINS0_14default_configENS1_25partition_config_selectorILNS1_17partition_subalgoE9EtjbEEZZNS1_14partition_implILS5_9ELb0ES3_jN6thrust23THRUST_200600_302600_NS6detail15normal_iteratorINS9_10device_ptrItEEEENSB_INSC_IjEEEEPNS0_10empty_typeENS0_5tupleIJSE_SH_EEENSJ_IJSG_SI_EEENS0_18inequality_wrapperINS9_8equal_toItEEEEPmJSH_EEE10hipError_tPvRmT3_T4_T5_T6_T7_T9_mT8_P12ihipStream_tbDpT10_ENKUlT_T0_E_clISt17integral_constantIbLb1EES1A_EEDaS15_S16_EUlS15_E_NS1_11comp_targetILNS1_3genE8ELNS1_11target_archE1030ELNS1_3gpuE2ELNS1_3repE0EEENS1_30default_config_static_selectorELNS0_4arch9wavefront6targetE0EEEvT1_
		.amdhsa_group_segment_fixed_size 0
		.amdhsa_private_segment_fixed_size 0
		.amdhsa_kernarg_size 128
		.amdhsa_user_sgpr_count 15
		.amdhsa_user_sgpr_dispatch_ptr 0
		.amdhsa_user_sgpr_queue_ptr 0
		.amdhsa_user_sgpr_kernarg_segment_ptr 1
		.amdhsa_user_sgpr_dispatch_id 0
		.amdhsa_user_sgpr_private_segment_size 0
		.amdhsa_wavefront_size32 1
		.amdhsa_uses_dynamic_stack 0
		.amdhsa_enable_private_segment 0
		.amdhsa_system_sgpr_workgroup_id_x 1
		.amdhsa_system_sgpr_workgroup_id_y 0
		.amdhsa_system_sgpr_workgroup_id_z 0
		.amdhsa_system_sgpr_workgroup_info 0
		.amdhsa_system_vgpr_workitem_id 0
		.amdhsa_next_free_vgpr 1
		.amdhsa_next_free_sgpr 1
		.amdhsa_reserve_vcc 0
		.amdhsa_float_round_mode_32 0
		.amdhsa_float_round_mode_16_64 0
		.amdhsa_float_denorm_mode_32 3
		.amdhsa_float_denorm_mode_16_64 3
		.amdhsa_dx10_clamp 1
		.amdhsa_ieee_mode 1
		.amdhsa_fp16_overflow 0
		.amdhsa_workgroup_processor_mode 1
		.amdhsa_memory_ordered 1
		.amdhsa_forward_progress 0
		.amdhsa_shared_vgpr_count 0
		.amdhsa_exception_fp_ieee_invalid_op 0
		.amdhsa_exception_fp_denorm_src 0
		.amdhsa_exception_fp_ieee_div_zero 0
		.amdhsa_exception_fp_ieee_overflow 0
		.amdhsa_exception_fp_ieee_underflow 0
		.amdhsa_exception_fp_ieee_inexact 0
		.amdhsa_exception_int_div_zero 0
	.end_amdhsa_kernel
	.section	.text._ZN7rocprim17ROCPRIM_400000_NS6detail17trampoline_kernelINS0_14default_configENS1_25partition_config_selectorILNS1_17partition_subalgoE9EtjbEEZZNS1_14partition_implILS5_9ELb0ES3_jN6thrust23THRUST_200600_302600_NS6detail15normal_iteratorINS9_10device_ptrItEEEENSB_INSC_IjEEEEPNS0_10empty_typeENS0_5tupleIJSE_SH_EEENSJ_IJSG_SI_EEENS0_18inequality_wrapperINS9_8equal_toItEEEEPmJSH_EEE10hipError_tPvRmT3_T4_T5_T6_T7_T9_mT8_P12ihipStream_tbDpT10_ENKUlT_T0_E_clISt17integral_constantIbLb1EES1A_EEDaS15_S16_EUlS15_E_NS1_11comp_targetILNS1_3genE8ELNS1_11target_archE1030ELNS1_3gpuE2ELNS1_3repE0EEENS1_30default_config_static_selectorELNS0_4arch9wavefront6targetE0EEEvT1_,"axG",@progbits,_ZN7rocprim17ROCPRIM_400000_NS6detail17trampoline_kernelINS0_14default_configENS1_25partition_config_selectorILNS1_17partition_subalgoE9EtjbEEZZNS1_14partition_implILS5_9ELb0ES3_jN6thrust23THRUST_200600_302600_NS6detail15normal_iteratorINS9_10device_ptrItEEEENSB_INSC_IjEEEEPNS0_10empty_typeENS0_5tupleIJSE_SH_EEENSJ_IJSG_SI_EEENS0_18inequality_wrapperINS9_8equal_toItEEEEPmJSH_EEE10hipError_tPvRmT3_T4_T5_T6_T7_T9_mT8_P12ihipStream_tbDpT10_ENKUlT_T0_E_clISt17integral_constantIbLb1EES1A_EEDaS15_S16_EUlS15_E_NS1_11comp_targetILNS1_3genE8ELNS1_11target_archE1030ELNS1_3gpuE2ELNS1_3repE0EEENS1_30default_config_static_selectorELNS0_4arch9wavefront6targetE0EEEvT1_,comdat
.Lfunc_end580:
	.size	_ZN7rocprim17ROCPRIM_400000_NS6detail17trampoline_kernelINS0_14default_configENS1_25partition_config_selectorILNS1_17partition_subalgoE9EtjbEEZZNS1_14partition_implILS5_9ELb0ES3_jN6thrust23THRUST_200600_302600_NS6detail15normal_iteratorINS9_10device_ptrItEEEENSB_INSC_IjEEEEPNS0_10empty_typeENS0_5tupleIJSE_SH_EEENSJ_IJSG_SI_EEENS0_18inequality_wrapperINS9_8equal_toItEEEEPmJSH_EEE10hipError_tPvRmT3_T4_T5_T6_T7_T9_mT8_P12ihipStream_tbDpT10_ENKUlT_T0_E_clISt17integral_constantIbLb1EES1A_EEDaS15_S16_EUlS15_E_NS1_11comp_targetILNS1_3genE8ELNS1_11target_archE1030ELNS1_3gpuE2ELNS1_3repE0EEENS1_30default_config_static_selectorELNS0_4arch9wavefront6targetE0EEEvT1_, .Lfunc_end580-_ZN7rocprim17ROCPRIM_400000_NS6detail17trampoline_kernelINS0_14default_configENS1_25partition_config_selectorILNS1_17partition_subalgoE9EtjbEEZZNS1_14partition_implILS5_9ELb0ES3_jN6thrust23THRUST_200600_302600_NS6detail15normal_iteratorINS9_10device_ptrItEEEENSB_INSC_IjEEEEPNS0_10empty_typeENS0_5tupleIJSE_SH_EEENSJ_IJSG_SI_EEENS0_18inequality_wrapperINS9_8equal_toItEEEEPmJSH_EEE10hipError_tPvRmT3_T4_T5_T6_T7_T9_mT8_P12ihipStream_tbDpT10_ENKUlT_T0_E_clISt17integral_constantIbLb1EES1A_EEDaS15_S16_EUlS15_E_NS1_11comp_targetILNS1_3genE8ELNS1_11target_archE1030ELNS1_3gpuE2ELNS1_3repE0EEENS1_30default_config_static_selectorELNS0_4arch9wavefront6targetE0EEEvT1_
                                        ; -- End function
	.section	.AMDGPU.csdata,"",@progbits
; Kernel info:
; codeLenInByte = 0
; NumSgprs: 0
; NumVgprs: 0
; ScratchSize: 0
; MemoryBound: 0
; FloatMode: 240
; IeeeMode: 1
; LDSByteSize: 0 bytes/workgroup (compile time only)
; SGPRBlocks: 0
; VGPRBlocks: 0
; NumSGPRsForWavesPerEU: 1
; NumVGPRsForWavesPerEU: 1
; Occupancy: 16
; WaveLimiterHint : 0
; COMPUTE_PGM_RSRC2:SCRATCH_EN: 0
; COMPUTE_PGM_RSRC2:USER_SGPR: 15
; COMPUTE_PGM_RSRC2:TRAP_HANDLER: 0
; COMPUTE_PGM_RSRC2:TGID_X_EN: 1
; COMPUTE_PGM_RSRC2:TGID_Y_EN: 0
; COMPUTE_PGM_RSRC2:TGID_Z_EN: 0
; COMPUTE_PGM_RSRC2:TIDIG_COMP_CNT: 0
	.section	.text._ZN7rocprim17ROCPRIM_400000_NS6detail17trampoline_kernelINS0_14default_configENS1_25partition_config_selectorILNS1_17partition_subalgoE9EtjbEEZZNS1_14partition_implILS5_9ELb0ES3_jN6thrust23THRUST_200600_302600_NS6detail15normal_iteratorINS9_10device_ptrItEEEENSB_INSC_IjEEEEPNS0_10empty_typeENS0_5tupleIJSE_SH_EEENSJ_IJSG_SI_EEENS0_18inequality_wrapperINS9_8equal_toItEEEEPmJSH_EEE10hipError_tPvRmT3_T4_T5_T6_T7_T9_mT8_P12ihipStream_tbDpT10_ENKUlT_T0_E_clISt17integral_constantIbLb1EES19_IbLb0EEEEDaS15_S16_EUlS15_E_NS1_11comp_targetILNS1_3genE0ELNS1_11target_archE4294967295ELNS1_3gpuE0ELNS1_3repE0EEENS1_30default_config_static_selectorELNS0_4arch9wavefront6targetE0EEEvT1_,"axG",@progbits,_ZN7rocprim17ROCPRIM_400000_NS6detail17trampoline_kernelINS0_14default_configENS1_25partition_config_selectorILNS1_17partition_subalgoE9EtjbEEZZNS1_14partition_implILS5_9ELb0ES3_jN6thrust23THRUST_200600_302600_NS6detail15normal_iteratorINS9_10device_ptrItEEEENSB_INSC_IjEEEEPNS0_10empty_typeENS0_5tupleIJSE_SH_EEENSJ_IJSG_SI_EEENS0_18inequality_wrapperINS9_8equal_toItEEEEPmJSH_EEE10hipError_tPvRmT3_T4_T5_T6_T7_T9_mT8_P12ihipStream_tbDpT10_ENKUlT_T0_E_clISt17integral_constantIbLb1EES19_IbLb0EEEEDaS15_S16_EUlS15_E_NS1_11comp_targetILNS1_3genE0ELNS1_11target_archE4294967295ELNS1_3gpuE0ELNS1_3repE0EEENS1_30default_config_static_selectorELNS0_4arch9wavefront6targetE0EEEvT1_,comdat
	.protected	_ZN7rocprim17ROCPRIM_400000_NS6detail17trampoline_kernelINS0_14default_configENS1_25partition_config_selectorILNS1_17partition_subalgoE9EtjbEEZZNS1_14partition_implILS5_9ELb0ES3_jN6thrust23THRUST_200600_302600_NS6detail15normal_iteratorINS9_10device_ptrItEEEENSB_INSC_IjEEEEPNS0_10empty_typeENS0_5tupleIJSE_SH_EEENSJ_IJSG_SI_EEENS0_18inequality_wrapperINS9_8equal_toItEEEEPmJSH_EEE10hipError_tPvRmT3_T4_T5_T6_T7_T9_mT8_P12ihipStream_tbDpT10_ENKUlT_T0_E_clISt17integral_constantIbLb1EES19_IbLb0EEEEDaS15_S16_EUlS15_E_NS1_11comp_targetILNS1_3genE0ELNS1_11target_archE4294967295ELNS1_3gpuE0ELNS1_3repE0EEENS1_30default_config_static_selectorELNS0_4arch9wavefront6targetE0EEEvT1_ ; -- Begin function _ZN7rocprim17ROCPRIM_400000_NS6detail17trampoline_kernelINS0_14default_configENS1_25partition_config_selectorILNS1_17partition_subalgoE9EtjbEEZZNS1_14partition_implILS5_9ELb0ES3_jN6thrust23THRUST_200600_302600_NS6detail15normal_iteratorINS9_10device_ptrItEEEENSB_INSC_IjEEEEPNS0_10empty_typeENS0_5tupleIJSE_SH_EEENSJ_IJSG_SI_EEENS0_18inequality_wrapperINS9_8equal_toItEEEEPmJSH_EEE10hipError_tPvRmT3_T4_T5_T6_T7_T9_mT8_P12ihipStream_tbDpT10_ENKUlT_T0_E_clISt17integral_constantIbLb1EES19_IbLb0EEEEDaS15_S16_EUlS15_E_NS1_11comp_targetILNS1_3genE0ELNS1_11target_archE4294967295ELNS1_3gpuE0ELNS1_3repE0EEENS1_30default_config_static_selectorELNS0_4arch9wavefront6targetE0EEEvT1_
	.globl	_ZN7rocprim17ROCPRIM_400000_NS6detail17trampoline_kernelINS0_14default_configENS1_25partition_config_selectorILNS1_17partition_subalgoE9EtjbEEZZNS1_14partition_implILS5_9ELb0ES3_jN6thrust23THRUST_200600_302600_NS6detail15normal_iteratorINS9_10device_ptrItEEEENSB_INSC_IjEEEEPNS0_10empty_typeENS0_5tupleIJSE_SH_EEENSJ_IJSG_SI_EEENS0_18inequality_wrapperINS9_8equal_toItEEEEPmJSH_EEE10hipError_tPvRmT3_T4_T5_T6_T7_T9_mT8_P12ihipStream_tbDpT10_ENKUlT_T0_E_clISt17integral_constantIbLb1EES19_IbLb0EEEEDaS15_S16_EUlS15_E_NS1_11comp_targetILNS1_3genE0ELNS1_11target_archE4294967295ELNS1_3gpuE0ELNS1_3repE0EEENS1_30default_config_static_selectorELNS0_4arch9wavefront6targetE0EEEvT1_
	.p2align	8
	.type	_ZN7rocprim17ROCPRIM_400000_NS6detail17trampoline_kernelINS0_14default_configENS1_25partition_config_selectorILNS1_17partition_subalgoE9EtjbEEZZNS1_14partition_implILS5_9ELb0ES3_jN6thrust23THRUST_200600_302600_NS6detail15normal_iteratorINS9_10device_ptrItEEEENSB_INSC_IjEEEEPNS0_10empty_typeENS0_5tupleIJSE_SH_EEENSJ_IJSG_SI_EEENS0_18inequality_wrapperINS9_8equal_toItEEEEPmJSH_EEE10hipError_tPvRmT3_T4_T5_T6_T7_T9_mT8_P12ihipStream_tbDpT10_ENKUlT_T0_E_clISt17integral_constantIbLb1EES19_IbLb0EEEEDaS15_S16_EUlS15_E_NS1_11comp_targetILNS1_3genE0ELNS1_11target_archE4294967295ELNS1_3gpuE0ELNS1_3repE0EEENS1_30default_config_static_selectorELNS0_4arch9wavefront6targetE0EEEvT1_,@function
_ZN7rocprim17ROCPRIM_400000_NS6detail17trampoline_kernelINS0_14default_configENS1_25partition_config_selectorILNS1_17partition_subalgoE9EtjbEEZZNS1_14partition_implILS5_9ELb0ES3_jN6thrust23THRUST_200600_302600_NS6detail15normal_iteratorINS9_10device_ptrItEEEENSB_INSC_IjEEEEPNS0_10empty_typeENS0_5tupleIJSE_SH_EEENSJ_IJSG_SI_EEENS0_18inequality_wrapperINS9_8equal_toItEEEEPmJSH_EEE10hipError_tPvRmT3_T4_T5_T6_T7_T9_mT8_P12ihipStream_tbDpT10_ENKUlT_T0_E_clISt17integral_constantIbLb1EES19_IbLb0EEEEDaS15_S16_EUlS15_E_NS1_11comp_targetILNS1_3genE0ELNS1_11target_archE4294967295ELNS1_3gpuE0ELNS1_3repE0EEENS1_30default_config_static_selectorELNS0_4arch9wavefront6targetE0EEEvT1_: ; @_ZN7rocprim17ROCPRIM_400000_NS6detail17trampoline_kernelINS0_14default_configENS1_25partition_config_selectorILNS1_17partition_subalgoE9EtjbEEZZNS1_14partition_implILS5_9ELb0ES3_jN6thrust23THRUST_200600_302600_NS6detail15normal_iteratorINS9_10device_ptrItEEEENSB_INSC_IjEEEEPNS0_10empty_typeENS0_5tupleIJSE_SH_EEENSJ_IJSG_SI_EEENS0_18inequality_wrapperINS9_8equal_toItEEEEPmJSH_EEE10hipError_tPvRmT3_T4_T5_T6_T7_T9_mT8_P12ihipStream_tbDpT10_ENKUlT_T0_E_clISt17integral_constantIbLb1EES19_IbLb0EEEEDaS15_S16_EUlS15_E_NS1_11comp_targetILNS1_3genE0ELNS1_11target_archE4294967295ELNS1_3gpuE0ELNS1_3repE0EEENS1_30default_config_static_selectorELNS0_4arch9wavefront6targetE0EEEvT1_
; %bb.0:
	.section	.rodata,"a",@progbits
	.p2align	6, 0x0
	.amdhsa_kernel _ZN7rocprim17ROCPRIM_400000_NS6detail17trampoline_kernelINS0_14default_configENS1_25partition_config_selectorILNS1_17partition_subalgoE9EtjbEEZZNS1_14partition_implILS5_9ELb0ES3_jN6thrust23THRUST_200600_302600_NS6detail15normal_iteratorINS9_10device_ptrItEEEENSB_INSC_IjEEEEPNS0_10empty_typeENS0_5tupleIJSE_SH_EEENSJ_IJSG_SI_EEENS0_18inequality_wrapperINS9_8equal_toItEEEEPmJSH_EEE10hipError_tPvRmT3_T4_T5_T6_T7_T9_mT8_P12ihipStream_tbDpT10_ENKUlT_T0_E_clISt17integral_constantIbLb1EES19_IbLb0EEEEDaS15_S16_EUlS15_E_NS1_11comp_targetILNS1_3genE0ELNS1_11target_archE4294967295ELNS1_3gpuE0ELNS1_3repE0EEENS1_30default_config_static_selectorELNS0_4arch9wavefront6targetE0EEEvT1_
		.amdhsa_group_segment_fixed_size 0
		.amdhsa_private_segment_fixed_size 0
		.amdhsa_kernarg_size 112
		.amdhsa_user_sgpr_count 15
		.amdhsa_user_sgpr_dispatch_ptr 0
		.amdhsa_user_sgpr_queue_ptr 0
		.amdhsa_user_sgpr_kernarg_segment_ptr 1
		.amdhsa_user_sgpr_dispatch_id 0
		.amdhsa_user_sgpr_private_segment_size 0
		.amdhsa_wavefront_size32 1
		.amdhsa_uses_dynamic_stack 0
		.amdhsa_enable_private_segment 0
		.amdhsa_system_sgpr_workgroup_id_x 1
		.amdhsa_system_sgpr_workgroup_id_y 0
		.amdhsa_system_sgpr_workgroup_id_z 0
		.amdhsa_system_sgpr_workgroup_info 0
		.amdhsa_system_vgpr_workitem_id 0
		.amdhsa_next_free_vgpr 1
		.amdhsa_next_free_sgpr 1
		.amdhsa_reserve_vcc 0
		.amdhsa_float_round_mode_32 0
		.amdhsa_float_round_mode_16_64 0
		.amdhsa_float_denorm_mode_32 3
		.amdhsa_float_denorm_mode_16_64 3
		.amdhsa_dx10_clamp 1
		.amdhsa_ieee_mode 1
		.amdhsa_fp16_overflow 0
		.amdhsa_workgroup_processor_mode 1
		.amdhsa_memory_ordered 1
		.amdhsa_forward_progress 0
		.amdhsa_shared_vgpr_count 0
		.amdhsa_exception_fp_ieee_invalid_op 0
		.amdhsa_exception_fp_denorm_src 0
		.amdhsa_exception_fp_ieee_div_zero 0
		.amdhsa_exception_fp_ieee_overflow 0
		.amdhsa_exception_fp_ieee_underflow 0
		.amdhsa_exception_fp_ieee_inexact 0
		.amdhsa_exception_int_div_zero 0
	.end_amdhsa_kernel
	.section	.text._ZN7rocprim17ROCPRIM_400000_NS6detail17trampoline_kernelINS0_14default_configENS1_25partition_config_selectorILNS1_17partition_subalgoE9EtjbEEZZNS1_14partition_implILS5_9ELb0ES3_jN6thrust23THRUST_200600_302600_NS6detail15normal_iteratorINS9_10device_ptrItEEEENSB_INSC_IjEEEEPNS0_10empty_typeENS0_5tupleIJSE_SH_EEENSJ_IJSG_SI_EEENS0_18inequality_wrapperINS9_8equal_toItEEEEPmJSH_EEE10hipError_tPvRmT3_T4_T5_T6_T7_T9_mT8_P12ihipStream_tbDpT10_ENKUlT_T0_E_clISt17integral_constantIbLb1EES19_IbLb0EEEEDaS15_S16_EUlS15_E_NS1_11comp_targetILNS1_3genE0ELNS1_11target_archE4294967295ELNS1_3gpuE0ELNS1_3repE0EEENS1_30default_config_static_selectorELNS0_4arch9wavefront6targetE0EEEvT1_,"axG",@progbits,_ZN7rocprim17ROCPRIM_400000_NS6detail17trampoline_kernelINS0_14default_configENS1_25partition_config_selectorILNS1_17partition_subalgoE9EtjbEEZZNS1_14partition_implILS5_9ELb0ES3_jN6thrust23THRUST_200600_302600_NS6detail15normal_iteratorINS9_10device_ptrItEEEENSB_INSC_IjEEEEPNS0_10empty_typeENS0_5tupleIJSE_SH_EEENSJ_IJSG_SI_EEENS0_18inequality_wrapperINS9_8equal_toItEEEEPmJSH_EEE10hipError_tPvRmT3_T4_T5_T6_T7_T9_mT8_P12ihipStream_tbDpT10_ENKUlT_T0_E_clISt17integral_constantIbLb1EES19_IbLb0EEEEDaS15_S16_EUlS15_E_NS1_11comp_targetILNS1_3genE0ELNS1_11target_archE4294967295ELNS1_3gpuE0ELNS1_3repE0EEENS1_30default_config_static_selectorELNS0_4arch9wavefront6targetE0EEEvT1_,comdat
.Lfunc_end581:
	.size	_ZN7rocprim17ROCPRIM_400000_NS6detail17trampoline_kernelINS0_14default_configENS1_25partition_config_selectorILNS1_17partition_subalgoE9EtjbEEZZNS1_14partition_implILS5_9ELb0ES3_jN6thrust23THRUST_200600_302600_NS6detail15normal_iteratorINS9_10device_ptrItEEEENSB_INSC_IjEEEEPNS0_10empty_typeENS0_5tupleIJSE_SH_EEENSJ_IJSG_SI_EEENS0_18inequality_wrapperINS9_8equal_toItEEEEPmJSH_EEE10hipError_tPvRmT3_T4_T5_T6_T7_T9_mT8_P12ihipStream_tbDpT10_ENKUlT_T0_E_clISt17integral_constantIbLb1EES19_IbLb0EEEEDaS15_S16_EUlS15_E_NS1_11comp_targetILNS1_3genE0ELNS1_11target_archE4294967295ELNS1_3gpuE0ELNS1_3repE0EEENS1_30default_config_static_selectorELNS0_4arch9wavefront6targetE0EEEvT1_, .Lfunc_end581-_ZN7rocprim17ROCPRIM_400000_NS6detail17trampoline_kernelINS0_14default_configENS1_25partition_config_selectorILNS1_17partition_subalgoE9EtjbEEZZNS1_14partition_implILS5_9ELb0ES3_jN6thrust23THRUST_200600_302600_NS6detail15normal_iteratorINS9_10device_ptrItEEEENSB_INSC_IjEEEEPNS0_10empty_typeENS0_5tupleIJSE_SH_EEENSJ_IJSG_SI_EEENS0_18inequality_wrapperINS9_8equal_toItEEEEPmJSH_EEE10hipError_tPvRmT3_T4_T5_T6_T7_T9_mT8_P12ihipStream_tbDpT10_ENKUlT_T0_E_clISt17integral_constantIbLb1EES19_IbLb0EEEEDaS15_S16_EUlS15_E_NS1_11comp_targetILNS1_3genE0ELNS1_11target_archE4294967295ELNS1_3gpuE0ELNS1_3repE0EEENS1_30default_config_static_selectorELNS0_4arch9wavefront6targetE0EEEvT1_
                                        ; -- End function
	.section	.AMDGPU.csdata,"",@progbits
; Kernel info:
; codeLenInByte = 0
; NumSgprs: 0
; NumVgprs: 0
; ScratchSize: 0
; MemoryBound: 0
; FloatMode: 240
; IeeeMode: 1
; LDSByteSize: 0 bytes/workgroup (compile time only)
; SGPRBlocks: 0
; VGPRBlocks: 0
; NumSGPRsForWavesPerEU: 1
; NumVGPRsForWavesPerEU: 1
; Occupancy: 16
; WaveLimiterHint : 0
; COMPUTE_PGM_RSRC2:SCRATCH_EN: 0
; COMPUTE_PGM_RSRC2:USER_SGPR: 15
; COMPUTE_PGM_RSRC2:TRAP_HANDLER: 0
; COMPUTE_PGM_RSRC2:TGID_X_EN: 1
; COMPUTE_PGM_RSRC2:TGID_Y_EN: 0
; COMPUTE_PGM_RSRC2:TGID_Z_EN: 0
; COMPUTE_PGM_RSRC2:TIDIG_COMP_CNT: 0
	.section	.text._ZN7rocprim17ROCPRIM_400000_NS6detail17trampoline_kernelINS0_14default_configENS1_25partition_config_selectorILNS1_17partition_subalgoE9EtjbEEZZNS1_14partition_implILS5_9ELb0ES3_jN6thrust23THRUST_200600_302600_NS6detail15normal_iteratorINS9_10device_ptrItEEEENSB_INSC_IjEEEEPNS0_10empty_typeENS0_5tupleIJSE_SH_EEENSJ_IJSG_SI_EEENS0_18inequality_wrapperINS9_8equal_toItEEEEPmJSH_EEE10hipError_tPvRmT3_T4_T5_T6_T7_T9_mT8_P12ihipStream_tbDpT10_ENKUlT_T0_E_clISt17integral_constantIbLb1EES19_IbLb0EEEEDaS15_S16_EUlS15_E_NS1_11comp_targetILNS1_3genE5ELNS1_11target_archE942ELNS1_3gpuE9ELNS1_3repE0EEENS1_30default_config_static_selectorELNS0_4arch9wavefront6targetE0EEEvT1_,"axG",@progbits,_ZN7rocprim17ROCPRIM_400000_NS6detail17trampoline_kernelINS0_14default_configENS1_25partition_config_selectorILNS1_17partition_subalgoE9EtjbEEZZNS1_14partition_implILS5_9ELb0ES3_jN6thrust23THRUST_200600_302600_NS6detail15normal_iteratorINS9_10device_ptrItEEEENSB_INSC_IjEEEEPNS0_10empty_typeENS0_5tupleIJSE_SH_EEENSJ_IJSG_SI_EEENS0_18inequality_wrapperINS9_8equal_toItEEEEPmJSH_EEE10hipError_tPvRmT3_T4_T5_T6_T7_T9_mT8_P12ihipStream_tbDpT10_ENKUlT_T0_E_clISt17integral_constantIbLb1EES19_IbLb0EEEEDaS15_S16_EUlS15_E_NS1_11comp_targetILNS1_3genE5ELNS1_11target_archE942ELNS1_3gpuE9ELNS1_3repE0EEENS1_30default_config_static_selectorELNS0_4arch9wavefront6targetE0EEEvT1_,comdat
	.protected	_ZN7rocprim17ROCPRIM_400000_NS6detail17trampoline_kernelINS0_14default_configENS1_25partition_config_selectorILNS1_17partition_subalgoE9EtjbEEZZNS1_14partition_implILS5_9ELb0ES3_jN6thrust23THRUST_200600_302600_NS6detail15normal_iteratorINS9_10device_ptrItEEEENSB_INSC_IjEEEEPNS0_10empty_typeENS0_5tupleIJSE_SH_EEENSJ_IJSG_SI_EEENS0_18inequality_wrapperINS9_8equal_toItEEEEPmJSH_EEE10hipError_tPvRmT3_T4_T5_T6_T7_T9_mT8_P12ihipStream_tbDpT10_ENKUlT_T0_E_clISt17integral_constantIbLb1EES19_IbLb0EEEEDaS15_S16_EUlS15_E_NS1_11comp_targetILNS1_3genE5ELNS1_11target_archE942ELNS1_3gpuE9ELNS1_3repE0EEENS1_30default_config_static_selectorELNS0_4arch9wavefront6targetE0EEEvT1_ ; -- Begin function _ZN7rocprim17ROCPRIM_400000_NS6detail17trampoline_kernelINS0_14default_configENS1_25partition_config_selectorILNS1_17partition_subalgoE9EtjbEEZZNS1_14partition_implILS5_9ELb0ES3_jN6thrust23THRUST_200600_302600_NS6detail15normal_iteratorINS9_10device_ptrItEEEENSB_INSC_IjEEEEPNS0_10empty_typeENS0_5tupleIJSE_SH_EEENSJ_IJSG_SI_EEENS0_18inequality_wrapperINS9_8equal_toItEEEEPmJSH_EEE10hipError_tPvRmT3_T4_T5_T6_T7_T9_mT8_P12ihipStream_tbDpT10_ENKUlT_T0_E_clISt17integral_constantIbLb1EES19_IbLb0EEEEDaS15_S16_EUlS15_E_NS1_11comp_targetILNS1_3genE5ELNS1_11target_archE942ELNS1_3gpuE9ELNS1_3repE0EEENS1_30default_config_static_selectorELNS0_4arch9wavefront6targetE0EEEvT1_
	.globl	_ZN7rocprim17ROCPRIM_400000_NS6detail17trampoline_kernelINS0_14default_configENS1_25partition_config_selectorILNS1_17partition_subalgoE9EtjbEEZZNS1_14partition_implILS5_9ELb0ES3_jN6thrust23THRUST_200600_302600_NS6detail15normal_iteratorINS9_10device_ptrItEEEENSB_INSC_IjEEEEPNS0_10empty_typeENS0_5tupleIJSE_SH_EEENSJ_IJSG_SI_EEENS0_18inequality_wrapperINS9_8equal_toItEEEEPmJSH_EEE10hipError_tPvRmT3_T4_T5_T6_T7_T9_mT8_P12ihipStream_tbDpT10_ENKUlT_T0_E_clISt17integral_constantIbLb1EES19_IbLb0EEEEDaS15_S16_EUlS15_E_NS1_11comp_targetILNS1_3genE5ELNS1_11target_archE942ELNS1_3gpuE9ELNS1_3repE0EEENS1_30default_config_static_selectorELNS0_4arch9wavefront6targetE0EEEvT1_
	.p2align	8
	.type	_ZN7rocprim17ROCPRIM_400000_NS6detail17trampoline_kernelINS0_14default_configENS1_25partition_config_selectorILNS1_17partition_subalgoE9EtjbEEZZNS1_14partition_implILS5_9ELb0ES3_jN6thrust23THRUST_200600_302600_NS6detail15normal_iteratorINS9_10device_ptrItEEEENSB_INSC_IjEEEEPNS0_10empty_typeENS0_5tupleIJSE_SH_EEENSJ_IJSG_SI_EEENS0_18inequality_wrapperINS9_8equal_toItEEEEPmJSH_EEE10hipError_tPvRmT3_T4_T5_T6_T7_T9_mT8_P12ihipStream_tbDpT10_ENKUlT_T0_E_clISt17integral_constantIbLb1EES19_IbLb0EEEEDaS15_S16_EUlS15_E_NS1_11comp_targetILNS1_3genE5ELNS1_11target_archE942ELNS1_3gpuE9ELNS1_3repE0EEENS1_30default_config_static_selectorELNS0_4arch9wavefront6targetE0EEEvT1_,@function
_ZN7rocprim17ROCPRIM_400000_NS6detail17trampoline_kernelINS0_14default_configENS1_25partition_config_selectorILNS1_17partition_subalgoE9EtjbEEZZNS1_14partition_implILS5_9ELb0ES3_jN6thrust23THRUST_200600_302600_NS6detail15normal_iteratorINS9_10device_ptrItEEEENSB_INSC_IjEEEEPNS0_10empty_typeENS0_5tupleIJSE_SH_EEENSJ_IJSG_SI_EEENS0_18inequality_wrapperINS9_8equal_toItEEEEPmJSH_EEE10hipError_tPvRmT3_T4_T5_T6_T7_T9_mT8_P12ihipStream_tbDpT10_ENKUlT_T0_E_clISt17integral_constantIbLb1EES19_IbLb0EEEEDaS15_S16_EUlS15_E_NS1_11comp_targetILNS1_3genE5ELNS1_11target_archE942ELNS1_3gpuE9ELNS1_3repE0EEENS1_30default_config_static_selectorELNS0_4arch9wavefront6targetE0EEEvT1_: ; @_ZN7rocprim17ROCPRIM_400000_NS6detail17trampoline_kernelINS0_14default_configENS1_25partition_config_selectorILNS1_17partition_subalgoE9EtjbEEZZNS1_14partition_implILS5_9ELb0ES3_jN6thrust23THRUST_200600_302600_NS6detail15normal_iteratorINS9_10device_ptrItEEEENSB_INSC_IjEEEEPNS0_10empty_typeENS0_5tupleIJSE_SH_EEENSJ_IJSG_SI_EEENS0_18inequality_wrapperINS9_8equal_toItEEEEPmJSH_EEE10hipError_tPvRmT3_T4_T5_T6_T7_T9_mT8_P12ihipStream_tbDpT10_ENKUlT_T0_E_clISt17integral_constantIbLb1EES19_IbLb0EEEEDaS15_S16_EUlS15_E_NS1_11comp_targetILNS1_3genE5ELNS1_11target_archE942ELNS1_3gpuE9ELNS1_3repE0EEENS1_30default_config_static_selectorELNS0_4arch9wavefront6targetE0EEEvT1_
; %bb.0:
	.section	.rodata,"a",@progbits
	.p2align	6, 0x0
	.amdhsa_kernel _ZN7rocprim17ROCPRIM_400000_NS6detail17trampoline_kernelINS0_14default_configENS1_25partition_config_selectorILNS1_17partition_subalgoE9EtjbEEZZNS1_14partition_implILS5_9ELb0ES3_jN6thrust23THRUST_200600_302600_NS6detail15normal_iteratorINS9_10device_ptrItEEEENSB_INSC_IjEEEEPNS0_10empty_typeENS0_5tupleIJSE_SH_EEENSJ_IJSG_SI_EEENS0_18inequality_wrapperINS9_8equal_toItEEEEPmJSH_EEE10hipError_tPvRmT3_T4_T5_T6_T7_T9_mT8_P12ihipStream_tbDpT10_ENKUlT_T0_E_clISt17integral_constantIbLb1EES19_IbLb0EEEEDaS15_S16_EUlS15_E_NS1_11comp_targetILNS1_3genE5ELNS1_11target_archE942ELNS1_3gpuE9ELNS1_3repE0EEENS1_30default_config_static_selectorELNS0_4arch9wavefront6targetE0EEEvT1_
		.amdhsa_group_segment_fixed_size 0
		.amdhsa_private_segment_fixed_size 0
		.amdhsa_kernarg_size 112
		.amdhsa_user_sgpr_count 15
		.amdhsa_user_sgpr_dispatch_ptr 0
		.amdhsa_user_sgpr_queue_ptr 0
		.amdhsa_user_sgpr_kernarg_segment_ptr 1
		.amdhsa_user_sgpr_dispatch_id 0
		.amdhsa_user_sgpr_private_segment_size 0
		.amdhsa_wavefront_size32 1
		.amdhsa_uses_dynamic_stack 0
		.amdhsa_enable_private_segment 0
		.amdhsa_system_sgpr_workgroup_id_x 1
		.amdhsa_system_sgpr_workgroup_id_y 0
		.amdhsa_system_sgpr_workgroup_id_z 0
		.amdhsa_system_sgpr_workgroup_info 0
		.amdhsa_system_vgpr_workitem_id 0
		.amdhsa_next_free_vgpr 1
		.amdhsa_next_free_sgpr 1
		.amdhsa_reserve_vcc 0
		.amdhsa_float_round_mode_32 0
		.amdhsa_float_round_mode_16_64 0
		.amdhsa_float_denorm_mode_32 3
		.amdhsa_float_denorm_mode_16_64 3
		.amdhsa_dx10_clamp 1
		.amdhsa_ieee_mode 1
		.amdhsa_fp16_overflow 0
		.amdhsa_workgroup_processor_mode 1
		.amdhsa_memory_ordered 1
		.amdhsa_forward_progress 0
		.amdhsa_shared_vgpr_count 0
		.amdhsa_exception_fp_ieee_invalid_op 0
		.amdhsa_exception_fp_denorm_src 0
		.amdhsa_exception_fp_ieee_div_zero 0
		.amdhsa_exception_fp_ieee_overflow 0
		.amdhsa_exception_fp_ieee_underflow 0
		.amdhsa_exception_fp_ieee_inexact 0
		.amdhsa_exception_int_div_zero 0
	.end_amdhsa_kernel
	.section	.text._ZN7rocprim17ROCPRIM_400000_NS6detail17trampoline_kernelINS0_14default_configENS1_25partition_config_selectorILNS1_17partition_subalgoE9EtjbEEZZNS1_14partition_implILS5_9ELb0ES3_jN6thrust23THRUST_200600_302600_NS6detail15normal_iteratorINS9_10device_ptrItEEEENSB_INSC_IjEEEEPNS0_10empty_typeENS0_5tupleIJSE_SH_EEENSJ_IJSG_SI_EEENS0_18inequality_wrapperINS9_8equal_toItEEEEPmJSH_EEE10hipError_tPvRmT3_T4_T5_T6_T7_T9_mT8_P12ihipStream_tbDpT10_ENKUlT_T0_E_clISt17integral_constantIbLb1EES19_IbLb0EEEEDaS15_S16_EUlS15_E_NS1_11comp_targetILNS1_3genE5ELNS1_11target_archE942ELNS1_3gpuE9ELNS1_3repE0EEENS1_30default_config_static_selectorELNS0_4arch9wavefront6targetE0EEEvT1_,"axG",@progbits,_ZN7rocprim17ROCPRIM_400000_NS6detail17trampoline_kernelINS0_14default_configENS1_25partition_config_selectorILNS1_17partition_subalgoE9EtjbEEZZNS1_14partition_implILS5_9ELb0ES3_jN6thrust23THRUST_200600_302600_NS6detail15normal_iteratorINS9_10device_ptrItEEEENSB_INSC_IjEEEEPNS0_10empty_typeENS0_5tupleIJSE_SH_EEENSJ_IJSG_SI_EEENS0_18inequality_wrapperINS9_8equal_toItEEEEPmJSH_EEE10hipError_tPvRmT3_T4_T5_T6_T7_T9_mT8_P12ihipStream_tbDpT10_ENKUlT_T0_E_clISt17integral_constantIbLb1EES19_IbLb0EEEEDaS15_S16_EUlS15_E_NS1_11comp_targetILNS1_3genE5ELNS1_11target_archE942ELNS1_3gpuE9ELNS1_3repE0EEENS1_30default_config_static_selectorELNS0_4arch9wavefront6targetE0EEEvT1_,comdat
.Lfunc_end582:
	.size	_ZN7rocprim17ROCPRIM_400000_NS6detail17trampoline_kernelINS0_14default_configENS1_25partition_config_selectorILNS1_17partition_subalgoE9EtjbEEZZNS1_14partition_implILS5_9ELb0ES3_jN6thrust23THRUST_200600_302600_NS6detail15normal_iteratorINS9_10device_ptrItEEEENSB_INSC_IjEEEEPNS0_10empty_typeENS0_5tupleIJSE_SH_EEENSJ_IJSG_SI_EEENS0_18inequality_wrapperINS9_8equal_toItEEEEPmJSH_EEE10hipError_tPvRmT3_T4_T5_T6_T7_T9_mT8_P12ihipStream_tbDpT10_ENKUlT_T0_E_clISt17integral_constantIbLb1EES19_IbLb0EEEEDaS15_S16_EUlS15_E_NS1_11comp_targetILNS1_3genE5ELNS1_11target_archE942ELNS1_3gpuE9ELNS1_3repE0EEENS1_30default_config_static_selectorELNS0_4arch9wavefront6targetE0EEEvT1_, .Lfunc_end582-_ZN7rocprim17ROCPRIM_400000_NS6detail17trampoline_kernelINS0_14default_configENS1_25partition_config_selectorILNS1_17partition_subalgoE9EtjbEEZZNS1_14partition_implILS5_9ELb0ES3_jN6thrust23THRUST_200600_302600_NS6detail15normal_iteratorINS9_10device_ptrItEEEENSB_INSC_IjEEEEPNS0_10empty_typeENS0_5tupleIJSE_SH_EEENSJ_IJSG_SI_EEENS0_18inequality_wrapperINS9_8equal_toItEEEEPmJSH_EEE10hipError_tPvRmT3_T4_T5_T6_T7_T9_mT8_P12ihipStream_tbDpT10_ENKUlT_T0_E_clISt17integral_constantIbLb1EES19_IbLb0EEEEDaS15_S16_EUlS15_E_NS1_11comp_targetILNS1_3genE5ELNS1_11target_archE942ELNS1_3gpuE9ELNS1_3repE0EEENS1_30default_config_static_selectorELNS0_4arch9wavefront6targetE0EEEvT1_
                                        ; -- End function
	.section	.AMDGPU.csdata,"",@progbits
; Kernel info:
; codeLenInByte = 0
; NumSgprs: 0
; NumVgprs: 0
; ScratchSize: 0
; MemoryBound: 0
; FloatMode: 240
; IeeeMode: 1
; LDSByteSize: 0 bytes/workgroup (compile time only)
; SGPRBlocks: 0
; VGPRBlocks: 0
; NumSGPRsForWavesPerEU: 1
; NumVGPRsForWavesPerEU: 1
; Occupancy: 16
; WaveLimiterHint : 0
; COMPUTE_PGM_RSRC2:SCRATCH_EN: 0
; COMPUTE_PGM_RSRC2:USER_SGPR: 15
; COMPUTE_PGM_RSRC2:TRAP_HANDLER: 0
; COMPUTE_PGM_RSRC2:TGID_X_EN: 1
; COMPUTE_PGM_RSRC2:TGID_Y_EN: 0
; COMPUTE_PGM_RSRC2:TGID_Z_EN: 0
; COMPUTE_PGM_RSRC2:TIDIG_COMP_CNT: 0
	.section	.text._ZN7rocprim17ROCPRIM_400000_NS6detail17trampoline_kernelINS0_14default_configENS1_25partition_config_selectorILNS1_17partition_subalgoE9EtjbEEZZNS1_14partition_implILS5_9ELb0ES3_jN6thrust23THRUST_200600_302600_NS6detail15normal_iteratorINS9_10device_ptrItEEEENSB_INSC_IjEEEEPNS0_10empty_typeENS0_5tupleIJSE_SH_EEENSJ_IJSG_SI_EEENS0_18inequality_wrapperINS9_8equal_toItEEEEPmJSH_EEE10hipError_tPvRmT3_T4_T5_T6_T7_T9_mT8_P12ihipStream_tbDpT10_ENKUlT_T0_E_clISt17integral_constantIbLb1EES19_IbLb0EEEEDaS15_S16_EUlS15_E_NS1_11comp_targetILNS1_3genE4ELNS1_11target_archE910ELNS1_3gpuE8ELNS1_3repE0EEENS1_30default_config_static_selectorELNS0_4arch9wavefront6targetE0EEEvT1_,"axG",@progbits,_ZN7rocprim17ROCPRIM_400000_NS6detail17trampoline_kernelINS0_14default_configENS1_25partition_config_selectorILNS1_17partition_subalgoE9EtjbEEZZNS1_14partition_implILS5_9ELb0ES3_jN6thrust23THRUST_200600_302600_NS6detail15normal_iteratorINS9_10device_ptrItEEEENSB_INSC_IjEEEEPNS0_10empty_typeENS0_5tupleIJSE_SH_EEENSJ_IJSG_SI_EEENS0_18inequality_wrapperINS9_8equal_toItEEEEPmJSH_EEE10hipError_tPvRmT3_T4_T5_T6_T7_T9_mT8_P12ihipStream_tbDpT10_ENKUlT_T0_E_clISt17integral_constantIbLb1EES19_IbLb0EEEEDaS15_S16_EUlS15_E_NS1_11comp_targetILNS1_3genE4ELNS1_11target_archE910ELNS1_3gpuE8ELNS1_3repE0EEENS1_30default_config_static_selectorELNS0_4arch9wavefront6targetE0EEEvT1_,comdat
	.protected	_ZN7rocprim17ROCPRIM_400000_NS6detail17trampoline_kernelINS0_14default_configENS1_25partition_config_selectorILNS1_17partition_subalgoE9EtjbEEZZNS1_14partition_implILS5_9ELb0ES3_jN6thrust23THRUST_200600_302600_NS6detail15normal_iteratorINS9_10device_ptrItEEEENSB_INSC_IjEEEEPNS0_10empty_typeENS0_5tupleIJSE_SH_EEENSJ_IJSG_SI_EEENS0_18inequality_wrapperINS9_8equal_toItEEEEPmJSH_EEE10hipError_tPvRmT3_T4_T5_T6_T7_T9_mT8_P12ihipStream_tbDpT10_ENKUlT_T0_E_clISt17integral_constantIbLb1EES19_IbLb0EEEEDaS15_S16_EUlS15_E_NS1_11comp_targetILNS1_3genE4ELNS1_11target_archE910ELNS1_3gpuE8ELNS1_3repE0EEENS1_30default_config_static_selectorELNS0_4arch9wavefront6targetE0EEEvT1_ ; -- Begin function _ZN7rocprim17ROCPRIM_400000_NS6detail17trampoline_kernelINS0_14default_configENS1_25partition_config_selectorILNS1_17partition_subalgoE9EtjbEEZZNS1_14partition_implILS5_9ELb0ES3_jN6thrust23THRUST_200600_302600_NS6detail15normal_iteratorINS9_10device_ptrItEEEENSB_INSC_IjEEEEPNS0_10empty_typeENS0_5tupleIJSE_SH_EEENSJ_IJSG_SI_EEENS0_18inequality_wrapperINS9_8equal_toItEEEEPmJSH_EEE10hipError_tPvRmT3_T4_T5_T6_T7_T9_mT8_P12ihipStream_tbDpT10_ENKUlT_T0_E_clISt17integral_constantIbLb1EES19_IbLb0EEEEDaS15_S16_EUlS15_E_NS1_11comp_targetILNS1_3genE4ELNS1_11target_archE910ELNS1_3gpuE8ELNS1_3repE0EEENS1_30default_config_static_selectorELNS0_4arch9wavefront6targetE0EEEvT1_
	.globl	_ZN7rocprim17ROCPRIM_400000_NS6detail17trampoline_kernelINS0_14default_configENS1_25partition_config_selectorILNS1_17partition_subalgoE9EtjbEEZZNS1_14partition_implILS5_9ELb0ES3_jN6thrust23THRUST_200600_302600_NS6detail15normal_iteratorINS9_10device_ptrItEEEENSB_INSC_IjEEEEPNS0_10empty_typeENS0_5tupleIJSE_SH_EEENSJ_IJSG_SI_EEENS0_18inequality_wrapperINS9_8equal_toItEEEEPmJSH_EEE10hipError_tPvRmT3_T4_T5_T6_T7_T9_mT8_P12ihipStream_tbDpT10_ENKUlT_T0_E_clISt17integral_constantIbLb1EES19_IbLb0EEEEDaS15_S16_EUlS15_E_NS1_11comp_targetILNS1_3genE4ELNS1_11target_archE910ELNS1_3gpuE8ELNS1_3repE0EEENS1_30default_config_static_selectorELNS0_4arch9wavefront6targetE0EEEvT1_
	.p2align	8
	.type	_ZN7rocprim17ROCPRIM_400000_NS6detail17trampoline_kernelINS0_14default_configENS1_25partition_config_selectorILNS1_17partition_subalgoE9EtjbEEZZNS1_14partition_implILS5_9ELb0ES3_jN6thrust23THRUST_200600_302600_NS6detail15normal_iteratorINS9_10device_ptrItEEEENSB_INSC_IjEEEEPNS0_10empty_typeENS0_5tupleIJSE_SH_EEENSJ_IJSG_SI_EEENS0_18inequality_wrapperINS9_8equal_toItEEEEPmJSH_EEE10hipError_tPvRmT3_T4_T5_T6_T7_T9_mT8_P12ihipStream_tbDpT10_ENKUlT_T0_E_clISt17integral_constantIbLb1EES19_IbLb0EEEEDaS15_S16_EUlS15_E_NS1_11comp_targetILNS1_3genE4ELNS1_11target_archE910ELNS1_3gpuE8ELNS1_3repE0EEENS1_30default_config_static_selectorELNS0_4arch9wavefront6targetE0EEEvT1_,@function
_ZN7rocprim17ROCPRIM_400000_NS6detail17trampoline_kernelINS0_14default_configENS1_25partition_config_selectorILNS1_17partition_subalgoE9EtjbEEZZNS1_14partition_implILS5_9ELb0ES3_jN6thrust23THRUST_200600_302600_NS6detail15normal_iteratorINS9_10device_ptrItEEEENSB_INSC_IjEEEEPNS0_10empty_typeENS0_5tupleIJSE_SH_EEENSJ_IJSG_SI_EEENS0_18inequality_wrapperINS9_8equal_toItEEEEPmJSH_EEE10hipError_tPvRmT3_T4_T5_T6_T7_T9_mT8_P12ihipStream_tbDpT10_ENKUlT_T0_E_clISt17integral_constantIbLb1EES19_IbLb0EEEEDaS15_S16_EUlS15_E_NS1_11comp_targetILNS1_3genE4ELNS1_11target_archE910ELNS1_3gpuE8ELNS1_3repE0EEENS1_30default_config_static_selectorELNS0_4arch9wavefront6targetE0EEEvT1_: ; @_ZN7rocprim17ROCPRIM_400000_NS6detail17trampoline_kernelINS0_14default_configENS1_25partition_config_selectorILNS1_17partition_subalgoE9EtjbEEZZNS1_14partition_implILS5_9ELb0ES3_jN6thrust23THRUST_200600_302600_NS6detail15normal_iteratorINS9_10device_ptrItEEEENSB_INSC_IjEEEEPNS0_10empty_typeENS0_5tupleIJSE_SH_EEENSJ_IJSG_SI_EEENS0_18inequality_wrapperINS9_8equal_toItEEEEPmJSH_EEE10hipError_tPvRmT3_T4_T5_T6_T7_T9_mT8_P12ihipStream_tbDpT10_ENKUlT_T0_E_clISt17integral_constantIbLb1EES19_IbLb0EEEEDaS15_S16_EUlS15_E_NS1_11comp_targetILNS1_3genE4ELNS1_11target_archE910ELNS1_3gpuE8ELNS1_3repE0EEENS1_30default_config_static_selectorELNS0_4arch9wavefront6targetE0EEEvT1_
; %bb.0:
	.section	.rodata,"a",@progbits
	.p2align	6, 0x0
	.amdhsa_kernel _ZN7rocprim17ROCPRIM_400000_NS6detail17trampoline_kernelINS0_14default_configENS1_25partition_config_selectorILNS1_17partition_subalgoE9EtjbEEZZNS1_14partition_implILS5_9ELb0ES3_jN6thrust23THRUST_200600_302600_NS6detail15normal_iteratorINS9_10device_ptrItEEEENSB_INSC_IjEEEEPNS0_10empty_typeENS0_5tupleIJSE_SH_EEENSJ_IJSG_SI_EEENS0_18inequality_wrapperINS9_8equal_toItEEEEPmJSH_EEE10hipError_tPvRmT3_T4_T5_T6_T7_T9_mT8_P12ihipStream_tbDpT10_ENKUlT_T0_E_clISt17integral_constantIbLb1EES19_IbLb0EEEEDaS15_S16_EUlS15_E_NS1_11comp_targetILNS1_3genE4ELNS1_11target_archE910ELNS1_3gpuE8ELNS1_3repE0EEENS1_30default_config_static_selectorELNS0_4arch9wavefront6targetE0EEEvT1_
		.amdhsa_group_segment_fixed_size 0
		.amdhsa_private_segment_fixed_size 0
		.amdhsa_kernarg_size 112
		.amdhsa_user_sgpr_count 15
		.amdhsa_user_sgpr_dispatch_ptr 0
		.amdhsa_user_sgpr_queue_ptr 0
		.amdhsa_user_sgpr_kernarg_segment_ptr 1
		.amdhsa_user_sgpr_dispatch_id 0
		.amdhsa_user_sgpr_private_segment_size 0
		.amdhsa_wavefront_size32 1
		.amdhsa_uses_dynamic_stack 0
		.amdhsa_enable_private_segment 0
		.amdhsa_system_sgpr_workgroup_id_x 1
		.amdhsa_system_sgpr_workgroup_id_y 0
		.amdhsa_system_sgpr_workgroup_id_z 0
		.amdhsa_system_sgpr_workgroup_info 0
		.amdhsa_system_vgpr_workitem_id 0
		.amdhsa_next_free_vgpr 1
		.amdhsa_next_free_sgpr 1
		.amdhsa_reserve_vcc 0
		.amdhsa_float_round_mode_32 0
		.amdhsa_float_round_mode_16_64 0
		.amdhsa_float_denorm_mode_32 3
		.amdhsa_float_denorm_mode_16_64 3
		.amdhsa_dx10_clamp 1
		.amdhsa_ieee_mode 1
		.amdhsa_fp16_overflow 0
		.amdhsa_workgroup_processor_mode 1
		.amdhsa_memory_ordered 1
		.amdhsa_forward_progress 0
		.amdhsa_shared_vgpr_count 0
		.amdhsa_exception_fp_ieee_invalid_op 0
		.amdhsa_exception_fp_denorm_src 0
		.amdhsa_exception_fp_ieee_div_zero 0
		.amdhsa_exception_fp_ieee_overflow 0
		.amdhsa_exception_fp_ieee_underflow 0
		.amdhsa_exception_fp_ieee_inexact 0
		.amdhsa_exception_int_div_zero 0
	.end_amdhsa_kernel
	.section	.text._ZN7rocprim17ROCPRIM_400000_NS6detail17trampoline_kernelINS0_14default_configENS1_25partition_config_selectorILNS1_17partition_subalgoE9EtjbEEZZNS1_14partition_implILS5_9ELb0ES3_jN6thrust23THRUST_200600_302600_NS6detail15normal_iteratorINS9_10device_ptrItEEEENSB_INSC_IjEEEEPNS0_10empty_typeENS0_5tupleIJSE_SH_EEENSJ_IJSG_SI_EEENS0_18inequality_wrapperINS9_8equal_toItEEEEPmJSH_EEE10hipError_tPvRmT3_T4_T5_T6_T7_T9_mT8_P12ihipStream_tbDpT10_ENKUlT_T0_E_clISt17integral_constantIbLb1EES19_IbLb0EEEEDaS15_S16_EUlS15_E_NS1_11comp_targetILNS1_3genE4ELNS1_11target_archE910ELNS1_3gpuE8ELNS1_3repE0EEENS1_30default_config_static_selectorELNS0_4arch9wavefront6targetE0EEEvT1_,"axG",@progbits,_ZN7rocprim17ROCPRIM_400000_NS6detail17trampoline_kernelINS0_14default_configENS1_25partition_config_selectorILNS1_17partition_subalgoE9EtjbEEZZNS1_14partition_implILS5_9ELb0ES3_jN6thrust23THRUST_200600_302600_NS6detail15normal_iteratorINS9_10device_ptrItEEEENSB_INSC_IjEEEEPNS0_10empty_typeENS0_5tupleIJSE_SH_EEENSJ_IJSG_SI_EEENS0_18inequality_wrapperINS9_8equal_toItEEEEPmJSH_EEE10hipError_tPvRmT3_T4_T5_T6_T7_T9_mT8_P12ihipStream_tbDpT10_ENKUlT_T0_E_clISt17integral_constantIbLb1EES19_IbLb0EEEEDaS15_S16_EUlS15_E_NS1_11comp_targetILNS1_3genE4ELNS1_11target_archE910ELNS1_3gpuE8ELNS1_3repE0EEENS1_30default_config_static_selectorELNS0_4arch9wavefront6targetE0EEEvT1_,comdat
.Lfunc_end583:
	.size	_ZN7rocprim17ROCPRIM_400000_NS6detail17trampoline_kernelINS0_14default_configENS1_25partition_config_selectorILNS1_17partition_subalgoE9EtjbEEZZNS1_14partition_implILS5_9ELb0ES3_jN6thrust23THRUST_200600_302600_NS6detail15normal_iteratorINS9_10device_ptrItEEEENSB_INSC_IjEEEEPNS0_10empty_typeENS0_5tupleIJSE_SH_EEENSJ_IJSG_SI_EEENS0_18inequality_wrapperINS9_8equal_toItEEEEPmJSH_EEE10hipError_tPvRmT3_T4_T5_T6_T7_T9_mT8_P12ihipStream_tbDpT10_ENKUlT_T0_E_clISt17integral_constantIbLb1EES19_IbLb0EEEEDaS15_S16_EUlS15_E_NS1_11comp_targetILNS1_3genE4ELNS1_11target_archE910ELNS1_3gpuE8ELNS1_3repE0EEENS1_30default_config_static_selectorELNS0_4arch9wavefront6targetE0EEEvT1_, .Lfunc_end583-_ZN7rocprim17ROCPRIM_400000_NS6detail17trampoline_kernelINS0_14default_configENS1_25partition_config_selectorILNS1_17partition_subalgoE9EtjbEEZZNS1_14partition_implILS5_9ELb0ES3_jN6thrust23THRUST_200600_302600_NS6detail15normal_iteratorINS9_10device_ptrItEEEENSB_INSC_IjEEEEPNS0_10empty_typeENS0_5tupleIJSE_SH_EEENSJ_IJSG_SI_EEENS0_18inequality_wrapperINS9_8equal_toItEEEEPmJSH_EEE10hipError_tPvRmT3_T4_T5_T6_T7_T9_mT8_P12ihipStream_tbDpT10_ENKUlT_T0_E_clISt17integral_constantIbLb1EES19_IbLb0EEEEDaS15_S16_EUlS15_E_NS1_11comp_targetILNS1_3genE4ELNS1_11target_archE910ELNS1_3gpuE8ELNS1_3repE0EEENS1_30default_config_static_selectorELNS0_4arch9wavefront6targetE0EEEvT1_
                                        ; -- End function
	.section	.AMDGPU.csdata,"",@progbits
; Kernel info:
; codeLenInByte = 0
; NumSgprs: 0
; NumVgprs: 0
; ScratchSize: 0
; MemoryBound: 0
; FloatMode: 240
; IeeeMode: 1
; LDSByteSize: 0 bytes/workgroup (compile time only)
; SGPRBlocks: 0
; VGPRBlocks: 0
; NumSGPRsForWavesPerEU: 1
; NumVGPRsForWavesPerEU: 1
; Occupancy: 15
; WaveLimiterHint : 0
; COMPUTE_PGM_RSRC2:SCRATCH_EN: 0
; COMPUTE_PGM_RSRC2:USER_SGPR: 15
; COMPUTE_PGM_RSRC2:TRAP_HANDLER: 0
; COMPUTE_PGM_RSRC2:TGID_X_EN: 1
; COMPUTE_PGM_RSRC2:TGID_Y_EN: 0
; COMPUTE_PGM_RSRC2:TGID_Z_EN: 0
; COMPUTE_PGM_RSRC2:TIDIG_COMP_CNT: 0
	.section	.text._ZN7rocprim17ROCPRIM_400000_NS6detail17trampoline_kernelINS0_14default_configENS1_25partition_config_selectorILNS1_17partition_subalgoE9EtjbEEZZNS1_14partition_implILS5_9ELb0ES3_jN6thrust23THRUST_200600_302600_NS6detail15normal_iteratorINS9_10device_ptrItEEEENSB_INSC_IjEEEEPNS0_10empty_typeENS0_5tupleIJSE_SH_EEENSJ_IJSG_SI_EEENS0_18inequality_wrapperINS9_8equal_toItEEEEPmJSH_EEE10hipError_tPvRmT3_T4_T5_T6_T7_T9_mT8_P12ihipStream_tbDpT10_ENKUlT_T0_E_clISt17integral_constantIbLb1EES19_IbLb0EEEEDaS15_S16_EUlS15_E_NS1_11comp_targetILNS1_3genE3ELNS1_11target_archE908ELNS1_3gpuE7ELNS1_3repE0EEENS1_30default_config_static_selectorELNS0_4arch9wavefront6targetE0EEEvT1_,"axG",@progbits,_ZN7rocprim17ROCPRIM_400000_NS6detail17trampoline_kernelINS0_14default_configENS1_25partition_config_selectorILNS1_17partition_subalgoE9EtjbEEZZNS1_14partition_implILS5_9ELb0ES3_jN6thrust23THRUST_200600_302600_NS6detail15normal_iteratorINS9_10device_ptrItEEEENSB_INSC_IjEEEEPNS0_10empty_typeENS0_5tupleIJSE_SH_EEENSJ_IJSG_SI_EEENS0_18inequality_wrapperINS9_8equal_toItEEEEPmJSH_EEE10hipError_tPvRmT3_T4_T5_T6_T7_T9_mT8_P12ihipStream_tbDpT10_ENKUlT_T0_E_clISt17integral_constantIbLb1EES19_IbLb0EEEEDaS15_S16_EUlS15_E_NS1_11comp_targetILNS1_3genE3ELNS1_11target_archE908ELNS1_3gpuE7ELNS1_3repE0EEENS1_30default_config_static_selectorELNS0_4arch9wavefront6targetE0EEEvT1_,comdat
	.protected	_ZN7rocprim17ROCPRIM_400000_NS6detail17trampoline_kernelINS0_14default_configENS1_25partition_config_selectorILNS1_17partition_subalgoE9EtjbEEZZNS1_14partition_implILS5_9ELb0ES3_jN6thrust23THRUST_200600_302600_NS6detail15normal_iteratorINS9_10device_ptrItEEEENSB_INSC_IjEEEEPNS0_10empty_typeENS0_5tupleIJSE_SH_EEENSJ_IJSG_SI_EEENS0_18inequality_wrapperINS9_8equal_toItEEEEPmJSH_EEE10hipError_tPvRmT3_T4_T5_T6_T7_T9_mT8_P12ihipStream_tbDpT10_ENKUlT_T0_E_clISt17integral_constantIbLb1EES19_IbLb0EEEEDaS15_S16_EUlS15_E_NS1_11comp_targetILNS1_3genE3ELNS1_11target_archE908ELNS1_3gpuE7ELNS1_3repE0EEENS1_30default_config_static_selectorELNS0_4arch9wavefront6targetE0EEEvT1_ ; -- Begin function _ZN7rocprim17ROCPRIM_400000_NS6detail17trampoline_kernelINS0_14default_configENS1_25partition_config_selectorILNS1_17partition_subalgoE9EtjbEEZZNS1_14partition_implILS5_9ELb0ES3_jN6thrust23THRUST_200600_302600_NS6detail15normal_iteratorINS9_10device_ptrItEEEENSB_INSC_IjEEEEPNS0_10empty_typeENS0_5tupleIJSE_SH_EEENSJ_IJSG_SI_EEENS0_18inequality_wrapperINS9_8equal_toItEEEEPmJSH_EEE10hipError_tPvRmT3_T4_T5_T6_T7_T9_mT8_P12ihipStream_tbDpT10_ENKUlT_T0_E_clISt17integral_constantIbLb1EES19_IbLb0EEEEDaS15_S16_EUlS15_E_NS1_11comp_targetILNS1_3genE3ELNS1_11target_archE908ELNS1_3gpuE7ELNS1_3repE0EEENS1_30default_config_static_selectorELNS0_4arch9wavefront6targetE0EEEvT1_
	.globl	_ZN7rocprim17ROCPRIM_400000_NS6detail17trampoline_kernelINS0_14default_configENS1_25partition_config_selectorILNS1_17partition_subalgoE9EtjbEEZZNS1_14partition_implILS5_9ELb0ES3_jN6thrust23THRUST_200600_302600_NS6detail15normal_iteratorINS9_10device_ptrItEEEENSB_INSC_IjEEEEPNS0_10empty_typeENS0_5tupleIJSE_SH_EEENSJ_IJSG_SI_EEENS0_18inequality_wrapperINS9_8equal_toItEEEEPmJSH_EEE10hipError_tPvRmT3_T4_T5_T6_T7_T9_mT8_P12ihipStream_tbDpT10_ENKUlT_T0_E_clISt17integral_constantIbLb1EES19_IbLb0EEEEDaS15_S16_EUlS15_E_NS1_11comp_targetILNS1_3genE3ELNS1_11target_archE908ELNS1_3gpuE7ELNS1_3repE0EEENS1_30default_config_static_selectorELNS0_4arch9wavefront6targetE0EEEvT1_
	.p2align	8
	.type	_ZN7rocprim17ROCPRIM_400000_NS6detail17trampoline_kernelINS0_14default_configENS1_25partition_config_selectorILNS1_17partition_subalgoE9EtjbEEZZNS1_14partition_implILS5_9ELb0ES3_jN6thrust23THRUST_200600_302600_NS6detail15normal_iteratorINS9_10device_ptrItEEEENSB_INSC_IjEEEEPNS0_10empty_typeENS0_5tupleIJSE_SH_EEENSJ_IJSG_SI_EEENS0_18inequality_wrapperINS9_8equal_toItEEEEPmJSH_EEE10hipError_tPvRmT3_T4_T5_T6_T7_T9_mT8_P12ihipStream_tbDpT10_ENKUlT_T0_E_clISt17integral_constantIbLb1EES19_IbLb0EEEEDaS15_S16_EUlS15_E_NS1_11comp_targetILNS1_3genE3ELNS1_11target_archE908ELNS1_3gpuE7ELNS1_3repE0EEENS1_30default_config_static_selectorELNS0_4arch9wavefront6targetE0EEEvT1_,@function
_ZN7rocprim17ROCPRIM_400000_NS6detail17trampoline_kernelINS0_14default_configENS1_25partition_config_selectorILNS1_17partition_subalgoE9EtjbEEZZNS1_14partition_implILS5_9ELb0ES3_jN6thrust23THRUST_200600_302600_NS6detail15normal_iteratorINS9_10device_ptrItEEEENSB_INSC_IjEEEEPNS0_10empty_typeENS0_5tupleIJSE_SH_EEENSJ_IJSG_SI_EEENS0_18inequality_wrapperINS9_8equal_toItEEEEPmJSH_EEE10hipError_tPvRmT3_T4_T5_T6_T7_T9_mT8_P12ihipStream_tbDpT10_ENKUlT_T0_E_clISt17integral_constantIbLb1EES19_IbLb0EEEEDaS15_S16_EUlS15_E_NS1_11comp_targetILNS1_3genE3ELNS1_11target_archE908ELNS1_3gpuE7ELNS1_3repE0EEENS1_30default_config_static_selectorELNS0_4arch9wavefront6targetE0EEEvT1_: ; @_ZN7rocprim17ROCPRIM_400000_NS6detail17trampoline_kernelINS0_14default_configENS1_25partition_config_selectorILNS1_17partition_subalgoE9EtjbEEZZNS1_14partition_implILS5_9ELb0ES3_jN6thrust23THRUST_200600_302600_NS6detail15normal_iteratorINS9_10device_ptrItEEEENSB_INSC_IjEEEEPNS0_10empty_typeENS0_5tupleIJSE_SH_EEENSJ_IJSG_SI_EEENS0_18inequality_wrapperINS9_8equal_toItEEEEPmJSH_EEE10hipError_tPvRmT3_T4_T5_T6_T7_T9_mT8_P12ihipStream_tbDpT10_ENKUlT_T0_E_clISt17integral_constantIbLb1EES19_IbLb0EEEEDaS15_S16_EUlS15_E_NS1_11comp_targetILNS1_3genE3ELNS1_11target_archE908ELNS1_3gpuE7ELNS1_3repE0EEENS1_30default_config_static_selectorELNS0_4arch9wavefront6targetE0EEEvT1_
; %bb.0:
	.section	.rodata,"a",@progbits
	.p2align	6, 0x0
	.amdhsa_kernel _ZN7rocprim17ROCPRIM_400000_NS6detail17trampoline_kernelINS0_14default_configENS1_25partition_config_selectorILNS1_17partition_subalgoE9EtjbEEZZNS1_14partition_implILS5_9ELb0ES3_jN6thrust23THRUST_200600_302600_NS6detail15normal_iteratorINS9_10device_ptrItEEEENSB_INSC_IjEEEEPNS0_10empty_typeENS0_5tupleIJSE_SH_EEENSJ_IJSG_SI_EEENS0_18inequality_wrapperINS9_8equal_toItEEEEPmJSH_EEE10hipError_tPvRmT3_T4_T5_T6_T7_T9_mT8_P12ihipStream_tbDpT10_ENKUlT_T0_E_clISt17integral_constantIbLb1EES19_IbLb0EEEEDaS15_S16_EUlS15_E_NS1_11comp_targetILNS1_3genE3ELNS1_11target_archE908ELNS1_3gpuE7ELNS1_3repE0EEENS1_30default_config_static_selectorELNS0_4arch9wavefront6targetE0EEEvT1_
		.amdhsa_group_segment_fixed_size 0
		.amdhsa_private_segment_fixed_size 0
		.amdhsa_kernarg_size 112
		.amdhsa_user_sgpr_count 15
		.amdhsa_user_sgpr_dispatch_ptr 0
		.amdhsa_user_sgpr_queue_ptr 0
		.amdhsa_user_sgpr_kernarg_segment_ptr 1
		.amdhsa_user_sgpr_dispatch_id 0
		.amdhsa_user_sgpr_private_segment_size 0
		.amdhsa_wavefront_size32 1
		.amdhsa_uses_dynamic_stack 0
		.amdhsa_enable_private_segment 0
		.amdhsa_system_sgpr_workgroup_id_x 1
		.amdhsa_system_sgpr_workgroup_id_y 0
		.amdhsa_system_sgpr_workgroup_id_z 0
		.amdhsa_system_sgpr_workgroup_info 0
		.amdhsa_system_vgpr_workitem_id 0
		.amdhsa_next_free_vgpr 1
		.amdhsa_next_free_sgpr 1
		.amdhsa_reserve_vcc 0
		.amdhsa_float_round_mode_32 0
		.amdhsa_float_round_mode_16_64 0
		.amdhsa_float_denorm_mode_32 3
		.amdhsa_float_denorm_mode_16_64 3
		.amdhsa_dx10_clamp 1
		.amdhsa_ieee_mode 1
		.amdhsa_fp16_overflow 0
		.amdhsa_workgroup_processor_mode 1
		.amdhsa_memory_ordered 1
		.amdhsa_forward_progress 0
		.amdhsa_shared_vgpr_count 0
		.amdhsa_exception_fp_ieee_invalid_op 0
		.amdhsa_exception_fp_denorm_src 0
		.amdhsa_exception_fp_ieee_div_zero 0
		.amdhsa_exception_fp_ieee_overflow 0
		.amdhsa_exception_fp_ieee_underflow 0
		.amdhsa_exception_fp_ieee_inexact 0
		.amdhsa_exception_int_div_zero 0
	.end_amdhsa_kernel
	.section	.text._ZN7rocprim17ROCPRIM_400000_NS6detail17trampoline_kernelINS0_14default_configENS1_25partition_config_selectorILNS1_17partition_subalgoE9EtjbEEZZNS1_14partition_implILS5_9ELb0ES3_jN6thrust23THRUST_200600_302600_NS6detail15normal_iteratorINS9_10device_ptrItEEEENSB_INSC_IjEEEEPNS0_10empty_typeENS0_5tupleIJSE_SH_EEENSJ_IJSG_SI_EEENS0_18inequality_wrapperINS9_8equal_toItEEEEPmJSH_EEE10hipError_tPvRmT3_T4_T5_T6_T7_T9_mT8_P12ihipStream_tbDpT10_ENKUlT_T0_E_clISt17integral_constantIbLb1EES19_IbLb0EEEEDaS15_S16_EUlS15_E_NS1_11comp_targetILNS1_3genE3ELNS1_11target_archE908ELNS1_3gpuE7ELNS1_3repE0EEENS1_30default_config_static_selectorELNS0_4arch9wavefront6targetE0EEEvT1_,"axG",@progbits,_ZN7rocprim17ROCPRIM_400000_NS6detail17trampoline_kernelINS0_14default_configENS1_25partition_config_selectorILNS1_17partition_subalgoE9EtjbEEZZNS1_14partition_implILS5_9ELb0ES3_jN6thrust23THRUST_200600_302600_NS6detail15normal_iteratorINS9_10device_ptrItEEEENSB_INSC_IjEEEEPNS0_10empty_typeENS0_5tupleIJSE_SH_EEENSJ_IJSG_SI_EEENS0_18inequality_wrapperINS9_8equal_toItEEEEPmJSH_EEE10hipError_tPvRmT3_T4_T5_T6_T7_T9_mT8_P12ihipStream_tbDpT10_ENKUlT_T0_E_clISt17integral_constantIbLb1EES19_IbLb0EEEEDaS15_S16_EUlS15_E_NS1_11comp_targetILNS1_3genE3ELNS1_11target_archE908ELNS1_3gpuE7ELNS1_3repE0EEENS1_30default_config_static_selectorELNS0_4arch9wavefront6targetE0EEEvT1_,comdat
.Lfunc_end584:
	.size	_ZN7rocprim17ROCPRIM_400000_NS6detail17trampoline_kernelINS0_14default_configENS1_25partition_config_selectorILNS1_17partition_subalgoE9EtjbEEZZNS1_14partition_implILS5_9ELb0ES3_jN6thrust23THRUST_200600_302600_NS6detail15normal_iteratorINS9_10device_ptrItEEEENSB_INSC_IjEEEEPNS0_10empty_typeENS0_5tupleIJSE_SH_EEENSJ_IJSG_SI_EEENS0_18inequality_wrapperINS9_8equal_toItEEEEPmJSH_EEE10hipError_tPvRmT3_T4_T5_T6_T7_T9_mT8_P12ihipStream_tbDpT10_ENKUlT_T0_E_clISt17integral_constantIbLb1EES19_IbLb0EEEEDaS15_S16_EUlS15_E_NS1_11comp_targetILNS1_3genE3ELNS1_11target_archE908ELNS1_3gpuE7ELNS1_3repE0EEENS1_30default_config_static_selectorELNS0_4arch9wavefront6targetE0EEEvT1_, .Lfunc_end584-_ZN7rocprim17ROCPRIM_400000_NS6detail17trampoline_kernelINS0_14default_configENS1_25partition_config_selectorILNS1_17partition_subalgoE9EtjbEEZZNS1_14partition_implILS5_9ELb0ES3_jN6thrust23THRUST_200600_302600_NS6detail15normal_iteratorINS9_10device_ptrItEEEENSB_INSC_IjEEEEPNS0_10empty_typeENS0_5tupleIJSE_SH_EEENSJ_IJSG_SI_EEENS0_18inequality_wrapperINS9_8equal_toItEEEEPmJSH_EEE10hipError_tPvRmT3_T4_T5_T6_T7_T9_mT8_P12ihipStream_tbDpT10_ENKUlT_T0_E_clISt17integral_constantIbLb1EES19_IbLb0EEEEDaS15_S16_EUlS15_E_NS1_11comp_targetILNS1_3genE3ELNS1_11target_archE908ELNS1_3gpuE7ELNS1_3repE0EEENS1_30default_config_static_selectorELNS0_4arch9wavefront6targetE0EEEvT1_
                                        ; -- End function
	.section	.AMDGPU.csdata,"",@progbits
; Kernel info:
; codeLenInByte = 0
; NumSgprs: 0
; NumVgprs: 0
; ScratchSize: 0
; MemoryBound: 0
; FloatMode: 240
; IeeeMode: 1
; LDSByteSize: 0 bytes/workgroup (compile time only)
; SGPRBlocks: 0
; VGPRBlocks: 0
; NumSGPRsForWavesPerEU: 1
; NumVGPRsForWavesPerEU: 1
; Occupancy: 16
; WaveLimiterHint : 0
; COMPUTE_PGM_RSRC2:SCRATCH_EN: 0
; COMPUTE_PGM_RSRC2:USER_SGPR: 15
; COMPUTE_PGM_RSRC2:TRAP_HANDLER: 0
; COMPUTE_PGM_RSRC2:TGID_X_EN: 1
; COMPUTE_PGM_RSRC2:TGID_Y_EN: 0
; COMPUTE_PGM_RSRC2:TGID_Z_EN: 0
; COMPUTE_PGM_RSRC2:TIDIG_COMP_CNT: 0
	.section	.text._ZN7rocprim17ROCPRIM_400000_NS6detail17trampoline_kernelINS0_14default_configENS1_25partition_config_selectorILNS1_17partition_subalgoE9EtjbEEZZNS1_14partition_implILS5_9ELb0ES3_jN6thrust23THRUST_200600_302600_NS6detail15normal_iteratorINS9_10device_ptrItEEEENSB_INSC_IjEEEEPNS0_10empty_typeENS0_5tupleIJSE_SH_EEENSJ_IJSG_SI_EEENS0_18inequality_wrapperINS9_8equal_toItEEEEPmJSH_EEE10hipError_tPvRmT3_T4_T5_T6_T7_T9_mT8_P12ihipStream_tbDpT10_ENKUlT_T0_E_clISt17integral_constantIbLb1EES19_IbLb0EEEEDaS15_S16_EUlS15_E_NS1_11comp_targetILNS1_3genE2ELNS1_11target_archE906ELNS1_3gpuE6ELNS1_3repE0EEENS1_30default_config_static_selectorELNS0_4arch9wavefront6targetE0EEEvT1_,"axG",@progbits,_ZN7rocprim17ROCPRIM_400000_NS6detail17trampoline_kernelINS0_14default_configENS1_25partition_config_selectorILNS1_17partition_subalgoE9EtjbEEZZNS1_14partition_implILS5_9ELb0ES3_jN6thrust23THRUST_200600_302600_NS6detail15normal_iteratorINS9_10device_ptrItEEEENSB_INSC_IjEEEEPNS0_10empty_typeENS0_5tupleIJSE_SH_EEENSJ_IJSG_SI_EEENS0_18inequality_wrapperINS9_8equal_toItEEEEPmJSH_EEE10hipError_tPvRmT3_T4_T5_T6_T7_T9_mT8_P12ihipStream_tbDpT10_ENKUlT_T0_E_clISt17integral_constantIbLb1EES19_IbLb0EEEEDaS15_S16_EUlS15_E_NS1_11comp_targetILNS1_3genE2ELNS1_11target_archE906ELNS1_3gpuE6ELNS1_3repE0EEENS1_30default_config_static_selectorELNS0_4arch9wavefront6targetE0EEEvT1_,comdat
	.protected	_ZN7rocprim17ROCPRIM_400000_NS6detail17trampoline_kernelINS0_14default_configENS1_25partition_config_selectorILNS1_17partition_subalgoE9EtjbEEZZNS1_14partition_implILS5_9ELb0ES3_jN6thrust23THRUST_200600_302600_NS6detail15normal_iteratorINS9_10device_ptrItEEEENSB_INSC_IjEEEEPNS0_10empty_typeENS0_5tupleIJSE_SH_EEENSJ_IJSG_SI_EEENS0_18inequality_wrapperINS9_8equal_toItEEEEPmJSH_EEE10hipError_tPvRmT3_T4_T5_T6_T7_T9_mT8_P12ihipStream_tbDpT10_ENKUlT_T0_E_clISt17integral_constantIbLb1EES19_IbLb0EEEEDaS15_S16_EUlS15_E_NS1_11comp_targetILNS1_3genE2ELNS1_11target_archE906ELNS1_3gpuE6ELNS1_3repE0EEENS1_30default_config_static_selectorELNS0_4arch9wavefront6targetE0EEEvT1_ ; -- Begin function _ZN7rocprim17ROCPRIM_400000_NS6detail17trampoline_kernelINS0_14default_configENS1_25partition_config_selectorILNS1_17partition_subalgoE9EtjbEEZZNS1_14partition_implILS5_9ELb0ES3_jN6thrust23THRUST_200600_302600_NS6detail15normal_iteratorINS9_10device_ptrItEEEENSB_INSC_IjEEEEPNS0_10empty_typeENS0_5tupleIJSE_SH_EEENSJ_IJSG_SI_EEENS0_18inequality_wrapperINS9_8equal_toItEEEEPmJSH_EEE10hipError_tPvRmT3_T4_T5_T6_T7_T9_mT8_P12ihipStream_tbDpT10_ENKUlT_T0_E_clISt17integral_constantIbLb1EES19_IbLb0EEEEDaS15_S16_EUlS15_E_NS1_11comp_targetILNS1_3genE2ELNS1_11target_archE906ELNS1_3gpuE6ELNS1_3repE0EEENS1_30default_config_static_selectorELNS0_4arch9wavefront6targetE0EEEvT1_
	.globl	_ZN7rocprim17ROCPRIM_400000_NS6detail17trampoline_kernelINS0_14default_configENS1_25partition_config_selectorILNS1_17partition_subalgoE9EtjbEEZZNS1_14partition_implILS5_9ELb0ES3_jN6thrust23THRUST_200600_302600_NS6detail15normal_iteratorINS9_10device_ptrItEEEENSB_INSC_IjEEEEPNS0_10empty_typeENS0_5tupleIJSE_SH_EEENSJ_IJSG_SI_EEENS0_18inequality_wrapperINS9_8equal_toItEEEEPmJSH_EEE10hipError_tPvRmT3_T4_T5_T6_T7_T9_mT8_P12ihipStream_tbDpT10_ENKUlT_T0_E_clISt17integral_constantIbLb1EES19_IbLb0EEEEDaS15_S16_EUlS15_E_NS1_11comp_targetILNS1_3genE2ELNS1_11target_archE906ELNS1_3gpuE6ELNS1_3repE0EEENS1_30default_config_static_selectorELNS0_4arch9wavefront6targetE0EEEvT1_
	.p2align	8
	.type	_ZN7rocprim17ROCPRIM_400000_NS6detail17trampoline_kernelINS0_14default_configENS1_25partition_config_selectorILNS1_17partition_subalgoE9EtjbEEZZNS1_14partition_implILS5_9ELb0ES3_jN6thrust23THRUST_200600_302600_NS6detail15normal_iteratorINS9_10device_ptrItEEEENSB_INSC_IjEEEEPNS0_10empty_typeENS0_5tupleIJSE_SH_EEENSJ_IJSG_SI_EEENS0_18inequality_wrapperINS9_8equal_toItEEEEPmJSH_EEE10hipError_tPvRmT3_T4_T5_T6_T7_T9_mT8_P12ihipStream_tbDpT10_ENKUlT_T0_E_clISt17integral_constantIbLb1EES19_IbLb0EEEEDaS15_S16_EUlS15_E_NS1_11comp_targetILNS1_3genE2ELNS1_11target_archE906ELNS1_3gpuE6ELNS1_3repE0EEENS1_30default_config_static_selectorELNS0_4arch9wavefront6targetE0EEEvT1_,@function
_ZN7rocprim17ROCPRIM_400000_NS6detail17trampoline_kernelINS0_14default_configENS1_25partition_config_selectorILNS1_17partition_subalgoE9EtjbEEZZNS1_14partition_implILS5_9ELb0ES3_jN6thrust23THRUST_200600_302600_NS6detail15normal_iteratorINS9_10device_ptrItEEEENSB_INSC_IjEEEEPNS0_10empty_typeENS0_5tupleIJSE_SH_EEENSJ_IJSG_SI_EEENS0_18inequality_wrapperINS9_8equal_toItEEEEPmJSH_EEE10hipError_tPvRmT3_T4_T5_T6_T7_T9_mT8_P12ihipStream_tbDpT10_ENKUlT_T0_E_clISt17integral_constantIbLb1EES19_IbLb0EEEEDaS15_S16_EUlS15_E_NS1_11comp_targetILNS1_3genE2ELNS1_11target_archE906ELNS1_3gpuE6ELNS1_3repE0EEENS1_30default_config_static_selectorELNS0_4arch9wavefront6targetE0EEEvT1_: ; @_ZN7rocprim17ROCPRIM_400000_NS6detail17trampoline_kernelINS0_14default_configENS1_25partition_config_selectorILNS1_17partition_subalgoE9EtjbEEZZNS1_14partition_implILS5_9ELb0ES3_jN6thrust23THRUST_200600_302600_NS6detail15normal_iteratorINS9_10device_ptrItEEEENSB_INSC_IjEEEEPNS0_10empty_typeENS0_5tupleIJSE_SH_EEENSJ_IJSG_SI_EEENS0_18inequality_wrapperINS9_8equal_toItEEEEPmJSH_EEE10hipError_tPvRmT3_T4_T5_T6_T7_T9_mT8_P12ihipStream_tbDpT10_ENKUlT_T0_E_clISt17integral_constantIbLb1EES19_IbLb0EEEEDaS15_S16_EUlS15_E_NS1_11comp_targetILNS1_3genE2ELNS1_11target_archE906ELNS1_3gpuE6ELNS1_3repE0EEENS1_30default_config_static_selectorELNS0_4arch9wavefront6targetE0EEEvT1_
; %bb.0:
	.section	.rodata,"a",@progbits
	.p2align	6, 0x0
	.amdhsa_kernel _ZN7rocprim17ROCPRIM_400000_NS6detail17trampoline_kernelINS0_14default_configENS1_25partition_config_selectorILNS1_17partition_subalgoE9EtjbEEZZNS1_14partition_implILS5_9ELb0ES3_jN6thrust23THRUST_200600_302600_NS6detail15normal_iteratorINS9_10device_ptrItEEEENSB_INSC_IjEEEEPNS0_10empty_typeENS0_5tupleIJSE_SH_EEENSJ_IJSG_SI_EEENS0_18inequality_wrapperINS9_8equal_toItEEEEPmJSH_EEE10hipError_tPvRmT3_T4_T5_T6_T7_T9_mT8_P12ihipStream_tbDpT10_ENKUlT_T0_E_clISt17integral_constantIbLb1EES19_IbLb0EEEEDaS15_S16_EUlS15_E_NS1_11comp_targetILNS1_3genE2ELNS1_11target_archE906ELNS1_3gpuE6ELNS1_3repE0EEENS1_30default_config_static_selectorELNS0_4arch9wavefront6targetE0EEEvT1_
		.amdhsa_group_segment_fixed_size 0
		.amdhsa_private_segment_fixed_size 0
		.amdhsa_kernarg_size 112
		.amdhsa_user_sgpr_count 15
		.amdhsa_user_sgpr_dispatch_ptr 0
		.amdhsa_user_sgpr_queue_ptr 0
		.amdhsa_user_sgpr_kernarg_segment_ptr 1
		.amdhsa_user_sgpr_dispatch_id 0
		.amdhsa_user_sgpr_private_segment_size 0
		.amdhsa_wavefront_size32 1
		.amdhsa_uses_dynamic_stack 0
		.amdhsa_enable_private_segment 0
		.amdhsa_system_sgpr_workgroup_id_x 1
		.amdhsa_system_sgpr_workgroup_id_y 0
		.amdhsa_system_sgpr_workgroup_id_z 0
		.amdhsa_system_sgpr_workgroup_info 0
		.amdhsa_system_vgpr_workitem_id 0
		.amdhsa_next_free_vgpr 1
		.amdhsa_next_free_sgpr 1
		.amdhsa_reserve_vcc 0
		.amdhsa_float_round_mode_32 0
		.amdhsa_float_round_mode_16_64 0
		.amdhsa_float_denorm_mode_32 3
		.amdhsa_float_denorm_mode_16_64 3
		.amdhsa_dx10_clamp 1
		.amdhsa_ieee_mode 1
		.amdhsa_fp16_overflow 0
		.amdhsa_workgroup_processor_mode 1
		.amdhsa_memory_ordered 1
		.amdhsa_forward_progress 0
		.amdhsa_shared_vgpr_count 0
		.amdhsa_exception_fp_ieee_invalid_op 0
		.amdhsa_exception_fp_denorm_src 0
		.amdhsa_exception_fp_ieee_div_zero 0
		.amdhsa_exception_fp_ieee_overflow 0
		.amdhsa_exception_fp_ieee_underflow 0
		.amdhsa_exception_fp_ieee_inexact 0
		.amdhsa_exception_int_div_zero 0
	.end_amdhsa_kernel
	.section	.text._ZN7rocprim17ROCPRIM_400000_NS6detail17trampoline_kernelINS0_14default_configENS1_25partition_config_selectorILNS1_17partition_subalgoE9EtjbEEZZNS1_14partition_implILS5_9ELb0ES3_jN6thrust23THRUST_200600_302600_NS6detail15normal_iteratorINS9_10device_ptrItEEEENSB_INSC_IjEEEEPNS0_10empty_typeENS0_5tupleIJSE_SH_EEENSJ_IJSG_SI_EEENS0_18inequality_wrapperINS9_8equal_toItEEEEPmJSH_EEE10hipError_tPvRmT3_T4_T5_T6_T7_T9_mT8_P12ihipStream_tbDpT10_ENKUlT_T0_E_clISt17integral_constantIbLb1EES19_IbLb0EEEEDaS15_S16_EUlS15_E_NS1_11comp_targetILNS1_3genE2ELNS1_11target_archE906ELNS1_3gpuE6ELNS1_3repE0EEENS1_30default_config_static_selectorELNS0_4arch9wavefront6targetE0EEEvT1_,"axG",@progbits,_ZN7rocprim17ROCPRIM_400000_NS6detail17trampoline_kernelINS0_14default_configENS1_25partition_config_selectorILNS1_17partition_subalgoE9EtjbEEZZNS1_14partition_implILS5_9ELb0ES3_jN6thrust23THRUST_200600_302600_NS6detail15normal_iteratorINS9_10device_ptrItEEEENSB_INSC_IjEEEEPNS0_10empty_typeENS0_5tupleIJSE_SH_EEENSJ_IJSG_SI_EEENS0_18inequality_wrapperINS9_8equal_toItEEEEPmJSH_EEE10hipError_tPvRmT3_T4_T5_T6_T7_T9_mT8_P12ihipStream_tbDpT10_ENKUlT_T0_E_clISt17integral_constantIbLb1EES19_IbLb0EEEEDaS15_S16_EUlS15_E_NS1_11comp_targetILNS1_3genE2ELNS1_11target_archE906ELNS1_3gpuE6ELNS1_3repE0EEENS1_30default_config_static_selectorELNS0_4arch9wavefront6targetE0EEEvT1_,comdat
.Lfunc_end585:
	.size	_ZN7rocprim17ROCPRIM_400000_NS6detail17trampoline_kernelINS0_14default_configENS1_25partition_config_selectorILNS1_17partition_subalgoE9EtjbEEZZNS1_14partition_implILS5_9ELb0ES3_jN6thrust23THRUST_200600_302600_NS6detail15normal_iteratorINS9_10device_ptrItEEEENSB_INSC_IjEEEEPNS0_10empty_typeENS0_5tupleIJSE_SH_EEENSJ_IJSG_SI_EEENS0_18inequality_wrapperINS9_8equal_toItEEEEPmJSH_EEE10hipError_tPvRmT3_T4_T5_T6_T7_T9_mT8_P12ihipStream_tbDpT10_ENKUlT_T0_E_clISt17integral_constantIbLb1EES19_IbLb0EEEEDaS15_S16_EUlS15_E_NS1_11comp_targetILNS1_3genE2ELNS1_11target_archE906ELNS1_3gpuE6ELNS1_3repE0EEENS1_30default_config_static_selectorELNS0_4arch9wavefront6targetE0EEEvT1_, .Lfunc_end585-_ZN7rocprim17ROCPRIM_400000_NS6detail17trampoline_kernelINS0_14default_configENS1_25partition_config_selectorILNS1_17partition_subalgoE9EtjbEEZZNS1_14partition_implILS5_9ELb0ES3_jN6thrust23THRUST_200600_302600_NS6detail15normal_iteratorINS9_10device_ptrItEEEENSB_INSC_IjEEEEPNS0_10empty_typeENS0_5tupleIJSE_SH_EEENSJ_IJSG_SI_EEENS0_18inequality_wrapperINS9_8equal_toItEEEEPmJSH_EEE10hipError_tPvRmT3_T4_T5_T6_T7_T9_mT8_P12ihipStream_tbDpT10_ENKUlT_T0_E_clISt17integral_constantIbLb1EES19_IbLb0EEEEDaS15_S16_EUlS15_E_NS1_11comp_targetILNS1_3genE2ELNS1_11target_archE906ELNS1_3gpuE6ELNS1_3repE0EEENS1_30default_config_static_selectorELNS0_4arch9wavefront6targetE0EEEvT1_
                                        ; -- End function
	.section	.AMDGPU.csdata,"",@progbits
; Kernel info:
; codeLenInByte = 0
; NumSgprs: 0
; NumVgprs: 0
; ScratchSize: 0
; MemoryBound: 0
; FloatMode: 240
; IeeeMode: 1
; LDSByteSize: 0 bytes/workgroup (compile time only)
; SGPRBlocks: 0
; VGPRBlocks: 0
; NumSGPRsForWavesPerEU: 1
; NumVGPRsForWavesPerEU: 1
; Occupancy: 16
; WaveLimiterHint : 0
; COMPUTE_PGM_RSRC2:SCRATCH_EN: 0
; COMPUTE_PGM_RSRC2:USER_SGPR: 15
; COMPUTE_PGM_RSRC2:TRAP_HANDLER: 0
; COMPUTE_PGM_RSRC2:TGID_X_EN: 1
; COMPUTE_PGM_RSRC2:TGID_Y_EN: 0
; COMPUTE_PGM_RSRC2:TGID_Z_EN: 0
; COMPUTE_PGM_RSRC2:TIDIG_COMP_CNT: 0
	.section	.text._ZN7rocprim17ROCPRIM_400000_NS6detail17trampoline_kernelINS0_14default_configENS1_25partition_config_selectorILNS1_17partition_subalgoE9EtjbEEZZNS1_14partition_implILS5_9ELb0ES3_jN6thrust23THRUST_200600_302600_NS6detail15normal_iteratorINS9_10device_ptrItEEEENSB_INSC_IjEEEEPNS0_10empty_typeENS0_5tupleIJSE_SH_EEENSJ_IJSG_SI_EEENS0_18inequality_wrapperINS9_8equal_toItEEEEPmJSH_EEE10hipError_tPvRmT3_T4_T5_T6_T7_T9_mT8_P12ihipStream_tbDpT10_ENKUlT_T0_E_clISt17integral_constantIbLb1EES19_IbLb0EEEEDaS15_S16_EUlS15_E_NS1_11comp_targetILNS1_3genE10ELNS1_11target_archE1200ELNS1_3gpuE4ELNS1_3repE0EEENS1_30default_config_static_selectorELNS0_4arch9wavefront6targetE0EEEvT1_,"axG",@progbits,_ZN7rocprim17ROCPRIM_400000_NS6detail17trampoline_kernelINS0_14default_configENS1_25partition_config_selectorILNS1_17partition_subalgoE9EtjbEEZZNS1_14partition_implILS5_9ELb0ES3_jN6thrust23THRUST_200600_302600_NS6detail15normal_iteratorINS9_10device_ptrItEEEENSB_INSC_IjEEEEPNS0_10empty_typeENS0_5tupleIJSE_SH_EEENSJ_IJSG_SI_EEENS0_18inequality_wrapperINS9_8equal_toItEEEEPmJSH_EEE10hipError_tPvRmT3_T4_T5_T6_T7_T9_mT8_P12ihipStream_tbDpT10_ENKUlT_T0_E_clISt17integral_constantIbLb1EES19_IbLb0EEEEDaS15_S16_EUlS15_E_NS1_11comp_targetILNS1_3genE10ELNS1_11target_archE1200ELNS1_3gpuE4ELNS1_3repE0EEENS1_30default_config_static_selectorELNS0_4arch9wavefront6targetE0EEEvT1_,comdat
	.protected	_ZN7rocprim17ROCPRIM_400000_NS6detail17trampoline_kernelINS0_14default_configENS1_25partition_config_selectorILNS1_17partition_subalgoE9EtjbEEZZNS1_14partition_implILS5_9ELb0ES3_jN6thrust23THRUST_200600_302600_NS6detail15normal_iteratorINS9_10device_ptrItEEEENSB_INSC_IjEEEEPNS0_10empty_typeENS0_5tupleIJSE_SH_EEENSJ_IJSG_SI_EEENS0_18inequality_wrapperINS9_8equal_toItEEEEPmJSH_EEE10hipError_tPvRmT3_T4_T5_T6_T7_T9_mT8_P12ihipStream_tbDpT10_ENKUlT_T0_E_clISt17integral_constantIbLb1EES19_IbLb0EEEEDaS15_S16_EUlS15_E_NS1_11comp_targetILNS1_3genE10ELNS1_11target_archE1200ELNS1_3gpuE4ELNS1_3repE0EEENS1_30default_config_static_selectorELNS0_4arch9wavefront6targetE0EEEvT1_ ; -- Begin function _ZN7rocprim17ROCPRIM_400000_NS6detail17trampoline_kernelINS0_14default_configENS1_25partition_config_selectorILNS1_17partition_subalgoE9EtjbEEZZNS1_14partition_implILS5_9ELb0ES3_jN6thrust23THRUST_200600_302600_NS6detail15normal_iteratorINS9_10device_ptrItEEEENSB_INSC_IjEEEEPNS0_10empty_typeENS0_5tupleIJSE_SH_EEENSJ_IJSG_SI_EEENS0_18inequality_wrapperINS9_8equal_toItEEEEPmJSH_EEE10hipError_tPvRmT3_T4_T5_T6_T7_T9_mT8_P12ihipStream_tbDpT10_ENKUlT_T0_E_clISt17integral_constantIbLb1EES19_IbLb0EEEEDaS15_S16_EUlS15_E_NS1_11comp_targetILNS1_3genE10ELNS1_11target_archE1200ELNS1_3gpuE4ELNS1_3repE0EEENS1_30default_config_static_selectorELNS0_4arch9wavefront6targetE0EEEvT1_
	.globl	_ZN7rocprim17ROCPRIM_400000_NS6detail17trampoline_kernelINS0_14default_configENS1_25partition_config_selectorILNS1_17partition_subalgoE9EtjbEEZZNS1_14partition_implILS5_9ELb0ES3_jN6thrust23THRUST_200600_302600_NS6detail15normal_iteratorINS9_10device_ptrItEEEENSB_INSC_IjEEEEPNS0_10empty_typeENS0_5tupleIJSE_SH_EEENSJ_IJSG_SI_EEENS0_18inequality_wrapperINS9_8equal_toItEEEEPmJSH_EEE10hipError_tPvRmT3_T4_T5_T6_T7_T9_mT8_P12ihipStream_tbDpT10_ENKUlT_T0_E_clISt17integral_constantIbLb1EES19_IbLb0EEEEDaS15_S16_EUlS15_E_NS1_11comp_targetILNS1_3genE10ELNS1_11target_archE1200ELNS1_3gpuE4ELNS1_3repE0EEENS1_30default_config_static_selectorELNS0_4arch9wavefront6targetE0EEEvT1_
	.p2align	8
	.type	_ZN7rocprim17ROCPRIM_400000_NS6detail17trampoline_kernelINS0_14default_configENS1_25partition_config_selectorILNS1_17partition_subalgoE9EtjbEEZZNS1_14partition_implILS5_9ELb0ES3_jN6thrust23THRUST_200600_302600_NS6detail15normal_iteratorINS9_10device_ptrItEEEENSB_INSC_IjEEEEPNS0_10empty_typeENS0_5tupleIJSE_SH_EEENSJ_IJSG_SI_EEENS0_18inequality_wrapperINS9_8equal_toItEEEEPmJSH_EEE10hipError_tPvRmT3_T4_T5_T6_T7_T9_mT8_P12ihipStream_tbDpT10_ENKUlT_T0_E_clISt17integral_constantIbLb1EES19_IbLb0EEEEDaS15_S16_EUlS15_E_NS1_11comp_targetILNS1_3genE10ELNS1_11target_archE1200ELNS1_3gpuE4ELNS1_3repE0EEENS1_30default_config_static_selectorELNS0_4arch9wavefront6targetE0EEEvT1_,@function
_ZN7rocprim17ROCPRIM_400000_NS6detail17trampoline_kernelINS0_14default_configENS1_25partition_config_selectorILNS1_17partition_subalgoE9EtjbEEZZNS1_14partition_implILS5_9ELb0ES3_jN6thrust23THRUST_200600_302600_NS6detail15normal_iteratorINS9_10device_ptrItEEEENSB_INSC_IjEEEEPNS0_10empty_typeENS0_5tupleIJSE_SH_EEENSJ_IJSG_SI_EEENS0_18inequality_wrapperINS9_8equal_toItEEEEPmJSH_EEE10hipError_tPvRmT3_T4_T5_T6_T7_T9_mT8_P12ihipStream_tbDpT10_ENKUlT_T0_E_clISt17integral_constantIbLb1EES19_IbLb0EEEEDaS15_S16_EUlS15_E_NS1_11comp_targetILNS1_3genE10ELNS1_11target_archE1200ELNS1_3gpuE4ELNS1_3repE0EEENS1_30default_config_static_selectorELNS0_4arch9wavefront6targetE0EEEvT1_: ; @_ZN7rocprim17ROCPRIM_400000_NS6detail17trampoline_kernelINS0_14default_configENS1_25partition_config_selectorILNS1_17partition_subalgoE9EtjbEEZZNS1_14partition_implILS5_9ELb0ES3_jN6thrust23THRUST_200600_302600_NS6detail15normal_iteratorINS9_10device_ptrItEEEENSB_INSC_IjEEEEPNS0_10empty_typeENS0_5tupleIJSE_SH_EEENSJ_IJSG_SI_EEENS0_18inequality_wrapperINS9_8equal_toItEEEEPmJSH_EEE10hipError_tPvRmT3_T4_T5_T6_T7_T9_mT8_P12ihipStream_tbDpT10_ENKUlT_T0_E_clISt17integral_constantIbLb1EES19_IbLb0EEEEDaS15_S16_EUlS15_E_NS1_11comp_targetILNS1_3genE10ELNS1_11target_archE1200ELNS1_3gpuE4ELNS1_3repE0EEENS1_30default_config_static_selectorELNS0_4arch9wavefront6targetE0EEEvT1_
; %bb.0:
	.section	.rodata,"a",@progbits
	.p2align	6, 0x0
	.amdhsa_kernel _ZN7rocprim17ROCPRIM_400000_NS6detail17trampoline_kernelINS0_14default_configENS1_25partition_config_selectorILNS1_17partition_subalgoE9EtjbEEZZNS1_14partition_implILS5_9ELb0ES3_jN6thrust23THRUST_200600_302600_NS6detail15normal_iteratorINS9_10device_ptrItEEEENSB_INSC_IjEEEEPNS0_10empty_typeENS0_5tupleIJSE_SH_EEENSJ_IJSG_SI_EEENS0_18inequality_wrapperINS9_8equal_toItEEEEPmJSH_EEE10hipError_tPvRmT3_T4_T5_T6_T7_T9_mT8_P12ihipStream_tbDpT10_ENKUlT_T0_E_clISt17integral_constantIbLb1EES19_IbLb0EEEEDaS15_S16_EUlS15_E_NS1_11comp_targetILNS1_3genE10ELNS1_11target_archE1200ELNS1_3gpuE4ELNS1_3repE0EEENS1_30default_config_static_selectorELNS0_4arch9wavefront6targetE0EEEvT1_
		.amdhsa_group_segment_fixed_size 0
		.amdhsa_private_segment_fixed_size 0
		.amdhsa_kernarg_size 112
		.amdhsa_user_sgpr_count 15
		.amdhsa_user_sgpr_dispatch_ptr 0
		.amdhsa_user_sgpr_queue_ptr 0
		.amdhsa_user_sgpr_kernarg_segment_ptr 1
		.amdhsa_user_sgpr_dispatch_id 0
		.amdhsa_user_sgpr_private_segment_size 0
		.amdhsa_wavefront_size32 1
		.amdhsa_uses_dynamic_stack 0
		.amdhsa_enable_private_segment 0
		.amdhsa_system_sgpr_workgroup_id_x 1
		.amdhsa_system_sgpr_workgroup_id_y 0
		.amdhsa_system_sgpr_workgroup_id_z 0
		.amdhsa_system_sgpr_workgroup_info 0
		.amdhsa_system_vgpr_workitem_id 0
		.amdhsa_next_free_vgpr 1
		.amdhsa_next_free_sgpr 1
		.amdhsa_reserve_vcc 0
		.amdhsa_float_round_mode_32 0
		.amdhsa_float_round_mode_16_64 0
		.amdhsa_float_denorm_mode_32 3
		.amdhsa_float_denorm_mode_16_64 3
		.amdhsa_dx10_clamp 1
		.amdhsa_ieee_mode 1
		.amdhsa_fp16_overflow 0
		.amdhsa_workgroup_processor_mode 1
		.amdhsa_memory_ordered 1
		.amdhsa_forward_progress 0
		.amdhsa_shared_vgpr_count 0
		.amdhsa_exception_fp_ieee_invalid_op 0
		.amdhsa_exception_fp_denorm_src 0
		.amdhsa_exception_fp_ieee_div_zero 0
		.amdhsa_exception_fp_ieee_overflow 0
		.amdhsa_exception_fp_ieee_underflow 0
		.amdhsa_exception_fp_ieee_inexact 0
		.amdhsa_exception_int_div_zero 0
	.end_amdhsa_kernel
	.section	.text._ZN7rocprim17ROCPRIM_400000_NS6detail17trampoline_kernelINS0_14default_configENS1_25partition_config_selectorILNS1_17partition_subalgoE9EtjbEEZZNS1_14partition_implILS5_9ELb0ES3_jN6thrust23THRUST_200600_302600_NS6detail15normal_iteratorINS9_10device_ptrItEEEENSB_INSC_IjEEEEPNS0_10empty_typeENS0_5tupleIJSE_SH_EEENSJ_IJSG_SI_EEENS0_18inequality_wrapperINS9_8equal_toItEEEEPmJSH_EEE10hipError_tPvRmT3_T4_T5_T6_T7_T9_mT8_P12ihipStream_tbDpT10_ENKUlT_T0_E_clISt17integral_constantIbLb1EES19_IbLb0EEEEDaS15_S16_EUlS15_E_NS1_11comp_targetILNS1_3genE10ELNS1_11target_archE1200ELNS1_3gpuE4ELNS1_3repE0EEENS1_30default_config_static_selectorELNS0_4arch9wavefront6targetE0EEEvT1_,"axG",@progbits,_ZN7rocprim17ROCPRIM_400000_NS6detail17trampoline_kernelINS0_14default_configENS1_25partition_config_selectorILNS1_17partition_subalgoE9EtjbEEZZNS1_14partition_implILS5_9ELb0ES3_jN6thrust23THRUST_200600_302600_NS6detail15normal_iteratorINS9_10device_ptrItEEEENSB_INSC_IjEEEEPNS0_10empty_typeENS0_5tupleIJSE_SH_EEENSJ_IJSG_SI_EEENS0_18inequality_wrapperINS9_8equal_toItEEEEPmJSH_EEE10hipError_tPvRmT3_T4_T5_T6_T7_T9_mT8_P12ihipStream_tbDpT10_ENKUlT_T0_E_clISt17integral_constantIbLb1EES19_IbLb0EEEEDaS15_S16_EUlS15_E_NS1_11comp_targetILNS1_3genE10ELNS1_11target_archE1200ELNS1_3gpuE4ELNS1_3repE0EEENS1_30default_config_static_selectorELNS0_4arch9wavefront6targetE0EEEvT1_,comdat
.Lfunc_end586:
	.size	_ZN7rocprim17ROCPRIM_400000_NS6detail17trampoline_kernelINS0_14default_configENS1_25partition_config_selectorILNS1_17partition_subalgoE9EtjbEEZZNS1_14partition_implILS5_9ELb0ES3_jN6thrust23THRUST_200600_302600_NS6detail15normal_iteratorINS9_10device_ptrItEEEENSB_INSC_IjEEEEPNS0_10empty_typeENS0_5tupleIJSE_SH_EEENSJ_IJSG_SI_EEENS0_18inequality_wrapperINS9_8equal_toItEEEEPmJSH_EEE10hipError_tPvRmT3_T4_T5_T6_T7_T9_mT8_P12ihipStream_tbDpT10_ENKUlT_T0_E_clISt17integral_constantIbLb1EES19_IbLb0EEEEDaS15_S16_EUlS15_E_NS1_11comp_targetILNS1_3genE10ELNS1_11target_archE1200ELNS1_3gpuE4ELNS1_3repE0EEENS1_30default_config_static_selectorELNS0_4arch9wavefront6targetE0EEEvT1_, .Lfunc_end586-_ZN7rocprim17ROCPRIM_400000_NS6detail17trampoline_kernelINS0_14default_configENS1_25partition_config_selectorILNS1_17partition_subalgoE9EtjbEEZZNS1_14partition_implILS5_9ELb0ES3_jN6thrust23THRUST_200600_302600_NS6detail15normal_iteratorINS9_10device_ptrItEEEENSB_INSC_IjEEEEPNS0_10empty_typeENS0_5tupleIJSE_SH_EEENSJ_IJSG_SI_EEENS0_18inequality_wrapperINS9_8equal_toItEEEEPmJSH_EEE10hipError_tPvRmT3_T4_T5_T6_T7_T9_mT8_P12ihipStream_tbDpT10_ENKUlT_T0_E_clISt17integral_constantIbLb1EES19_IbLb0EEEEDaS15_S16_EUlS15_E_NS1_11comp_targetILNS1_3genE10ELNS1_11target_archE1200ELNS1_3gpuE4ELNS1_3repE0EEENS1_30default_config_static_selectorELNS0_4arch9wavefront6targetE0EEEvT1_
                                        ; -- End function
	.section	.AMDGPU.csdata,"",@progbits
; Kernel info:
; codeLenInByte = 0
; NumSgprs: 0
; NumVgprs: 0
; ScratchSize: 0
; MemoryBound: 0
; FloatMode: 240
; IeeeMode: 1
; LDSByteSize: 0 bytes/workgroup (compile time only)
; SGPRBlocks: 0
; VGPRBlocks: 0
; NumSGPRsForWavesPerEU: 1
; NumVGPRsForWavesPerEU: 1
; Occupancy: 16
; WaveLimiterHint : 0
; COMPUTE_PGM_RSRC2:SCRATCH_EN: 0
; COMPUTE_PGM_RSRC2:USER_SGPR: 15
; COMPUTE_PGM_RSRC2:TRAP_HANDLER: 0
; COMPUTE_PGM_RSRC2:TGID_X_EN: 1
; COMPUTE_PGM_RSRC2:TGID_Y_EN: 0
; COMPUTE_PGM_RSRC2:TGID_Z_EN: 0
; COMPUTE_PGM_RSRC2:TIDIG_COMP_CNT: 0
	.section	.text._ZN7rocprim17ROCPRIM_400000_NS6detail17trampoline_kernelINS0_14default_configENS1_25partition_config_selectorILNS1_17partition_subalgoE9EtjbEEZZNS1_14partition_implILS5_9ELb0ES3_jN6thrust23THRUST_200600_302600_NS6detail15normal_iteratorINS9_10device_ptrItEEEENSB_INSC_IjEEEEPNS0_10empty_typeENS0_5tupleIJSE_SH_EEENSJ_IJSG_SI_EEENS0_18inequality_wrapperINS9_8equal_toItEEEEPmJSH_EEE10hipError_tPvRmT3_T4_T5_T6_T7_T9_mT8_P12ihipStream_tbDpT10_ENKUlT_T0_E_clISt17integral_constantIbLb1EES19_IbLb0EEEEDaS15_S16_EUlS15_E_NS1_11comp_targetILNS1_3genE9ELNS1_11target_archE1100ELNS1_3gpuE3ELNS1_3repE0EEENS1_30default_config_static_selectorELNS0_4arch9wavefront6targetE0EEEvT1_,"axG",@progbits,_ZN7rocprim17ROCPRIM_400000_NS6detail17trampoline_kernelINS0_14default_configENS1_25partition_config_selectorILNS1_17partition_subalgoE9EtjbEEZZNS1_14partition_implILS5_9ELb0ES3_jN6thrust23THRUST_200600_302600_NS6detail15normal_iteratorINS9_10device_ptrItEEEENSB_INSC_IjEEEEPNS0_10empty_typeENS0_5tupleIJSE_SH_EEENSJ_IJSG_SI_EEENS0_18inequality_wrapperINS9_8equal_toItEEEEPmJSH_EEE10hipError_tPvRmT3_T4_T5_T6_T7_T9_mT8_P12ihipStream_tbDpT10_ENKUlT_T0_E_clISt17integral_constantIbLb1EES19_IbLb0EEEEDaS15_S16_EUlS15_E_NS1_11comp_targetILNS1_3genE9ELNS1_11target_archE1100ELNS1_3gpuE3ELNS1_3repE0EEENS1_30default_config_static_selectorELNS0_4arch9wavefront6targetE0EEEvT1_,comdat
	.protected	_ZN7rocprim17ROCPRIM_400000_NS6detail17trampoline_kernelINS0_14default_configENS1_25partition_config_selectorILNS1_17partition_subalgoE9EtjbEEZZNS1_14partition_implILS5_9ELb0ES3_jN6thrust23THRUST_200600_302600_NS6detail15normal_iteratorINS9_10device_ptrItEEEENSB_INSC_IjEEEEPNS0_10empty_typeENS0_5tupleIJSE_SH_EEENSJ_IJSG_SI_EEENS0_18inequality_wrapperINS9_8equal_toItEEEEPmJSH_EEE10hipError_tPvRmT3_T4_T5_T6_T7_T9_mT8_P12ihipStream_tbDpT10_ENKUlT_T0_E_clISt17integral_constantIbLb1EES19_IbLb0EEEEDaS15_S16_EUlS15_E_NS1_11comp_targetILNS1_3genE9ELNS1_11target_archE1100ELNS1_3gpuE3ELNS1_3repE0EEENS1_30default_config_static_selectorELNS0_4arch9wavefront6targetE0EEEvT1_ ; -- Begin function _ZN7rocprim17ROCPRIM_400000_NS6detail17trampoline_kernelINS0_14default_configENS1_25partition_config_selectorILNS1_17partition_subalgoE9EtjbEEZZNS1_14partition_implILS5_9ELb0ES3_jN6thrust23THRUST_200600_302600_NS6detail15normal_iteratorINS9_10device_ptrItEEEENSB_INSC_IjEEEEPNS0_10empty_typeENS0_5tupleIJSE_SH_EEENSJ_IJSG_SI_EEENS0_18inequality_wrapperINS9_8equal_toItEEEEPmJSH_EEE10hipError_tPvRmT3_T4_T5_T6_T7_T9_mT8_P12ihipStream_tbDpT10_ENKUlT_T0_E_clISt17integral_constantIbLb1EES19_IbLb0EEEEDaS15_S16_EUlS15_E_NS1_11comp_targetILNS1_3genE9ELNS1_11target_archE1100ELNS1_3gpuE3ELNS1_3repE0EEENS1_30default_config_static_selectorELNS0_4arch9wavefront6targetE0EEEvT1_
	.globl	_ZN7rocprim17ROCPRIM_400000_NS6detail17trampoline_kernelINS0_14default_configENS1_25partition_config_selectorILNS1_17partition_subalgoE9EtjbEEZZNS1_14partition_implILS5_9ELb0ES3_jN6thrust23THRUST_200600_302600_NS6detail15normal_iteratorINS9_10device_ptrItEEEENSB_INSC_IjEEEEPNS0_10empty_typeENS0_5tupleIJSE_SH_EEENSJ_IJSG_SI_EEENS0_18inequality_wrapperINS9_8equal_toItEEEEPmJSH_EEE10hipError_tPvRmT3_T4_T5_T6_T7_T9_mT8_P12ihipStream_tbDpT10_ENKUlT_T0_E_clISt17integral_constantIbLb1EES19_IbLb0EEEEDaS15_S16_EUlS15_E_NS1_11comp_targetILNS1_3genE9ELNS1_11target_archE1100ELNS1_3gpuE3ELNS1_3repE0EEENS1_30default_config_static_selectorELNS0_4arch9wavefront6targetE0EEEvT1_
	.p2align	8
	.type	_ZN7rocprim17ROCPRIM_400000_NS6detail17trampoline_kernelINS0_14default_configENS1_25partition_config_selectorILNS1_17partition_subalgoE9EtjbEEZZNS1_14partition_implILS5_9ELb0ES3_jN6thrust23THRUST_200600_302600_NS6detail15normal_iteratorINS9_10device_ptrItEEEENSB_INSC_IjEEEEPNS0_10empty_typeENS0_5tupleIJSE_SH_EEENSJ_IJSG_SI_EEENS0_18inequality_wrapperINS9_8equal_toItEEEEPmJSH_EEE10hipError_tPvRmT3_T4_T5_T6_T7_T9_mT8_P12ihipStream_tbDpT10_ENKUlT_T0_E_clISt17integral_constantIbLb1EES19_IbLb0EEEEDaS15_S16_EUlS15_E_NS1_11comp_targetILNS1_3genE9ELNS1_11target_archE1100ELNS1_3gpuE3ELNS1_3repE0EEENS1_30default_config_static_selectorELNS0_4arch9wavefront6targetE0EEEvT1_,@function
_ZN7rocprim17ROCPRIM_400000_NS6detail17trampoline_kernelINS0_14default_configENS1_25partition_config_selectorILNS1_17partition_subalgoE9EtjbEEZZNS1_14partition_implILS5_9ELb0ES3_jN6thrust23THRUST_200600_302600_NS6detail15normal_iteratorINS9_10device_ptrItEEEENSB_INSC_IjEEEEPNS0_10empty_typeENS0_5tupleIJSE_SH_EEENSJ_IJSG_SI_EEENS0_18inequality_wrapperINS9_8equal_toItEEEEPmJSH_EEE10hipError_tPvRmT3_T4_T5_T6_T7_T9_mT8_P12ihipStream_tbDpT10_ENKUlT_T0_E_clISt17integral_constantIbLb1EES19_IbLb0EEEEDaS15_S16_EUlS15_E_NS1_11comp_targetILNS1_3genE9ELNS1_11target_archE1100ELNS1_3gpuE3ELNS1_3repE0EEENS1_30default_config_static_selectorELNS0_4arch9wavefront6targetE0EEEvT1_: ; @_ZN7rocprim17ROCPRIM_400000_NS6detail17trampoline_kernelINS0_14default_configENS1_25partition_config_selectorILNS1_17partition_subalgoE9EtjbEEZZNS1_14partition_implILS5_9ELb0ES3_jN6thrust23THRUST_200600_302600_NS6detail15normal_iteratorINS9_10device_ptrItEEEENSB_INSC_IjEEEEPNS0_10empty_typeENS0_5tupleIJSE_SH_EEENSJ_IJSG_SI_EEENS0_18inequality_wrapperINS9_8equal_toItEEEEPmJSH_EEE10hipError_tPvRmT3_T4_T5_T6_T7_T9_mT8_P12ihipStream_tbDpT10_ENKUlT_T0_E_clISt17integral_constantIbLb1EES19_IbLb0EEEEDaS15_S16_EUlS15_E_NS1_11comp_targetILNS1_3genE9ELNS1_11target_archE1100ELNS1_3gpuE3ELNS1_3repE0EEENS1_30default_config_static_selectorELNS0_4arch9wavefront6targetE0EEEvT1_
; %bb.0:
	s_clause 0x4
	s_load_b128 s[4:7], s[0:1], 0x8
	s_load_b32 s14, s[0:1], 0x68
	s_load_b128 s[16:19], s[0:1], 0x40
	s_load_b64 s[2:3], s[0:1], 0x50
	s_load_b64 s[8:9], s[0:1], 0x18
	s_waitcnt lgkmcnt(0)
	s_lshl_b64 s[10:11], s[6:7], 1
	s_mul_i32 s20, s14, 0x580
	s_add_u32 s10, s4, s10
	s_addc_u32 s11, s5, s11
	s_add_i32 s4, s20, s6
	s_load_b64 s[12:13], s[18:19], 0x0
	s_sub_i32 s19, s2, s4
	s_add_i32 s14, s14, -1
	s_addk_i32 s19, 0x580
	s_add_u32 s4, s6, s20
	s_addc_u32 s5, s7, 0
	s_cmp_eq_u32 s15, s14
	v_cmp_ge_u64_e64 s2, s[4:5], s[2:3]
	s_cselect_b32 s14, -1, 0
	s_mov_b32 s5, 0
	s_mul_i32 s4, s15, 0x580
	s_delay_alu instid0(VALU_DEP_1)
	s_and_b32 s20, s14, s2
	s_lshl_b64 s[2:3], s[4:5], 1
	s_xor_b32 s18, s20, -1
	s_add_u32 s10, s10, s2
	s_addc_u32 s3, s11, s3
	s_and_b32 vcc_lo, exec_lo, s18
	s_mov_b32 s11, -1
	s_cbranch_vccz .LBB587_2
; %bb.1:
	v_lshlrev_b32_e32 v3, 1, v0
	s_mov_b32 s11, s5
	s_delay_alu instid0(VALU_DEP_1) | instskip(NEXT) | instid1(VALU_DEP_1)
	v_add_co_u32 v1, s2, s10, v3
	v_add_co_ci_u32_e64 v2, null, s3, 0, s2
	s_clause 0xa
	flat_load_u16 v4, v[1:2]
	flat_load_u16 v5, v[1:2] offset:256
	flat_load_u16 v6, v[1:2] offset:512
	;; [unrolled: 1-line block ×10, first 2 shown]
	s_waitcnt vmcnt(10) lgkmcnt(0)
	ds_store_b16 v3, v4
	s_waitcnt vmcnt(9)
	ds_store_b16 v3, v5 offset:256
	s_waitcnt vmcnt(8)
	ds_store_b16 v3, v6 offset:512
	;; [unrolled: 2-line block ×10, first 2 shown]
	s_waitcnt lgkmcnt(0)
	s_barrier
.LBB587_2:
	v_cmp_gt_u32_e64 s2, s19, v0
	s_and_not1_b32 vcc_lo, exec_lo, s11
	s_cbranch_vccnz .LBB587_26
; %bb.3:
                                        ; implicit-def: $vgpr1_vgpr2_vgpr3_vgpr4_vgpr5_vgpr6_vgpr7_vgpr8
	s_delay_alu instid0(VALU_DEP_1)
	s_and_saveexec_b32 s11, s2
	s_cbranch_execz .LBB587_5
; %bb.4:
	v_lshlrev_b32_e32 v1, 1, v0
	s_delay_alu instid0(VALU_DEP_1) | instskip(NEXT) | instid1(VALU_DEP_1)
	v_add_co_u32 v1, s2, s10, v1
	v_add_co_ci_u32_e64 v2, null, s3, 0, s2
	flat_load_d16_b16 v1, v[1:2]
.LBB587_5:
	s_or_b32 exec_lo, exec_lo, s11
	v_or_b32_e32 v7, 0x80, v0
	s_mov_b32 s2, exec_lo
	s_delay_alu instid0(VALU_DEP_1)
	v_cmpx_gt_u32_e64 s19, v7
	s_cbranch_execz .LBB587_7
; %bb.6:
	v_lshlrev_b32_e32 v7, 1, v0
	s_delay_alu instid0(VALU_DEP_1) | instskip(NEXT) | instid1(VALU_DEP_1)
	v_add_co_u32 v7, s11, s10, v7
	v_add_co_ci_u32_e64 v8, null, s3, 0, s11
	s_waitcnt vmcnt(0) lgkmcnt(0)
	flat_load_d16_hi_b16 v1, v[7:8] offset:256
.LBB587_7:
	s_or_b32 exec_lo, exec_lo, s2
	v_or_b32_e32 v7, 0x100, v0
	s_mov_b32 s2, exec_lo
	s_delay_alu instid0(VALU_DEP_1)
	v_cmpx_gt_u32_e64 s19, v7
	s_cbranch_execz .LBB587_9
; %bb.8:
	v_lshlrev_b32_e32 v7, 1, v0
	s_delay_alu instid0(VALU_DEP_1) | instskip(NEXT) | instid1(VALU_DEP_1)
	v_add_co_u32 v7, s11, s10, v7
	v_add_co_ci_u32_e64 v8, null, s3, 0, s11
	flat_load_d16_b16 v2, v[7:8] offset:512
.LBB587_9:
	s_or_b32 exec_lo, exec_lo, s2
	v_or_b32_e32 v7, 0x180, v0
	s_mov_b32 s2, exec_lo
	s_delay_alu instid0(VALU_DEP_1)
	v_cmpx_gt_u32_e64 s19, v7
	s_cbranch_execz .LBB587_11
; %bb.10:
	v_lshlrev_b32_e32 v7, 1, v0
	s_delay_alu instid0(VALU_DEP_1) | instskip(NEXT) | instid1(VALU_DEP_1)
	v_add_co_u32 v7, s11, s10, v7
	v_add_co_ci_u32_e64 v8, null, s3, 0, s11
	s_waitcnt vmcnt(0) lgkmcnt(0)
	flat_load_d16_hi_b16 v2, v[7:8] offset:768
.LBB587_11:
	s_or_b32 exec_lo, exec_lo, s2
	v_or_b32_e32 v7, 0x200, v0
	s_mov_b32 s2, exec_lo
	s_delay_alu instid0(VALU_DEP_1)
	v_cmpx_gt_u32_e64 s19, v7
	s_cbranch_execz .LBB587_13
; %bb.12:
	v_lshlrev_b32_e32 v7, 1, v0
	s_delay_alu instid0(VALU_DEP_1) | instskip(NEXT) | instid1(VALU_DEP_1)
	v_add_co_u32 v7, s11, s10, v7
	v_add_co_ci_u32_e64 v8, null, s3, 0, s11
	flat_load_d16_b16 v3, v[7:8] offset:1024
.LBB587_13:
	;; [unrolled: 27-line block ×5, first 2 shown]
	s_or_b32 exec_lo, exec_lo, s2
	v_lshlrev_b32_e32 v7, 1, v0
	s_waitcnt vmcnt(0) lgkmcnt(0)
	ds_store_b16 v7, v1
	ds_store_b16_d16_hi v7, v1 offset:256
	ds_store_b16 v7, v2 offset:512
	ds_store_b16_d16_hi v7, v2 offset:768
	ds_store_b16 v7, v3 offset:1024
	;; [unrolled: 2-line block ×5, first 2 shown]
	s_waitcnt lgkmcnt(0)
	s_barrier
.LBB587_26:
	v_mul_u32_u24_e32 v1, 11, v0
	s_waitcnt lgkmcnt(0)
	buffer_gl0_inv
	s_lshl_b64 s[22:23], s[6:7], 2
	s_delay_alu instid0(SALU_CYCLE_1)
	s_add_u32 s2, s8, s22
	v_lshlrev_b32_e32 v2, 1, v1
	s_addc_u32 s8, s9, s23
	s_lshl_b64 s[4:5], s[4:5], 2
	ds_load_b128 v[13:16], v2
	ds_load_u16 v38, v2 offset:16
	ds_load_u16 v37, v2 offset:18
	;; [unrolled: 1-line block ×3, first 2 shown]
	s_add_u32 s2, s2, s4
	s_addc_u32 s4, s8, s5
	s_and_b32 vcc_lo, exec_lo, s18
	s_mov_b32 s5, -1
	s_waitcnt lgkmcnt(0)
	s_barrier
	buffer_gl0_inv
	s_cbranch_vccz .LBB587_28
; %bb.27:
	v_lshlrev_b32_e32 v7, 2, v0
	s_delay_alu instid0(VALU_DEP_1) | instskip(NEXT) | instid1(VALU_DEP_1)
	v_add_co_u32 v3, s5, s2, v7
	v_add_co_ci_u32_e64 v4, null, s4, 0, s5
	s_mov_b32 s5, 0
	s_delay_alu instid0(VALU_DEP_2) | instskip(NEXT) | instid1(VALU_DEP_2)
	v_add_co_u32 v5, vcc_lo, 0x1000, v3
	v_add_co_ci_u32_e32 v6, vcc_lo, 0, v4, vcc_lo
	s_clause 0xa
	flat_load_b32 v8, v[3:4]
	flat_load_b32 v9, v[3:4] offset:512
	flat_load_b32 v10, v[3:4] offset:1024
	;; [unrolled: 1-line block ×7, first 2 shown]
	flat_load_b32 v4, v[5:6]
	flat_load_b32 v19, v[5:6] offset:512
	flat_load_b32 v5, v[5:6] offset:1024
	s_waitcnt vmcnt(9) lgkmcnt(9)
	ds_store_2addr_stride64_b32 v7, v8, v9 offset1:2
	s_waitcnt vmcnt(7) lgkmcnt(8)
	ds_store_2addr_stride64_b32 v7, v10, v11 offset0:4 offset1:6
	s_waitcnt vmcnt(5) lgkmcnt(7)
	ds_store_2addr_stride64_b32 v7, v12, v17 offset0:8 offset1:10
	;; [unrolled: 2-line block ×4, first 2 shown]
	s_waitcnt vmcnt(0) lgkmcnt(5)
	ds_store_b32 v7, v5 offset:5120
	s_waitcnt lgkmcnt(0)
	s_barrier
.LBB587_28:
	s_and_not1_b32 vcc_lo, exec_lo, s5
	s_cbranch_vccnz .LBB587_52
; %bb.29:
	s_mov_b32 s5, exec_lo
                                        ; implicit-def: $vgpr3
	v_cmpx_gt_u32_e64 s19, v0
	s_cbranch_execz .LBB587_31
; %bb.30:
	v_lshlrev_b32_e32 v3, 2, v0
	s_delay_alu instid0(VALU_DEP_1) | instskip(NEXT) | instid1(VALU_DEP_1)
	v_add_co_u32 v3, s8, s2, v3
	v_add_co_ci_u32_e64 v4, null, s4, 0, s8
	flat_load_b32 v3, v[3:4]
.LBB587_31:
	s_or_b32 exec_lo, exec_lo, s5
	v_or_b32_e32 v4, 0x80, v0
	s_delay_alu instid0(VALU_DEP_1)
	v_cmp_gt_u32_e32 vcc_lo, s19, v4
                                        ; implicit-def: $vgpr4
	s_and_saveexec_b32 s5, vcc_lo
	s_cbranch_execz .LBB587_33
; %bb.32:
	v_lshlrev_b32_e32 v4, 2, v0
	s_delay_alu instid0(VALU_DEP_1) | instskip(NEXT) | instid1(VALU_DEP_1)
	v_add_co_u32 v4, s8, s2, v4
	v_add_co_ci_u32_e64 v5, null, s4, 0, s8
	flat_load_b32 v4, v[4:5] offset:512
.LBB587_33:
	s_or_b32 exec_lo, exec_lo, s5
	v_or_b32_e32 v5, 0x100, v0
	s_delay_alu instid0(VALU_DEP_1)
	v_cmp_gt_u32_e32 vcc_lo, s19, v5
                                        ; implicit-def: $vgpr5
	s_and_saveexec_b32 s5, vcc_lo
	s_cbranch_execz .LBB587_35
; %bb.34:
	v_lshlrev_b32_e32 v5, 2, v0
	s_delay_alu instid0(VALU_DEP_1) | instskip(NEXT) | instid1(VALU_DEP_1)
	v_add_co_u32 v5, s8, s2, v5
	v_add_co_ci_u32_e64 v6, null, s4, 0, s8
	flat_load_b32 v5, v[5:6] offset:1024
.LBB587_35:
	s_or_b32 exec_lo, exec_lo, s5
	v_or_b32_e32 v6, 0x180, v0
	s_delay_alu instid0(VALU_DEP_1)
	v_cmp_gt_u32_e32 vcc_lo, s19, v6
                                        ; implicit-def: $vgpr6
	s_and_saveexec_b32 s5, vcc_lo
	s_cbranch_execz .LBB587_37
; %bb.36:
	v_lshlrev_b32_e32 v6, 2, v0
	s_delay_alu instid0(VALU_DEP_1) | instskip(NEXT) | instid1(VALU_DEP_1)
	v_add_co_u32 v6, s8, s2, v6
	v_add_co_ci_u32_e64 v7, null, s4, 0, s8
	flat_load_b32 v6, v[6:7] offset:1536
.LBB587_37:
	s_or_b32 exec_lo, exec_lo, s5
	v_or_b32_e32 v7, 0x200, v0
	s_delay_alu instid0(VALU_DEP_1)
	v_cmp_gt_u32_e32 vcc_lo, s19, v7
                                        ; implicit-def: $vgpr7
	s_and_saveexec_b32 s5, vcc_lo
	s_cbranch_execz .LBB587_39
; %bb.38:
	v_lshlrev_b32_e32 v7, 2, v0
	s_delay_alu instid0(VALU_DEP_1) | instskip(NEXT) | instid1(VALU_DEP_1)
	v_add_co_u32 v7, s8, s2, v7
	v_add_co_ci_u32_e64 v8, null, s4, 0, s8
	flat_load_b32 v7, v[7:8] offset:2048
.LBB587_39:
	s_or_b32 exec_lo, exec_lo, s5
	v_or_b32_e32 v8, 0x280, v0
	s_delay_alu instid0(VALU_DEP_1)
	v_cmp_gt_u32_e32 vcc_lo, s19, v8
                                        ; implicit-def: $vgpr8
	s_and_saveexec_b32 s5, vcc_lo
	s_cbranch_execz .LBB587_41
; %bb.40:
	v_lshlrev_b32_e32 v8, 2, v0
	s_delay_alu instid0(VALU_DEP_1) | instskip(NEXT) | instid1(VALU_DEP_1)
	v_add_co_u32 v8, s8, s2, v8
	v_add_co_ci_u32_e64 v9, null, s4, 0, s8
	flat_load_b32 v8, v[8:9] offset:2560
.LBB587_41:
	s_or_b32 exec_lo, exec_lo, s5
	v_or_b32_e32 v9, 0x300, v0
	s_delay_alu instid0(VALU_DEP_1)
	v_cmp_gt_u32_e32 vcc_lo, s19, v9
                                        ; implicit-def: $vgpr9
	s_and_saveexec_b32 s5, vcc_lo
	s_cbranch_execz .LBB587_43
; %bb.42:
	v_lshlrev_b32_e32 v9, 2, v0
	s_delay_alu instid0(VALU_DEP_1) | instskip(NEXT) | instid1(VALU_DEP_1)
	v_add_co_u32 v9, s8, s2, v9
	v_add_co_ci_u32_e64 v10, null, s4, 0, s8
	flat_load_b32 v9, v[9:10] offset:3072
.LBB587_43:
	s_or_b32 exec_lo, exec_lo, s5
	v_or_b32_e32 v10, 0x380, v0
	s_delay_alu instid0(VALU_DEP_1)
	v_cmp_gt_u32_e32 vcc_lo, s19, v10
                                        ; implicit-def: $vgpr10
	s_and_saveexec_b32 s5, vcc_lo
	s_cbranch_execz .LBB587_45
; %bb.44:
	v_lshlrev_b32_e32 v10, 2, v0
	s_delay_alu instid0(VALU_DEP_1) | instskip(NEXT) | instid1(VALU_DEP_1)
	v_add_co_u32 v10, s8, s2, v10
	v_add_co_ci_u32_e64 v11, null, s4, 0, s8
	flat_load_b32 v10, v[10:11] offset:3584
.LBB587_45:
	s_or_b32 exec_lo, exec_lo, s5
	v_or_b32_e32 v12, 0x400, v0
	s_mov_b32 s5, exec_lo
                                        ; implicit-def: $vgpr11
	s_delay_alu instid0(VALU_DEP_1)
	v_cmpx_gt_u32_e64 s19, v12
	s_cbranch_execz .LBB587_47
; %bb.46:
	v_lshlrev_b32_e32 v11, 2, v12
	s_delay_alu instid0(VALU_DEP_1) | instskip(NEXT) | instid1(VALU_DEP_1)
	v_add_co_u32 v11, s8, s2, v11
	v_add_co_ci_u32_e64 v12, null, s4, 0, s8
	flat_load_b32 v11, v[11:12]
.LBB587_47:
	s_or_b32 exec_lo, exec_lo, s5
	v_or_b32_e32 v17, 0x480, v0
	s_mov_b32 s5, exec_lo
                                        ; implicit-def: $vgpr12
	s_delay_alu instid0(VALU_DEP_1)
	v_cmpx_gt_u32_e64 s19, v17
	s_cbranch_execz .LBB587_49
; %bb.48:
	v_lshlrev_b32_e32 v12, 2, v17
	s_delay_alu instid0(VALU_DEP_1) | instskip(NEXT) | instid1(VALU_DEP_1)
	v_add_co_u32 v17, s8, s2, v12
	v_add_co_ci_u32_e64 v18, null, s4, 0, s8
	flat_load_b32 v12, v[17:18]
.LBB587_49:
	s_or_b32 exec_lo, exec_lo, s5
	v_or_b32_e32 v18, 0x500, v0
	s_mov_b32 s5, exec_lo
                                        ; implicit-def: $vgpr17
	s_delay_alu instid0(VALU_DEP_1)
	v_cmpx_gt_u32_e64 s19, v18
	s_cbranch_execz .LBB587_51
; %bb.50:
	v_lshlrev_b32_e32 v17, 2, v18
	s_delay_alu instid0(VALU_DEP_1) | instskip(NEXT) | instid1(VALU_DEP_1)
	v_add_co_u32 v17, s2, s2, v17
	v_add_co_ci_u32_e64 v18, null, s4, 0, s2
	flat_load_b32 v17, v[17:18]
.LBB587_51:
	s_or_b32 exec_lo, exec_lo, s5
	v_mad_i32_i24 v2, 0xffffffee, v0, v2
	s_waitcnt vmcnt(0) lgkmcnt(0)
	ds_store_2addr_stride64_b32 v2, v3, v4 offset1:2
	ds_store_2addr_stride64_b32 v2, v5, v6 offset0:4 offset1:6
	ds_store_2addr_stride64_b32 v2, v7, v8 offset0:8 offset1:10
	;; [unrolled: 1-line block ×4, first 2 shown]
	ds_store_b32 v2, v17 offset:5120
	s_waitcnt lgkmcnt(0)
	s_barrier
.LBB587_52:
	v_lshlrev_b32_e32 v44, 2, v1
	buffer_gl0_inv
	s_cmp_lg_u32 s15, 0
	v_lshrrev_b32_e32 v43, 16, v13
	s_cselect_b32 s21, -1, 0
	ds_load_2addr_b32 v[28:29], v44 offset1:1
	ds_load_2addr_b32 v[26:27], v44 offset0:2 offset1:3
	ds_load_2addr_b32 v[24:25], v44 offset0:4 offset1:5
	;; [unrolled: 1-line block ×4, first 2 shown]
	ds_load_b32 v36, v44 offset:40
	s_cmp_lg_u64 s[6:7], 0
	v_lshrrev_b32_e32 v42, 16, v14
	s_cselect_b32 s2, -1, 0
	v_lshrrev_b32_e32 v41, 16, v15
	v_lshrrev_b32_e32 v40, 16, v16
	v_add_nc_u32_e32 v5, 1, v1
	v_add_nc_u32_e32 v6, 2, v1
	;; [unrolled: 1-line block ×10, first 2 shown]
	s_or_b32 s2, s21, s2
	s_mov_b32 s22, 0
	s_and_b32 vcc_lo, exec_lo, s2
	s_waitcnt lgkmcnt(0)
	s_barrier
	buffer_gl0_inv
	s_cbranch_vccz .LBB587_57
; %bb.53:
	v_add_co_u32 v17, s2, -2, s10
	s_delay_alu instid0(VALU_DEP_1)
	v_add_co_ci_u32_e64 v18, null, -1, s3, s2
	s_mov_b32 s3, -1
	s_and_b32 vcc_lo, exec_lo, s18
	flat_load_u16 v17, v[17:18]
	v_lshlrev_b32_e32 v18, 1, v0
	ds_store_b16 v18, v33
	s_cbranch_vccz .LBB587_59
; %bb.54:
	s_waitcnt vmcnt(0) lgkmcnt(1)
	v_mov_b32_e32 v19, v17
	s_mov_b32 s3, 0
	s_mov_b32 s2, exec_lo
	s_waitcnt lgkmcnt(0)
	s_barrier
	buffer_gl0_inv
	v_cmpx_ne_u32_e32 0, v0
	s_cbranch_execz .LBB587_56
; %bb.55:
	v_add_nc_u32_e32 v12, -2, v18
	ds_load_u16 v19, v12
.LBB587_56:
	s_or_b32 exec_lo, exec_lo, s2
	v_cmp_ne_u16_e32 vcc_lo, v16, v40
	s_waitcnt lgkmcnt(0)
	v_cmp_ne_u16_e64 s2, v19, v13
	v_cndmask_b32_e64 v12, 0, 1, vcc_lo
	v_cmp_ne_u16_e32 vcc_lo, v41, v16
	s_delay_alu instid0(VALU_DEP_2) | instskip(SKIP_2) | instid1(VALU_DEP_2)
	v_lshlrev_b16 v12, 8, v12
	v_cndmask_b32_e64 v30, 0, 1, vcc_lo
	v_cmp_ne_u16_e32 vcc_lo, v15, v41
	v_or_b32_e32 v30, v30, v12
	v_cndmask_b32_e64 v31, 0, 1, vcc_lo
	v_cmp_ne_u16_e32 vcc_lo, v42, v15
	s_delay_alu instid0(VALU_DEP_2) | instskip(SKIP_2) | instid1(VALU_DEP_2)
	v_lshlrev_b16 v31, 8, v31
	v_cndmask_b32_e64 v32, 0, 1, vcc_lo
	v_cmp_ne_u16_e32 vcc_lo, v14, v42
	v_or_b32_e32 v31, v32, v31
	v_cndmask_b32_e64 v34, 0, 1, vcc_lo
	v_cmp_ne_u16_e32 vcc_lo, v43, v14
	s_delay_alu instid0(VALU_DEP_3) | instskip(NEXT) | instid1(VALU_DEP_3)
	v_and_b32_e32 v31, 0xffff, v31
	v_lshlrev_b16 v45, 8, v34
	v_cndmask_b32_e64 v35, 0, 1, vcc_lo
	v_cmp_ne_u16_e32 vcc_lo, v13, v43
	s_delay_alu instid0(VALU_DEP_2) | instskip(SKIP_3) | instid1(VALU_DEP_4)
	v_or_b32_e32 v35, v35, v45
	v_cndmask_b32_e64 v39, 0, 1, vcc_lo
	v_cmp_ne_u16_e32 vcc_lo, v37, v33
	v_lshlrev_b32_e32 v45, 16, v30
	v_lshlrev_b32_e32 v35, 16, v35
	s_delay_alu instid0(VALU_DEP_4) | instskip(SKIP_3) | instid1(VALU_DEP_4)
	v_lshlrev_b16 v39, 8, v39
	v_cndmask_b32_e64 v34, 0, 1, vcc_lo
	v_cmp_ne_u16_e32 vcc_lo, v38, v37
	v_or_b32_e32 v31, v31, v45
	v_and_b32_e32 v39, 0xffff, v39
	v_cndmask_b32_e64 v12, 0, 1, vcc_lo
	v_cmp_ne_u16_e32 vcc_lo, v40, v38
	s_delay_alu instid0(VALU_DEP_3)
	v_or_b32_e32 v30, v39, v35
	v_cndmask_b32_e64 v32, 0, 1, vcc_lo
	s_and_b32 vcc_lo, exec_lo, s3
	s_cbranch_vccnz .LBB587_60
	s_branch .LBB587_63
.LBB587_57:
                                        ; implicit-def: $sgpr2
                                        ; implicit-def: $vgpr34
                                        ; implicit-def: $vgpr12
                                        ; implicit-def: $vgpr32
                                        ; implicit-def: $vgpr31
	s_branch .LBB587_64
.LBB587_58:
                                        ; implicit-def: $vgpr17_vgpr18_vgpr19
	s_and_saveexec_b32 s3, s22
	s_cbranch_execnz .LBB587_72
	s_branch .LBB587_73
.LBB587_59:
                                        ; implicit-def: $sgpr2
                                        ; implicit-def: $vgpr34
                                        ; implicit-def: $vgpr12
                                        ; implicit-def: $vgpr32
                                        ; implicit-def: $vgpr31
	s_and_b32 vcc_lo, exec_lo, s3
	s_cbranch_vccz .LBB587_63
.LBB587_60:
	s_mov_b32 s2, exec_lo
	s_waitcnt vmcnt(0) lgkmcnt(0)
	s_barrier
	buffer_gl0_inv
	v_cmpx_ne_u32_e32 0, v0
	s_cbranch_execz .LBB587_62
; %bb.61:
	v_add_nc_u32_e32 v12, -2, v18
	ds_load_u16 v17, v12
.LBB587_62:
	s_or_b32 exec_lo, exec_lo, s2
	v_cmp_gt_u32_e32 vcc_lo, s19, v9
	v_cmp_ne_u16_e64 s2, v37, v33
	v_cmp_gt_u32_e64 s3, s19, v10
	v_cmp_ne_u16_e64 s4, v38, v37
	v_cmp_gt_u32_e64 s5, s19, v5
	v_cmp_ne_u16_e64 s6, v13, v43
	s_and_b32 s2, vcc_lo, s2
	v_cmp_gt_u32_e32 vcc_lo, s19, v2
	v_cndmask_b32_e64 v34, 0, 1, s2
	v_cmp_ne_u16_e64 s2, v16, v40
	s_and_b32 s3, s3, s4
	v_cmp_ne_u16_e64 s4, v41, v16
	v_cndmask_b32_e64 v12, 0, 1, s3
	v_cmp_gt_u32_e64 s3, s19, v4
	s_and_b32 s2, vcc_lo, s2
	v_cmp_gt_u32_e32 vcc_lo, s19, v7
	v_cndmask_b32_e64 v18, 0, 1, s2
	v_cmp_ne_u16_e64 s2, v15, v41
	s_and_b32 s3, s3, s4
	v_cmp_ne_u16_e64 s4, v14, v42
	v_cndmask_b32_e64 v19, 0, 1, s3
	v_cmp_gt_u32_e64 s3, s19, v3
	;; [unrolled: 8-line block ×3, first 2 shown]
	s_and_b32 s2, vcc_lo, s2
	v_lshlrev_b16 v30, 8, v30
	v_cndmask_b32_e64 v32, 0, 1, s2
	v_lshlrev_b16 v31, 8, v31
	s_and_b32 s2, s3, s4
	v_lshlrev_b16 v18, 8, v18
	v_cndmask_b32_e64 v35, 0, 1, s2
	s_and_b32 s2, s5, s6
	v_or_b32_e32 v30, v32, v30
	v_cndmask_b32_e64 v39, 0, 1, s2
	v_or_b32_e32 v18, v19, v18
	v_or_b32_e32 v31, v35, v31
	v_cmp_gt_u32_e32 vcc_lo, s19, v11
	v_cmp_ne_u16_e64 s2, v40, v38
	v_lshlrev_b16 v35, 8, v39
	v_lshlrev_b32_e32 v18, 16, v18
	v_lshlrev_b32_e32 v19, 16, v31
	s_delay_alu instid0(VALU_DEP_4) | instskip(NEXT) | instid1(VALU_DEP_3)
	s_and_b32 s2, vcc_lo, s2
	v_and_b32_e32 v31, 0xffff, v35
	v_and_b32_e32 v35, 0xffff, v30
	v_cndmask_b32_e64 v32, 0, 1, s2
	v_cmp_gt_u32_e32 vcc_lo, s19, v1
	s_waitcnt lgkmcnt(0)
	v_cmp_ne_u16_e64 s2, v17, v13
	v_or_b32_e32 v30, v31, v19
	v_or_b32_e32 v31, v35, v18
	s_delay_alu instid0(VALU_DEP_3)
	s_and_b32 s2, vcc_lo, s2
.LBB587_63:
	s_mov_b32 s22, -1
	s_cbranch_execnz .LBB587_58
.LBB587_64:
	v_mad_i32_i24 v35, 0xffffffd6, v0, v44
	v_cmp_ne_u16_e64 s2, v37, v33
	v_cmp_ne_u16_e64 s9, v38, v37
	;; [unrolled: 1-line block ×10, first 2 shown]
	s_and_b32 vcc_lo, exec_lo, s18
	ds_store_b16 v35, v33
	s_cbranch_vccz .LBB587_68
; %bb.65:
	s_waitcnt vmcnt(0) lgkmcnt(2)
	v_cndmask_b32_e64 v17, 0, 1, s11
	v_cndmask_b32_e64 v12, 0, 1, s9
	;; [unrolled: 1-line block ×5, first 2 shown]
	v_lshlrev_b16 v17, 8, v17
	v_cndmask_b32_e64 v39, 0, 1, s4
	v_cndmask_b32_e64 v32, 0, 1, s10
	;; [unrolled: 1-line block ×4, first 2 shown]
	v_lshlrev_b16 v18, 8, v18
	v_lshlrev_b16 v45, 8, v12
	v_or_b32_e32 v17, v30, v17
	v_lshlrev_b16 v30, 8, v31
	v_lshlrev_b16 v31, 8, v39
	v_or_b32_e32 v18, v19, v18
	v_or_b32_e32 v19, v32, v45
	v_and_b32_e32 v17, 0xffff, v17
	v_or_b32_e32 v30, v34, v30
	v_or_b32_e32 v31, 1, v31
	v_lshlrev_b32_e32 v18, 16, v18
	v_and_b32_e32 v19, 0xffff, v19
	v_cndmask_b32_e64 v34, 0, 1, s2
	v_lshlrev_b32_e32 v30, 16, v30
	v_and_b32_e32 v39, 0xffff, v31
	v_or_b32_e32 v31, v17, v18
	s_mov_b32 s3, 0
	v_lshl_or_b32 v19, v34, 16, v19
	s_mov_b32 s4, exec_lo
	v_or_b32_e32 v30, v39, v30
	s_waitcnt lgkmcnt(0)
	s_barrier
	buffer_gl0_inv
                                        ; implicit-def: $sgpr2
	v_cmpx_ne_u32_e32 0, v0
	s_xor_b32 s4, exec_lo, s4
	s_cbranch_execz .LBB587_67
; %bb.66:
	v_add_nc_u32_e32 v17, -2, v35
	s_or_b32 s22, s22, exec_lo
	ds_load_u16 v17, v17
	s_waitcnt lgkmcnt(0)
	v_cmp_ne_u16_e32 vcc_lo, v17, v13
                                        ; implicit-def: $vgpr17_vgpr18_vgpr19
	s_and_b32 s2, vcc_lo, exec_lo
.LBB587_67:
	s_or_b32 exec_lo, exec_lo, s4
	s_delay_alu instid0(SALU_CYCLE_1)
	s_and_b32 vcc_lo, exec_lo, s3
	s_cbranch_vccnz .LBB587_69
	s_branch .LBB587_71
.LBB587_68:
                                        ; implicit-def: $sgpr2
                                        ; implicit-def: $vgpr34
                                        ; implicit-def: $vgpr12
                                        ; implicit-def: $vgpr32
                                        ; implicit-def: $vgpr31
                                        ; implicit-def: $vgpr17_vgpr18_vgpr19
	s_cbranch_execz .LBB587_71
.LBB587_69:
	v_cmp_gt_u32_e32 vcc_lo, s19, v10
	v_cmp_ne_u16_e64 s2, v38, v37
	v_cmp_gt_u32_e64 s5, s19, v11
	v_cmp_ne_u16_e64 s6, v40, v38
	v_cmp_gt_u32_e64 s3, s19, v9
	v_cmp_ne_u16_e64 s4, v37, v33
	s_and_b32 s2, vcc_lo, s2
	v_cmp_gt_u32_e32 vcc_lo, s19, v2
	v_cndmask_b32_e64 v12, 0, 1, s2
	v_cmp_ne_u16_e64 s2, v16, v40
	s_and_b32 s5, s5, s6
	v_cmp_ne_u16_e64 s6, v41, v16
	v_cndmask_b32_e64 v32, 0, 1, s5
	v_cmp_gt_u32_e64 s5, s19, v4
	s_and_b32 s2, vcc_lo, s2
	v_cmp_gt_u32_e32 vcc_lo, s19, v7
	s_waitcnt vmcnt(0) lgkmcnt(2)
	v_cndmask_b32_e64 v17, 0, 1, s2
	v_cmp_ne_u16_e64 s2, v15, v41
	s_and_b32 s5, s5, s6
	v_cmp_ne_u16_e64 s6, v42, v15
	v_cndmask_b32_e64 v18, 0, 1, s5
	v_cmp_gt_u32_e64 s5, s19, v8
	s_and_b32 s2, vcc_lo, s2
	v_cmp_gt_u32_e32 vcc_lo, s19, v3
	v_cndmask_b32_e64 v19, 0, 1, s2
	v_cmp_ne_u16_e64 s2, v14, v42
	s_and_b32 s5, s5, s6
	v_cmp_ne_u16_e64 s6, v43, v14
	v_cndmask_b32_e64 v30, 0, 1, s5
	v_cmp_gt_u32_e64 s5, s19, v6
	s_and_b32 s2, vcc_lo, s2
	v_cmp_gt_u32_e32 vcc_lo, s19, v5
	v_cndmask_b32_e64 v31, 0, 1, s2
	v_cmp_ne_u16_e64 s2, v13, v43
	v_lshlrev_b16 v19, 8, v19
	v_lshlrev_b16 v17, 8, v17
	s_and_b32 s5, s5, s6
	v_lshlrev_b16 v45, 8, v12
	s_and_b32 s2, vcc_lo, s2
	v_cndmask_b32_e64 v34, 0, 1, s5
	v_cndmask_b32_e64 v39, 0, 1, s2
	v_or_b32_e32 v19, v30, v19
	v_or_b32_e32 v17, v18, v17
	v_lshlrev_b16 v18, 8, v31
	v_or_b32_e32 v31, v32, v45
	v_lshlrev_b16 v30, 8, v39
	s_and_b32 s2, s3, s4
	v_and_b32_e32 v19, 0xffff, v19
	v_or_b32_e32 v18, v34, v18
	v_lshlrev_b32_e32 v17, 16, v17
	v_or_b32_e32 v30, 1, v30
	v_and_b32_e32 v39, 0xffff, v31
	v_cndmask_b32_e64 v34, 0, 1, s2
	v_lshlrev_b32_e32 v18, 16, v18
	v_or_b32_e32 v31, v19, v17
	v_and_b32_e32 v30, 0xffff, v30
	s_mov_b32 s3, exec_lo
	v_lshl_or_b32 v19, v34, 16, v39
	s_waitcnt lgkmcnt(0)
	s_barrier
	v_or_b32_e32 v30, v30, v18
	buffer_gl0_inv
                                        ; implicit-def: $sgpr2
	v_cmpx_ne_u32_e32 0, v0
	s_cbranch_execz .LBB587_255
; %bb.70:
	v_add_nc_u32_e32 v17, -2, v35
	v_cmp_gt_u32_e32 vcc_lo, s19, v1
	s_or_b32 s22, s22, exec_lo
	ds_load_u16 v17, v17
	s_waitcnt lgkmcnt(0)
	v_cmp_ne_u16_e64 s2, v17, v13
                                        ; implicit-def: $vgpr17_vgpr18_vgpr19
	s_delay_alu instid0(VALU_DEP_1) | instskip(NEXT) | instid1(SALU_CYCLE_1)
	s_and_b32 s2, vcc_lo, s2
	s_and_b32 s2, s2, exec_lo
	s_or_b32 exec_lo, exec_lo, s3
.LBB587_71:
	s_and_saveexec_b32 s3, s22
	s_cbranch_execz .LBB587_73
.LBB587_72:
	v_lshrrev_b32_e32 v18, 24, v30
	v_lshrrev_b32_e32 v19, 16, v30
	;; [unrolled: 1-line block ×3, first 2 shown]
	s_waitcnt vmcnt(0) lgkmcnt(1)
	v_cndmask_b32_e64 v17, 0, 1, s2
	v_lshlrev_b16 v12, 8, v12
	v_and_b32_e32 v32, 0xff, v32
	v_lshlrev_b16 v18, 8, v18
	v_and_b32_e32 v19, 0xff, v19
	;; [unrolled: 2-line block ×3, first 2 shown]
	v_or_b32_e32 v12, v32, v12
	s_delay_alu instid0(VALU_DEP_4) | instskip(NEXT) | instid1(VALU_DEP_4)
	v_or_b32_e32 v18, v19, v18
	v_or_b32_e32 v17, v17, v30
	s_delay_alu instid0(VALU_DEP_4) | instskip(NEXT) | instid1(VALU_DEP_4)
	v_lshlrev_b32_e32 v19, 16, v34
	v_and_b32_e32 v12, 0xffff, v12
	s_delay_alu instid0(VALU_DEP_4) | instskip(NEXT) | instid1(VALU_DEP_4)
	v_lshlrev_b32_e32 v18, 16, v18
	v_and_b32_e32 v17, 0xffff, v17
	s_delay_alu instid0(VALU_DEP_3) | instskip(NEXT) | instid1(VALU_DEP_2)
	v_or_b32_e32 v19, v12, v19
	v_or_b32_e32 v30, v17, v18
.LBB587_73:
	s_or_b32 exec_lo, exec_lo, s3
	s_load_b64 s[10:11], s[0:1], 0x60
	s_and_not1_b32 vcc_lo, exec_lo, s20
	s_cbranch_vccnz .LBB587_75
; %bb.74:
	v_cmp_gt_u32_e32 vcc_lo, s19, v1
	v_cmp_gt_u32_e64 s2, s19, v5
	v_cmp_gt_u32_e64 s4, s19, v6
	v_and_b32_e32 v5, 0xffffff00, v31
	v_cmp_gt_u32_e64 s3, s19, v10
	v_dual_cndmask_b32 v1, 0, v30 :: v_dual_and_b32 v12, 0xff000000, v19
	v_cmp_gt_u32_e32 vcc_lo, s19, v11
	v_cmp_gt_u32_e64 s6, s19, v3
	v_cmp_gt_u32_e64 s5, s19, v9
	s_delay_alu instid0(VALU_DEP_4) | instskip(SKIP_1) | instid1(VALU_DEP_2)
	v_and_b32_e32 v1, 0xff, v1
	v_cndmask_b32_e32 v11, v12, v19, vcc_lo
	v_cndmask_b32_e64 v1, v1, v30, s2
	v_cmp_gt_u32_e64 s2, s19, v8
	s_delay_alu instid0(VALU_DEP_3) | instskip(NEXT) | instid1(VALU_DEP_3)
	v_and_b32_e32 v11, 0xff0000ff, v11
	v_and_b32_e32 v1, 0xffff, v1
	s_delay_alu instid0(VALU_DEP_3) | instskip(NEXT) | instid1(VALU_DEP_3)
	v_cndmask_b32_e64 v5, v5, v31, s2
	v_cndmask_b32_e64 v8, v11, v19, s3
	s_or_b32 s3, s5, s3
	s_delay_alu instid0(VALU_DEP_3) | instskip(NEXT) | instid1(VALU_DEP_3)
	v_cndmask_b32_e64 v1, v1, v30, s4
	v_and_b32_e32 v5, 0xffff00ff, v5
	s_delay_alu instid0(VALU_DEP_3) | instskip(SKIP_1) | instid1(VALU_DEP_4)
	v_and_b32_e32 v6, 0xff00ffff, v8
	v_cmp_gt_u32_e64 s4, s19, v7
	v_and_b32_e32 v1, 0xffffff, v1
	s_delay_alu instid0(VALU_DEP_3) | instskip(NEXT) | instid1(VALU_DEP_3)
	v_cndmask_b32_e64 v6, v6, v19, s5
	v_cndmask_b32_e64 v5, v5, v31, s4
	s_delay_alu instid0(VALU_DEP_3) | instskip(NEXT) | instid1(VALU_DEP_2)
	v_cndmask_b32_e64 v1, v1, v30, s6
	v_and_b32_e32 v3, 0xff00ffff, v5
	s_delay_alu instid0(VALU_DEP_4) | instskip(NEXT) | instid1(VALU_DEP_3)
	v_lshrrev_b32_e32 v5, 8, v6
	v_cndmask_b32_e64 v1, v1, v30, s2
	v_cmp_gt_u32_e64 s2, s19, v4
	s_delay_alu instid0(VALU_DEP_3) | instskip(NEXT) | instid1(VALU_DEP_3)
	v_lshlrev_b16 v5, 8, v5
	v_cndmask_b32_e64 v1, v1, v30, s4
	v_cmp_gt_u32_e64 s4, s19, v2
	s_delay_alu instid0(VALU_DEP_4) | instskip(NEXT) | instid1(VALU_DEP_3)
	v_cndmask_b32_e64 v3, v3, v31, s2
	v_cndmask_b32_e64 v1, v1, v30, s2
	s_or_b32 s2, s3, vcc_lo
	s_delay_alu instid0(VALU_DEP_3) | instid1(SALU_CYCLE_1)
	s_or_b32 vcc_lo, s2, s4
	s_delay_alu instid0(VALU_DEP_1) | instskip(NEXT) | instid1(VALU_DEP_1)
	v_dual_cndmask_b32 v1, v1, v30 :: v_dual_and_b32 v2, 0xffffff, v3
	v_dual_cndmask_b32 v31, v2, v31 :: v_dual_and_b32 v4, 0xff, v6
	s_delay_alu instid0(VALU_DEP_2) | instskip(NEXT) | instid1(VALU_DEP_2)
	v_perm_b32 v30, v1, v1, 0x3020104
	v_or_b32_e32 v3, v4, v5
	s_delay_alu instid0(VALU_DEP_1) | instskip(NEXT) | instid1(VALU_DEP_1)
	v_and_b32_e32 v2, 0xffff, v3
	v_and_or_b32 v19, 0xff0000, v6, v2
.LBB587_75:
	s_delay_alu instid0(VALU_DEP_4)
	v_and_b32_e32 v45, 0xff, v30
	v_bfe_u32 v46, v30, 8, 8
	v_alignbit_b32 v1, v31, v30, 24
	v_bfe_u32 v47, v30, 16, 8
	v_and_b32_e32 v48, 0xff, v31
	v_bfe_u32 v50, v31, 8, 8
	v_bfe_u32 v51, v31, 16, 8
	v_and_b32_e32 v49, 0xff, v1
	v_add3_u32 v1, v46, v45, v47
	v_lshrrev_b32_e32 v39, 24, v31
	v_mbcnt_lo_u32_b32 v54, -1, 0
	v_and_b32_e32 v52, 0xff, v19
	v_bfe_u32 v53, v19, 8, 8
	v_add3_u32 v1, v1, v49, v48
	v_bfe_u32 v3, v19, 16, 8
	v_and_b32_e32 v2, 15, v54
	v_or_b32_e32 v4, 31, v0
	v_and_b32_e32 v5, 16, v54
	v_add3_u32 v1, v1, v50, v51
	v_lshrrev_b32_e32 v55, 5, v0
	v_cmp_eq_u32_e64 s7, 0, v2
	v_cmp_lt_u32_e64 s6, 1, v2
	v_cmp_lt_u32_e64 s5, 3, v2
	v_add3_u32 v1, v1, v39, v52
	v_cmp_lt_u32_e64 s4, 7, v2
	v_cmp_eq_u32_e64 s3, 0, v5
	v_cmp_eq_u32_e64 s2, v4, v0
	s_and_b32 vcc_lo, exec_lo, s21
	v_add3_u32 v56, v1, v53, v3
	s_mov_b32 s8, -1
	s_waitcnt vmcnt(0) lgkmcnt(0)
	s_barrier
	buffer_gl0_inv
	s_cbranch_vccz .LBB587_106
; %bb.76:
	v_mov_b32_dpp v1, v56 row_shr:1 row_mask:0xf bank_mask:0xf
	s_delay_alu instid0(VALU_DEP_1) | instskip(NEXT) | instid1(VALU_DEP_1)
	v_cndmask_b32_e64 v1, v1, 0, s7
	v_add_nc_u32_e32 v1, v1, v56
	s_delay_alu instid0(VALU_DEP_1) | instskip(NEXT) | instid1(VALU_DEP_1)
	v_mov_b32_dpp v2, v1 row_shr:2 row_mask:0xf bank_mask:0xf
	v_cndmask_b32_e64 v2, 0, v2, s6
	s_delay_alu instid0(VALU_DEP_1) | instskip(NEXT) | instid1(VALU_DEP_1)
	v_add_nc_u32_e32 v1, v1, v2
	v_mov_b32_dpp v2, v1 row_shr:4 row_mask:0xf bank_mask:0xf
	s_delay_alu instid0(VALU_DEP_1) | instskip(NEXT) | instid1(VALU_DEP_1)
	v_cndmask_b32_e64 v2, 0, v2, s5
	v_add_nc_u32_e32 v1, v1, v2
	s_delay_alu instid0(VALU_DEP_1) | instskip(NEXT) | instid1(VALU_DEP_1)
	v_mov_b32_dpp v2, v1 row_shr:8 row_mask:0xf bank_mask:0xf
	v_cndmask_b32_e64 v2, 0, v2, s4
	s_delay_alu instid0(VALU_DEP_1) | instskip(SKIP_3) | instid1(VALU_DEP_1)
	v_add_nc_u32_e32 v1, v1, v2
	ds_swizzle_b32 v2, v1 offset:swizzle(BROADCAST,32,15)
	s_waitcnt lgkmcnt(0)
	v_cndmask_b32_e64 v2, v2, 0, s3
	v_add_nc_u32_e32 v1, v1, v2
	s_and_saveexec_b32 s8, s2
	s_cbranch_execz .LBB587_78
; %bb.77:
	v_lshlrev_b32_e32 v2, 2, v55
	ds_store_b32 v2, v1
.LBB587_78:
	s_or_b32 exec_lo, exec_lo, s8
	s_delay_alu instid0(SALU_CYCLE_1)
	s_mov_b32 s8, exec_lo
	s_waitcnt lgkmcnt(0)
	s_barrier
	buffer_gl0_inv
	v_cmpx_gt_u32_e32 4, v0
	s_cbranch_execz .LBB587_80
; %bb.79:
	v_and_b32_e32 v4, 3, v54
	s_delay_alu instid0(VALU_DEP_1) | instskip(SKIP_4) | instid1(VALU_DEP_1)
	v_cmp_ne_u32_e32 vcc_lo, 0, v4
	v_lshlrev_b32_e32 v2, 2, v0
	ds_load_b32 v3, v2
	s_waitcnt lgkmcnt(0)
	v_mov_b32_dpp v5, v3 row_shr:1 row_mask:0xf bank_mask:0xf
	v_cndmask_b32_e32 v5, 0, v5, vcc_lo
	v_cmp_lt_u32_e32 vcc_lo, 1, v4
	s_delay_alu instid0(VALU_DEP_2) | instskip(NEXT) | instid1(VALU_DEP_1)
	v_add_nc_u32_e32 v3, v5, v3
	v_mov_b32_dpp v5, v3 row_shr:2 row_mask:0xf bank_mask:0xf
	s_delay_alu instid0(VALU_DEP_1) | instskip(NEXT) | instid1(VALU_DEP_1)
	v_cndmask_b32_e32 v4, 0, v5, vcc_lo
	v_add_nc_u32_e32 v3, v3, v4
	ds_store_b32 v2, v3
.LBB587_80:
	s_or_b32 exec_lo, exec_lo, s8
	v_cmp_gt_u32_e32 vcc_lo, 32, v0
	s_mov_b32 s9, exec_lo
	s_waitcnt lgkmcnt(0)
	s_barrier
	buffer_gl0_inv
                                        ; implicit-def: $vgpr9
	v_cmpx_lt_u32_e32 31, v0
	s_cbranch_execz .LBB587_82
; %bb.81:
	v_lshl_add_u32 v2, v55, 2, -4
	ds_load_b32 v9, v2
	s_waitcnt lgkmcnt(0)
	v_add_nc_u32_e32 v1, v9, v1
.LBB587_82:
	s_or_b32 exec_lo, exec_lo, s9
	v_add_nc_u32_e32 v2, -1, v54
	s_delay_alu instid0(VALU_DEP_1) | instskip(NEXT) | instid1(VALU_DEP_1)
	v_cmp_gt_i32_e64 s8, 0, v2
	v_cndmask_b32_e64 v2, v2, v54, s8
	v_cmp_eq_u32_e64 s8, 0, v54
	s_delay_alu instid0(VALU_DEP_2)
	v_lshlrev_b32_e32 v2, 2, v2
	ds_bpermute_b32 v10, v2, v1
	s_and_saveexec_b32 s9, vcc_lo
	s_cbranch_execz .LBB587_105
; %bb.83:
	v_mov_b32_e32 v5, 0
	ds_load_b32 v1, v5 offset:12
	s_and_saveexec_b32 s19, s8
	s_cbranch_execz .LBB587_85
; %bb.84:
	s_add_i32 s20, s15, 32
	s_mov_b32 s21, 0
	v_mov_b32_e32 v2, 1
	s_lshl_b64 s[20:21], s[20:21], 3
	s_delay_alu instid0(SALU_CYCLE_1)
	s_add_u32 s20, s10, s20
	s_addc_u32 s21, s11, s21
	s_waitcnt lgkmcnt(0)
	global_store_b64 v5, v[1:2], s[20:21]
.LBB587_85:
	s_or_b32 exec_lo, exec_lo, s19
	v_xad_u32 v3, v54, -1, s15
	s_mov_b32 s20, 0
	s_mov_b32 s19, exec_lo
	s_delay_alu instid0(VALU_DEP_1) | instskip(NEXT) | instid1(VALU_DEP_1)
	v_add_nc_u32_e32 v4, 32, v3
	v_lshlrev_b64 v[4:5], 3, v[4:5]
	s_delay_alu instid0(VALU_DEP_1) | instskip(NEXT) | instid1(VALU_DEP_2)
	v_add_co_u32 v7, vcc_lo, s10, v4
	v_add_co_ci_u32_e32 v8, vcc_lo, s11, v5, vcc_lo
	global_load_b64 v[5:6], v[7:8], off glc
	s_waitcnt vmcnt(0)
	v_and_b32_e32 v2, 0xff, v6
	s_delay_alu instid0(VALU_DEP_1)
	v_cmpx_eq_u16_e32 0, v2
	s_cbranch_execz .LBB587_91
; %bb.86:
	s_mov_b32 s21, 1
	.p2align	6
.LBB587_87:                             ; =>This Loop Header: Depth=1
                                        ;     Child Loop BB587_88 Depth 2
	s_delay_alu instid0(SALU_CYCLE_1)
	s_max_u32 s22, s21, 1
.LBB587_88:                             ;   Parent Loop BB587_87 Depth=1
                                        ; =>  This Inner Loop Header: Depth=2
	s_delay_alu instid0(SALU_CYCLE_1)
	s_add_i32 s22, s22, -1
	s_sleep 1
	s_cmp_eq_u32 s22, 0
	s_cbranch_scc0 .LBB587_88
; %bb.89:                               ;   in Loop: Header=BB587_87 Depth=1
	global_load_b64 v[5:6], v[7:8], off glc
	s_cmp_lt_u32 s21, 32
	s_cselect_b32 s22, -1, 0
	s_delay_alu instid0(SALU_CYCLE_1) | instskip(SKIP_3) | instid1(VALU_DEP_1)
	s_cmp_lg_u32 s22, 0
	s_addc_u32 s21, s21, 0
	s_waitcnt vmcnt(0)
	v_and_b32_e32 v2, 0xff, v6
	v_cmp_ne_u16_e32 vcc_lo, 0, v2
	s_or_b32 s20, vcc_lo, s20
	s_delay_alu instid0(SALU_CYCLE_1)
	s_and_not1_b32 exec_lo, exec_lo, s20
	s_cbranch_execnz .LBB587_87
; %bb.90:
	s_or_b32 exec_lo, exec_lo, s20
.LBB587_91:
	s_delay_alu instid0(SALU_CYCLE_1)
	s_or_b32 exec_lo, exec_lo, s19
	v_cmp_ne_u32_e32 vcc_lo, 31, v54
	v_lshlrev_b32_e64 v12, v54, -1
	v_add_nc_u32_e32 v18, 2, v54
	v_add_nc_u32_e32 v34, 4, v54
	;; [unrolled: 1-line block ×3, first 2 shown]
	v_add_co_ci_u32_e32 v2, vcc_lo, 0, v54, vcc_lo
	v_add_nc_u32_e32 v59, 16, v54
	s_delay_alu instid0(VALU_DEP_2)
	v_lshlrev_b32_e32 v11, 2, v2
	v_and_b32_e32 v2, 0xff, v6
	ds_bpermute_b32 v4, v11, v5
	v_cmp_eq_u16_e32 vcc_lo, 2, v2
	v_and_or_b32 v2, vcc_lo, v12, 0x80000000
	v_cmp_gt_u32_e32 vcc_lo, 30, v54
	s_delay_alu instid0(VALU_DEP_2) | instskip(SKIP_1) | instid1(VALU_DEP_2)
	v_ctz_i32_b32_e32 v2, v2
	v_cndmask_b32_e64 v7, 0, 1, vcc_lo
	v_cmp_lt_u32_e32 vcc_lo, v54, v2
	s_waitcnt lgkmcnt(0)
	s_delay_alu instid0(VALU_DEP_2) | instskip(NEXT) | instid1(VALU_DEP_1)
	v_dual_cndmask_b32 v4, 0, v4 :: v_dual_lshlrev_b32 v7, 1, v7
	v_add_lshl_u32 v17, v7, v54, 2
	v_cmp_gt_u32_e32 vcc_lo, 28, v54
	s_delay_alu instid0(VALU_DEP_3) | instskip(SKIP_4) | instid1(VALU_DEP_1)
	v_add_nc_u32_e32 v4, v4, v5
	v_cndmask_b32_e64 v7, 0, 1, vcc_lo
	v_cmp_le_u32_e32 vcc_lo, v18, v2
	ds_bpermute_b32 v5, v17, v4
	v_lshlrev_b32_e32 v7, 2, v7
	v_add_lshl_u32 v32, v7, v54, 2
	s_waitcnt lgkmcnt(0)
	v_cndmask_b32_e32 v5, 0, v5, vcc_lo
	v_cmp_gt_u32_e32 vcc_lo, 24, v54
	s_delay_alu instid0(VALU_DEP_2) | instskip(SKIP_4) | instid1(VALU_DEP_1)
	v_add_nc_u32_e32 v4, v4, v5
	v_cndmask_b32_e64 v7, 0, 1, vcc_lo
	v_cmp_le_u32_e32 vcc_lo, v34, v2
	ds_bpermute_b32 v5, v32, v4
	v_lshlrev_b32_e32 v7, 3, v7
	v_add_lshl_u32 v35, v7, v54, 2
	s_waitcnt lgkmcnt(0)
	v_cndmask_b32_e32 v5, 0, v5, vcc_lo
	v_cmp_gt_u32_e32 vcc_lo, 16, v54
	s_delay_alu instid0(VALU_DEP_2) | instskip(SKIP_4) | instid1(VALU_DEP_1)
	v_add_nc_u32_e32 v4, v4, v5
	v_cndmask_b32_e64 v7, 0, 1, vcc_lo
	v_cmp_le_u32_e32 vcc_lo, v57, v2
	ds_bpermute_b32 v5, v35, v4
	v_lshlrev_b32_e32 v7, 4, v7
	v_add_lshl_u32 v58, v7, v54, 2
	s_waitcnt lgkmcnt(0)
	v_cndmask_b32_e32 v5, 0, v5, vcc_lo
	v_cmp_le_u32_e32 vcc_lo, v59, v2
	s_delay_alu instid0(VALU_DEP_2) | instskip(SKIP_3) | instid1(VALU_DEP_1)
	v_add_nc_u32_e32 v4, v4, v5
	ds_bpermute_b32 v5, v58, v4
	s_waitcnt lgkmcnt(0)
	v_cndmask_b32_e32 v2, 0, v5, vcc_lo
	v_dual_mov_b32 v4, 0 :: v_dual_add_nc_u32 v5, v4, v2
	s_branch .LBB587_93
.LBB587_92:                             ;   in Loop: Header=BB587_93 Depth=1
	s_or_b32 exec_lo, exec_lo, s19
	ds_bpermute_b32 v8, v11, v5
	v_and_b32_e32 v7, 0xff, v6
	v_subrev_nc_u32_e32 v3, 32, v3
	s_delay_alu instid0(VALU_DEP_2) | instskip(SKIP_1) | instid1(VALU_DEP_1)
	v_cmp_eq_u16_e32 vcc_lo, 2, v7
	v_and_or_b32 v7, vcc_lo, v12, 0x80000000
	v_ctz_i32_b32_e32 v7, v7
	s_delay_alu instid0(VALU_DEP_1) | instskip(SKIP_3) | instid1(VALU_DEP_2)
	v_cmp_lt_u32_e32 vcc_lo, v54, v7
	s_waitcnt lgkmcnt(0)
	v_cndmask_b32_e32 v8, 0, v8, vcc_lo
	v_cmp_le_u32_e32 vcc_lo, v18, v7
	v_add_nc_u32_e32 v5, v8, v5
	ds_bpermute_b32 v8, v17, v5
	s_waitcnt lgkmcnt(0)
	v_cndmask_b32_e32 v8, 0, v8, vcc_lo
	v_cmp_le_u32_e32 vcc_lo, v34, v7
	s_delay_alu instid0(VALU_DEP_2) | instskip(SKIP_4) | instid1(VALU_DEP_2)
	v_add_nc_u32_e32 v5, v5, v8
	ds_bpermute_b32 v8, v32, v5
	s_waitcnt lgkmcnt(0)
	v_cndmask_b32_e32 v8, 0, v8, vcc_lo
	v_cmp_le_u32_e32 vcc_lo, v57, v7
	v_add_nc_u32_e32 v5, v5, v8
	ds_bpermute_b32 v8, v35, v5
	s_waitcnt lgkmcnt(0)
	v_cndmask_b32_e32 v8, 0, v8, vcc_lo
	v_cmp_le_u32_e32 vcc_lo, v59, v7
	s_delay_alu instid0(VALU_DEP_2) | instskip(SKIP_3) | instid1(VALU_DEP_1)
	v_add_nc_u32_e32 v5, v5, v8
	ds_bpermute_b32 v8, v58, v5
	s_waitcnt lgkmcnt(0)
	v_cndmask_b32_e32 v7, 0, v8, vcc_lo
	v_add3_u32 v5, v7, v2, v5
.LBB587_93:                             ; =>This Loop Header: Depth=1
                                        ;     Child Loop BB587_96 Depth 2
                                        ;       Child Loop BB587_97 Depth 3
	v_and_b32_e32 v2, 0xff, v6
	s_delay_alu instid0(VALU_DEP_1) | instskip(SKIP_2) | instid1(VALU_DEP_1)
	v_cmp_ne_u16_e32 vcc_lo, 2, v2
	v_cndmask_b32_e64 v2, 0, 1, vcc_lo
	;;#ASMSTART
	;;#ASMEND
	v_cmp_ne_u32_e32 vcc_lo, 0, v2
	v_mov_b32_e32 v2, v5
	s_cmp_lg_u32 vcc_lo, exec_lo
	s_cbranch_scc1 .LBB587_100
; %bb.94:                               ;   in Loop: Header=BB587_93 Depth=1
	v_lshlrev_b64 v[5:6], 3, v[3:4]
	s_mov_b32 s19, exec_lo
	s_delay_alu instid0(VALU_DEP_1) | instskip(NEXT) | instid1(VALU_DEP_2)
	v_add_co_u32 v7, vcc_lo, s10, v5
	v_add_co_ci_u32_e32 v8, vcc_lo, s11, v6, vcc_lo
	global_load_b64 v[5:6], v[7:8], off glc
	s_waitcnt vmcnt(0)
	v_and_b32_e32 v60, 0xff, v6
	s_delay_alu instid0(VALU_DEP_1)
	v_cmpx_eq_u16_e32 0, v60
	s_cbranch_execz .LBB587_92
; %bb.95:                               ;   in Loop: Header=BB587_93 Depth=1
	s_mov_b32 s21, 1
	s_mov_b32 s20, 0
	.p2align	6
.LBB587_96:                             ;   Parent Loop BB587_93 Depth=1
                                        ; =>  This Loop Header: Depth=2
                                        ;       Child Loop BB587_97 Depth 3
	s_max_u32 s22, s21, 1
.LBB587_97:                             ;   Parent Loop BB587_93 Depth=1
                                        ;     Parent Loop BB587_96 Depth=2
                                        ; =>    This Inner Loop Header: Depth=3
	s_delay_alu instid0(SALU_CYCLE_1)
	s_add_i32 s22, s22, -1
	s_sleep 1
	s_cmp_eq_u32 s22, 0
	s_cbranch_scc0 .LBB587_97
; %bb.98:                               ;   in Loop: Header=BB587_96 Depth=2
	global_load_b64 v[5:6], v[7:8], off glc
	s_cmp_lt_u32 s21, 32
	s_cselect_b32 s22, -1, 0
	s_delay_alu instid0(SALU_CYCLE_1) | instskip(SKIP_3) | instid1(VALU_DEP_1)
	s_cmp_lg_u32 s22, 0
	s_addc_u32 s21, s21, 0
	s_waitcnt vmcnt(0)
	v_and_b32_e32 v60, 0xff, v6
	v_cmp_ne_u16_e32 vcc_lo, 0, v60
	s_or_b32 s20, vcc_lo, s20
	s_delay_alu instid0(SALU_CYCLE_1)
	s_and_not1_b32 exec_lo, exec_lo, s20
	s_cbranch_execnz .LBB587_96
; %bb.99:                               ;   in Loop: Header=BB587_93 Depth=1
	s_or_b32 exec_lo, exec_lo, s20
	s_branch .LBB587_92
.LBB587_100:                            ;   in Loop: Header=BB587_93 Depth=1
                                        ; implicit-def: $vgpr5
                                        ; implicit-def: $vgpr6
	s_cbranch_execz .LBB587_93
; %bb.101:
	s_and_saveexec_b32 s19, s8
	s_cbranch_execz .LBB587_103
; %bb.102:
	s_add_i32 s20, s15, 32
	s_mov_b32 s21, 0
	v_dual_mov_b32 v4, 2 :: v_dual_add_nc_u32 v3, v2, v1
	s_lshl_b64 s[20:21], s[20:21], 3
	v_mov_b32_e32 v5, 0
	s_add_u32 s20, s10, s20
	s_addc_u32 s21, s11, s21
	global_store_b64 v5, v[3:4], s[20:21]
	ds_store_b64 v5, v[1:2] offset:5632
.LBB587_103:
	s_or_b32 exec_lo, exec_lo, s19
	v_cmp_eq_u32_e32 vcc_lo, 0, v0
	s_and_b32 exec_lo, exec_lo, vcc_lo
	s_cbranch_execz .LBB587_105
; %bb.104:
	v_mov_b32_e32 v1, 0
	ds_store_b32 v1, v2 offset:12
.LBB587_105:
	s_or_b32 exec_lo, exec_lo, s9
	s_waitcnt lgkmcnt(0)
	v_cndmask_b32_e64 v3, v10, v9, s8
	v_cmp_ne_u32_e32 vcc_lo, 0, v0
	s_waitcnt_vscnt null, 0x0
	s_barrier
	buffer_gl0_inv
	v_cndmask_b32_e32 v3, 0, v3, vcc_lo
	v_mov_b32_e32 v1, 0
	ds_load_b32 v2, v1 offset:12
	s_waitcnt lgkmcnt(0)
	s_barrier
	buffer_gl0_inv
	v_add_nc_u32_e32 v2, v2, v3
	ds_load_b64 v[17:18], v1 offset:5632
	v_add_nc_u32_e32 v3, v2, v45
	s_delay_alu instid0(VALU_DEP_1) | instskip(SKIP_1) | instid1(VALU_DEP_1)
	v_add_nc_u32_e32 v4, v3, v46
	s_waitcnt lgkmcnt(0)
	v_dual_mov_b32 v32, v18 :: v_dual_add_nc_u32 v5, v4, v47
	s_delay_alu instid0(VALU_DEP_1) | instskip(NEXT) | instid1(VALU_DEP_1)
	v_add_nc_u32_e32 v6, v5, v49
	v_add_nc_u32_e32 v7, v6, v48
	s_delay_alu instid0(VALU_DEP_1) | instskip(NEXT) | instid1(VALU_DEP_1)
	v_add_nc_u32_e32 v8, v7, v50
	v_add_nc_u32_e32 v9, v8, v51
	;; [unrolled: 3-line block ×3, first 2 shown]
	s_delay_alu instid0(VALU_DEP_1)
	v_add_nc_u32_e32 v12, v11, v53
	v_lshrrev_b64 v[34:35], 24, v[30:31]
	s_branch .LBB587_116
.LBB587_106:
                                        ; implicit-def: $vgpr32
                                        ; implicit-def: $vgpr2_vgpr3_vgpr4_vgpr5_vgpr6_vgpr7_vgpr8_vgpr9_vgpr10_vgpr11_vgpr12
                                        ; implicit-def: $vgpr17
	v_lshrrev_b64 v[34:35], 24, v[30:31]
	s_and_b32 vcc_lo, exec_lo, s8
	s_cbranch_vccz .LBB587_116
; %bb.107:
	v_mov_b32_dpp v1, v56 row_shr:1 row_mask:0xf bank_mask:0xf
	s_delay_alu instid0(VALU_DEP_1) | instskip(NEXT) | instid1(VALU_DEP_1)
	v_cndmask_b32_e64 v1, v1, 0, s7
	v_add_nc_u32_e32 v1, v1, v56
	s_delay_alu instid0(VALU_DEP_1) | instskip(NEXT) | instid1(VALU_DEP_1)
	v_mov_b32_dpp v2, v1 row_shr:2 row_mask:0xf bank_mask:0xf
	v_cndmask_b32_e64 v2, 0, v2, s6
	s_delay_alu instid0(VALU_DEP_1) | instskip(NEXT) | instid1(VALU_DEP_1)
	v_add_nc_u32_e32 v1, v1, v2
	v_mov_b32_dpp v2, v1 row_shr:4 row_mask:0xf bank_mask:0xf
	s_delay_alu instid0(VALU_DEP_1) | instskip(NEXT) | instid1(VALU_DEP_1)
	v_cndmask_b32_e64 v2, 0, v2, s5
	v_add_nc_u32_e32 v1, v1, v2
	s_delay_alu instid0(VALU_DEP_1) | instskip(NEXT) | instid1(VALU_DEP_1)
	v_mov_b32_dpp v2, v1 row_shr:8 row_mask:0xf bank_mask:0xf
	v_cndmask_b32_e64 v2, 0, v2, s4
	s_delay_alu instid0(VALU_DEP_1) | instskip(SKIP_3) | instid1(VALU_DEP_1)
	v_add_nc_u32_e32 v1, v1, v2
	ds_swizzle_b32 v2, v1 offset:swizzle(BROADCAST,32,15)
	s_waitcnt lgkmcnt(0)
	v_cndmask_b32_e64 v2, v2, 0, s3
	v_add_nc_u32_e32 v1, v1, v2
	s_and_saveexec_b32 s3, s2
	s_cbranch_execz .LBB587_109
; %bb.108:
	v_lshlrev_b32_e32 v2, 2, v55
	ds_store_b32 v2, v1
.LBB587_109:
	s_or_b32 exec_lo, exec_lo, s3
	s_delay_alu instid0(SALU_CYCLE_1)
	s_mov_b32 s2, exec_lo
	s_waitcnt lgkmcnt(0)
	s_barrier
	buffer_gl0_inv
	v_cmpx_gt_u32_e32 4, v0
	s_cbranch_execz .LBB587_111
; %bb.110:
	v_mad_i32_i24 v2, 0xffffffd8, v0, v44
	ds_load_b32 v3, v2
	s_waitcnt lgkmcnt(0)
	v_mov_b32_dpp v5, v3 row_shr:1 row_mask:0xf bank_mask:0xf
	v_and_b32_e32 v4, 3, v54
	s_delay_alu instid0(VALU_DEP_1) | instskip(NEXT) | instid1(VALU_DEP_3)
	v_cmp_ne_u32_e32 vcc_lo, 0, v4
	v_cndmask_b32_e32 v5, 0, v5, vcc_lo
	v_cmp_lt_u32_e32 vcc_lo, 1, v4
	s_delay_alu instid0(VALU_DEP_2) | instskip(NEXT) | instid1(VALU_DEP_1)
	v_add_nc_u32_e32 v3, v5, v3
	v_mov_b32_dpp v5, v3 row_shr:2 row_mask:0xf bank_mask:0xf
	s_delay_alu instid0(VALU_DEP_1) | instskip(NEXT) | instid1(VALU_DEP_1)
	v_cndmask_b32_e32 v4, 0, v5, vcc_lo
	v_add_nc_u32_e32 v3, v3, v4
	ds_store_b32 v2, v3
.LBB587_111:
	s_or_b32 exec_lo, exec_lo, s2
	v_dual_mov_b32 v3, 0 :: v_dual_mov_b32 v2, 0
	s_mov_b32 s2, exec_lo
	s_waitcnt lgkmcnt(0)
	s_barrier
	buffer_gl0_inv
	v_cmpx_lt_u32_e32 31, v0
	s_cbranch_execz .LBB587_113
; %bb.112:
	v_lshl_add_u32 v2, v55, 2, -4
	ds_load_b32 v2, v2
.LBB587_113:
	s_or_b32 exec_lo, exec_lo, s2
	v_add_nc_u32_e32 v4, -1, v54
	ds_load_b32 v17, v3 offset:12
	s_waitcnt lgkmcnt(1)
	v_add_nc_u32_e32 v1, v2, v1
	v_cmp_gt_i32_e32 vcc_lo, 0, v4
	v_cndmask_b32_e32 v4, v4, v54, vcc_lo
	v_cmp_eq_u32_e32 vcc_lo, 0, v0
	s_delay_alu instid0(VALU_DEP_2)
	v_lshlrev_b32_e32 v4, 2, v4
	ds_bpermute_b32 v1, v4, v1
	s_and_saveexec_b32 s2, vcc_lo
	s_cbranch_execz .LBB587_115
; %bb.114:
	v_dual_mov_b32 v3, 0 :: v_dual_mov_b32 v18, 2
	s_waitcnt lgkmcnt(1)
	global_store_b64 v3, v[17:18], s[10:11] offset:256
.LBB587_115:
	s_or_b32 exec_lo, exec_lo, s2
	v_cmp_eq_u32_e64 s2, 0, v54
	s_waitcnt lgkmcnt(0)
	s_waitcnt_vscnt null, 0x0
	s_barrier
	buffer_gl0_inv
	v_mov_b32_e32 v32, 0
	v_cndmask_b32_e64 v1, v1, v2, s2
	s_delay_alu instid0(VALU_DEP_1) | instskip(NEXT) | instid1(VALU_DEP_1)
	v_cndmask_b32_e64 v2, v1, 0, vcc_lo
	v_add_nc_u32_e32 v3, v2, v45
	s_delay_alu instid0(VALU_DEP_1) | instskip(NEXT) | instid1(VALU_DEP_1)
	v_add_nc_u32_e32 v4, v3, v46
	v_add_nc_u32_e32 v5, v4, v47
	s_delay_alu instid0(VALU_DEP_1) | instskip(NEXT) | instid1(VALU_DEP_1)
	v_add_nc_u32_e32 v6, v5, v49
	;; [unrolled: 3-line block ×4, first 2 shown]
	v_add_nc_u32_e32 v11, v10, v52
	s_delay_alu instid0(VALU_DEP_1)
	v_add_nc_u32_e32 v12, v11, v53
.LBB587_116:
	s_load_b128 s[4:7], s[0:1], 0x28
	v_add_nc_u32_e32 v48, v32, v17
	v_cmp_gt_u32_e64 s0, 0x81, v17
	v_lshrrev_b32_e32 v18, 16, v19
	v_lshrrev_b32_e32 v46, 16, v30
	;; [unrolled: 1-line block ×6, first 2 shown]
	v_cmp_lt_u32_e64 s1, v2, v48
	s_and_b32 vcc_lo, exec_lo, s0
	s_mov_b32 s2, -1
	s_cbranch_vccz .LBB587_151
; %bb.117:
	s_lshl_b64 s[2:3], s[12:13], 1
	s_waitcnt lgkmcnt(0)
	s_add_u32 s2, s4, s2
	s_addc_u32 s3, s5, s3
	s_or_b32 s8, s18, s1
	s_delay_alu instid0(SALU_CYCLE_1)
	s_and_saveexec_b32 s1, s8
	s_cbranch_execz .LBB587_120
; %bb.118:
	v_and_b32_e32 v1, 1, v30
	s_delay_alu instid0(VALU_DEP_1)
	v_cmp_eq_u32_e32 vcc_lo, 1, v1
	s_and_b32 exec_lo, exec_lo, vcc_lo
	s_cbranch_execz .LBB587_120
; %bb.119:
	v_dual_mov_b32 v50, 0 :: v_dual_mov_b32 v49, v2
	s_delay_alu instid0(VALU_DEP_1) | instskip(NEXT) | instid1(VALU_DEP_1)
	v_lshlrev_b64 v[49:50], 1, v[49:50]
	v_add_co_u32 v49, vcc_lo, s2, v49
	s_delay_alu instid0(VALU_DEP_2)
	v_add_co_ci_u32_e32 v50, vcc_lo, s3, v50, vcc_lo
	global_store_b16 v[49:50], v13, off
.LBB587_120:
	s_or_b32 exec_lo, exec_lo, s1
	v_cmp_lt_u32_e32 vcc_lo, v3, v48
	s_or_b32 s8, s18, vcc_lo
	s_delay_alu instid0(SALU_CYCLE_1)
	s_and_saveexec_b32 s1, s8
	s_cbranch_execz .LBB587_123
; %bb.121:
	v_and_b32_e32 v1, 1, v47
	s_delay_alu instid0(VALU_DEP_1)
	v_cmp_eq_u32_e32 vcc_lo, 1, v1
	s_and_b32 exec_lo, exec_lo, vcc_lo
	s_cbranch_execz .LBB587_123
; %bb.122:
	v_dual_mov_b32 v50, 0 :: v_dual_mov_b32 v49, v3
	s_delay_alu instid0(VALU_DEP_1) | instskip(NEXT) | instid1(VALU_DEP_1)
	v_lshlrev_b64 v[49:50], 1, v[49:50]
	v_add_co_u32 v49, vcc_lo, s2, v49
	s_delay_alu instid0(VALU_DEP_2)
	v_add_co_ci_u32_e32 v50, vcc_lo, s3, v50, vcc_lo
	global_store_b16 v[49:50], v43, off
.LBB587_123:
	s_or_b32 exec_lo, exec_lo, s1
	v_cmp_lt_u32_e32 vcc_lo, v4, v48
	s_or_b32 s8, s18, vcc_lo
	;; [unrolled: 21-line block ×10, first 2 shown]
	s_delay_alu instid0(SALU_CYCLE_1)
	s_and_saveexec_b32 s1, s8
	s_cbranch_execz .LBB587_150
; %bb.148:
	v_and_b32_e32 v1, 1, v18
	s_delay_alu instid0(VALU_DEP_1)
	v_cmp_eq_u32_e32 vcc_lo, 1, v1
	s_and_b32 exec_lo, exec_lo, vcc_lo
	s_cbranch_execz .LBB587_150
; %bb.149:
	v_dual_mov_b32 v50, 0 :: v_dual_mov_b32 v49, v12
	s_delay_alu instid0(VALU_DEP_1) | instskip(NEXT) | instid1(VALU_DEP_1)
	v_lshlrev_b64 v[49:50], 1, v[49:50]
	v_add_co_u32 v49, vcc_lo, s2, v49
	s_delay_alu instid0(VALU_DEP_2)
	v_add_co_ci_u32_e32 v50, vcc_lo, s3, v50, vcc_lo
	global_store_b16 v[49:50], v33, off
.LBB587_150:
	s_or_b32 exec_lo, exec_lo, s1
	s_mov_b32 s2, 0
.LBB587_151:
	v_and_b32_e32 v30, 1, v30
	s_and_b32 vcc_lo, exec_lo, s2
	s_delay_alu instid0(VALU_DEP_1)
	v_cmp_eq_u32_e64 s1, 1, v30
	s_cbranch_vccz .LBB587_190
; %bb.152:
	s_delay_alu instid0(VALU_DEP_1)
	s_and_saveexec_b32 s2, s1
	s_cbranch_execz .LBB587_154
; %bb.153:
	v_sub_nc_u32_e32 v1, v2, v32
	s_delay_alu instid0(VALU_DEP_1)
	v_lshlrev_b32_e32 v1, 1, v1
	ds_store_b16 v1, v13
.LBB587_154:
	s_or_b32 exec_lo, exec_lo, s2
	v_and_b32_e32 v1, 1, v47
	s_mov_b32 s1, exec_lo
	s_delay_alu instid0(VALU_DEP_1)
	v_cmpx_eq_u32_e32 1, v1
	s_cbranch_execz .LBB587_156
; %bb.155:
	v_sub_nc_u32_e32 v1, v3, v32
	s_delay_alu instid0(VALU_DEP_1)
	v_lshlrev_b32_e32 v1, 1, v1
	ds_store_b16 v1, v43
.LBB587_156:
	s_or_b32 exec_lo, exec_lo, s1
	v_and_b32_e32 v1, 1, v46
	s_mov_b32 s1, exec_lo
	s_delay_alu instid0(VALU_DEP_1)
	v_cmpx_eq_u32_e32 1, v1
	;; [unrolled: 12-line block ×10, first 2 shown]
	s_cbranch_execz .LBB587_174
; %bb.173:
	v_sub_nc_u32_e32 v1, v12, v32
	s_delay_alu instid0(VALU_DEP_1)
	v_lshlrev_b32_e32 v1, 1, v1
	ds_store_b16 v1, v33
.LBB587_174:
	s_or_b32 exec_lo, exec_lo, s1
	s_delay_alu instid0(SALU_CYCLE_1)
	s_mov_b32 s3, exec_lo
	s_waitcnt lgkmcnt(0)
	s_waitcnt_vscnt null, 0x0
	s_barrier
	buffer_gl0_inv
	v_cmpx_lt_u32_e64 v0, v17
	s_cbranch_execz .LBB587_189
; %bb.175:
	v_mov_b32_e32 v33, 0
	s_lshl_b64 s[8:9], s[12:13], 1
	v_xad_u32 v1, v0, -1, v17
	s_add_u32 s2, s4, s8
	s_addc_u32 s4, s5, s9
	v_lshlrev_b64 v[13:14], 1, v[32:33]
	s_delay_alu instid0(VALU_DEP_2) | instskip(NEXT) | instid1(VALU_DEP_2)
	v_cmp_gt_u32_e32 vcc_lo, 0xc80, v1
	v_add_co_u32 v33, s2, s2, v13
	s_delay_alu instid0(VALU_DEP_1)
	v_add_co_ci_u32_e64 v37, s2, s4, v14, s2
	v_mov_b32_e32 v13, v0
	s_mov_b32 s2, -1
	s_mov_b32 s4, exec_lo
	v_cmpx_lt_u32_e32 0xc7f, v1
	s_cbranch_execz .LBB587_186
; %bb.176:
	v_sub_nc_u32_e32 v13, v0, v17
	s_delay_alu instid0(VALU_DEP_1) | instskip(NEXT) | instid1(VALU_DEP_1)
	v_or_b32_e32 v13, 0x7f, v13
	v_cmp_ge_u32_e64 s1, v13, v0
	v_mov_b32_e32 v13, v0
	s_delay_alu instid0(VALU_DEP_2)
	s_and_saveexec_b32 s5, s1
	s_cbranch_execz .LBB587_185
; %bb.177:
	v_lshrrev_b32_e32 v38, 7, v1
	v_or_b32_e32 v1, 0x80, v0
	v_dual_mov_b32 v49, 0 :: v_dual_lshlrev_b32 v40, 1, v0
	s_delay_alu instid0(VALU_DEP_3) | instskip(NEXT) | instid1(VALU_DEP_1)
	v_add_nc_u32_e32 v13, -1, v38
	v_lshrrev_b32_e32 v14, 1, v13
	v_cmp_lt_u32_e64 s1, 13, v13
	s_delay_alu instid0(VALU_DEP_2) | instskip(SKIP_1) | instid1(VALU_DEP_3)
	v_dual_mov_b32 v14, v1 :: v_dual_add_nc_u32 v41, 1, v14
	v_mov_b32_e32 v13, v0
	s_and_saveexec_b32 s2, s1
	s_cbranch_execz .LBB587_181
; %bb.178:
	v_mov_b32_e32 v14, v1
	v_dual_mov_b32 v43, v40 :: v_dual_and_b32 v42, -8, v41
	v_dual_mov_b32 v16, 0 :: v_dual_mov_b32 v13, v0
	s_mov_b32 s8, 0
	s_mov_b32 s9, 0
.LBB587_179:                            ; =>This Inner Loop Header: Depth=1
	s_delay_alu instid0(VALU_DEP_1) | instskip(NEXT) | instid1(VALU_DEP_2)
	v_dual_mov_b32 v15, v13 :: v_dual_add_nc_u32 v50, 0x100, v14
	v_dual_mov_b32 v63, v16 :: v_dual_add_nc_u32 v42, -8, v42
	v_dual_mov_b32 v51, v16 :: v_dual_add_nc_u32 v52, 0x200, v14
	s_delay_alu instid0(VALU_DEP_3) | instskip(SKIP_1) | instid1(VALU_DEP_4)
	v_lshlrev_b64 v[64:65], 1, v[15:16]
	v_dual_mov_b32 v53, v16 :: v_dual_add_nc_u32 v54, 0x300, v14
	v_cmp_eq_u32_e64 s1, 0, v42
	s_delay_alu instid0(VALU_DEP_4)
	v_lshlrev_b64 v[50:51], 1, v[50:51]
	v_dual_mov_b32 v55, v16 :: v_dual_add_nc_u32 v56, 0x400, v14
	s_add_i32 s9, s9, 16
	v_lshlrev_b64 v[52:53], 1, v[52:53]
	s_or_b32 s8, s1, s8
	v_add_co_u32 v64, s1, v33, v64
	v_dual_mov_b32 v57, v16 :: v_dual_add_nc_u32 v58, 0x500, v14
	v_add_co_ci_u32_e64 v65, s1, v37, v65, s1
	v_lshlrev_b64 v[54:55], 1, v[54:55]
	v_add_co_u32 v50, s1, v33, v50
	v_dual_mov_b32 v59, v16 :: v_dual_add_nc_u32 v60, 0x600, v14
	v_add_co_ci_u32_e64 v51, s1, v37, v51, s1
	v_lshlrev_b64 v[56:57], 1, v[56:57]
	;; [unrolled: 4-line block ×3, first 2 shown]
	v_add_co_u32 v54, s1, v33, v54
	v_mov_b32_e32 v15, v14
	v_add_co_ci_u32_e64 v55, s1, v37, v55, s1
	v_lshlrev_b64 v[60:61], 1, v[60:61]
	v_add_co_u32 v56, s1, v33, v56
	ds_load_u16 v1, v43
	ds_load_u16 v70, v43 offset:256
	ds_load_u16 v71, v43 offset:512
	ds_load_u16 v72, v43 offset:768
	ds_load_u16 v73, v43 offset:1024
	ds_load_u16 v74, v43 offset:1280
	ds_load_u16 v75, v43 offset:1536
	ds_load_u16 v76, v43 offset:1792
	v_add_co_ci_u32_e64 v57, s1, v37, v57, s1
	v_lshlrev_b64 v[62:63], 1, v[62:63]
	v_add_co_u32 v58, s1, v33, v58
	v_lshlrev_b64 v[66:67], 1, v[15:16]
	v_add_nc_u32_e32 v15, 0x100, v13
	v_add_co_ci_u32_e64 v59, s1, v37, v59, s1
	v_add_co_u32 v60, s1, v33, v60
	s_delay_alu instid0(VALU_DEP_1)
	v_add_co_ci_u32_e64 v61, s1, v37, v61, s1
	v_add_co_u32 v62, s1, v33, v62
	v_lshlrev_b64 v[68:69], 1, v[15:16]
	v_add_nc_u32_e32 v15, 0x200, v13
	v_add_co_ci_u32_e64 v63, s1, v37, v63, s1
	v_add_co_u32 v66, s1, v33, v66
	ds_load_u16 v77, v43 offset:2048
	ds_load_u16 v78, v43 offset:2304
	;; [unrolled: 1-line block ×8, first 2 shown]
	v_add_co_ci_u32_e64 v67, s1, v37, v67, s1
	s_waitcnt lgkmcnt(15)
	global_store_b16 v[64:65], v1, off
	v_lshlrev_b64 v[64:65], 1, v[15:16]
	v_add_nc_u32_e32 v15, 0x300, v13
	v_add_co_u32 v68, s1, v33, v68
	s_delay_alu instid0(VALU_DEP_1)
	v_add_co_ci_u32_e64 v69, s1, v37, v69, s1
	s_waitcnt lgkmcnt(14)
	global_store_b16 v[66:67], v70, off
	v_lshlrev_b64 v[66:67], 1, v[15:16]
	v_add_nc_u32_e32 v15, 0x400, v13
	s_waitcnt lgkmcnt(13)
	global_store_b16 v[68:69], v71, off
	s_waitcnt lgkmcnt(12)
	global_store_b16 v[50:51], v72, off
	v_add_co_u32 v50, s1, v33, v64
	s_delay_alu instid0(VALU_DEP_1) | instskip(SKIP_3) | instid1(VALU_DEP_1)
	v_add_co_ci_u32_e64 v51, s1, v37, v65, s1
	v_lshlrev_b64 v[64:65], 1, v[15:16]
	v_add_nc_u32_e32 v15, 0x500, v13
	v_add_co_u32 v66, s1, v33, v66
	v_add_co_ci_u32_e64 v67, s1, v37, v67, s1
	s_waitcnt lgkmcnt(11)
	global_store_b16 v[50:51], v73, off
	s_waitcnt lgkmcnt(10)
	global_store_b16 v[52:53], v74, off
	v_lshlrev_b64 v[50:51], 1, v[15:16]
	v_add_nc_u32_e32 v15, 0x600, v13
	v_add_co_u32 v52, s1, v33, v64
	s_waitcnt lgkmcnt(9)
	global_store_b16 v[66:67], v75, off
	s_waitcnt lgkmcnt(8)
	global_store_b16 v[54:55], v76, off
	v_add_co_ci_u32_e64 v53, s1, v37, v65, s1
	v_lshlrev_b64 v[54:55], 1, v[15:16]
	v_add_nc_u32_e32 v15, 0x700, v13
	v_add_co_u32 v50, s1, v33, v50
	s_delay_alu instid0(VALU_DEP_1)
	v_add_co_ci_u32_e64 v51, s1, v37, v51, s1
	s_waitcnt lgkmcnt(7)
	global_store_b16 v[52:53], v77, off
	s_waitcnt lgkmcnt(6)
	global_store_b16 v[56:57], v78, off
	v_lshlrev_b64 v[52:53], 1, v[15:16]
	v_add_nc_u32_e32 v43, 0x1000, v43
	s_waitcnt lgkmcnt(5)
	global_store_b16 v[50:51], v79, off
	v_add_co_u32 v50, s1, v33, v54
	v_dual_mov_b32 v49, s9 :: v_dual_add_nc_u32 v14, 0x800, v14
	v_add_nc_u32_e32 v13, 0x800, v13
	v_add_co_ci_u32_e64 v51, s1, v37, v55, s1
	v_add_co_u32 v52, s1, v33, v52
	s_delay_alu instid0(VALU_DEP_1)
	v_add_co_ci_u32_e64 v53, s1, v37, v53, s1
	s_waitcnt lgkmcnt(4)
	global_store_b16 v[58:59], v80, off
	s_waitcnt lgkmcnt(3)
	global_store_b16 v[50:51], v81, off
	;; [unrolled: 2-line block ×5, first 2 shown]
	s_and_not1_b32 exec_lo, exec_lo, s8
	s_cbranch_execnz .LBB587_179
; %bb.180:
	s_or_b32 exec_lo, exec_lo, s8
.LBB587_181:
	s_delay_alu instid0(SALU_CYCLE_1) | instskip(SKIP_3) | instid1(VALU_DEP_1)
	s_or_b32 exec_lo, exec_lo, s2
	v_and_b32_e32 v1, 7, v41
	s_mov_b32 s9, 0
	s_mov_b32 s8, exec_lo
	v_cmpx_ne_u32_e32 0, v1
	s_cbranch_execz .LBB587_184
; %bb.182:
	v_lshl_or_b32 v40, v49, 8, v40
	v_mov_b32_e32 v16, 0
	s_set_inst_prefetch_distance 0x1
	.p2align	6
.LBB587_183:                            ; =>This Inner Loop Header: Depth=1
	v_mov_b32_e32 v15, v13
	ds_load_u16 v43, v40
	ds_load_u16 v51, v40 offset:256
	v_add_nc_u32_e32 v40, 0x200, v40
	v_add_nc_u32_e32 v1, -1, v1
	v_add_nc_u32_e32 v13, 0x100, v13
	v_lshlrev_b64 v[41:42], 1, v[15:16]
	v_dual_mov_b32 v15, v14 :: v_dual_add_nc_u32 v14, 0x100, v14
	s_delay_alu instid0(VALU_DEP_4) | instskip(NEXT) | instid1(VALU_DEP_2)
	v_cmp_eq_u32_e64 s1, 0, v1
	v_lshlrev_b64 v[49:50], 1, v[15:16]
	s_delay_alu instid0(VALU_DEP_4) | instskip(NEXT) | instid1(VALU_DEP_1)
	v_add_co_u32 v41, s2, v33, v41
	v_add_co_ci_u32_e64 v42, s2, v37, v42, s2
	s_delay_alu instid0(VALU_DEP_4) | instskip(NEXT) | instid1(VALU_DEP_3)
	s_or_b32 s9, s1, s9
	v_add_co_u32 v49, s2, v33, v49
	s_delay_alu instid0(VALU_DEP_1)
	v_add_co_ci_u32_e64 v50, s2, v37, v50, s2
	s_waitcnt lgkmcnt(1)
	global_store_b16 v[41:42], v43, off
	s_waitcnt lgkmcnt(0)
	global_store_b16 v[49:50], v51, off
	s_and_not1_b32 exec_lo, exec_lo, s9
	s_cbranch_execnz .LBB587_183
.LBB587_184:
	s_set_inst_prefetch_distance 0x2
	s_or_b32 exec_lo, exec_lo, s8
	v_add_nc_u32_e32 v1, 1, v38
	s_delay_alu instid0(VALU_DEP_1) | instskip(NEXT) | instid1(VALU_DEP_1)
	v_and_b32_e32 v13, 0x3fffffe, v1
	v_cmp_ne_u32_e64 s1, v1, v13
	v_lshl_or_b32 v13, v13, 7, v0
	s_delay_alu instid0(VALU_DEP_2)
	s_or_not1_b32 s2, s1, exec_lo
.LBB587_185:
	s_or_b32 exec_lo, exec_lo, s5
	s_delay_alu instid0(SALU_CYCLE_1) | instskip(SKIP_1) | instid1(SALU_CYCLE_1)
	s_and_not1_b32 s1, vcc_lo, exec_lo
	s_and_b32 s2, s2, exec_lo
	s_or_b32 vcc_lo, s1, s2
.LBB587_186:
	s_or_b32 exec_lo, exec_lo, s4
	s_delay_alu instid0(SALU_CYCLE_1)
	s_and_b32 exec_lo, exec_lo, vcc_lo
	s_cbranch_execz .LBB587_189
; %bb.187:
	v_dual_mov_b32 v14, 0 :: v_dual_lshlrev_b32 v1, 1, v13
	s_mov_b32 s2, 0
	.p2align	6
.LBB587_188:                            ; =>This Inner Loop Header: Depth=1
	ds_load_u16 v38, v1
	v_lshlrev_b64 v[15:16], 1, v[13:14]
	v_add_nc_u32_e32 v13, 0x80, v13
	v_add_nc_u32_e32 v1, 0x100, v1
	s_delay_alu instid0(VALU_DEP_2) | instskip(NEXT) | instid1(VALU_DEP_4)
	v_cmp_ge_u32_e32 vcc_lo, v13, v17
	v_add_co_u32 v15, s1, v33, v15
	s_delay_alu instid0(VALU_DEP_1)
	v_add_co_ci_u32_e64 v16, s1, v37, v16, s1
	s_or_b32 s2, vcc_lo, s2
	s_waitcnt lgkmcnt(0)
	global_store_b16 v[15:16], v38, off
	s_and_not1_b32 exec_lo, exec_lo, s2
	s_cbranch_execnz .LBB587_188
.LBB587_189:
	s_or_b32 exec_lo, exec_lo, s3
.LBB587_190:
	s_delay_alu instid0(SALU_CYCLE_1)
	s_and_b32 vcc_lo, exec_lo, s0
	s_mov_b32 s0, -1
	s_waitcnt lgkmcnt(0)
	s_waitcnt_vscnt null, 0x0
	s_barrier
	buffer_gl0_inv
	s_cbranch_vccnz .LBB587_194
; %bb.191:
	s_and_b32 vcc_lo, exec_lo, s0
	s_cbranch_vccnz .LBB587_228
.LBB587_192:
	v_cmp_eq_u32_e32 vcc_lo, 0, v0
	s_and_b32 s0, vcc_lo, s14
	s_delay_alu instid0(SALU_CYCLE_1)
	s_and_saveexec_b32 s1, s0
	s_cbranch_execnz .LBB587_254
.LBB587_193:
	s_nop 0
	s_sendmsg sendmsg(MSG_DEALLOC_VGPRS)
	s_endpgm
.LBB587_194:
	v_cmp_lt_u32_e32 vcc_lo, v2, v48
	s_lshl_b64 s[0:1], s[12:13], 2
	s_delay_alu instid0(SALU_CYCLE_1) | instskip(SKIP_2) | instid1(SALU_CYCLE_1)
	s_add_u32 s0, s6, s0
	s_addc_u32 s1, s7, s1
	s_or_b32 s3, s18, vcc_lo
	s_and_saveexec_b32 s2, s3
	s_cbranch_execz .LBB587_197
; %bb.195:
	v_cmp_eq_u32_e32 vcc_lo, 1, v30
	s_and_b32 exec_lo, exec_lo, vcc_lo
	s_cbranch_execz .LBB587_197
; %bb.196:
	v_dual_mov_b32 v14, 0 :: v_dual_mov_b32 v13, v2
	s_delay_alu instid0(VALU_DEP_1) | instskip(NEXT) | instid1(VALU_DEP_1)
	v_lshlrev_b64 v[13:14], 2, v[13:14]
	v_add_co_u32 v13, vcc_lo, s0, v13
	s_delay_alu instid0(VALU_DEP_2)
	v_add_co_ci_u32_e32 v14, vcc_lo, s1, v14, vcc_lo
	global_store_b32 v[13:14], v28, off
.LBB587_197:
	s_or_b32 exec_lo, exec_lo, s2
	v_cmp_lt_u32_e32 vcc_lo, v3, v48
	s_or_b32 s3, s18, vcc_lo
	s_delay_alu instid0(SALU_CYCLE_1)
	s_and_saveexec_b32 s2, s3
	s_cbranch_execz .LBB587_200
; %bb.198:
	v_and_b32_e32 v1, 1, v47
	s_delay_alu instid0(VALU_DEP_1)
	v_cmp_eq_u32_e32 vcc_lo, 1, v1
	s_and_b32 exec_lo, exec_lo, vcc_lo
	s_cbranch_execz .LBB587_200
; %bb.199:
	v_dual_mov_b32 v14, 0 :: v_dual_mov_b32 v13, v3
	s_delay_alu instid0(VALU_DEP_1) | instskip(NEXT) | instid1(VALU_DEP_1)
	v_lshlrev_b64 v[13:14], 2, v[13:14]
	v_add_co_u32 v13, vcc_lo, s0, v13
	s_delay_alu instid0(VALU_DEP_2)
	v_add_co_ci_u32_e32 v14, vcc_lo, s1, v14, vcc_lo
	global_store_b32 v[13:14], v29, off
.LBB587_200:
	s_or_b32 exec_lo, exec_lo, s2
	v_cmp_lt_u32_e32 vcc_lo, v4, v48
	s_or_b32 s3, s18, vcc_lo
	s_delay_alu instid0(SALU_CYCLE_1)
	s_and_saveexec_b32 s2, s3
	s_cbranch_execz .LBB587_203
; %bb.201:
	v_and_b32_e32 v1, 1, v46
	s_delay_alu instid0(VALU_DEP_1)
	v_cmp_eq_u32_e32 vcc_lo, 1, v1
	s_and_b32 exec_lo, exec_lo, vcc_lo
	s_cbranch_execz .LBB587_203
; %bb.202:
	v_dual_mov_b32 v14, 0 :: v_dual_mov_b32 v13, v4
	s_delay_alu instid0(VALU_DEP_1) | instskip(NEXT) | instid1(VALU_DEP_1)
	v_lshlrev_b64 v[13:14], 2, v[13:14]
	v_add_co_u32 v13, vcc_lo, s0, v13
	s_delay_alu instid0(VALU_DEP_2)
	v_add_co_ci_u32_e32 v14, vcc_lo, s1, v14, vcc_lo
	global_store_b32 v[13:14], v26, off
.LBB587_203:
	;; [unrolled: 21-line block ×10, first 2 shown]
	s_or_b32 exec_lo, exec_lo, s2
	s_branch .LBB587_192
.LBB587_228:
	s_mov_b32 s0, exec_lo
	v_cmpx_eq_u32_e32 1, v30
	s_cbranch_execz .LBB587_230
; %bb.229:
	v_sub_nc_u32_e32 v1, v2, v32
	s_delay_alu instid0(VALU_DEP_1)
	v_lshlrev_b32_e32 v1, 2, v1
	ds_store_b32 v1, v28
.LBB587_230:
	s_or_b32 exec_lo, exec_lo, s0
	v_and_b32_e32 v1, 1, v47
	s_mov_b32 s0, exec_lo
	s_delay_alu instid0(VALU_DEP_1)
	v_cmpx_eq_u32_e32 1, v1
	s_cbranch_execz .LBB587_232
; %bb.231:
	v_sub_nc_u32_e32 v1, v3, v32
	s_delay_alu instid0(VALU_DEP_1)
	v_lshlrev_b32_e32 v1, 2, v1
	ds_store_b32 v1, v29
.LBB587_232:
	s_or_b32 exec_lo, exec_lo, s0
	v_and_b32_e32 v1, 1, v46
	s_mov_b32 s0, exec_lo
	s_delay_alu instid0(VALU_DEP_1)
	;; [unrolled: 12-line block ×10, first 2 shown]
	v_cmpx_eq_u32_e32 1, v1
	s_cbranch_execz .LBB587_250
; %bb.249:
	v_sub_nc_u32_e32 v1, v12, v32
	s_delay_alu instid0(VALU_DEP_1)
	v_lshlrev_b32_e32 v1, 2, v1
	ds_store_b32 v1, v36
.LBB587_250:
	s_or_b32 exec_lo, exec_lo, s0
	s_delay_alu instid0(SALU_CYCLE_1)
	s_mov_b32 s1, exec_lo
	s_waitcnt lgkmcnt(0)
	s_waitcnt_vscnt null, 0x0
	s_barrier
	buffer_gl0_inv
	v_cmpx_lt_u32_e64 v0, v17
	s_cbranch_execz .LBB587_253
; %bb.251:
	v_dual_mov_b32 v2, 0 :: v_dual_lshlrev_b32 v3, 2, v0
	s_lshl_b64 s[2:3], s[12:13], 2
	v_mov_b32_e32 v1, v0
	s_add_u32 s0, s6, s2
	s_delay_alu instid0(VALU_DEP_2) | instskip(SKIP_1) | instid1(VALU_DEP_1)
	v_mov_b32_e32 v33, v2
	s_addc_u32 s2, s7, s3
	v_lshlrev_b64 v[4:5], 2, v[32:33]
	s_delay_alu instid0(VALU_DEP_1) | instskip(NEXT) | instid1(VALU_DEP_2)
	v_add_co_u32 v4, vcc_lo, s0, v4
	v_add_co_ci_u32_e32 v5, vcc_lo, s2, v5, vcc_lo
	s_mov_b32 s2, 0
	.p2align	6
.LBB587_252:                            ; =>This Inner Loop Header: Depth=1
	ds_load_b32 v8, v3
	v_lshlrev_b64 v[6:7], 2, v[1:2]
	v_add_nc_u32_e32 v1, 0x80, v1
	v_add_nc_u32_e32 v3, 0x200, v3
	s_delay_alu instid0(VALU_DEP_2) | instskip(NEXT) | instid1(VALU_DEP_4)
	v_cmp_ge_u32_e32 vcc_lo, v1, v17
	v_add_co_u32 v6, s0, v4, v6
	s_delay_alu instid0(VALU_DEP_1)
	v_add_co_ci_u32_e64 v7, s0, v5, v7, s0
	s_or_b32 s2, vcc_lo, s2
	s_waitcnt lgkmcnt(0)
	global_store_b32 v[6:7], v8, off
	s_and_not1_b32 exec_lo, exec_lo, s2
	s_cbranch_execnz .LBB587_252
.LBB587_253:
	s_or_b32 exec_lo, exec_lo, s1
	v_cmp_eq_u32_e32 vcc_lo, 0, v0
	s_and_b32 s0, vcc_lo, s14
	s_delay_alu instid0(SALU_CYCLE_1)
	s_and_saveexec_b32 s1, s0
	s_cbranch_execz .LBB587_193
.LBB587_254:
	v_add_co_u32 v0, s0, s12, v17
	s_delay_alu instid0(VALU_DEP_1) | instskip(SKIP_1) | instid1(VALU_DEP_3)
	v_add_co_ci_u32_e64 v1, null, s13, 0, s0
	v_mov_b32_e32 v2, 0
	v_add_co_u32 v0, vcc_lo, v0, v32
	s_delay_alu instid0(VALU_DEP_3)
	v_add_co_ci_u32_e32 v1, vcc_lo, 0, v1, vcc_lo
	global_store_b64 v2, v[0:1], s[16:17]
	s_nop 0
	s_sendmsg sendmsg(MSG_DEALLOC_VGPRS)
	s_endpgm
.LBB587_255:
	s_or_b32 exec_lo, exec_lo, s3
	s_and_saveexec_b32 s3, s22
	s_cbranch_execnz .LBB587_72
	s_branch .LBB587_73
	.section	.rodata,"a",@progbits
	.p2align	6, 0x0
	.amdhsa_kernel _ZN7rocprim17ROCPRIM_400000_NS6detail17trampoline_kernelINS0_14default_configENS1_25partition_config_selectorILNS1_17partition_subalgoE9EtjbEEZZNS1_14partition_implILS5_9ELb0ES3_jN6thrust23THRUST_200600_302600_NS6detail15normal_iteratorINS9_10device_ptrItEEEENSB_INSC_IjEEEEPNS0_10empty_typeENS0_5tupleIJSE_SH_EEENSJ_IJSG_SI_EEENS0_18inequality_wrapperINS9_8equal_toItEEEEPmJSH_EEE10hipError_tPvRmT3_T4_T5_T6_T7_T9_mT8_P12ihipStream_tbDpT10_ENKUlT_T0_E_clISt17integral_constantIbLb1EES19_IbLb0EEEEDaS15_S16_EUlS15_E_NS1_11comp_targetILNS1_3genE9ELNS1_11target_archE1100ELNS1_3gpuE3ELNS1_3repE0EEENS1_30default_config_static_selectorELNS0_4arch9wavefront6targetE0EEEvT1_
		.amdhsa_group_segment_fixed_size 5640
		.amdhsa_private_segment_fixed_size 0
		.amdhsa_kernarg_size 112
		.amdhsa_user_sgpr_count 15
		.amdhsa_user_sgpr_dispatch_ptr 0
		.amdhsa_user_sgpr_queue_ptr 0
		.amdhsa_user_sgpr_kernarg_segment_ptr 1
		.amdhsa_user_sgpr_dispatch_id 0
		.amdhsa_user_sgpr_private_segment_size 0
		.amdhsa_wavefront_size32 1
		.amdhsa_uses_dynamic_stack 0
		.amdhsa_enable_private_segment 0
		.amdhsa_system_sgpr_workgroup_id_x 1
		.amdhsa_system_sgpr_workgroup_id_y 0
		.amdhsa_system_sgpr_workgroup_id_z 0
		.amdhsa_system_sgpr_workgroup_info 0
		.amdhsa_system_vgpr_workitem_id 0
		.amdhsa_next_free_vgpr 85
		.amdhsa_next_free_sgpr 24
		.amdhsa_reserve_vcc 1
		.amdhsa_float_round_mode_32 0
		.amdhsa_float_round_mode_16_64 0
		.amdhsa_float_denorm_mode_32 3
		.amdhsa_float_denorm_mode_16_64 3
		.amdhsa_dx10_clamp 1
		.amdhsa_ieee_mode 1
		.amdhsa_fp16_overflow 0
		.amdhsa_workgroup_processor_mode 1
		.amdhsa_memory_ordered 1
		.amdhsa_forward_progress 0
		.amdhsa_shared_vgpr_count 0
		.amdhsa_exception_fp_ieee_invalid_op 0
		.amdhsa_exception_fp_denorm_src 0
		.amdhsa_exception_fp_ieee_div_zero 0
		.amdhsa_exception_fp_ieee_overflow 0
		.amdhsa_exception_fp_ieee_underflow 0
		.amdhsa_exception_fp_ieee_inexact 0
		.amdhsa_exception_int_div_zero 0
	.end_amdhsa_kernel
	.section	.text._ZN7rocprim17ROCPRIM_400000_NS6detail17trampoline_kernelINS0_14default_configENS1_25partition_config_selectorILNS1_17partition_subalgoE9EtjbEEZZNS1_14partition_implILS5_9ELb0ES3_jN6thrust23THRUST_200600_302600_NS6detail15normal_iteratorINS9_10device_ptrItEEEENSB_INSC_IjEEEEPNS0_10empty_typeENS0_5tupleIJSE_SH_EEENSJ_IJSG_SI_EEENS0_18inequality_wrapperINS9_8equal_toItEEEEPmJSH_EEE10hipError_tPvRmT3_T4_T5_T6_T7_T9_mT8_P12ihipStream_tbDpT10_ENKUlT_T0_E_clISt17integral_constantIbLb1EES19_IbLb0EEEEDaS15_S16_EUlS15_E_NS1_11comp_targetILNS1_3genE9ELNS1_11target_archE1100ELNS1_3gpuE3ELNS1_3repE0EEENS1_30default_config_static_selectorELNS0_4arch9wavefront6targetE0EEEvT1_,"axG",@progbits,_ZN7rocprim17ROCPRIM_400000_NS6detail17trampoline_kernelINS0_14default_configENS1_25partition_config_selectorILNS1_17partition_subalgoE9EtjbEEZZNS1_14partition_implILS5_9ELb0ES3_jN6thrust23THRUST_200600_302600_NS6detail15normal_iteratorINS9_10device_ptrItEEEENSB_INSC_IjEEEEPNS0_10empty_typeENS0_5tupleIJSE_SH_EEENSJ_IJSG_SI_EEENS0_18inequality_wrapperINS9_8equal_toItEEEEPmJSH_EEE10hipError_tPvRmT3_T4_T5_T6_T7_T9_mT8_P12ihipStream_tbDpT10_ENKUlT_T0_E_clISt17integral_constantIbLb1EES19_IbLb0EEEEDaS15_S16_EUlS15_E_NS1_11comp_targetILNS1_3genE9ELNS1_11target_archE1100ELNS1_3gpuE3ELNS1_3repE0EEENS1_30default_config_static_selectorELNS0_4arch9wavefront6targetE0EEEvT1_,comdat
.Lfunc_end587:
	.size	_ZN7rocprim17ROCPRIM_400000_NS6detail17trampoline_kernelINS0_14default_configENS1_25partition_config_selectorILNS1_17partition_subalgoE9EtjbEEZZNS1_14partition_implILS5_9ELb0ES3_jN6thrust23THRUST_200600_302600_NS6detail15normal_iteratorINS9_10device_ptrItEEEENSB_INSC_IjEEEEPNS0_10empty_typeENS0_5tupleIJSE_SH_EEENSJ_IJSG_SI_EEENS0_18inequality_wrapperINS9_8equal_toItEEEEPmJSH_EEE10hipError_tPvRmT3_T4_T5_T6_T7_T9_mT8_P12ihipStream_tbDpT10_ENKUlT_T0_E_clISt17integral_constantIbLb1EES19_IbLb0EEEEDaS15_S16_EUlS15_E_NS1_11comp_targetILNS1_3genE9ELNS1_11target_archE1100ELNS1_3gpuE3ELNS1_3repE0EEENS1_30default_config_static_selectorELNS0_4arch9wavefront6targetE0EEEvT1_, .Lfunc_end587-_ZN7rocprim17ROCPRIM_400000_NS6detail17trampoline_kernelINS0_14default_configENS1_25partition_config_selectorILNS1_17partition_subalgoE9EtjbEEZZNS1_14partition_implILS5_9ELb0ES3_jN6thrust23THRUST_200600_302600_NS6detail15normal_iteratorINS9_10device_ptrItEEEENSB_INSC_IjEEEEPNS0_10empty_typeENS0_5tupleIJSE_SH_EEENSJ_IJSG_SI_EEENS0_18inequality_wrapperINS9_8equal_toItEEEEPmJSH_EEE10hipError_tPvRmT3_T4_T5_T6_T7_T9_mT8_P12ihipStream_tbDpT10_ENKUlT_T0_E_clISt17integral_constantIbLb1EES19_IbLb0EEEEDaS15_S16_EUlS15_E_NS1_11comp_targetILNS1_3genE9ELNS1_11target_archE1100ELNS1_3gpuE3ELNS1_3repE0EEENS1_30default_config_static_selectorELNS0_4arch9wavefront6targetE0EEEvT1_
                                        ; -- End function
	.section	.AMDGPU.csdata,"",@progbits
; Kernel info:
; codeLenInByte = 11968
; NumSgprs: 26
; NumVgprs: 85
; ScratchSize: 0
; MemoryBound: 0
; FloatMode: 240
; IeeeMode: 1
; LDSByteSize: 5640 bytes/workgroup (compile time only)
; SGPRBlocks: 3
; VGPRBlocks: 10
; NumSGPRsForWavesPerEU: 26
; NumVGPRsForWavesPerEU: 85
; Occupancy: 16
; WaveLimiterHint : 1
; COMPUTE_PGM_RSRC2:SCRATCH_EN: 0
; COMPUTE_PGM_RSRC2:USER_SGPR: 15
; COMPUTE_PGM_RSRC2:TRAP_HANDLER: 0
; COMPUTE_PGM_RSRC2:TGID_X_EN: 1
; COMPUTE_PGM_RSRC2:TGID_Y_EN: 0
; COMPUTE_PGM_RSRC2:TGID_Z_EN: 0
; COMPUTE_PGM_RSRC2:TIDIG_COMP_CNT: 0
	.section	.text._ZN7rocprim17ROCPRIM_400000_NS6detail17trampoline_kernelINS0_14default_configENS1_25partition_config_selectorILNS1_17partition_subalgoE9EtjbEEZZNS1_14partition_implILS5_9ELb0ES3_jN6thrust23THRUST_200600_302600_NS6detail15normal_iteratorINS9_10device_ptrItEEEENSB_INSC_IjEEEEPNS0_10empty_typeENS0_5tupleIJSE_SH_EEENSJ_IJSG_SI_EEENS0_18inequality_wrapperINS9_8equal_toItEEEEPmJSH_EEE10hipError_tPvRmT3_T4_T5_T6_T7_T9_mT8_P12ihipStream_tbDpT10_ENKUlT_T0_E_clISt17integral_constantIbLb1EES19_IbLb0EEEEDaS15_S16_EUlS15_E_NS1_11comp_targetILNS1_3genE8ELNS1_11target_archE1030ELNS1_3gpuE2ELNS1_3repE0EEENS1_30default_config_static_selectorELNS0_4arch9wavefront6targetE0EEEvT1_,"axG",@progbits,_ZN7rocprim17ROCPRIM_400000_NS6detail17trampoline_kernelINS0_14default_configENS1_25partition_config_selectorILNS1_17partition_subalgoE9EtjbEEZZNS1_14partition_implILS5_9ELb0ES3_jN6thrust23THRUST_200600_302600_NS6detail15normal_iteratorINS9_10device_ptrItEEEENSB_INSC_IjEEEEPNS0_10empty_typeENS0_5tupleIJSE_SH_EEENSJ_IJSG_SI_EEENS0_18inequality_wrapperINS9_8equal_toItEEEEPmJSH_EEE10hipError_tPvRmT3_T4_T5_T6_T7_T9_mT8_P12ihipStream_tbDpT10_ENKUlT_T0_E_clISt17integral_constantIbLb1EES19_IbLb0EEEEDaS15_S16_EUlS15_E_NS1_11comp_targetILNS1_3genE8ELNS1_11target_archE1030ELNS1_3gpuE2ELNS1_3repE0EEENS1_30default_config_static_selectorELNS0_4arch9wavefront6targetE0EEEvT1_,comdat
	.protected	_ZN7rocprim17ROCPRIM_400000_NS6detail17trampoline_kernelINS0_14default_configENS1_25partition_config_selectorILNS1_17partition_subalgoE9EtjbEEZZNS1_14partition_implILS5_9ELb0ES3_jN6thrust23THRUST_200600_302600_NS6detail15normal_iteratorINS9_10device_ptrItEEEENSB_INSC_IjEEEEPNS0_10empty_typeENS0_5tupleIJSE_SH_EEENSJ_IJSG_SI_EEENS0_18inequality_wrapperINS9_8equal_toItEEEEPmJSH_EEE10hipError_tPvRmT3_T4_T5_T6_T7_T9_mT8_P12ihipStream_tbDpT10_ENKUlT_T0_E_clISt17integral_constantIbLb1EES19_IbLb0EEEEDaS15_S16_EUlS15_E_NS1_11comp_targetILNS1_3genE8ELNS1_11target_archE1030ELNS1_3gpuE2ELNS1_3repE0EEENS1_30default_config_static_selectorELNS0_4arch9wavefront6targetE0EEEvT1_ ; -- Begin function _ZN7rocprim17ROCPRIM_400000_NS6detail17trampoline_kernelINS0_14default_configENS1_25partition_config_selectorILNS1_17partition_subalgoE9EtjbEEZZNS1_14partition_implILS5_9ELb0ES3_jN6thrust23THRUST_200600_302600_NS6detail15normal_iteratorINS9_10device_ptrItEEEENSB_INSC_IjEEEEPNS0_10empty_typeENS0_5tupleIJSE_SH_EEENSJ_IJSG_SI_EEENS0_18inequality_wrapperINS9_8equal_toItEEEEPmJSH_EEE10hipError_tPvRmT3_T4_T5_T6_T7_T9_mT8_P12ihipStream_tbDpT10_ENKUlT_T0_E_clISt17integral_constantIbLb1EES19_IbLb0EEEEDaS15_S16_EUlS15_E_NS1_11comp_targetILNS1_3genE8ELNS1_11target_archE1030ELNS1_3gpuE2ELNS1_3repE0EEENS1_30default_config_static_selectorELNS0_4arch9wavefront6targetE0EEEvT1_
	.globl	_ZN7rocprim17ROCPRIM_400000_NS6detail17trampoline_kernelINS0_14default_configENS1_25partition_config_selectorILNS1_17partition_subalgoE9EtjbEEZZNS1_14partition_implILS5_9ELb0ES3_jN6thrust23THRUST_200600_302600_NS6detail15normal_iteratorINS9_10device_ptrItEEEENSB_INSC_IjEEEEPNS0_10empty_typeENS0_5tupleIJSE_SH_EEENSJ_IJSG_SI_EEENS0_18inequality_wrapperINS9_8equal_toItEEEEPmJSH_EEE10hipError_tPvRmT3_T4_T5_T6_T7_T9_mT8_P12ihipStream_tbDpT10_ENKUlT_T0_E_clISt17integral_constantIbLb1EES19_IbLb0EEEEDaS15_S16_EUlS15_E_NS1_11comp_targetILNS1_3genE8ELNS1_11target_archE1030ELNS1_3gpuE2ELNS1_3repE0EEENS1_30default_config_static_selectorELNS0_4arch9wavefront6targetE0EEEvT1_
	.p2align	8
	.type	_ZN7rocprim17ROCPRIM_400000_NS6detail17trampoline_kernelINS0_14default_configENS1_25partition_config_selectorILNS1_17partition_subalgoE9EtjbEEZZNS1_14partition_implILS5_9ELb0ES3_jN6thrust23THRUST_200600_302600_NS6detail15normal_iteratorINS9_10device_ptrItEEEENSB_INSC_IjEEEEPNS0_10empty_typeENS0_5tupleIJSE_SH_EEENSJ_IJSG_SI_EEENS0_18inequality_wrapperINS9_8equal_toItEEEEPmJSH_EEE10hipError_tPvRmT3_T4_T5_T6_T7_T9_mT8_P12ihipStream_tbDpT10_ENKUlT_T0_E_clISt17integral_constantIbLb1EES19_IbLb0EEEEDaS15_S16_EUlS15_E_NS1_11comp_targetILNS1_3genE8ELNS1_11target_archE1030ELNS1_3gpuE2ELNS1_3repE0EEENS1_30default_config_static_selectorELNS0_4arch9wavefront6targetE0EEEvT1_,@function
_ZN7rocprim17ROCPRIM_400000_NS6detail17trampoline_kernelINS0_14default_configENS1_25partition_config_selectorILNS1_17partition_subalgoE9EtjbEEZZNS1_14partition_implILS5_9ELb0ES3_jN6thrust23THRUST_200600_302600_NS6detail15normal_iteratorINS9_10device_ptrItEEEENSB_INSC_IjEEEEPNS0_10empty_typeENS0_5tupleIJSE_SH_EEENSJ_IJSG_SI_EEENS0_18inequality_wrapperINS9_8equal_toItEEEEPmJSH_EEE10hipError_tPvRmT3_T4_T5_T6_T7_T9_mT8_P12ihipStream_tbDpT10_ENKUlT_T0_E_clISt17integral_constantIbLb1EES19_IbLb0EEEEDaS15_S16_EUlS15_E_NS1_11comp_targetILNS1_3genE8ELNS1_11target_archE1030ELNS1_3gpuE2ELNS1_3repE0EEENS1_30default_config_static_selectorELNS0_4arch9wavefront6targetE0EEEvT1_: ; @_ZN7rocprim17ROCPRIM_400000_NS6detail17trampoline_kernelINS0_14default_configENS1_25partition_config_selectorILNS1_17partition_subalgoE9EtjbEEZZNS1_14partition_implILS5_9ELb0ES3_jN6thrust23THRUST_200600_302600_NS6detail15normal_iteratorINS9_10device_ptrItEEEENSB_INSC_IjEEEEPNS0_10empty_typeENS0_5tupleIJSE_SH_EEENSJ_IJSG_SI_EEENS0_18inequality_wrapperINS9_8equal_toItEEEEPmJSH_EEE10hipError_tPvRmT3_T4_T5_T6_T7_T9_mT8_P12ihipStream_tbDpT10_ENKUlT_T0_E_clISt17integral_constantIbLb1EES19_IbLb0EEEEDaS15_S16_EUlS15_E_NS1_11comp_targetILNS1_3genE8ELNS1_11target_archE1030ELNS1_3gpuE2ELNS1_3repE0EEENS1_30default_config_static_selectorELNS0_4arch9wavefront6targetE0EEEvT1_
; %bb.0:
	.section	.rodata,"a",@progbits
	.p2align	6, 0x0
	.amdhsa_kernel _ZN7rocprim17ROCPRIM_400000_NS6detail17trampoline_kernelINS0_14default_configENS1_25partition_config_selectorILNS1_17partition_subalgoE9EtjbEEZZNS1_14partition_implILS5_9ELb0ES3_jN6thrust23THRUST_200600_302600_NS6detail15normal_iteratorINS9_10device_ptrItEEEENSB_INSC_IjEEEEPNS0_10empty_typeENS0_5tupleIJSE_SH_EEENSJ_IJSG_SI_EEENS0_18inequality_wrapperINS9_8equal_toItEEEEPmJSH_EEE10hipError_tPvRmT3_T4_T5_T6_T7_T9_mT8_P12ihipStream_tbDpT10_ENKUlT_T0_E_clISt17integral_constantIbLb1EES19_IbLb0EEEEDaS15_S16_EUlS15_E_NS1_11comp_targetILNS1_3genE8ELNS1_11target_archE1030ELNS1_3gpuE2ELNS1_3repE0EEENS1_30default_config_static_selectorELNS0_4arch9wavefront6targetE0EEEvT1_
		.amdhsa_group_segment_fixed_size 0
		.amdhsa_private_segment_fixed_size 0
		.amdhsa_kernarg_size 112
		.amdhsa_user_sgpr_count 15
		.amdhsa_user_sgpr_dispatch_ptr 0
		.amdhsa_user_sgpr_queue_ptr 0
		.amdhsa_user_sgpr_kernarg_segment_ptr 1
		.amdhsa_user_sgpr_dispatch_id 0
		.amdhsa_user_sgpr_private_segment_size 0
		.amdhsa_wavefront_size32 1
		.amdhsa_uses_dynamic_stack 0
		.amdhsa_enable_private_segment 0
		.amdhsa_system_sgpr_workgroup_id_x 1
		.amdhsa_system_sgpr_workgroup_id_y 0
		.amdhsa_system_sgpr_workgroup_id_z 0
		.amdhsa_system_sgpr_workgroup_info 0
		.amdhsa_system_vgpr_workitem_id 0
		.amdhsa_next_free_vgpr 1
		.amdhsa_next_free_sgpr 1
		.amdhsa_reserve_vcc 0
		.amdhsa_float_round_mode_32 0
		.amdhsa_float_round_mode_16_64 0
		.amdhsa_float_denorm_mode_32 3
		.amdhsa_float_denorm_mode_16_64 3
		.amdhsa_dx10_clamp 1
		.amdhsa_ieee_mode 1
		.amdhsa_fp16_overflow 0
		.amdhsa_workgroup_processor_mode 1
		.amdhsa_memory_ordered 1
		.amdhsa_forward_progress 0
		.amdhsa_shared_vgpr_count 0
		.amdhsa_exception_fp_ieee_invalid_op 0
		.amdhsa_exception_fp_denorm_src 0
		.amdhsa_exception_fp_ieee_div_zero 0
		.amdhsa_exception_fp_ieee_overflow 0
		.amdhsa_exception_fp_ieee_underflow 0
		.amdhsa_exception_fp_ieee_inexact 0
		.amdhsa_exception_int_div_zero 0
	.end_amdhsa_kernel
	.section	.text._ZN7rocprim17ROCPRIM_400000_NS6detail17trampoline_kernelINS0_14default_configENS1_25partition_config_selectorILNS1_17partition_subalgoE9EtjbEEZZNS1_14partition_implILS5_9ELb0ES3_jN6thrust23THRUST_200600_302600_NS6detail15normal_iteratorINS9_10device_ptrItEEEENSB_INSC_IjEEEEPNS0_10empty_typeENS0_5tupleIJSE_SH_EEENSJ_IJSG_SI_EEENS0_18inequality_wrapperINS9_8equal_toItEEEEPmJSH_EEE10hipError_tPvRmT3_T4_T5_T6_T7_T9_mT8_P12ihipStream_tbDpT10_ENKUlT_T0_E_clISt17integral_constantIbLb1EES19_IbLb0EEEEDaS15_S16_EUlS15_E_NS1_11comp_targetILNS1_3genE8ELNS1_11target_archE1030ELNS1_3gpuE2ELNS1_3repE0EEENS1_30default_config_static_selectorELNS0_4arch9wavefront6targetE0EEEvT1_,"axG",@progbits,_ZN7rocprim17ROCPRIM_400000_NS6detail17trampoline_kernelINS0_14default_configENS1_25partition_config_selectorILNS1_17partition_subalgoE9EtjbEEZZNS1_14partition_implILS5_9ELb0ES3_jN6thrust23THRUST_200600_302600_NS6detail15normal_iteratorINS9_10device_ptrItEEEENSB_INSC_IjEEEEPNS0_10empty_typeENS0_5tupleIJSE_SH_EEENSJ_IJSG_SI_EEENS0_18inequality_wrapperINS9_8equal_toItEEEEPmJSH_EEE10hipError_tPvRmT3_T4_T5_T6_T7_T9_mT8_P12ihipStream_tbDpT10_ENKUlT_T0_E_clISt17integral_constantIbLb1EES19_IbLb0EEEEDaS15_S16_EUlS15_E_NS1_11comp_targetILNS1_3genE8ELNS1_11target_archE1030ELNS1_3gpuE2ELNS1_3repE0EEENS1_30default_config_static_selectorELNS0_4arch9wavefront6targetE0EEEvT1_,comdat
.Lfunc_end588:
	.size	_ZN7rocprim17ROCPRIM_400000_NS6detail17trampoline_kernelINS0_14default_configENS1_25partition_config_selectorILNS1_17partition_subalgoE9EtjbEEZZNS1_14partition_implILS5_9ELb0ES3_jN6thrust23THRUST_200600_302600_NS6detail15normal_iteratorINS9_10device_ptrItEEEENSB_INSC_IjEEEEPNS0_10empty_typeENS0_5tupleIJSE_SH_EEENSJ_IJSG_SI_EEENS0_18inequality_wrapperINS9_8equal_toItEEEEPmJSH_EEE10hipError_tPvRmT3_T4_T5_T6_T7_T9_mT8_P12ihipStream_tbDpT10_ENKUlT_T0_E_clISt17integral_constantIbLb1EES19_IbLb0EEEEDaS15_S16_EUlS15_E_NS1_11comp_targetILNS1_3genE8ELNS1_11target_archE1030ELNS1_3gpuE2ELNS1_3repE0EEENS1_30default_config_static_selectorELNS0_4arch9wavefront6targetE0EEEvT1_, .Lfunc_end588-_ZN7rocprim17ROCPRIM_400000_NS6detail17trampoline_kernelINS0_14default_configENS1_25partition_config_selectorILNS1_17partition_subalgoE9EtjbEEZZNS1_14partition_implILS5_9ELb0ES3_jN6thrust23THRUST_200600_302600_NS6detail15normal_iteratorINS9_10device_ptrItEEEENSB_INSC_IjEEEEPNS0_10empty_typeENS0_5tupleIJSE_SH_EEENSJ_IJSG_SI_EEENS0_18inequality_wrapperINS9_8equal_toItEEEEPmJSH_EEE10hipError_tPvRmT3_T4_T5_T6_T7_T9_mT8_P12ihipStream_tbDpT10_ENKUlT_T0_E_clISt17integral_constantIbLb1EES19_IbLb0EEEEDaS15_S16_EUlS15_E_NS1_11comp_targetILNS1_3genE8ELNS1_11target_archE1030ELNS1_3gpuE2ELNS1_3repE0EEENS1_30default_config_static_selectorELNS0_4arch9wavefront6targetE0EEEvT1_
                                        ; -- End function
	.section	.AMDGPU.csdata,"",@progbits
; Kernel info:
; codeLenInByte = 0
; NumSgprs: 0
; NumVgprs: 0
; ScratchSize: 0
; MemoryBound: 0
; FloatMode: 240
; IeeeMode: 1
; LDSByteSize: 0 bytes/workgroup (compile time only)
; SGPRBlocks: 0
; VGPRBlocks: 0
; NumSGPRsForWavesPerEU: 1
; NumVGPRsForWavesPerEU: 1
; Occupancy: 16
; WaveLimiterHint : 0
; COMPUTE_PGM_RSRC2:SCRATCH_EN: 0
; COMPUTE_PGM_RSRC2:USER_SGPR: 15
; COMPUTE_PGM_RSRC2:TRAP_HANDLER: 0
; COMPUTE_PGM_RSRC2:TGID_X_EN: 1
; COMPUTE_PGM_RSRC2:TGID_Y_EN: 0
; COMPUTE_PGM_RSRC2:TGID_Z_EN: 0
; COMPUTE_PGM_RSRC2:TIDIG_COMP_CNT: 0
	.section	.text._ZN7rocprim17ROCPRIM_400000_NS6detail17trampoline_kernelINS0_14default_configENS1_25partition_config_selectorILNS1_17partition_subalgoE9EtjbEEZZNS1_14partition_implILS5_9ELb0ES3_jN6thrust23THRUST_200600_302600_NS6detail15normal_iteratorINS9_10device_ptrItEEEENSB_INSC_IjEEEEPNS0_10empty_typeENS0_5tupleIJSE_SH_EEENSJ_IJSG_SI_EEENS0_18inequality_wrapperINS9_8equal_toItEEEEPmJSH_EEE10hipError_tPvRmT3_T4_T5_T6_T7_T9_mT8_P12ihipStream_tbDpT10_ENKUlT_T0_E_clISt17integral_constantIbLb0EES19_IbLb1EEEEDaS15_S16_EUlS15_E_NS1_11comp_targetILNS1_3genE0ELNS1_11target_archE4294967295ELNS1_3gpuE0ELNS1_3repE0EEENS1_30default_config_static_selectorELNS0_4arch9wavefront6targetE0EEEvT1_,"axG",@progbits,_ZN7rocprim17ROCPRIM_400000_NS6detail17trampoline_kernelINS0_14default_configENS1_25partition_config_selectorILNS1_17partition_subalgoE9EtjbEEZZNS1_14partition_implILS5_9ELb0ES3_jN6thrust23THRUST_200600_302600_NS6detail15normal_iteratorINS9_10device_ptrItEEEENSB_INSC_IjEEEEPNS0_10empty_typeENS0_5tupleIJSE_SH_EEENSJ_IJSG_SI_EEENS0_18inequality_wrapperINS9_8equal_toItEEEEPmJSH_EEE10hipError_tPvRmT3_T4_T5_T6_T7_T9_mT8_P12ihipStream_tbDpT10_ENKUlT_T0_E_clISt17integral_constantIbLb0EES19_IbLb1EEEEDaS15_S16_EUlS15_E_NS1_11comp_targetILNS1_3genE0ELNS1_11target_archE4294967295ELNS1_3gpuE0ELNS1_3repE0EEENS1_30default_config_static_selectorELNS0_4arch9wavefront6targetE0EEEvT1_,comdat
	.protected	_ZN7rocprim17ROCPRIM_400000_NS6detail17trampoline_kernelINS0_14default_configENS1_25partition_config_selectorILNS1_17partition_subalgoE9EtjbEEZZNS1_14partition_implILS5_9ELb0ES3_jN6thrust23THRUST_200600_302600_NS6detail15normal_iteratorINS9_10device_ptrItEEEENSB_INSC_IjEEEEPNS0_10empty_typeENS0_5tupleIJSE_SH_EEENSJ_IJSG_SI_EEENS0_18inequality_wrapperINS9_8equal_toItEEEEPmJSH_EEE10hipError_tPvRmT3_T4_T5_T6_T7_T9_mT8_P12ihipStream_tbDpT10_ENKUlT_T0_E_clISt17integral_constantIbLb0EES19_IbLb1EEEEDaS15_S16_EUlS15_E_NS1_11comp_targetILNS1_3genE0ELNS1_11target_archE4294967295ELNS1_3gpuE0ELNS1_3repE0EEENS1_30default_config_static_selectorELNS0_4arch9wavefront6targetE0EEEvT1_ ; -- Begin function _ZN7rocprim17ROCPRIM_400000_NS6detail17trampoline_kernelINS0_14default_configENS1_25partition_config_selectorILNS1_17partition_subalgoE9EtjbEEZZNS1_14partition_implILS5_9ELb0ES3_jN6thrust23THRUST_200600_302600_NS6detail15normal_iteratorINS9_10device_ptrItEEEENSB_INSC_IjEEEEPNS0_10empty_typeENS0_5tupleIJSE_SH_EEENSJ_IJSG_SI_EEENS0_18inequality_wrapperINS9_8equal_toItEEEEPmJSH_EEE10hipError_tPvRmT3_T4_T5_T6_T7_T9_mT8_P12ihipStream_tbDpT10_ENKUlT_T0_E_clISt17integral_constantIbLb0EES19_IbLb1EEEEDaS15_S16_EUlS15_E_NS1_11comp_targetILNS1_3genE0ELNS1_11target_archE4294967295ELNS1_3gpuE0ELNS1_3repE0EEENS1_30default_config_static_selectorELNS0_4arch9wavefront6targetE0EEEvT1_
	.globl	_ZN7rocprim17ROCPRIM_400000_NS6detail17trampoline_kernelINS0_14default_configENS1_25partition_config_selectorILNS1_17partition_subalgoE9EtjbEEZZNS1_14partition_implILS5_9ELb0ES3_jN6thrust23THRUST_200600_302600_NS6detail15normal_iteratorINS9_10device_ptrItEEEENSB_INSC_IjEEEEPNS0_10empty_typeENS0_5tupleIJSE_SH_EEENSJ_IJSG_SI_EEENS0_18inequality_wrapperINS9_8equal_toItEEEEPmJSH_EEE10hipError_tPvRmT3_T4_T5_T6_T7_T9_mT8_P12ihipStream_tbDpT10_ENKUlT_T0_E_clISt17integral_constantIbLb0EES19_IbLb1EEEEDaS15_S16_EUlS15_E_NS1_11comp_targetILNS1_3genE0ELNS1_11target_archE4294967295ELNS1_3gpuE0ELNS1_3repE0EEENS1_30default_config_static_selectorELNS0_4arch9wavefront6targetE0EEEvT1_
	.p2align	8
	.type	_ZN7rocprim17ROCPRIM_400000_NS6detail17trampoline_kernelINS0_14default_configENS1_25partition_config_selectorILNS1_17partition_subalgoE9EtjbEEZZNS1_14partition_implILS5_9ELb0ES3_jN6thrust23THRUST_200600_302600_NS6detail15normal_iteratorINS9_10device_ptrItEEEENSB_INSC_IjEEEEPNS0_10empty_typeENS0_5tupleIJSE_SH_EEENSJ_IJSG_SI_EEENS0_18inequality_wrapperINS9_8equal_toItEEEEPmJSH_EEE10hipError_tPvRmT3_T4_T5_T6_T7_T9_mT8_P12ihipStream_tbDpT10_ENKUlT_T0_E_clISt17integral_constantIbLb0EES19_IbLb1EEEEDaS15_S16_EUlS15_E_NS1_11comp_targetILNS1_3genE0ELNS1_11target_archE4294967295ELNS1_3gpuE0ELNS1_3repE0EEENS1_30default_config_static_selectorELNS0_4arch9wavefront6targetE0EEEvT1_,@function
_ZN7rocprim17ROCPRIM_400000_NS6detail17trampoline_kernelINS0_14default_configENS1_25partition_config_selectorILNS1_17partition_subalgoE9EtjbEEZZNS1_14partition_implILS5_9ELb0ES3_jN6thrust23THRUST_200600_302600_NS6detail15normal_iteratorINS9_10device_ptrItEEEENSB_INSC_IjEEEEPNS0_10empty_typeENS0_5tupleIJSE_SH_EEENSJ_IJSG_SI_EEENS0_18inequality_wrapperINS9_8equal_toItEEEEPmJSH_EEE10hipError_tPvRmT3_T4_T5_T6_T7_T9_mT8_P12ihipStream_tbDpT10_ENKUlT_T0_E_clISt17integral_constantIbLb0EES19_IbLb1EEEEDaS15_S16_EUlS15_E_NS1_11comp_targetILNS1_3genE0ELNS1_11target_archE4294967295ELNS1_3gpuE0ELNS1_3repE0EEENS1_30default_config_static_selectorELNS0_4arch9wavefront6targetE0EEEvT1_: ; @_ZN7rocprim17ROCPRIM_400000_NS6detail17trampoline_kernelINS0_14default_configENS1_25partition_config_selectorILNS1_17partition_subalgoE9EtjbEEZZNS1_14partition_implILS5_9ELb0ES3_jN6thrust23THRUST_200600_302600_NS6detail15normal_iteratorINS9_10device_ptrItEEEENSB_INSC_IjEEEEPNS0_10empty_typeENS0_5tupleIJSE_SH_EEENSJ_IJSG_SI_EEENS0_18inequality_wrapperINS9_8equal_toItEEEEPmJSH_EEE10hipError_tPvRmT3_T4_T5_T6_T7_T9_mT8_P12ihipStream_tbDpT10_ENKUlT_T0_E_clISt17integral_constantIbLb0EES19_IbLb1EEEEDaS15_S16_EUlS15_E_NS1_11comp_targetILNS1_3genE0ELNS1_11target_archE4294967295ELNS1_3gpuE0ELNS1_3repE0EEENS1_30default_config_static_selectorELNS0_4arch9wavefront6targetE0EEEvT1_
; %bb.0:
	.section	.rodata,"a",@progbits
	.p2align	6, 0x0
	.amdhsa_kernel _ZN7rocprim17ROCPRIM_400000_NS6detail17trampoline_kernelINS0_14default_configENS1_25partition_config_selectorILNS1_17partition_subalgoE9EtjbEEZZNS1_14partition_implILS5_9ELb0ES3_jN6thrust23THRUST_200600_302600_NS6detail15normal_iteratorINS9_10device_ptrItEEEENSB_INSC_IjEEEEPNS0_10empty_typeENS0_5tupleIJSE_SH_EEENSJ_IJSG_SI_EEENS0_18inequality_wrapperINS9_8equal_toItEEEEPmJSH_EEE10hipError_tPvRmT3_T4_T5_T6_T7_T9_mT8_P12ihipStream_tbDpT10_ENKUlT_T0_E_clISt17integral_constantIbLb0EES19_IbLb1EEEEDaS15_S16_EUlS15_E_NS1_11comp_targetILNS1_3genE0ELNS1_11target_archE4294967295ELNS1_3gpuE0ELNS1_3repE0EEENS1_30default_config_static_selectorELNS0_4arch9wavefront6targetE0EEEvT1_
		.amdhsa_group_segment_fixed_size 0
		.amdhsa_private_segment_fixed_size 0
		.amdhsa_kernarg_size 128
		.amdhsa_user_sgpr_count 15
		.amdhsa_user_sgpr_dispatch_ptr 0
		.amdhsa_user_sgpr_queue_ptr 0
		.amdhsa_user_sgpr_kernarg_segment_ptr 1
		.amdhsa_user_sgpr_dispatch_id 0
		.amdhsa_user_sgpr_private_segment_size 0
		.amdhsa_wavefront_size32 1
		.amdhsa_uses_dynamic_stack 0
		.amdhsa_enable_private_segment 0
		.amdhsa_system_sgpr_workgroup_id_x 1
		.amdhsa_system_sgpr_workgroup_id_y 0
		.amdhsa_system_sgpr_workgroup_id_z 0
		.amdhsa_system_sgpr_workgroup_info 0
		.amdhsa_system_vgpr_workitem_id 0
		.amdhsa_next_free_vgpr 1
		.amdhsa_next_free_sgpr 1
		.amdhsa_reserve_vcc 0
		.amdhsa_float_round_mode_32 0
		.amdhsa_float_round_mode_16_64 0
		.amdhsa_float_denorm_mode_32 3
		.amdhsa_float_denorm_mode_16_64 3
		.amdhsa_dx10_clamp 1
		.amdhsa_ieee_mode 1
		.amdhsa_fp16_overflow 0
		.amdhsa_workgroup_processor_mode 1
		.amdhsa_memory_ordered 1
		.amdhsa_forward_progress 0
		.amdhsa_shared_vgpr_count 0
		.amdhsa_exception_fp_ieee_invalid_op 0
		.amdhsa_exception_fp_denorm_src 0
		.amdhsa_exception_fp_ieee_div_zero 0
		.amdhsa_exception_fp_ieee_overflow 0
		.amdhsa_exception_fp_ieee_underflow 0
		.amdhsa_exception_fp_ieee_inexact 0
		.amdhsa_exception_int_div_zero 0
	.end_amdhsa_kernel
	.section	.text._ZN7rocprim17ROCPRIM_400000_NS6detail17trampoline_kernelINS0_14default_configENS1_25partition_config_selectorILNS1_17partition_subalgoE9EtjbEEZZNS1_14partition_implILS5_9ELb0ES3_jN6thrust23THRUST_200600_302600_NS6detail15normal_iteratorINS9_10device_ptrItEEEENSB_INSC_IjEEEEPNS0_10empty_typeENS0_5tupleIJSE_SH_EEENSJ_IJSG_SI_EEENS0_18inequality_wrapperINS9_8equal_toItEEEEPmJSH_EEE10hipError_tPvRmT3_T4_T5_T6_T7_T9_mT8_P12ihipStream_tbDpT10_ENKUlT_T0_E_clISt17integral_constantIbLb0EES19_IbLb1EEEEDaS15_S16_EUlS15_E_NS1_11comp_targetILNS1_3genE0ELNS1_11target_archE4294967295ELNS1_3gpuE0ELNS1_3repE0EEENS1_30default_config_static_selectorELNS0_4arch9wavefront6targetE0EEEvT1_,"axG",@progbits,_ZN7rocprim17ROCPRIM_400000_NS6detail17trampoline_kernelINS0_14default_configENS1_25partition_config_selectorILNS1_17partition_subalgoE9EtjbEEZZNS1_14partition_implILS5_9ELb0ES3_jN6thrust23THRUST_200600_302600_NS6detail15normal_iteratorINS9_10device_ptrItEEEENSB_INSC_IjEEEEPNS0_10empty_typeENS0_5tupleIJSE_SH_EEENSJ_IJSG_SI_EEENS0_18inequality_wrapperINS9_8equal_toItEEEEPmJSH_EEE10hipError_tPvRmT3_T4_T5_T6_T7_T9_mT8_P12ihipStream_tbDpT10_ENKUlT_T0_E_clISt17integral_constantIbLb0EES19_IbLb1EEEEDaS15_S16_EUlS15_E_NS1_11comp_targetILNS1_3genE0ELNS1_11target_archE4294967295ELNS1_3gpuE0ELNS1_3repE0EEENS1_30default_config_static_selectorELNS0_4arch9wavefront6targetE0EEEvT1_,comdat
.Lfunc_end589:
	.size	_ZN7rocprim17ROCPRIM_400000_NS6detail17trampoline_kernelINS0_14default_configENS1_25partition_config_selectorILNS1_17partition_subalgoE9EtjbEEZZNS1_14partition_implILS5_9ELb0ES3_jN6thrust23THRUST_200600_302600_NS6detail15normal_iteratorINS9_10device_ptrItEEEENSB_INSC_IjEEEEPNS0_10empty_typeENS0_5tupleIJSE_SH_EEENSJ_IJSG_SI_EEENS0_18inequality_wrapperINS9_8equal_toItEEEEPmJSH_EEE10hipError_tPvRmT3_T4_T5_T6_T7_T9_mT8_P12ihipStream_tbDpT10_ENKUlT_T0_E_clISt17integral_constantIbLb0EES19_IbLb1EEEEDaS15_S16_EUlS15_E_NS1_11comp_targetILNS1_3genE0ELNS1_11target_archE4294967295ELNS1_3gpuE0ELNS1_3repE0EEENS1_30default_config_static_selectorELNS0_4arch9wavefront6targetE0EEEvT1_, .Lfunc_end589-_ZN7rocprim17ROCPRIM_400000_NS6detail17trampoline_kernelINS0_14default_configENS1_25partition_config_selectorILNS1_17partition_subalgoE9EtjbEEZZNS1_14partition_implILS5_9ELb0ES3_jN6thrust23THRUST_200600_302600_NS6detail15normal_iteratorINS9_10device_ptrItEEEENSB_INSC_IjEEEEPNS0_10empty_typeENS0_5tupleIJSE_SH_EEENSJ_IJSG_SI_EEENS0_18inequality_wrapperINS9_8equal_toItEEEEPmJSH_EEE10hipError_tPvRmT3_T4_T5_T6_T7_T9_mT8_P12ihipStream_tbDpT10_ENKUlT_T0_E_clISt17integral_constantIbLb0EES19_IbLb1EEEEDaS15_S16_EUlS15_E_NS1_11comp_targetILNS1_3genE0ELNS1_11target_archE4294967295ELNS1_3gpuE0ELNS1_3repE0EEENS1_30default_config_static_selectorELNS0_4arch9wavefront6targetE0EEEvT1_
                                        ; -- End function
	.section	.AMDGPU.csdata,"",@progbits
; Kernel info:
; codeLenInByte = 0
; NumSgprs: 0
; NumVgprs: 0
; ScratchSize: 0
; MemoryBound: 0
; FloatMode: 240
; IeeeMode: 1
; LDSByteSize: 0 bytes/workgroup (compile time only)
; SGPRBlocks: 0
; VGPRBlocks: 0
; NumSGPRsForWavesPerEU: 1
; NumVGPRsForWavesPerEU: 1
; Occupancy: 16
; WaveLimiterHint : 0
; COMPUTE_PGM_RSRC2:SCRATCH_EN: 0
; COMPUTE_PGM_RSRC2:USER_SGPR: 15
; COMPUTE_PGM_RSRC2:TRAP_HANDLER: 0
; COMPUTE_PGM_RSRC2:TGID_X_EN: 1
; COMPUTE_PGM_RSRC2:TGID_Y_EN: 0
; COMPUTE_PGM_RSRC2:TGID_Z_EN: 0
; COMPUTE_PGM_RSRC2:TIDIG_COMP_CNT: 0
	.section	.text._ZN7rocprim17ROCPRIM_400000_NS6detail17trampoline_kernelINS0_14default_configENS1_25partition_config_selectorILNS1_17partition_subalgoE9EtjbEEZZNS1_14partition_implILS5_9ELb0ES3_jN6thrust23THRUST_200600_302600_NS6detail15normal_iteratorINS9_10device_ptrItEEEENSB_INSC_IjEEEEPNS0_10empty_typeENS0_5tupleIJSE_SH_EEENSJ_IJSG_SI_EEENS0_18inequality_wrapperINS9_8equal_toItEEEEPmJSH_EEE10hipError_tPvRmT3_T4_T5_T6_T7_T9_mT8_P12ihipStream_tbDpT10_ENKUlT_T0_E_clISt17integral_constantIbLb0EES19_IbLb1EEEEDaS15_S16_EUlS15_E_NS1_11comp_targetILNS1_3genE5ELNS1_11target_archE942ELNS1_3gpuE9ELNS1_3repE0EEENS1_30default_config_static_selectorELNS0_4arch9wavefront6targetE0EEEvT1_,"axG",@progbits,_ZN7rocprim17ROCPRIM_400000_NS6detail17trampoline_kernelINS0_14default_configENS1_25partition_config_selectorILNS1_17partition_subalgoE9EtjbEEZZNS1_14partition_implILS5_9ELb0ES3_jN6thrust23THRUST_200600_302600_NS6detail15normal_iteratorINS9_10device_ptrItEEEENSB_INSC_IjEEEEPNS0_10empty_typeENS0_5tupleIJSE_SH_EEENSJ_IJSG_SI_EEENS0_18inequality_wrapperINS9_8equal_toItEEEEPmJSH_EEE10hipError_tPvRmT3_T4_T5_T6_T7_T9_mT8_P12ihipStream_tbDpT10_ENKUlT_T0_E_clISt17integral_constantIbLb0EES19_IbLb1EEEEDaS15_S16_EUlS15_E_NS1_11comp_targetILNS1_3genE5ELNS1_11target_archE942ELNS1_3gpuE9ELNS1_3repE0EEENS1_30default_config_static_selectorELNS0_4arch9wavefront6targetE0EEEvT1_,comdat
	.protected	_ZN7rocprim17ROCPRIM_400000_NS6detail17trampoline_kernelINS0_14default_configENS1_25partition_config_selectorILNS1_17partition_subalgoE9EtjbEEZZNS1_14partition_implILS5_9ELb0ES3_jN6thrust23THRUST_200600_302600_NS6detail15normal_iteratorINS9_10device_ptrItEEEENSB_INSC_IjEEEEPNS0_10empty_typeENS0_5tupleIJSE_SH_EEENSJ_IJSG_SI_EEENS0_18inequality_wrapperINS9_8equal_toItEEEEPmJSH_EEE10hipError_tPvRmT3_T4_T5_T6_T7_T9_mT8_P12ihipStream_tbDpT10_ENKUlT_T0_E_clISt17integral_constantIbLb0EES19_IbLb1EEEEDaS15_S16_EUlS15_E_NS1_11comp_targetILNS1_3genE5ELNS1_11target_archE942ELNS1_3gpuE9ELNS1_3repE0EEENS1_30default_config_static_selectorELNS0_4arch9wavefront6targetE0EEEvT1_ ; -- Begin function _ZN7rocprim17ROCPRIM_400000_NS6detail17trampoline_kernelINS0_14default_configENS1_25partition_config_selectorILNS1_17partition_subalgoE9EtjbEEZZNS1_14partition_implILS5_9ELb0ES3_jN6thrust23THRUST_200600_302600_NS6detail15normal_iteratorINS9_10device_ptrItEEEENSB_INSC_IjEEEEPNS0_10empty_typeENS0_5tupleIJSE_SH_EEENSJ_IJSG_SI_EEENS0_18inequality_wrapperINS9_8equal_toItEEEEPmJSH_EEE10hipError_tPvRmT3_T4_T5_T6_T7_T9_mT8_P12ihipStream_tbDpT10_ENKUlT_T0_E_clISt17integral_constantIbLb0EES19_IbLb1EEEEDaS15_S16_EUlS15_E_NS1_11comp_targetILNS1_3genE5ELNS1_11target_archE942ELNS1_3gpuE9ELNS1_3repE0EEENS1_30default_config_static_selectorELNS0_4arch9wavefront6targetE0EEEvT1_
	.globl	_ZN7rocprim17ROCPRIM_400000_NS6detail17trampoline_kernelINS0_14default_configENS1_25partition_config_selectorILNS1_17partition_subalgoE9EtjbEEZZNS1_14partition_implILS5_9ELb0ES3_jN6thrust23THRUST_200600_302600_NS6detail15normal_iteratorINS9_10device_ptrItEEEENSB_INSC_IjEEEEPNS0_10empty_typeENS0_5tupleIJSE_SH_EEENSJ_IJSG_SI_EEENS0_18inequality_wrapperINS9_8equal_toItEEEEPmJSH_EEE10hipError_tPvRmT3_T4_T5_T6_T7_T9_mT8_P12ihipStream_tbDpT10_ENKUlT_T0_E_clISt17integral_constantIbLb0EES19_IbLb1EEEEDaS15_S16_EUlS15_E_NS1_11comp_targetILNS1_3genE5ELNS1_11target_archE942ELNS1_3gpuE9ELNS1_3repE0EEENS1_30default_config_static_selectorELNS0_4arch9wavefront6targetE0EEEvT1_
	.p2align	8
	.type	_ZN7rocprim17ROCPRIM_400000_NS6detail17trampoline_kernelINS0_14default_configENS1_25partition_config_selectorILNS1_17partition_subalgoE9EtjbEEZZNS1_14partition_implILS5_9ELb0ES3_jN6thrust23THRUST_200600_302600_NS6detail15normal_iteratorINS9_10device_ptrItEEEENSB_INSC_IjEEEEPNS0_10empty_typeENS0_5tupleIJSE_SH_EEENSJ_IJSG_SI_EEENS0_18inequality_wrapperINS9_8equal_toItEEEEPmJSH_EEE10hipError_tPvRmT3_T4_T5_T6_T7_T9_mT8_P12ihipStream_tbDpT10_ENKUlT_T0_E_clISt17integral_constantIbLb0EES19_IbLb1EEEEDaS15_S16_EUlS15_E_NS1_11comp_targetILNS1_3genE5ELNS1_11target_archE942ELNS1_3gpuE9ELNS1_3repE0EEENS1_30default_config_static_selectorELNS0_4arch9wavefront6targetE0EEEvT1_,@function
_ZN7rocprim17ROCPRIM_400000_NS6detail17trampoline_kernelINS0_14default_configENS1_25partition_config_selectorILNS1_17partition_subalgoE9EtjbEEZZNS1_14partition_implILS5_9ELb0ES3_jN6thrust23THRUST_200600_302600_NS6detail15normal_iteratorINS9_10device_ptrItEEEENSB_INSC_IjEEEEPNS0_10empty_typeENS0_5tupleIJSE_SH_EEENSJ_IJSG_SI_EEENS0_18inequality_wrapperINS9_8equal_toItEEEEPmJSH_EEE10hipError_tPvRmT3_T4_T5_T6_T7_T9_mT8_P12ihipStream_tbDpT10_ENKUlT_T0_E_clISt17integral_constantIbLb0EES19_IbLb1EEEEDaS15_S16_EUlS15_E_NS1_11comp_targetILNS1_3genE5ELNS1_11target_archE942ELNS1_3gpuE9ELNS1_3repE0EEENS1_30default_config_static_selectorELNS0_4arch9wavefront6targetE0EEEvT1_: ; @_ZN7rocprim17ROCPRIM_400000_NS6detail17trampoline_kernelINS0_14default_configENS1_25partition_config_selectorILNS1_17partition_subalgoE9EtjbEEZZNS1_14partition_implILS5_9ELb0ES3_jN6thrust23THRUST_200600_302600_NS6detail15normal_iteratorINS9_10device_ptrItEEEENSB_INSC_IjEEEEPNS0_10empty_typeENS0_5tupleIJSE_SH_EEENSJ_IJSG_SI_EEENS0_18inequality_wrapperINS9_8equal_toItEEEEPmJSH_EEE10hipError_tPvRmT3_T4_T5_T6_T7_T9_mT8_P12ihipStream_tbDpT10_ENKUlT_T0_E_clISt17integral_constantIbLb0EES19_IbLb1EEEEDaS15_S16_EUlS15_E_NS1_11comp_targetILNS1_3genE5ELNS1_11target_archE942ELNS1_3gpuE9ELNS1_3repE0EEENS1_30default_config_static_selectorELNS0_4arch9wavefront6targetE0EEEvT1_
; %bb.0:
	.section	.rodata,"a",@progbits
	.p2align	6, 0x0
	.amdhsa_kernel _ZN7rocprim17ROCPRIM_400000_NS6detail17trampoline_kernelINS0_14default_configENS1_25partition_config_selectorILNS1_17partition_subalgoE9EtjbEEZZNS1_14partition_implILS5_9ELb0ES3_jN6thrust23THRUST_200600_302600_NS6detail15normal_iteratorINS9_10device_ptrItEEEENSB_INSC_IjEEEEPNS0_10empty_typeENS0_5tupleIJSE_SH_EEENSJ_IJSG_SI_EEENS0_18inequality_wrapperINS9_8equal_toItEEEEPmJSH_EEE10hipError_tPvRmT3_T4_T5_T6_T7_T9_mT8_P12ihipStream_tbDpT10_ENKUlT_T0_E_clISt17integral_constantIbLb0EES19_IbLb1EEEEDaS15_S16_EUlS15_E_NS1_11comp_targetILNS1_3genE5ELNS1_11target_archE942ELNS1_3gpuE9ELNS1_3repE0EEENS1_30default_config_static_selectorELNS0_4arch9wavefront6targetE0EEEvT1_
		.amdhsa_group_segment_fixed_size 0
		.amdhsa_private_segment_fixed_size 0
		.amdhsa_kernarg_size 128
		.amdhsa_user_sgpr_count 15
		.amdhsa_user_sgpr_dispatch_ptr 0
		.amdhsa_user_sgpr_queue_ptr 0
		.amdhsa_user_sgpr_kernarg_segment_ptr 1
		.amdhsa_user_sgpr_dispatch_id 0
		.amdhsa_user_sgpr_private_segment_size 0
		.amdhsa_wavefront_size32 1
		.amdhsa_uses_dynamic_stack 0
		.amdhsa_enable_private_segment 0
		.amdhsa_system_sgpr_workgroup_id_x 1
		.amdhsa_system_sgpr_workgroup_id_y 0
		.amdhsa_system_sgpr_workgroup_id_z 0
		.amdhsa_system_sgpr_workgroup_info 0
		.amdhsa_system_vgpr_workitem_id 0
		.amdhsa_next_free_vgpr 1
		.amdhsa_next_free_sgpr 1
		.amdhsa_reserve_vcc 0
		.amdhsa_float_round_mode_32 0
		.amdhsa_float_round_mode_16_64 0
		.amdhsa_float_denorm_mode_32 3
		.amdhsa_float_denorm_mode_16_64 3
		.amdhsa_dx10_clamp 1
		.amdhsa_ieee_mode 1
		.amdhsa_fp16_overflow 0
		.amdhsa_workgroup_processor_mode 1
		.amdhsa_memory_ordered 1
		.amdhsa_forward_progress 0
		.amdhsa_shared_vgpr_count 0
		.amdhsa_exception_fp_ieee_invalid_op 0
		.amdhsa_exception_fp_denorm_src 0
		.amdhsa_exception_fp_ieee_div_zero 0
		.amdhsa_exception_fp_ieee_overflow 0
		.amdhsa_exception_fp_ieee_underflow 0
		.amdhsa_exception_fp_ieee_inexact 0
		.amdhsa_exception_int_div_zero 0
	.end_amdhsa_kernel
	.section	.text._ZN7rocprim17ROCPRIM_400000_NS6detail17trampoline_kernelINS0_14default_configENS1_25partition_config_selectorILNS1_17partition_subalgoE9EtjbEEZZNS1_14partition_implILS5_9ELb0ES3_jN6thrust23THRUST_200600_302600_NS6detail15normal_iteratorINS9_10device_ptrItEEEENSB_INSC_IjEEEEPNS0_10empty_typeENS0_5tupleIJSE_SH_EEENSJ_IJSG_SI_EEENS0_18inequality_wrapperINS9_8equal_toItEEEEPmJSH_EEE10hipError_tPvRmT3_T4_T5_T6_T7_T9_mT8_P12ihipStream_tbDpT10_ENKUlT_T0_E_clISt17integral_constantIbLb0EES19_IbLb1EEEEDaS15_S16_EUlS15_E_NS1_11comp_targetILNS1_3genE5ELNS1_11target_archE942ELNS1_3gpuE9ELNS1_3repE0EEENS1_30default_config_static_selectorELNS0_4arch9wavefront6targetE0EEEvT1_,"axG",@progbits,_ZN7rocprim17ROCPRIM_400000_NS6detail17trampoline_kernelINS0_14default_configENS1_25partition_config_selectorILNS1_17partition_subalgoE9EtjbEEZZNS1_14partition_implILS5_9ELb0ES3_jN6thrust23THRUST_200600_302600_NS6detail15normal_iteratorINS9_10device_ptrItEEEENSB_INSC_IjEEEEPNS0_10empty_typeENS0_5tupleIJSE_SH_EEENSJ_IJSG_SI_EEENS0_18inequality_wrapperINS9_8equal_toItEEEEPmJSH_EEE10hipError_tPvRmT3_T4_T5_T6_T7_T9_mT8_P12ihipStream_tbDpT10_ENKUlT_T0_E_clISt17integral_constantIbLb0EES19_IbLb1EEEEDaS15_S16_EUlS15_E_NS1_11comp_targetILNS1_3genE5ELNS1_11target_archE942ELNS1_3gpuE9ELNS1_3repE0EEENS1_30default_config_static_selectorELNS0_4arch9wavefront6targetE0EEEvT1_,comdat
.Lfunc_end590:
	.size	_ZN7rocprim17ROCPRIM_400000_NS6detail17trampoline_kernelINS0_14default_configENS1_25partition_config_selectorILNS1_17partition_subalgoE9EtjbEEZZNS1_14partition_implILS5_9ELb0ES3_jN6thrust23THRUST_200600_302600_NS6detail15normal_iteratorINS9_10device_ptrItEEEENSB_INSC_IjEEEEPNS0_10empty_typeENS0_5tupleIJSE_SH_EEENSJ_IJSG_SI_EEENS0_18inequality_wrapperINS9_8equal_toItEEEEPmJSH_EEE10hipError_tPvRmT3_T4_T5_T6_T7_T9_mT8_P12ihipStream_tbDpT10_ENKUlT_T0_E_clISt17integral_constantIbLb0EES19_IbLb1EEEEDaS15_S16_EUlS15_E_NS1_11comp_targetILNS1_3genE5ELNS1_11target_archE942ELNS1_3gpuE9ELNS1_3repE0EEENS1_30default_config_static_selectorELNS0_4arch9wavefront6targetE0EEEvT1_, .Lfunc_end590-_ZN7rocprim17ROCPRIM_400000_NS6detail17trampoline_kernelINS0_14default_configENS1_25partition_config_selectorILNS1_17partition_subalgoE9EtjbEEZZNS1_14partition_implILS5_9ELb0ES3_jN6thrust23THRUST_200600_302600_NS6detail15normal_iteratorINS9_10device_ptrItEEEENSB_INSC_IjEEEEPNS0_10empty_typeENS0_5tupleIJSE_SH_EEENSJ_IJSG_SI_EEENS0_18inequality_wrapperINS9_8equal_toItEEEEPmJSH_EEE10hipError_tPvRmT3_T4_T5_T6_T7_T9_mT8_P12ihipStream_tbDpT10_ENKUlT_T0_E_clISt17integral_constantIbLb0EES19_IbLb1EEEEDaS15_S16_EUlS15_E_NS1_11comp_targetILNS1_3genE5ELNS1_11target_archE942ELNS1_3gpuE9ELNS1_3repE0EEENS1_30default_config_static_selectorELNS0_4arch9wavefront6targetE0EEEvT1_
                                        ; -- End function
	.section	.AMDGPU.csdata,"",@progbits
; Kernel info:
; codeLenInByte = 0
; NumSgprs: 0
; NumVgprs: 0
; ScratchSize: 0
; MemoryBound: 0
; FloatMode: 240
; IeeeMode: 1
; LDSByteSize: 0 bytes/workgroup (compile time only)
; SGPRBlocks: 0
; VGPRBlocks: 0
; NumSGPRsForWavesPerEU: 1
; NumVGPRsForWavesPerEU: 1
; Occupancy: 16
; WaveLimiterHint : 0
; COMPUTE_PGM_RSRC2:SCRATCH_EN: 0
; COMPUTE_PGM_RSRC2:USER_SGPR: 15
; COMPUTE_PGM_RSRC2:TRAP_HANDLER: 0
; COMPUTE_PGM_RSRC2:TGID_X_EN: 1
; COMPUTE_PGM_RSRC2:TGID_Y_EN: 0
; COMPUTE_PGM_RSRC2:TGID_Z_EN: 0
; COMPUTE_PGM_RSRC2:TIDIG_COMP_CNT: 0
	.section	.text._ZN7rocprim17ROCPRIM_400000_NS6detail17trampoline_kernelINS0_14default_configENS1_25partition_config_selectorILNS1_17partition_subalgoE9EtjbEEZZNS1_14partition_implILS5_9ELb0ES3_jN6thrust23THRUST_200600_302600_NS6detail15normal_iteratorINS9_10device_ptrItEEEENSB_INSC_IjEEEEPNS0_10empty_typeENS0_5tupleIJSE_SH_EEENSJ_IJSG_SI_EEENS0_18inequality_wrapperINS9_8equal_toItEEEEPmJSH_EEE10hipError_tPvRmT3_T4_T5_T6_T7_T9_mT8_P12ihipStream_tbDpT10_ENKUlT_T0_E_clISt17integral_constantIbLb0EES19_IbLb1EEEEDaS15_S16_EUlS15_E_NS1_11comp_targetILNS1_3genE4ELNS1_11target_archE910ELNS1_3gpuE8ELNS1_3repE0EEENS1_30default_config_static_selectorELNS0_4arch9wavefront6targetE0EEEvT1_,"axG",@progbits,_ZN7rocprim17ROCPRIM_400000_NS6detail17trampoline_kernelINS0_14default_configENS1_25partition_config_selectorILNS1_17partition_subalgoE9EtjbEEZZNS1_14partition_implILS5_9ELb0ES3_jN6thrust23THRUST_200600_302600_NS6detail15normal_iteratorINS9_10device_ptrItEEEENSB_INSC_IjEEEEPNS0_10empty_typeENS0_5tupleIJSE_SH_EEENSJ_IJSG_SI_EEENS0_18inequality_wrapperINS9_8equal_toItEEEEPmJSH_EEE10hipError_tPvRmT3_T4_T5_T6_T7_T9_mT8_P12ihipStream_tbDpT10_ENKUlT_T0_E_clISt17integral_constantIbLb0EES19_IbLb1EEEEDaS15_S16_EUlS15_E_NS1_11comp_targetILNS1_3genE4ELNS1_11target_archE910ELNS1_3gpuE8ELNS1_3repE0EEENS1_30default_config_static_selectorELNS0_4arch9wavefront6targetE0EEEvT1_,comdat
	.protected	_ZN7rocprim17ROCPRIM_400000_NS6detail17trampoline_kernelINS0_14default_configENS1_25partition_config_selectorILNS1_17partition_subalgoE9EtjbEEZZNS1_14partition_implILS5_9ELb0ES3_jN6thrust23THRUST_200600_302600_NS6detail15normal_iteratorINS9_10device_ptrItEEEENSB_INSC_IjEEEEPNS0_10empty_typeENS0_5tupleIJSE_SH_EEENSJ_IJSG_SI_EEENS0_18inequality_wrapperINS9_8equal_toItEEEEPmJSH_EEE10hipError_tPvRmT3_T4_T5_T6_T7_T9_mT8_P12ihipStream_tbDpT10_ENKUlT_T0_E_clISt17integral_constantIbLb0EES19_IbLb1EEEEDaS15_S16_EUlS15_E_NS1_11comp_targetILNS1_3genE4ELNS1_11target_archE910ELNS1_3gpuE8ELNS1_3repE0EEENS1_30default_config_static_selectorELNS0_4arch9wavefront6targetE0EEEvT1_ ; -- Begin function _ZN7rocprim17ROCPRIM_400000_NS6detail17trampoline_kernelINS0_14default_configENS1_25partition_config_selectorILNS1_17partition_subalgoE9EtjbEEZZNS1_14partition_implILS5_9ELb0ES3_jN6thrust23THRUST_200600_302600_NS6detail15normal_iteratorINS9_10device_ptrItEEEENSB_INSC_IjEEEEPNS0_10empty_typeENS0_5tupleIJSE_SH_EEENSJ_IJSG_SI_EEENS0_18inequality_wrapperINS9_8equal_toItEEEEPmJSH_EEE10hipError_tPvRmT3_T4_T5_T6_T7_T9_mT8_P12ihipStream_tbDpT10_ENKUlT_T0_E_clISt17integral_constantIbLb0EES19_IbLb1EEEEDaS15_S16_EUlS15_E_NS1_11comp_targetILNS1_3genE4ELNS1_11target_archE910ELNS1_3gpuE8ELNS1_3repE0EEENS1_30default_config_static_selectorELNS0_4arch9wavefront6targetE0EEEvT1_
	.globl	_ZN7rocprim17ROCPRIM_400000_NS6detail17trampoline_kernelINS0_14default_configENS1_25partition_config_selectorILNS1_17partition_subalgoE9EtjbEEZZNS1_14partition_implILS5_9ELb0ES3_jN6thrust23THRUST_200600_302600_NS6detail15normal_iteratorINS9_10device_ptrItEEEENSB_INSC_IjEEEEPNS0_10empty_typeENS0_5tupleIJSE_SH_EEENSJ_IJSG_SI_EEENS0_18inequality_wrapperINS9_8equal_toItEEEEPmJSH_EEE10hipError_tPvRmT3_T4_T5_T6_T7_T9_mT8_P12ihipStream_tbDpT10_ENKUlT_T0_E_clISt17integral_constantIbLb0EES19_IbLb1EEEEDaS15_S16_EUlS15_E_NS1_11comp_targetILNS1_3genE4ELNS1_11target_archE910ELNS1_3gpuE8ELNS1_3repE0EEENS1_30default_config_static_selectorELNS0_4arch9wavefront6targetE0EEEvT1_
	.p2align	8
	.type	_ZN7rocprim17ROCPRIM_400000_NS6detail17trampoline_kernelINS0_14default_configENS1_25partition_config_selectorILNS1_17partition_subalgoE9EtjbEEZZNS1_14partition_implILS5_9ELb0ES3_jN6thrust23THRUST_200600_302600_NS6detail15normal_iteratorINS9_10device_ptrItEEEENSB_INSC_IjEEEEPNS0_10empty_typeENS0_5tupleIJSE_SH_EEENSJ_IJSG_SI_EEENS0_18inequality_wrapperINS9_8equal_toItEEEEPmJSH_EEE10hipError_tPvRmT3_T4_T5_T6_T7_T9_mT8_P12ihipStream_tbDpT10_ENKUlT_T0_E_clISt17integral_constantIbLb0EES19_IbLb1EEEEDaS15_S16_EUlS15_E_NS1_11comp_targetILNS1_3genE4ELNS1_11target_archE910ELNS1_3gpuE8ELNS1_3repE0EEENS1_30default_config_static_selectorELNS0_4arch9wavefront6targetE0EEEvT1_,@function
_ZN7rocprim17ROCPRIM_400000_NS6detail17trampoline_kernelINS0_14default_configENS1_25partition_config_selectorILNS1_17partition_subalgoE9EtjbEEZZNS1_14partition_implILS5_9ELb0ES3_jN6thrust23THRUST_200600_302600_NS6detail15normal_iteratorINS9_10device_ptrItEEEENSB_INSC_IjEEEEPNS0_10empty_typeENS0_5tupleIJSE_SH_EEENSJ_IJSG_SI_EEENS0_18inequality_wrapperINS9_8equal_toItEEEEPmJSH_EEE10hipError_tPvRmT3_T4_T5_T6_T7_T9_mT8_P12ihipStream_tbDpT10_ENKUlT_T0_E_clISt17integral_constantIbLb0EES19_IbLb1EEEEDaS15_S16_EUlS15_E_NS1_11comp_targetILNS1_3genE4ELNS1_11target_archE910ELNS1_3gpuE8ELNS1_3repE0EEENS1_30default_config_static_selectorELNS0_4arch9wavefront6targetE0EEEvT1_: ; @_ZN7rocprim17ROCPRIM_400000_NS6detail17trampoline_kernelINS0_14default_configENS1_25partition_config_selectorILNS1_17partition_subalgoE9EtjbEEZZNS1_14partition_implILS5_9ELb0ES3_jN6thrust23THRUST_200600_302600_NS6detail15normal_iteratorINS9_10device_ptrItEEEENSB_INSC_IjEEEEPNS0_10empty_typeENS0_5tupleIJSE_SH_EEENSJ_IJSG_SI_EEENS0_18inequality_wrapperINS9_8equal_toItEEEEPmJSH_EEE10hipError_tPvRmT3_T4_T5_T6_T7_T9_mT8_P12ihipStream_tbDpT10_ENKUlT_T0_E_clISt17integral_constantIbLb0EES19_IbLb1EEEEDaS15_S16_EUlS15_E_NS1_11comp_targetILNS1_3genE4ELNS1_11target_archE910ELNS1_3gpuE8ELNS1_3repE0EEENS1_30default_config_static_selectorELNS0_4arch9wavefront6targetE0EEEvT1_
; %bb.0:
	.section	.rodata,"a",@progbits
	.p2align	6, 0x0
	.amdhsa_kernel _ZN7rocprim17ROCPRIM_400000_NS6detail17trampoline_kernelINS0_14default_configENS1_25partition_config_selectorILNS1_17partition_subalgoE9EtjbEEZZNS1_14partition_implILS5_9ELb0ES3_jN6thrust23THRUST_200600_302600_NS6detail15normal_iteratorINS9_10device_ptrItEEEENSB_INSC_IjEEEEPNS0_10empty_typeENS0_5tupleIJSE_SH_EEENSJ_IJSG_SI_EEENS0_18inequality_wrapperINS9_8equal_toItEEEEPmJSH_EEE10hipError_tPvRmT3_T4_T5_T6_T7_T9_mT8_P12ihipStream_tbDpT10_ENKUlT_T0_E_clISt17integral_constantIbLb0EES19_IbLb1EEEEDaS15_S16_EUlS15_E_NS1_11comp_targetILNS1_3genE4ELNS1_11target_archE910ELNS1_3gpuE8ELNS1_3repE0EEENS1_30default_config_static_selectorELNS0_4arch9wavefront6targetE0EEEvT1_
		.amdhsa_group_segment_fixed_size 0
		.amdhsa_private_segment_fixed_size 0
		.amdhsa_kernarg_size 128
		.amdhsa_user_sgpr_count 15
		.amdhsa_user_sgpr_dispatch_ptr 0
		.amdhsa_user_sgpr_queue_ptr 0
		.amdhsa_user_sgpr_kernarg_segment_ptr 1
		.amdhsa_user_sgpr_dispatch_id 0
		.amdhsa_user_sgpr_private_segment_size 0
		.amdhsa_wavefront_size32 1
		.amdhsa_uses_dynamic_stack 0
		.amdhsa_enable_private_segment 0
		.amdhsa_system_sgpr_workgroup_id_x 1
		.amdhsa_system_sgpr_workgroup_id_y 0
		.amdhsa_system_sgpr_workgroup_id_z 0
		.amdhsa_system_sgpr_workgroup_info 0
		.amdhsa_system_vgpr_workitem_id 0
		.amdhsa_next_free_vgpr 1
		.amdhsa_next_free_sgpr 1
		.amdhsa_reserve_vcc 0
		.amdhsa_float_round_mode_32 0
		.amdhsa_float_round_mode_16_64 0
		.amdhsa_float_denorm_mode_32 3
		.amdhsa_float_denorm_mode_16_64 3
		.amdhsa_dx10_clamp 1
		.amdhsa_ieee_mode 1
		.amdhsa_fp16_overflow 0
		.amdhsa_workgroup_processor_mode 1
		.amdhsa_memory_ordered 1
		.amdhsa_forward_progress 0
		.amdhsa_shared_vgpr_count 0
		.amdhsa_exception_fp_ieee_invalid_op 0
		.amdhsa_exception_fp_denorm_src 0
		.amdhsa_exception_fp_ieee_div_zero 0
		.amdhsa_exception_fp_ieee_overflow 0
		.amdhsa_exception_fp_ieee_underflow 0
		.amdhsa_exception_fp_ieee_inexact 0
		.amdhsa_exception_int_div_zero 0
	.end_amdhsa_kernel
	.section	.text._ZN7rocprim17ROCPRIM_400000_NS6detail17trampoline_kernelINS0_14default_configENS1_25partition_config_selectorILNS1_17partition_subalgoE9EtjbEEZZNS1_14partition_implILS5_9ELb0ES3_jN6thrust23THRUST_200600_302600_NS6detail15normal_iteratorINS9_10device_ptrItEEEENSB_INSC_IjEEEEPNS0_10empty_typeENS0_5tupleIJSE_SH_EEENSJ_IJSG_SI_EEENS0_18inequality_wrapperINS9_8equal_toItEEEEPmJSH_EEE10hipError_tPvRmT3_T4_T5_T6_T7_T9_mT8_P12ihipStream_tbDpT10_ENKUlT_T0_E_clISt17integral_constantIbLb0EES19_IbLb1EEEEDaS15_S16_EUlS15_E_NS1_11comp_targetILNS1_3genE4ELNS1_11target_archE910ELNS1_3gpuE8ELNS1_3repE0EEENS1_30default_config_static_selectorELNS0_4arch9wavefront6targetE0EEEvT1_,"axG",@progbits,_ZN7rocprim17ROCPRIM_400000_NS6detail17trampoline_kernelINS0_14default_configENS1_25partition_config_selectorILNS1_17partition_subalgoE9EtjbEEZZNS1_14partition_implILS5_9ELb0ES3_jN6thrust23THRUST_200600_302600_NS6detail15normal_iteratorINS9_10device_ptrItEEEENSB_INSC_IjEEEEPNS0_10empty_typeENS0_5tupleIJSE_SH_EEENSJ_IJSG_SI_EEENS0_18inequality_wrapperINS9_8equal_toItEEEEPmJSH_EEE10hipError_tPvRmT3_T4_T5_T6_T7_T9_mT8_P12ihipStream_tbDpT10_ENKUlT_T0_E_clISt17integral_constantIbLb0EES19_IbLb1EEEEDaS15_S16_EUlS15_E_NS1_11comp_targetILNS1_3genE4ELNS1_11target_archE910ELNS1_3gpuE8ELNS1_3repE0EEENS1_30default_config_static_selectorELNS0_4arch9wavefront6targetE0EEEvT1_,comdat
.Lfunc_end591:
	.size	_ZN7rocprim17ROCPRIM_400000_NS6detail17trampoline_kernelINS0_14default_configENS1_25partition_config_selectorILNS1_17partition_subalgoE9EtjbEEZZNS1_14partition_implILS5_9ELb0ES3_jN6thrust23THRUST_200600_302600_NS6detail15normal_iteratorINS9_10device_ptrItEEEENSB_INSC_IjEEEEPNS0_10empty_typeENS0_5tupleIJSE_SH_EEENSJ_IJSG_SI_EEENS0_18inequality_wrapperINS9_8equal_toItEEEEPmJSH_EEE10hipError_tPvRmT3_T4_T5_T6_T7_T9_mT8_P12ihipStream_tbDpT10_ENKUlT_T0_E_clISt17integral_constantIbLb0EES19_IbLb1EEEEDaS15_S16_EUlS15_E_NS1_11comp_targetILNS1_3genE4ELNS1_11target_archE910ELNS1_3gpuE8ELNS1_3repE0EEENS1_30default_config_static_selectorELNS0_4arch9wavefront6targetE0EEEvT1_, .Lfunc_end591-_ZN7rocprim17ROCPRIM_400000_NS6detail17trampoline_kernelINS0_14default_configENS1_25partition_config_selectorILNS1_17partition_subalgoE9EtjbEEZZNS1_14partition_implILS5_9ELb0ES3_jN6thrust23THRUST_200600_302600_NS6detail15normal_iteratorINS9_10device_ptrItEEEENSB_INSC_IjEEEEPNS0_10empty_typeENS0_5tupleIJSE_SH_EEENSJ_IJSG_SI_EEENS0_18inequality_wrapperINS9_8equal_toItEEEEPmJSH_EEE10hipError_tPvRmT3_T4_T5_T6_T7_T9_mT8_P12ihipStream_tbDpT10_ENKUlT_T0_E_clISt17integral_constantIbLb0EES19_IbLb1EEEEDaS15_S16_EUlS15_E_NS1_11comp_targetILNS1_3genE4ELNS1_11target_archE910ELNS1_3gpuE8ELNS1_3repE0EEENS1_30default_config_static_selectorELNS0_4arch9wavefront6targetE0EEEvT1_
                                        ; -- End function
	.section	.AMDGPU.csdata,"",@progbits
; Kernel info:
; codeLenInByte = 0
; NumSgprs: 0
; NumVgprs: 0
; ScratchSize: 0
; MemoryBound: 0
; FloatMode: 240
; IeeeMode: 1
; LDSByteSize: 0 bytes/workgroup (compile time only)
; SGPRBlocks: 0
; VGPRBlocks: 0
; NumSGPRsForWavesPerEU: 1
; NumVGPRsForWavesPerEU: 1
; Occupancy: 15
; WaveLimiterHint : 0
; COMPUTE_PGM_RSRC2:SCRATCH_EN: 0
; COMPUTE_PGM_RSRC2:USER_SGPR: 15
; COMPUTE_PGM_RSRC2:TRAP_HANDLER: 0
; COMPUTE_PGM_RSRC2:TGID_X_EN: 1
; COMPUTE_PGM_RSRC2:TGID_Y_EN: 0
; COMPUTE_PGM_RSRC2:TGID_Z_EN: 0
; COMPUTE_PGM_RSRC2:TIDIG_COMP_CNT: 0
	.section	.text._ZN7rocprim17ROCPRIM_400000_NS6detail17trampoline_kernelINS0_14default_configENS1_25partition_config_selectorILNS1_17partition_subalgoE9EtjbEEZZNS1_14partition_implILS5_9ELb0ES3_jN6thrust23THRUST_200600_302600_NS6detail15normal_iteratorINS9_10device_ptrItEEEENSB_INSC_IjEEEEPNS0_10empty_typeENS0_5tupleIJSE_SH_EEENSJ_IJSG_SI_EEENS0_18inequality_wrapperINS9_8equal_toItEEEEPmJSH_EEE10hipError_tPvRmT3_T4_T5_T6_T7_T9_mT8_P12ihipStream_tbDpT10_ENKUlT_T0_E_clISt17integral_constantIbLb0EES19_IbLb1EEEEDaS15_S16_EUlS15_E_NS1_11comp_targetILNS1_3genE3ELNS1_11target_archE908ELNS1_3gpuE7ELNS1_3repE0EEENS1_30default_config_static_selectorELNS0_4arch9wavefront6targetE0EEEvT1_,"axG",@progbits,_ZN7rocprim17ROCPRIM_400000_NS6detail17trampoline_kernelINS0_14default_configENS1_25partition_config_selectorILNS1_17partition_subalgoE9EtjbEEZZNS1_14partition_implILS5_9ELb0ES3_jN6thrust23THRUST_200600_302600_NS6detail15normal_iteratorINS9_10device_ptrItEEEENSB_INSC_IjEEEEPNS0_10empty_typeENS0_5tupleIJSE_SH_EEENSJ_IJSG_SI_EEENS0_18inequality_wrapperINS9_8equal_toItEEEEPmJSH_EEE10hipError_tPvRmT3_T4_T5_T6_T7_T9_mT8_P12ihipStream_tbDpT10_ENKUlT_T0_E_clISt17integral_constantIbLb0EES19_IbLb1EEEEDaS15_S16_EUlS15_E_NS1_11comp_targetILNS1_3genE3ELNS1_11target_archE908ELNS1_3gpuE7ELNS1_3repE0EEENS1_30default_config_static_selectorELNS0_4arch9wavefront6targetE0EEEvT1_,comdat
	.protected	_ZN7rocprim17ROCPRIM_400000_NS6detail17trampoline_kernelINS0_14default_configENS1_25partition_config_selectorILNS1_17partition_subalgoE9EtjbEEZZNS1_14partition_implILS5_9ELb0ES3_jN6thrust23THRUST_200600_302600_NS6detail15normal_iteratorINS9_10device_ptrItEEEENSB_INSC_IjEEEEPNS0_10empty_typeENS0_5tupleIJSE_SH_EEENSJ_IJSG_SI_EEENS0_18inequality_wrapperINS9_8equal_toItEEEEPmJSH_EEE10hipError_tPvRmT3_T4_T5_T6_T7_T9_mT8_P12ihipStream_tbDpT10_ENKUlT_T0_E_clISt17integral_constantIbLb0EES19_IbLb1EEEEDaS15_S16_EUlS15_E_NS1_11comp_targetILNS1_3genE3ELNS1_11target_archE908ELNS1_3gpuE7ELNS1_3repE0EEENS1_30default_config_static_selectorELNS0_4arch9wavefront6targetE0EEEvT1_ ; -- Begin function _ZN7rocprim17ROCPRIM_400000_NS6detail17trampoline_kernelINS0_14default_configENS1_25partition_config_selectorILNS1_17partition_subalgoE9EtjbEEZZNS1_14partition_implILS5_9ELb0ES3_jN6thrust23THRUST_200600_302600_NS6detail15normal_iteratorINS9_10device_ptrItEEEENSB_INSC_IjEEEEPNS0_10empty_typeENS0_5tupleIJSE_SH_EEENSJ_IJSG_SI_EEENS0_18inequality_wrapperINS9_8equal_toItEEEEPmJSH_EEE10hipError_tPvRmT3_T4_T5_T6_T7_T9_mT8_P12ihipStream_tbDpT10_ENKUlT_T0_E_clISt17integral_constantIbLb0EES19_IbLb1EEEEDaS15_S16_EUlS15_E_NS1_11comp_targetILNS1_3genE3ELNS1_11target_archE908ELNS1_3gpuE7ELNS1_3repE0EEENS1_30default_config_static_selectorELNS0_4arch9wavefront6targetE0EEEvT1_
	.globl	_ZN7rocprim17ROCPRIM_400000_NS6detail17trampoline_kernelINS0_14default_configENS1_25partition_config_selectorILNS1_17partition_subalgoE9EtjbEEZZNS1_14partition_implILS5_9ELb0ES3_jN6thrust23THRUST_200600_302600_NS6detail15normal_iteratorINS9_10device_ptrItEEEENSB_INSC_IjEEEEPNS0_10empty_typeENS0_5tupleIJSE_SH_EEENSJ_IJSG_SI_EEENS0_18inequality_wrapperINS9_8equal_toItEEEEPmJSH_EEE10hipError_tPvRmT3_T4_T5_T6_T7_T9_mT8_P12ihipStream_tbDpT10_ENKUlT_T0_E_clISt17integral_constantIbLb0EES19_IbLb1EEEEDaS15_S16_EUlS15_E_NS1_11comp_targetILNS1_3genE3ELNS1_11target_archE908ELNS1_3gpuE7ELNS1_3repE0EEENS1_30default_config_static_selectorELNS0_4arch9wavefront6targetE0EEEvT1_
	.p2align	8
	.type	_ZN7rocprim17ROCPRIM_400000_NS6detail17trampoline_kernelINS0_14default_configENS1_25partition_config_selectorILNS1_17partition_subalgoE9EtjbEEZZNS1_14partition_implILS5_9ELb0ES3_jN6thrust23THRUST_200600_302600_NS6detail15normal_iteratorINS9_10device_ptrItEEEENSB_INSC_IjEEEEPNS0_10empty_typeENS0_5tupleIJSE_SH_EEENSJ_IJSG_SI_EEENS0_18inequality_wrapperINS9_8equal_toItEEEEPmJSH_EEE10hipError_tPvRmT3_T4_T5_T6_T7_T9_mT8_P12ihipStream_tbDpT10_ENKUlT_T0_E_clISt17integral_constantIbLb0EES19_IbLb1EEEEDaS15_S16_EUlS15_E_NS1_11comp_targetILNS1_3genE3ELNS1_11target_archE908ELNS1_3gpuE7ELNS1_3repE0EEENS1_30default_config_static_selectorELNS0_4arch9wavefront6targetE0EEEvT1_,@function
_ZN7rocprim17ROCPRIM_400000_NS6detail17trampoline_kernelINS0_14default_configENS1_25partition_config_selectorILNS1_17partition_subalgoE9EtjbEEZZNS1_14partition_implILS5_9ELb0ES3_jN6thrust23THRUST_200600_302600_NS6detail15normal_iteratorINS9_10device_ptrItEEEENSB_INSC_IjEEEEPNS0_10empty_typeENS0_5tupleIJSE_SH_EEENSJ_IJSG_SI_EEENS0_18inequality_wrapperINS9_8equal_toItEEEEPmJSH_EEE10hipError_tPvRmT3_T4_T5_T6_T7_T9_mT8_P12ihipStream_tbDpT10_ENKUlT_T0_E_clISt17integral_constantIbLb0EES19_IbLb1EEEEDaS15_S16_EUlS15_E_NS1_11comp_targetILNS1_3genE3ELNS1_11target_archE908ELNS1_3gpuE7ELNS1_3repE0EEENS1_30default_config_static_selectorELNS0_4arch9wavefront6targetE0EEEvT1_: ; @_ZN7rocprim17ROCPRIM_400000_NS6detail17trampoline_kernelINS0_14default_configENS1_25partition_config_selectorILNS1_17partition_subalgoE9EtjbEEZZNS1_14partition_implILS5_9ELb0ES3_jN6thrust23THRUST_200600_302600_NS6detail15normal_iteratorINS9_10device_ptrItEEEENSB_INSC_IjEEEEPNS0_10empty_typeENS0_5tupleIJSE_SH_EEENSJ_IJSG_SI_EEENS0_18inequality_wrapperINS9_8equal_toItEEEEPmJSH_EEE10hipError_tPvRmT3_T4_T5_T6_T7_T9_mT8_P12ihipStream_tbDpT10_ENKUlT_T0_E_clISt17integral_constantIbLb0EES19_IbLb1EEEEDaS15_S16_EUlS15_E_NS1_11comp_targetILNS1_3genE3ELNS1_11target_archE908ELNS1_3gpuE7ELNS1_3repE0EEENS1_30default_config_static_selectorELNS0_4arch9wavefront6targetE0EEEvT1_
; %bb.0:
	.section	.rodata,"a",@progbits
	.p2align	6, 0x0
	.amdhsa_kernel _ZN7rocprim17ROCPRIM_400000_NS6detail17trampoline_kernelINS0_14default_configENS1_25partition_config_selectorILNS1_17partition_subalgoE9EtjbEEZZNS1_14partition_implILS5_9ELb0ES3_jN6thrust23THRUST_200600_302600_NS6detail15normal_iteratorINS9_10device_ptrItEEEENSB_INSC_IjEEEEPNS0_10empty_typeENS0_5tupleIJSE_SH_EEENSJ_IJSG_SI_EEENS0_18inequality_wrapperINS9_8equal_toItEEEEPmJSH_EEE10hipError_tPvRmT3_T4_T5_T6_T7_T9_mT8_P12ihipStream_tbDpT10_ENKUlT_T0_E_clISt17integral_constantIbLb0EES19_IbLb1EEEEDaS15_S16_EUlS15_E_NS1_11comp_targetILNS1_3genE3ELNS1_11target_archE908ELNS1_3gpuE7ELNS1_3repE0EEENS1_30default_config_static_selectorELNS0_4arch9wavefront6targetE0EEEvT1_
		.amdhsa_group_segment_fixed_size 0
		.amdhsa_private_segment_fixed_size 0
		.amdhsa_kernarg_size 128
		.amdhsa_user_sgpr_count 15
		.amdhsa_user_sgpr_dispatch_ptr 0
		.amdhsa_user_sgpr_queue_ptr 0
		.amdhsa_user_sgpr_kernarg_segment_ptr 1
		.amdhsa_user_sgpr_dispatch_id 0
		.amdhsa_user_sgpr_private_segment_size 0
		.amdhsa_wavefront_size32 1
		.amdhsa_uses_dynamic_stack 0
		.amdhsa_enable_private_segment 0
		.amdhsa_system_sgpr_workgroup_id_x 1
		.amdhsa_system_sgpr_workgroup_id_y 0
		.amdhsa_system_sgpr_workgroup_id_z 0
		.amdhsa_system_sgpr_workgroup_info 0
		.amdhsa_system_vgpr_workitem_id 0
		.amdhsa_next_free_vgpr 1
		.amdhsa_next_free_sgpr 1
		.amdhsa_reserve_vcc 0
		.amdhsa_float_round_mode_32 0
		.amdhsa_float_round_mode_16_64 0
		.amdhsa_float_denorm_mode_32 3
		.amdhsa_float_denorm_mode_16_64 3
		.amdhsa_dx10_clamp 1
		.amdhsa_ieee_mode 1
		.amdhsa_fp16_overflow 0
		.amdhsa_workgroup_processor_mode 1
		.amdhsa_memory_ordered 1
		.amdhsa_forward_progress 0
		.amdhsa_shared_vgpr_count 0
		.amdhsa_exception_fp_ieee_invalid_op 0
		.amdhsa_exception_fp_denorm_src 0
		.amdhsa_exception_fp_ieee_div_zero 0
		.amdhsa_exception_fp_ieee_overflow 0
		.amdhsa_exception_fp_ieee_underflow 0
		.amdhsa_exception_fp_ieee_inexact 0
		.amdhsa_exception_int_div_zero 0
	.end_amdhsa_kernel
	.section	.text._ZN7rocprim17ROCPRIM_400000_NS6detail17trampoline_kernelINS0_14default_configENS1_25partition_config_selectorILNS1_17partition_subalgoE9EtjbEEZZNS1_14partition_implILS5_9ELb0ES3_jN6thrust23THRUST_200600_302600_NS6detail15normal_iteratorINS9_10device_ptrItEEEENSB_INSC_IjEEEEPNS0_10empty_typeENS0_5tupleIJSE_SH_EEENSJ_IJSG_SI_EEENS0_18inequality_wrapperINS9_8equal_toItEEEEPmJSH_EEE10hipError_tPvRmT3_T4_T5_T6_T7_T9_mT8_P12ihipStream_tbDpT10_ENKUlT_T0_E_clISt17integral_constantIbLb0EES19_IbLb1EEEEDaS15_S16_EUlS15_E_NS1_11comp_targetILNS1_3genE3ELNS1_11target_archE908ELNS1_3gpuE7ELNS1_3repE0EEENS1_30default_config_static_selectorELNS0_4arch9wavefront6targetE0EEEvT1_,"axG",@progbits,_ZN7rocprim17ROCPRIM_400000_NS6detail17trampoline_kernelINS0_14default_configENS1_25partition_config_selectorILNS1_17partition_subalgoE9EtjbEEZZNS1_14partition_implILS5_9ELb0ES3_jN6thrust23THRUST_200600_302600_NS6detail15normal_iteratorINS9_10device_ptrItEEEENSB_INSC_IjEEEEPNS0_10empty_typeENS0_5tupleIJSE_SH_EEENSJ_IJSG_SI_EEENS0_18inequality_wrapperINS9_8equal_toItEEEEPmJSH_EEE10hipError_tPvRmT3_T4_T5_T6_T7_T9_mT8_P12ihipStream_tbDpT10_ENKUlT_T0_E_clISt17integral_constantIbLb0EES19_IbLb1EEEEDaS15_S16_EUlS15_E_NS1_11comp_targetILNS1_3genE3ELNS1_11target_archE908ELNS1_3gpuE7ELNS1_3repE0EEENS1_30default_config_static_selectorELNS0_4arch9wavefront6targetE0EEEvT1_,comdat
.Lfunc_end592:
	.size	_ZN7rocprim17ROCPRIM_400000_NS6detail17trampoline_kernelINS0_14default_configENS1_25partition_config_selectorILNS1_17partition_subalgoE9EtjbEEZZNS1_14partition_implILS5_9ELb0ES3_jN6thrust23THRUST_200600_302600_NS6detail15normal_iteratorINS9_10device_ptrItEEEENSB_INSC_IjEEEEPNS0_10empty_typeENS0_5tupleIJSE_SH_EEENSJ_IJSG_SI_EEENS0_18inequality_wrapperINS9_8equal_toItEEEEPmJSH_EEE10hipError_tPvRmT3_T4_T5_T6_T7_T9_mT8_P12ihipStream_tbDpT10_ENKUlT_T0_E_clISt17integral_constantIbLb0EES19_IbLb1EEEEDaS15_S16_EUlS15_E_NS1_11comp_targetILNS1_3genE3ELNS1_11target_archE908ELNS1_3gpuE7ELNS1_3repE0EEENS1_30default_config_static_selectorELNS0_4arch9wavefront6targetE0EEEvT1_, .Lfunc_end592-_ZN7rocprim17ROCPRIM_400000_NS6detail17trampoline_kernelINS0_14default_configENS1_25partition_config_selectorILNS1_17partition_subalgoE9EtjbEEZZNS1_14partition_implILS5_9ELb0ES3_jN6thrust23THRUST_200600_302600_NS6detail15normal_iteratorINS9_10device_ptrItEEEENSB_INSC_IjEEEEPNS0_10empty_typeENS0_5tupleIJSE_SH_EEENSJ_IJSG_SI_EEENS0_18inequality_wrapperINS9_8equal_toItEEEEPmJSH_EEE10hipError_tPvRmT3_T4_T5_T6_T7_T9_mT8_P12ihipStream_tbDpT10_ENKUlT_T0_E_clISt17integral_constantIbLb0EES19_IbLb1EEEEDaS15_S16_EUlS15_E_NS1_11comp_targetILNS1_3genE3ELNS1_11target_archE908ELNS1_3gpuE7ELNS1_3repE0EEENS1_30default_config_static_selectorELNS0_4arch9wavefront6targetE0EEEvT1_
                                        ; -- End function
	.section	.AMDGPU.csdata,"",@progbits
; Kernel info:
; codeLenInByte = 0
; NumSgprs: 0
; NumVgprs: 0
; ScratchSize: 0
; MemoryBound: 0
; FloatMode: 240
; IeeeMode: 1
; LDSByteSize: 0 bytes/workgroup (compile time only)
; SGPRBlocks: 0
; VGPRBlocks: 0
; NumSGPRsForWavesPerEU: 1
; NumVGPRsForWavesPerEU: 1
; Occupancy: 16
; WaveLimiterHint : 0
; COMPUTE_PGM_RSRC2:SCRATCH_EN: 0
; COMPUTE_PGM_RSRC2:USER_SGPR: 15
; COMPUTE_PGM_RSRC2:TRAP_HANDLER: 0
; COMPUTE_PGM_RSRC2:TGID_X_EN: 1
; COMPUTE_PGM_RSRC2:TGID_Y_EN: 0
; COMPUTE_PGM_RSRC2:TGID_Z_EN: 0
; COMPUTE_PGM_RSRC2:TIDIG_COMP_CNT: 0
	.section	.text._ZN7rocprim17ROCPRIM_400000_NS6detail17trampoline_kernelINS0_14default_configENS1_25partition_config_selectorILNS1_17partition_subalgoE9EtjbEEZZNS1_14partition_implILS5_9ELb0ES3_jN6thrust23THRUST_200600_302600_NS6detail15normal_iteratorINS9_10device_ptrItEEEENSB_INSC_IjEEEEPNS0_10empty_typeENS0_5tupleIJSE_SH_EEENSJ_IJSG_SI_EEENS0_18inequality_wrapperINS9_8equal_toItEEEEPmJSH_EEE10hipError_tPvRmT3_T4_T5_T6_T7_T9_mT8_P12ihipStream_tbDpT10_ENKUlT_T0_E_clISt17integral_constantIbLb0EES19_IbLb1EEEEDaS15_S16_EUlS15_E_NS1_11comp_targetILNS1_3genE2ELNS1_11target_archE906ELNS1_3gpuE6ELNS1_3repE0EEENS1_30default_config_static_selectorELNS0_4arch9wavefront6targetE0EEEvT1_,"axG",@progbits,_ZN7rocprim17ROCPRIM_400000_NS6detail17trampoline_kernelINS0_14default_configENS1_25partition_config_selectorILNS1_17partition_subalgoE9EtjbEEZZNS1_14partition_implILS5_9ELb0ES3_jN6thrust23THRUST_200600_302600_NS6detail15normal_iteratorINS9_10device_ptrItEEEENSB_INSC_IjEEEEPNS0_10empty_typeENS0_5tupleIJSE_SH_EEENSJ_IJSG_SI_EEENS0_18inequality_wrapperINS9_8equal_toItEEEEPmJSH_EEE10hipError_tPvRmT3_T4_T5_T6_T7_T9_mT8_P12ihipStream_tbDpT10_ENKUlT_T0_E_clISt17integral_constantIbLb0EES19_IbLb1EEEEDaS15_S16_EUlS15_E_NS1_11comp_targetILNS1_3genE2ELNS1_11target_archE906ELNS1_3gpuE6ELNS1_3repE0EEENS1_30default_config_static_selectorELNS0_4arch9wavefront6targetE0EEEvT1_,comdat
	.protected	_ZN7rocprim17ROCPRIM_400000_NS6detail17trampoline_kernelINS0_14default_configENS1_25partition_config_selectorILNS1_17partition_subalgoE9EtjbEEZZNS1_14partition_implILS5_9ELb0ES3_jN6thrust23THRUST_200600_302600_NS6detail15normal_iteratorINS9_10device_ptrItEEEENSB_INSC_IjEEEEPNS0_10empty_typeENS0_5tupleIJSE_SH_EEENSJ_IJSG_SI_EEENS0_18inequality_wrapperINS9_8equal_toItEEEEPmJSH_EEE10hipError_tPvRmT3_T4_T5_T6_T7_T9_mT8_P12ihipStream_tbDpT10_ENKUlT_T0_E_clISt17integral_constantIbLb0EES19_IbLb1EEEEDaS15_S16_EUlS15_E_NS1_11comp_targetILNS1_3genE2ELNS1_11target_archE906ELNS1_3gpuE6ELNS1_3repE0EEENS1_30default_config_static_selectorELNS0_4arch9wavefront6targetE0EEEvT1_ ; -- Begin function _ZN7rocprim17ROCPRIM_400000_NS6detail17trampoline_kernelINS0_14default_configENS1_25partition_config_selectorILNS1_17partition_subalgoE9EtjbEEZZNS1_14partition_implILS5_9ELb0ES3_jN6thrust23THRUST_200600_302600_NS6detail15normal_iteratorINS9_10device_ptrItEEEENSB_INSC_IjEEEEPNS0_10empty_typeENS0_5tupleIJSE_SH_EEENSJ_IJSG_SI_EEENS0_18inequality_wrapperINS9_8equal_toItEEEEPmJSH_EEE10hipError_tPvRmT3_T4_T5_T6_T7_T9_mT8_P12ihipStream_tbDpT10_ENKUlT_T0_E_clISt17integral_constantIbLb0EES19_IbLb1EEEEDaS15_S16_EUlS15_E_NS1_11comp_targetILNS1_3genE2ELNS1_11target_archE906ELNS1_3gpuE6ELNS1_3repE0EEENS1_30default_config_static_selectorELNS0_4arch9wavefront6targetE0EEEvT1_
	.globl	_ZN7rocprim17ROCPRIM_400000_NS6detail17trampoline_kernelINS0_14default_configENS1_25partition_config_selectorILNS1_17partition_subalgoE9EtjbEEZZNS1_14partition_implILS5_9ELb0ES3_jN6thrust23THRUST_200600_302600_NS6detail15normal_iteratorINS9_10device_ptrItEEEENSB_INSC_IjEEEEPNS0_10empty_typeENS0_5tupleIJSE_SH_EEENSJ_IJSG_SI_EEENS0_18inequality_wrapperINS9_8equal_toItEEEEPmJSH_EEE10hipError_tPvRmT3_T4_T5_T6_T7_T9_mT8_P12ihipStream_tbDpT10_ENKUlT_T0_E_clISt17integral_constantIbLb0EES19_IbLb1EEEEDaS15_S16_EUlS15_E_NS1_11comp_targetILNS1_3genE2ELNS1_11target_archE906ELNS1_3gpuE6ELNS1_3repE0EEENS1_30default_config_static_selectorELNS0_4arch9wavefront6targetE0EEEvT1_
	.p2align	8
	.type	_ZN7rocprim17ROCPRIM_400000_NS6detail17trampoline_kernelINS0_14default_configENS1_25partition_config_selectorILNS1_17partition_subalgoE9EtjbEEZZNS1_14partition_implILS5_9ELb0ES3_jN6thrust23THRUST_200600_302600_NS6detail15normal_iteratorINS9_10device_ptrItEEEENSB_INSC_IjEEEEPNS0_10empty_typeENS0_5tupleIJSE_SH_EEENSJ_IJSG_SI_EEENS0_18inequality_wrapperINS9_8equal_toItEEEEPmJSH_EEE10hipError_tPvRmT3_T4_T5_T6_T7_T9_mT8_P12ihipStream_tbDpT10_ENKUlT_T0_E_clISt17integral_constantIbLb0EES19_IbLb1EEEEDaS15_S16_EUlS15_E_NS1_11comp_targetILNS1_3genE2ELNS1_11target_archE906ELNS1_3gpuE6ELNS1_3repE0EEENS1_30default_config_static_selectorELNS0_4arch9wavefront6targetE0EEEvT1_,@function
_ZN7rocprim17ROCPRIM_400000_NS6detail17trampoline_kernelINS0_14default_configENS1_25partition_config_selectorILNS1_17partition_subalgoE9EtjbEEZZNS1_14partition_implILS5_9ELb0ES3_jN6thrust23THRUST_200600_302600_NS6detail15normal_iteratorINS9_10device_ptrItEEEENSB_INSC_IjEEEEPNS0_10empty_typeENS0_5tupleIJSE_SH_EEENSJ_IJSG_SI_EEENS0_18inequality_wrapperINS9_8equal_toItEEEEPmJSH_EEE10hipError_tPvRmT3_T4_T5_T6_T7_T9_mT8_P12ihipStream_tbDpT10_ENKUlT_T0_E_clISt17integral_constantIbLb0EES19_IbLb1EEEEDaS15_S16_EUlS15_E_NS1_11comp_targetILNS1_3genE2ELNS1_11target_archE906ELNS1_3gpuE6ELNS1_3repE0EEENS1_30default_config_static_selectorELNS0_4arch9wavefront6targetE0EEEvT1_: ; @_ZN7rocprim17ROCPRIM_400000_NS6detail17trampoline_kernelINS0_14default_configENS1_25partition_config_selectorILNS1_17partition_subalgoE9EtjbEEZZNS1_14partition_implILS5_9ELb0ES3_jN6thrust23THRUST_200600_302600_NS6detail15normal_iteratorINS9_10device_ptrItEEEENSB_INSC_IjEEEEPNS0_10empty_typeENS0_5tupleIJSE_SH_EEENSJ_IJSG_SI_EEENS0_18inequality_wrapperINS9_8equal_toItEEEEPmJSH_EEE10hipError_tPvRmT3_T4_T5_T6_T7_T9_mT8_P12ihipStream_tbDpT10_ENKUlT_T0_E_clISt17integral_constantIbLb0EES19_IbLb1EEEEDaS15_S16_EUlS15_E_NS1_11comp_targetILNS1_3genE2ELNS1_11target_archE906ELNS1_3gpuE6ELNS1_3repE0EEENS1_30default_config_static_selectorELNS0_4arch9wavefront6targetE0EEEvT1_
; %bb.0:
	.section	.rodata,"a",@progbits
	.p2align	6, 0x0
	.amdhsa_kernel _ZN7rocprim17ROCPRIM_400000_NS6detail17trampoline_kernelINS0_14default_configENS1_25partition_config_selectorILNS1_17partition_subalgoE9EtjbEEZZNS1_14partition_implILS5_9ELb0ES3_jN6thrust23THRUST_200600_302600_NS6detail15normal_iteratorINS9_10device_ptrItEEEENSB_INSC_IjEEEEPNS0_10empty_typeENS0_5tupleIJSE_SH_EEENSJ_IJSG_SI_EEENS0_18inequality_wrapperINS9_8equal_toItEEEEPmJSH_EEE10hipError_tPvRmT3_T4_T5_T6_T7_T9_mT8_P12ihipStream_tbDpT10_ENKUlT_T0_E_clISt17integral_constantIbLb0EES19_IbLb1EEEEDaS15_S16_EUlS15_E_NS1_11comp_targetILNS1_3genE2ELNS1_11target_archE906ELNS1_3gpuE6ELNS1_3repE0EEENS1_30default_config_static_selectorELNS0_4arch9wavefront6targetE0EEEvT1_
		.amdhsa_group_segment_fixed_size 0
		.amdhsa_private_segment_fixed_size 0
		.amdhsa_kernarg_size 128
		.amdhsa_user_sgpr_count 15
		.amdhsa_user_sgpr_dispatch_ptr 0
		.amdhsa_user_sgpr_queue_ptr 0
		.amdhsa_user_sgpr_kernarg_segment_ptr 1
		.amdhsa_user_sgpr_dispatch_id 0
		.amdhsa_user_sgpr_private_segment_size 0
		.amdhsa_wavefront_size32 1
		.amdhsa_uses_dynamic_stack 0
		.amdhsa_enable_private_segment 0
		.amdhsa_system_sgpr_workgroup_id_x 1
		.amdhsa_system_sgpr_workgroup_id_y 0
		.amdhsa_system_sgpr_workgroup_id_z 0
		.amdhsa_system_sgpr_workgroup_info 0
		.amdhsa_system_vgpr_workitem_id 0
		.amdhsa_next_free_vgpr 1
		.amdhsa_next_free_sgpr 1
		.amdhsa_reserve_vcc 0
		.amdhsa_float_round_mode_32 0
		.amdhsa_float_round_mode_16_64 0
		.amdhsa_float_denorm_mode_32 3
		.amdhsa_float_denorm_mode_16_64 3
		.amdhsa_dx10_clamp 1
		.amdhsa_ieee_mode 1
		.amdhsa_fp16_overflow 0
		.amdhsa_workgroup_processor_mode 1
		.amdhsa_memory_ordered 1
		.amdhsa_forward_progress 0
		.amdhsa_shared_vgpr_count 0
		.amdhsa_exception_fp_ieee_invalid_op 0
		.amdhsa_exception_fp_denorm_src 0
		.amdhsa_exception_fp_ieee_div_zero 0
		.amdhsa_exception_fp_ieee_overflow 0
		.amdhsa_exception_fp_ieee_underflow 0
		.amdhsa_exception_fp_ieee_inexact 0
		.amdhsa_exception_int_div_zero 0
	.end_amdhsa_kernel
	.section	.text._ZN7rocprim17ROCPRIM_400000_NS6detail17trampoline_kernelINS0_14default_configENS1_25partition_config_selectorILNS1_17partition_subalgoE9EtjbEEZZNS1_14partition_implILS5_9ELb0ES3_jN6thrust23THRUST_200600_302600_NS6detail15normal_iteratorINS9_10device_ptrItEEEENSB_INSC_IjEEEEPNS0_10empty_typeENS0_5tupleIJSE_SH_EEENSJ_IJSG_SI_EEENS0_18inequality_wrapperINS9_8equal_toItEEEEPmJSH_EEE10hipError_tPvRmT3_T4_T5_T6_T7_T9_mT8_P12ihipStream_tbDpT10_ENKUlT_T0_E_clISt17integral_constantIbLb0EES19_IbLb1EEEEDaS15_S16_EUlS15_E_NS1_11comp_targetILNS1_3genE2ELNS1_11target_archE906ELNS1_3gpuE6ELNS1_3repE0EEENS1_30default_config_static_selectorELNS0_4arch9wavefront6targetE0EEEvT1_,"axG",@progbits,_ZN7rocprim17ROCPRIM_400000_NS6detail17trampoline_kernelINS0_14default_configENS1_25partition_config_selectorILNS1_17partition_subalgoE9EtjbEEZZNS1_14partition_implILS5_9ELb0ES3_jN6thrust23THRUST_200600_302600_NS6detail15normal_iteratorINS9_10device_ptrItEEEENSB_INSC_IjEEEEPNS0_10empty_typeENS0_5tupleIJSE_SH_EEENSJ_IJSG_SI_EEENS0_18inequality_wrapperINS9_8equal_toItEEEEPmJSH_EEE10hipError_tPvRmT3_T4_T5_T6_T7_T9_mT8_P12ihipStream_tbDpT10_ENKUlT_T0_E_clISt17integral_constantIbLb0EES19_IbLb1EEEEDaS15_S16_EUlS15_E_NS1_11comp_targetILNS1_3genE2ELNS1_11target_archE906ELNS1_3gpuE6ELNS1_3repE0EEENS1_30default_config_static_selectorELNS0_4arch9wavefront6targetE0EEEvT1_,comdat
.Lfunc_end593:
	.size	_ZN7rocprim17ROCPRIM_400000_NS6detail17trampoline_kernelINS0_14default_configENS1_25partition_config_selectorILNS1_17partition_subalgoE9EtjbEEZZNS1_14partition_implILS5_9ELb0ES3_jN6thrust23THRUST_200600_302600_NS6detail15normal_iteratorINS9_10device_ptrItEEEENSB_INSC_IjEEEEPNS0_10empty_typeENS0_5tupleIJSE_SH_EEENSJ_IJSG_SI_EEENS0_18inequality_wrapperINS9_8equal_toItEEEEPmJSH_EEE10hipError_tPvRmT3_T4_T5_T6_T7_T9_mT8_P12ihipStream_tbDpT10_ENKUlT_T0_E_clISt17integral_constantIbLb0EES19_IbLb1EEEEDaS15_S16_EUlS15_E_NS1_11comp_targetILNS1_3genE2ELNS1_11target_archE906ELNS1_3gpuE6ELNS1_3repE0EEENS1_30default_config_static_selectorELNS0_4arch9wavefront6targetE0EEEvT1_, .Lfunc_end593-_ZN7rocprim17ROCPRIM_400000_NS6detail17trampoline_kernelINS0_14default_configENS1_25partition_config_selectorILNS1_17partition_subalgoE9EtjbEEZZNS1_14partition_implILS5_9ELb0ES3_jN6thrust23THRUST_200600_302600_NS6detail15normal_iteratorINS9_10device_ptrItEEEENSB_INSC_IjEEEEPNS0_10empty_typeENS0_5tupleIJSE_SH_EEENSJ_IJSG_SI_EEENS0_18inequality_wrapperINS9_8equal_toItEEEEPmJSH_EEE10hipError_tPvRmT3_T4_T5_T6_T7_T9_mT8_P12ihipStream_tbDpT10_ENKUlT_T0_E_clISt17integral_constantIbLb0EES19_IbLb1EEEEDaS15_S16_EUlS15_E_NS1_11comp_targetILNS1_3genE2ELNS1_11target_archE906ELNS1_3gpuE6ELNS1_3repE0EEENS1_30default_config_static_selectorELNS0_4arch9wavefront6targetE0EEEvT1_
                                        ; -- End function
	.section	.AMDGPU.csdata,"",@progbits
; Kernel info:
; codeLenInByte = 0
; NumSgprs: 0
; NumVgprs: 0
; ScratchSize: 0
; MemoryBound: 0
; FloatMode: 240
; IeeeMode: 1
; LDSByteSize: 0 bytes/workgroup (compile time only)
; SGPRBlocks: 0
; VGPRBlocks: 0
; NumSGPRsForWavesPerEU: 1
; NumVGPRsForWavesPerEU: 1
; Occupancy: 16
; WaveLimiterHint : 0
; COMPUTE_PGM_RSRC2:SCRATCH_EN: 0
; COMPUTE_PGM_RSRC2:USER_SGPR: 15
; COMPUTE_PGM_RSRC2:TRAP_HANDLER: 0
; COMPUTE_PGM_RSRC2:TGID_X_EN: 1
; COMPUTE_PGM_RSRC2:TGID_Y_EN: 0
; COMPUTE_PGM_RSRC2:TGID_Z_EN: 0
; COMPUTE_PGM_RSRC2:TIDIG_COMP_CNT: 0
	.section	.text._ZN7rocprim17ROCPRIM_400000_NS6detail17trampoline_kernelINS0_14default_configENS1_25partition_config_selectorILNS1_17partition_subalgoE9EtjbEEZZNS1_14partition_implILS5_9ELb0ES3_jN6thrust23THRUST_200600_302600_NS6detail15normal_iteratorINS9_10device_ptrItEEEENSB_INSC_IjEEEEPNS0_10empty_typeENS0_5tupleIJSE_SH_EEENSJ_IJSG_SI_EEENS0_18inequality_wrapperINS9_8equal_toItEEEEPmJSH_EEE10hipError_tPvRmT3_T4_T5_T6_T7_T9_mT8_P12ihipStream_tbDpT10_ENKUlT_T0_E_clISt17integral_constantIbLb0EES19_IbLb1EEEEDaS15_S16_EUlS15_E_NS1_11comp_targetILNS1_3genE10ELNS1_11target_archE1200ELNS1_3gpuE4ELNS1_3repE0EEENS1_30default_config_static_selectorELNS0_4arch9wavefront6targetE0EEEvT1_,"axG",@progbits,_ZN7rocprim17ROCPRIM_400000_NS6detail17trampoline_kernelINS0_14default_configENS1_25partition_config_selectorILNS1_17partition_subalgoE9EtjbEEZZNS1_14partition_implILS5_9ELb0ES3_jN6thrust23THRUST_200600_302600_NS6detail15normal_iteratorINS9_10device_ptrItEEEENSB_INSC_IjEEEEPNS0_10empty_typeENS0_5tupleIJSE_SH_EEENSJ_IJSG_SI_EEENS0_18inequality_wrapperINS9_8equal_toItEEEEPmJSH_EEE10hipError_tPvRmT3_T4_T5_T6_T7_T9_mT8_P12ihipStream_tbDpT10_ENKUlT_T0_E_clISt17integral_constantIbLb0EES19_IbLb1EEEEDaS15_S16_EUlS15_E_NS1_11comp_targetILNS1_3genE10ELNS1_11target_archE1200ELNS1_3gpuE4ELNS1_3repE0EEENS1_30default_config_static_selectorELNS0_4arch9wavefront6targetE0EEEvT1_,comdat
	.protected	_ZN7rocprim17ROCPRIM_400000_NS6detail17trampoline_kernelINS0_14default_configENS1_25partition_config_selectorILNS1_17partition_subalgoE9EtjbEEZZNS1_14partition_implILS5_9ELb0ES3_jN6thrust23THRUST_200600_302600_NS6detail15normal_iteratorINS9_10device_ptrItEEEENSB_INSC_IjEEEEPNS0_10empty_typeENS0_5tupleIJSE_SH_EEENSJ_IJSG_SI_EEENS0_18inequality_wrapperINS9_8equal_toItEEEEPmJSH_EEE10hipError_tPvRmT3_T4_T5_T6_T7_T9_mT8_P12ihipStream_tbDpT10_ENKUlT_T0_E_clISt17integral_constantIbLb0EES19_IbLb1EEEEDaS15_S16_EUlS15_E_NS1_11comp_targetILNS1_3genE10ELNS1_11target_archE1200ELNS1_3gpuE4ELNS1_3repE0EEENS1_30default_config_static_selectorELNS0_4arch9wavefront6targetE0EEEvT1_ ; -- Begin function _ZN7rocprim17ROCPRIM_400000_NS6detail17trampoline_kernelINS0_14default_configENS1_25partition_config_selectorILNS1_17partition_subalgoE9EtjbEEZZNS1_14partition_implILS5_9ELb0ES3_jN6thrust23THRUST_200600_302600_NS6detail15normal_iteratorINS9_10device_ptrItEEEENSB_INSC_IjEEEEPNS0_10empty_typeENS0_5tupleIJSE_SH_EEENSJ_IJSG_SI_EEENS0_18inequality_wrapperINS9_8equal_toItEEEEPmJSH_EEE10hipError_tPvRmT3_T4_T5_T6_T7_T9_mT8_P12ihipStream_tbDpT10_ENKUlT_T0_E_clISt17integral_constantIbLb0EES19_IbLb1EEEEDaS15_S16_EUlS15_E_NS1_11comp_targetILNS1_3genE10ELNS1_11target_archE1200ELNS1_3gpuE4ELNS1_3repE0EEENS1_30default_config_static_selectorELNS0_4arch9wavefront6targetE0EEEvT1_
	.globl	_ZN7rocprim17ROCPRIM_400000_NS6detail17trampoline_kernelINS0_14default_configENS1_25partition_config_selectorILNS1_17partition_subalgoE9EtjbEEZZNS1_14partition_implILS5_9ELb0ES3_jN6thrust23THRUST_200600_302600_NS6detail15normal_iteratorINS9_10device_ptrItEEEENSB_INSC_IjEEEEPNS0_10empty_typeENS0_5tupleIJSE_SH_EEENSJ_IJSG_SI_EEENS0_18inequality_wrapperINS9_8equal_toItEEEEPmJSH_EEE10hipError_tPvRmT3_T4_T5_T6_T7_T9_mT8_P12ihipStream_tbDpT10_ENKUlT_T0_E_clISt17integral_constantIbLb0EES19_IbLb1EEEEDaS15_S16_EUlS15_E_NS1_11comp_targetILNS1_3genE10ELNS1_11target_archE1200ELNS1_3gpuE4ELNS1_3repE0EEENS1_30default_config_static_selectorELNS0_4arch9wavefront6targetE0EEEvT1_
	.p2align	8
	.type	_ZN7rocprim17ROCPRIM_400000_NS6detail17trampoline_kernelINS0_14default_configENS1_25partition_config_selectorILNS1_17partition_subalgoE9EtjbEEZZNS1_14partition_implILS5_9ELb0ES3_jN6thrust23THRUST_200600_302600_NS6detail15normal_iteratorINS9_10device_ptrItEEEENSB_INSC_IjEEEEPNS0_10empty_typeENS0_5tupleIJSE_SH_EEENSJ_IJSG_SI_EEENS0_18inequality_wrapperINS9_8equal_toItEEEEPmJSH_EEE10hipError_tPvRmT3_T4_T5_T6_T7_T9_mT8_P12ihipStream_tbDpT10_ENKUlT_T0_E_clISt17integral_constantIbLb0EES19_IbLb1EEEEDaS15_S16_EUlS15_E_NS1_11comp_targetILNS1_3genE10ELNS1_11target_archE1200ELNS1_3gpuE4ELNS1_3repE0EEENS1_30default_config_static_selectorELNS0_4arch9wavefront6targetE0EEEvT1_,@function
_ZN7rocprim17ROCPRIM_400000_NS6detail17trampoline_kernelINS0_14default_configENS1_25partition_config_selectorILNS1_17partition_subalgoE9EtjbEEZZNS1_14partition_implILS5_9ELb0ES3_jN6thrust23THRUST_200600_302600_NS6detail15normal_iteratorINS9_10device_ptrItEEEENSB_INSC_IjEEEEPNS0_10empty_typeENS0_5tupleIJSE_SH_EEENSJ_IJSG_SI_EEENS0_18inequality_wrapperINS9_8equal_toItEEEEPmJSH_EEE10hipError_tPvRmT3_T4_T5_T6_T7_T9_mT8_P12ihipStream_tbDpT10_ENKUlT_T0_E_clISt17integral_constantIbLb0EES19_IbLb1EEEEDaS15_S16_EUlS15_E_NS1_11comp_targetILNS1_3genE10ELNS1_11target_archE1200ELNS1_3gpuE4ELNS1_3repE0EEENS1_30default_config_static_selectorELNS0_4arch9wavefront6targetE0EEEvT1_: ; @_ZN7rocprim17ROCPRIM_400000_NS6detail17trampoline_kernelINS0_14default_configENS1_25partition_config_selectorILNS1_17partition_subalgoE9EtjbEEZZNS1_14partition_implILS5_9ELb0ES3_jN6thrust23THRUST_200600_302600_NS6detail15normal_iteratorINS9_10device_ptrItEEEENSB_INSC_IjEEEEPNS0_10empty_typeENS0_5tupleIJSE_SH_EEENSJ_IJSG_SI_EEENS0_18inequality_wrapperINS9_8equal_toItEEEEPmJSH_EEE10hipError_tPvRmT3_T4_T5_T6_T7_T9_mT8_P12ihipStream_tbDpT10_ENKUlT_T0_E_clISt17integral_constantIbLb0EES19_IbLb1EEEEDaS15_S16_EUlS15_E_NS1_11comp_targetILNS1_3genE10ELNS1_11target_archE1200ELNS1_3gpuE4ELNS1_3repE0EEENS1_30default_config_static_selectorELNS0_4arch9wavefront6targetE0EEEvT1_
; %bb.0:
	.section	.rodata,"a",@progbits
	.p2align	6, 0x0
	.amdhsa_kernel _ZN7rocprim17ROCPRIM_400000_NS6detail17trampoline_kernelINS0_14default_configENS1_25partition_config_selectorILNS1_17partition_subalgoE9EtjbEEZZNS1_14partition_implILS5_9ELb0ES3_jN6thrust23THRUST_200600_302600_NS6detail15normal_iteratorINS9_10device_ptrItEEEENSB_INSC_IjEEEEPNS0_10empty_typeENS0_5tupleIJSE_SH_EEENSJ_IJSG_SI_EEENS0_18inequality_wrapperINS9_8equal_toItEEEEPmJSH_EEE10hipError_tPvRmT3_T4_T5_T6_T7_T9_mT8_P12ihipStream_tbDpT10_ENKUlT_T0_E_clISt17integral_constantIbLb0EES19_IbLb1EEEEDaS15_S16_EUlS15_E_NS1_11comp_targetILNS1_3genE10ELNS1_11target_archE1200ELNS1_3gpuE4ELNS1_3repE0EEENS1_30default_config_static_selectorELNS0_4arch9wavefront6targetE0EEEvT1_
		.amdhsa_group_segment_fixed_size 0
		.amdhsa_private_segment_fixed_size 0
		.amdhsa_kernarg_size 128
		.amdhsa_user_sgpr_count 15
		.amdhsa_user_sgpr_dispatch_ptr 0
		.amdhsa_user_sgpr_queue_ptr 0
		.amdhsa_user_sgpr_kernarg_segment_ptr 1
		.amdhsa_user_sgpr_dispatch_id 0
		.amdhsa_user_sgpr_private_segment_size 0
		.amdhsa_wavefront_size32 1
		.amdhsa_uses_dynamic_stack 0
		.amdhsa_enable_private_segment 0
		.amdhsa_system_sgpr_workgroup_id_x 1
		.amdhsa_system_sgpr_workgroup_id_y 0
		.amdhsa_system_sgpr_workgroup_id_z 0
		.amdhsa_system_sgpr_workgroup_info 0
		.amdhsa_system_vgpr_workitem_id 0
		.amdhsa_next_free_vgpr 1
		.amdhsa_next_free_sgpr 1
		.amdhsa_reserve_vcc 0
		.amdhsa_float_round_mode_32 0
		.amdhsa_float_round_mode_16_64 0
		.amdhsa_float_denorm_mode_32 3
		.amdhsa_float_denorm_mode_16_64 3
		.amdhsa_dx10_clamp 1
		.amdhsa_ieee_mode 1
		.amdhsa_fp16_overflow 0
		.amdhsa_workgroup_processor_mode 1
		.amdhsa_memory_ordered 1
		.amdhsa_forward_progress 0
		.amdhsa_shared_vgpr_count 0
		.amdhsa_exception_fp_ieee_invalid_op 0
		.amdhsa_exception_fp_denorm_src 0
		.amdhsa_exception_fp_ieee_div_zero 0
		.amdhsa_exception_fp_ieee_overflow 0
		.amdhsa_exception_fp_ieee_underflow 0
		.amdhsa_exception_fp_ieee_inexact 0
		.amdhsa_exception_int_div_zero 0
	.end_amdhsa_kernel
	.section	.text._ZN7rocprim17ROCPRIM_400000_NS6detail17trampoline_kernelINS0_14default_configENS1_25partition_config_selectorILNS1_17partition_subalgoE9EtjbEEZZNS1_14partition_implILS5_9ELb0ES3_jN6thrust23THRUST_200600_302600_NS6detail15normal_iteratorINS9_10device_ptrItEEEENSB_INSC_IjEEEEPNS0_10empty_typeENS0_5tupleIJSE_SH_EEENSJ_IJSG_SI_EEENS0_18inequality_wrapperINS9_8equal_toItEEEEPmJSH_EEE10hipError_tPvRmT3_T4_T5_T6_T7_T9_mT8_P12ihipStream_tbDpT10_ENKUlT_T0_E_clISt17integral_constantIbLb0EES19_IbLb1EEEEDaS15_S16_EUlS15_E_NS1_11comp_targetILNS1_3genE10ELNS1_11target_archE1200ELNS1_3gpuE4ELNS1_3repE0EEENS1_30default_config_static_selectorELNS0_4arch9wavefront6targetE0EEEvT1_,"axG",@progbits,_ZN7rocprim17ROCPRIM_400000_NS6detail17trampoline_kernelINS0_14default_configENS1_25partition_config_selectorILNS1_17partition_subalgoE9EtjbEEZZNS1_14partition_implILS5_9ELb0ES3_jN6thrust23THRUST_200600_302600_NS6detail15normal_iteratorINS9_10device_ptrItEEEENSB_INSC_IjEEEEPNS0_10empty_typeENS0_5tupleIJSE_SH_EEENSJ_IJSG_SI_EEENS0_18inequality_wrapperINS9_8equal_toItEEEEPmJSH_EEE10hipError_tPvRmT3_T4_T5_T6_T7_T9_mT8_P12ihipStream_tbDpT10_ENKUlT_T0_E_clISt17integral_constantIbLb0EES19_IbLb1EEEEDaS15_S16_EUlS15_E_NS1_11comp_targetILNS1_3genE10ELNS1_11target_archE1200ELNS1_3gpuE4ELNS1_3repE0EEENS1_30default_config_static_selectorELNS0_4arch9wavefront6targetE0EEEvT1_,comdat
.Lfunc_end594:
	.size	_ZN7rocprim17ROCPRIM_400000_NS6detail17trampoline_kernelINS0_14default_configENS1_25partition_config_selectorILNS1_17partition_subalgoE9EtjbEEZZNS1_14partition_implILS5_9ELb0ES3_jN6thrust23THRUST_200600_302600_NS6detail15normal_iteratorINS9_10device_ptrItEEEENSB_INSC_IjEEEEPNS0_10empty_typeENS0_5tupleIJSE_SH_EEENSJ_IJSG_SI_EEENS0_18inequality_wrapperINS9_8equal_toItEEEEPmJSH_EEE10hipError_tPvRmT3_T4_T5_T6_T7_T9_mT8_P12ihipStream_tbDpT10_ENKUlT_T0_E_clISt17integral_constantIbLb0EES19_IbLb1EEEEDaS15_S16_EUlS15_E_NS1_11comp_targetILNS1_3genE10ELNS1_11target_archE1200ELNS1_3gpuE4ELNS1_3repE0EEENS1_30default_config_static_selectorELNS0_4arch9wavefront6targetE0EEEvT1_, .Lfunc_end594-_ZN7rocprim17ROCPRIM_400000_NS6detail17trampoline_kernelINS0_14default_configENS1_25partition_config_selectorILNS1_17partition_subalgoE9EtjbEEZZNS1_14partition_implILS5_9ELb0ES3_jN6thrust23THRUST_200600_302600_NS6detail15normal_iteratorINS9_10device_ptrItEEEENSB_INSC_IjEEEEPNS0_10empty_typeENS0_5tupleIJSE_SH_EEENSJ_IJSG_SI_EEENS0_18inequality_wrapperINS9_8equal_toItEEEEPmJSH_EEE10hipError_tPvRmT3_T4_T5_T6_T7_T9_mT8_P12ihipStream_tbDpT10_ENKUlT_T0_E_clISt17integral_constantIbLb0EES19_IbLb1EEEEDaS15_S16_EUlS15_E_NS1_11comp_targetILNS1_3genE10ELNS1_11target_archE1200ELNS1_3gpuE4ELNS1_3repE0EEENS1_30default_config_static_selectorELNS0_4arch9wavefront6targetE0EEEvT1_
                                        ; -- End function
	.section	.AMDGPU.csdata,"",@progbits
; Kernel info:
; codeLenInByte = 0
; NumSgprs: 0
; NumVgprs: 0
; ScratchSize: 0
; MemoryBound: 0
; FloatMode: 240
; IeeeMode: 1
; LDSByteSize: 0 bytes/workgroup (compile time only)
; SGPRBlocks: 0
; VGPRBlocks: 0
; NumSGPRsForWavesPerEU: 1
; NumVGPRsForWavesPerEU: 1
; Occupancy: 16
; WaveLimiterHint : 0
; COMPUTE_PGM_RSRC2:SCRATCH_EN: 0
; COMPUTE_PGM_RSRC2:USER_SGPR: 15
; COMPUTE_PGM_RSRC2:TRAP_HANDLER: 0
; COMPUTE_PGM_RSRC2:TGID_X_EN: 1
; COMPUTE_PGM_RSRC2:TGID_Y_EN: 0
; COMPUTE_PGM_RSRC2:TGID_Z_EN: 0
; COMPUTE_PGM_RSRC2:TIDIG_COMP_CNT: 0
	.section	.text._ZN7rocprim17ROCPRIM_400000_NS6detail17trampoline_kernelINS0_14default_configENS1_25partition_config_selectorILNS1_17partition_subalgoE9EtjbEEZZNS1_14partition_implILS5_9ELb0ES3_jN6thrust23THRUST_200600_302600_NS6detail15normal_iteratorINS9_10device_ptrItEEEENSB_INSC_IjEEEEPNS0_10empty_typeENS0_5tupleIJSE_SH_EEENSJ_IJSG_SI_EEENS0_18inequality_wrapperINS9_8equal_toItEEEEPmJSH_EEE10hipError_tPvRmT3_T4_T5_T6_T7_T9_mT8_P12ihipStream_tbDpT10_ENKUlT_T0_E_clISt17integral_constantIbLb0EES19_IbLb1EEEEDaS15_S16_EUlS15_E_NS1_11comp_targetILNS1_3genE9ELNS1_11target_archE1100ELNS1_3gpuE3ELNS1_3repE0EEENS1_30default_config_static_selectorELNS0_4arch9wavefront6targetE0EEEvT1_,"axG",@progbits,_ZN7rocprim17ROCPRIM_400000_NS6detail17trampoline_kernelINS0_14default_configENS1_25partition_config_selectorILNS1_17partition_subalgoE9EtjbEEZZNS1_14partition_implILS5_9ELb0ES3_jN6thrust23THRUST_200600_302600_NS6detail15normal_iteratorINS9_10device_ptrItEEEENSB_INSC_IjEEEEPNS0_10empty_typeENS0_5tupleIJSE_SH_EEENSJ_IJSG_SI_EEENS0_18inequality_wrapperINS9_8equal_toItEEEEPmJSH_EEE10hipError_tPvRmT3_T4_T5_T6_T7_T9_mT8_P12ihipStream_tbDpT10_ENKUlT_T0_E_clISt17integral_constantIbLb0EES19_IbLb1EEEEDaS15_S16_EUlS15_E_NS1_11comp_targetILNS1_3genE9ELNS1_11target_archE1100ELNS1_3gpuE3ELNS1_3repE0EEENS1_30default_config_static_selectorELNS0_4arch9wavefront6targetE0EEEvT1_,comdat
	.protected	_ZN7rocprim17ROCPRIM_400000_NS6detail17trampoline_kernelINS0_14default_configENS1_25partition_config_selectorILNS1_17partition_subalgoE9EtjbEEZZNS1_14partition_implILS5_9ELb0ES3_jN6thrust23THRUST_200600_302600_NS6detail15normal_iteratorINS9_10device_ptrItEEEENSB_INSC_IjEEEEPNS0_10empty_typeENS0_5tupleIJSE_SH_EEENSJ_IJSG_SI_EEENS0_18inequality_wrapperINS9_8equal_toItEEEEPmJSH_EEE10hipError_tPvRmT3_T4_T5_T6_T7_T9_mT8_P12ihipStream_tbDpT10_ENKUlT_T0_E_clISt17integral_constantIbLb0EES19_IbLb1EEEEDaS15_S16_EUlS15_E_NS1_11comp_targetILNS1_3genE9ELNS1_11target_archE1100ELNS1_3gpuE3ELNS1_3repE0EEENS1_30default_config_static_selectorELNS0_4arch9wavefront6targetE0EEEvT1_ ; -- Begin function _ZN7rocprim17ROCPRIM_400000_NS6detail17trampoline_kernelINS0_14default_configENS1_25partition_config_selectorILNS1_17partition_subalgoE9EtjbEEZZNS1_14partition_implILS5_9ELb0ES3_jN6thrust23THRUST_200600_302600_NS6detail15normal_iteratorINS9_10device_ptrItEEEENSB_INSC_IjEEEEPNS0_10empty_typeENS0_5tupleIJSE_SH_EEENSJ_IJSG_SI_EEENS0_18inequality_wrapperINS9_8equal_toItEEEEPmJSH_EEE10hipError_tPvRmT3_T4_T5_T6_T7_T9_mT8_P12ihipStream_tbDpT10_ENKUlT_T0_E_clISt17integral_constantIbLb0EES19_IbLb1EEEEDaS15_S16_EUlS15_E_NS1_11comp_targetILNS1_3genE9ELNS1_11target_archE1100ELNS1_3gpuE3ELNS1_3repE0EEENS1_30default_config_static_selectorELNS0_4arch9wavefront6targetE0EEEvT1_
	.globl	_ZN7rocprim17ROCPRIM_400000_NS6detail17trampoline_kernelINS0_14default_configENS1_25partition_config_selectorILNS1_17partition_subalgoE9EtjbEEZZNS1_14partition_implILS5_9ELb0ES3_jN6thrust23THRUST_200600_302600_NS6detail15normal_iteratorINS9_10device_ptrItEEEENSB_INSC_IjEEEEPNS0_10empty_typeENS0_5tupleIJSE_SH_EEENSJ_IJSG_SI_EEENS0_18inequality_wrapperINS9_8equal_toItEEEEPmJSH_EEE10hipError_tPvRmT3_T4_T5_T6_T7_T9_mT8_P12ihipStream_tbDpT10_ENKUlT_T0_E_clISt17integral_constantIbLb0EES19_IbLb1EEEEDaS15_S16_EUlS15_E_NS1_11comp_targetILNS1_3genE9ELNS1_11target_archE1100ELNS1_3gpuE3ELNS1_3repE0EEENS1_30default_config_static_selectorELNS0_4arch9wavefront6targetE0EEEvT1_
	.p2align	8
	.type	_ZN7rocprim17ROCPRIM_400000_NS6detail17trampoline_kernelINS0_14default_configENS1_25partition_config_selectorILNS1_17partition_subalgoE9EtjbEEZZNS1_14partition_implILS5_9ELb0ES3_jN6thrust23THRUST_200600_302600_NS6detail15normal_iteratorINS9_10device_ptrItEEEENSB_INSC_IjEEEEPNS0_10empty_typeENS0_5tupleIJSE_SH_EEENSJ_IJSG_SI_EEENS0_18inequality_wrapperINS9_8equal_toItEEEEPmJSH_EEE10hipError_tPvRmT3_T4_T5_T6_T7_T9_mT8_P12ihipStream_tbDpT10_ENKUlT_T0_E_clISt17integral_constantIbLb0EES19_IbLb1EEEEDaS15_S16_EUlS15_E_NS1_11comp_targetILNS1_3genE9ELNS1_11target_archE1100ELNS1_3gpuE3ELNS1_3repE0EEENS1_30default_config_static_selectorELNS0_4arch9wavefront6targetE0EEEvT1_,@function
_ZN7rocprim17ROCPRIM_400000_NS6detail17trampoline_kernelINS0_14default_configENS1_25partition_config_selectorILNS1_17partition_subalgoE9EtjbEEZZNS1_14partition_implILS5_9ELb0ES3_jN6thrust23THRUST_200600_302600_NS6detail15normal_iteratorINS9_10device_ptrItEEEENSB_INSC_IjEEEEPNS0_10empty_typeENS0_5tupleIJSE_SH_EEENSJ_IJSG_SI_EEENS0_18inequality_wrapperINS9_8equal_toItEEEEPmJSH_EEE10hipError_tPvRmT3_T4_T5_T6_T7_T9_mT8_P12ihipStream_tbDpT10_ENKUlT_T0_E_clISt17integral_constantIbLb0EES19_IbLb1EEEEDaS15_S16_EUlS15_E_NS1_11comp_targetILNS1_3genE9ELNS1_11target_archE1100ELNS1_3gpuE3ELNS1_3repE0EEENS1_30default_config_static_selectorELNS0_4arch9wavefront6targetE0EEEvT1_: ; @_ZN7rocprim17ROCPRIM_400000_NS6detail17trampoline_kernelINS0_14default_configENS1_25partition_config_selectorILNS1_17partition_subalgoE9EtjbEEZZNS1_14partition_implILS5_9ELb0ES3_jN6thrust23THRUST_200600_302600_NS6detail15normal_iteratorINS9_10device_ptrItEEEENSB_INSC_IjEEEEPNS0_10empty_typeENS0_5tupleIJSE_SH_EEENSJ_IJSG_SI_EEENS0_18inequality_wrapperINS9_8equal_toItEEEEPmJSH_EEE10hipError_tPvRmT3_T4_T5_T6_T7_T9_mT8_P12ihipStream_tbDpT10_ENKUlT_T0_E_clISt17integral_constantIbLb0EES19_IbLb1EEEEDaS15_S16_EUlS15_E_NS1_11comp_targetILNS1_3genE9ELNS1_11target_archE1100ELNS1_3gpuE3ELNS1_3repE0EEENS1_30default_config_static_selectorELNS0_4arch9wavefront6targetE0EEEvT1_
; %bb.0:
	s_clause 0x4
	s_load_b128 s[4:7], s[0:1], 0x8
	s_load_b64 s[8:9], s[0:1], 0x18
	s_load_b128 s[12:15], s[0:1], 0x40
	s_load_b64 s[10:11], s[0:1], 0x50
	s_load_b64 s[20:21], s[0:1], 0x60
	v_cmp_ne_u32_e64 s3, 0, v0
	v_cmp_eq_u32_e64 s2, 0, v0
	s_delay_alu instid0(VALU_DEP_1)
	s_and_saveexec_b32 s16, s2
	s_cbranch_execz .LBB595_4
; %bb.1:
	s_mov_b32 s18, exec_lo
	s_mov_b32 s17, exec_lo
	v_mbcnt_lo_u32_b32 v1, s18, 0
                                        ; implicit-def: $vgpr2
	s_delay_alu instid0(VALU_DEP_1)
	v_cmpx_eq_u32_e32 0, v1
	s_cbranch_execz .LBB595_3
; %bb.2:
	s_load_b64 s[22:23], s[0:1], 0x70
	s_bcnt1_i32_b32 s18, s18
	s_delay_alu instid0(SALU_CYCLE_1)
	v_dual_mov_b32 v2, 0 :: v_dual_mov_b32 v3, s18
	s_waitcnt lgkmcnt(0)
	global_atomic_add_u32 v2, v2, v3, s[22:23] glc
.LBB595_3:
	s_or_b32 exec_lo, exec_lo, s17
	s_waitcnt vmcnt(0)
	v_readfirstlane_b32 s17, v2
	s_delay_alu instid0(VALU_DEP_1)
	v_dual_mov_b32 v2, 0 :: v_dual_add_nc_u32 v1, s17, v1
	ds_store_b32 v2, v1
.LBB595_4:
	s_or_b32 exec_lo, exec_lo, s16
	v_mov_b32_e32 v1, 0
	s_clause 0x1
	s_load_b128 s[16:19], s[0:1], 0x28
	s_load_b32 s0, s[0:1], 0x68
	s_waitcnt lgkmcnt(0)
	s_barrier
	buffer_gl0_inv
	ds_load_b32 v3, v1
	s_waitcnt lgkmcnt(0)
	s_barrier
	buffer_gl0_inv
	global_load_b64 v[1:2], v1, s[14:15]
	s_lshl_b64 s[14:15], s[6:7], 1
	s_delay_alu instid0(SALU_CYCLE_1) | instskip(SKIP_3) | instid1(SALU_CYCLE_1)
	s_add_u32 s14, s4, s14
	s_addc_u32 s15, s5, s15
	s_mov_b32 s5, 0
	s_mul_i32 s1, s0, 0x580
	s_add_i32 s4, s1, s6
	s_delay_alu instid0(SALU_CYCLE_1)
	s_sub_i32 s25, s10, s4
	s_add_i32 s4, s0, -1
	s_addk_i32 s25, 0x580
	s_add_u32 s0, s6, s1
	v_readfirstlane_b32 s24, v3
	s_addc_u32 s1, s7, 0
	s_delay_alu instid0(SALU_CYCLE_1) | instskip(SKIP_1) | instid1(VALU_DEP_2)
	v_cmp_ge_u64_e64 s0, s[0:1], s[10:11]
	s_mov_b32 s11, -1
	s_cmp_eq_u32 s24, s4
	s_mul_i32 s4, s24, 0x580
	s_cselect_b32 s22, -1, 0
	s_delay_alu instid0(VALU_DEP_1) | instid1(SALU_CYCLE_1)
	s_and_b32 s26, s0, s22
	s_lshl_b64 s[0:1], s[4:5], 1
	s_xor_b32 s23, s26, -1
	s_add_u32 s10, s14, s0
	s_addc_u32 s1, s15, s1
	s_and_b32 vcc_lo, exec_lo, s23
	s_waitcnt vmcnt(0)
	v_readfirstlane_b32 s14, v1
	v_readfirstlane_b32 s15, v2
	s_cbranch_vccz .LBB595_6
; %bb.5:
	v_lshlrev_b32_e32 v3, 1, v0
	s_mov_b32 s11, s5
	s_delay_alu instid0(VALU_DEP_1) | instskip(NEXT) | instid1(VALU_DEP_1)
	v_add_co_u32 v1, s0, s10, v3
	v_add_co_ci_u32_e64 v2, null, s1, 0, s0
	s_clause 0xa
	flat_load_u16 v4, v[1:2]
	flat_load_u16 v5, v[1:2] offset:256
	flat_load_u16 v6, v[1:2] offset:512
	;; [unrolled: 1-line block ×10, first 2 shown]
	s_waitcnt vmcnt(10) lgkmcnt(10)
	ds_store_b16 v3, v4
	s_waitcnt vmcnt(9) lgkmcnt(10)
	ds_store_b16 v3, v5 offset:256
	s_waitcnt vmcnt(8) lgkmcnt(10)
	ds_store_b16 v3, v6 offset:512
	s_waitcnt vmcnt(7) lgkmcnt(10)
	ds_store_b16 v3, v7 offset:768
	s_waitcnt vmcnt(6) lgkmcnt(10)
	ds_store_b16 v3, v8 offset:1024
	s_waitcnt vmcnt(5) lgkmcnt(10)
	ds_store_b16 v3, v9 offset:1280
	s_waitcnt vmcnt(4) lgkmcnt(10)
	ds_store_b16 v3, v10 offset:1536
	s_waitcnt vmcnt(3) lgkmcnt(10)
	ds_store_b16 v3, v11 offset:1792
	s_waitcnt vmcnt(2) lgkmcnt(10)
	ds_store_b16 v3, v12 offset:2048
	s_waitcnt vmcnt(1) lgkmcnt(10)
	ds_store_b16 v3, v13 offset:2304
	s_waitcnt vmcnt(0) lgkmcnt(10)
	ds_store_b16 v3, v1 offset:2560
	s_waitcnt lgkmcnt(0)
	s_barrier
.LBB595_6:
	v_cmp_gt_u32_e64 s0, s25, v0
	s_and_not1_b32 vcc_lo, exec_lo, s11
	s_cbranch_vccnz .LBB595_30
; %bb.7:
                                        ; implicit-def: $vgpr1_vgpr2_vgpr3_vgpr4_vgpr5_vgpr6_vgpr7_vgpr8
	s_delay_alu instid0(VALU_DEP_1)
	s_and_saveexec_b32 s11, s0
	s_cbranch_execz .LBB595_9
; %bb.8:
	v_lshlrev_b32_e32 v1, 1, v0
	s_delay_alu instid0(VALU_DEP_1) | instskip(NEXT) | instid1(VALU_DEP_1)
	v_add_co_u32 v1, s0, s10, v1
	v_add_co_ci_u32_e64 v2, null, s1, 0, s0
	flat_load_d16_b16 v1, v[1:2]
.LBB595_9:
	s_or_b32 exec_lo, exec_lo, s11
	v_or_b32_e32 v7, 0x80, v0
	s_mov_b32 s0, exec_lo
	s_delay_alu instid0(VALU_DEP_1)
	v_cmpx_gt_u32_e64 s25, v7
	s_cbranch_execz .LBB595_11
; %bb.10:
	v_lshlrev_b32_e32 v7, 1, v0
	s_delay_alu instid0(VALU_DEP_1) | instskip(NEXT) | instid1(VALU_DEP_1)
	v_add_co_u32 v7, s11, s10, v7
	v_add_co_ci_u32_e64 v8, null, s1, 0, s11
	s_waitcnt vmcnt(0) lgkmcnt(0)
	flat_load_d16_hi_b16 v1, v[7:8] offset:256
.LBB595_11:
	s_or_b32 exec_lo, exec_lo, s0
	v_or_b32_e32 v7, 0x100, v0
	s_mov_b32 s0, exec_lo
	s_delay_alu instid0(VALU_DEP_1)
	v_cmpx_gt_u32_e64 s25, v7
	s_cbranch_execz .LBB595_13
; %bb.12:
	v_lshlrev_b32_e32 v7, 1, v0
	s_delay_alu instid0(VALU_DEP_1) | instskip(NEXT) | instid1(VALU_DEP_1)
	v_add_co_u32 v7, s11, s10, v7
	v_add_co_ci_u32_e64 v8, null, s1, 0, s11
	flat_load_d16_b16 v2, v[7:8] offset:512
.LBB595_13:
	s_or_b32 exec_lo, exec_lo, s0
	v_or_b32_e32 v7, 0x180, v0
	s_mov_b32 s0, exec_lo
	s_delay_alu instid0(VALU_DEP_1)
	v_cmpx_gt_u32_e64 s25, v7
	s_cbranch_execz .LBB595_15
; %bb.14:
	v_lshlrev_b32_e32 v7, 1, v0
	s_delay_alu instid0(VALU_DEP_1) | instskip(NEXT) | instid1(VALU_DEP_1)
	v_add_co_u32 v7, s11, s10, v7
	v_add_co_ci_u32_e64 v8, null, s1, 0, s11
	s_waitcnt vmcnt(0) lgkmcnt(0)
	flat_load_d16_hi_b16 v2, v[7:8] offset:768
.LBB595_15:
	s_or_b32 exec_lo, exec_lo, s0
	v_or_b32_e32 v7, 0x200, v0
	s_mov_b32 s0, exec_lo
	s_delay_alu instid0(VALU_DEP_1)
	v_cmpx_gt_u32_e64 s25, v7
	s_cbranch_execz .LBB595_17
; %bb.16:
	v_lshlrev_b32_e32 v7, 1, v0
	s_delay_alu instid0(VALU_DEP_1) | instskip(NEXT) | instid1(VALU_DEP_1)
	v_add_co_u32 v7, s11, s10, v7
	v_add_co_ci_u32_e64 v8, null, s1, 0, s11
	flat_load_d16_b16 v3, v[7:8] offset:1024
.LBB595_17:
	;; [unrolled: 27-line block ×5, first 2 shown]
	s_or_b32 exec_lo, exec_lo, s0
	v_lshlrev_b32_e32 v7, 1, v0
	s_waitcnt vmcnt(0) lgkmcnt(0)
	ds_store_b16 v7, v1
	ds_store_b16_d16_hi v7, v1 offset:256
	ds_store_b16 v7, v2 offset:512
	ds_store_b16_d16_hi v7, v2 offset:768
	ds_store_b16 v7, v3 offset:1024
	;; [unrolled: 2-line block ×5, first 2 shown]
	s_waitcnt lgkmcnt(0)
	s_barrier
.LBB595_30:
	v_mul_u32_u24_e32 v1, 11, v0
	buffer_gl0_inv
	s_lshl_b64 s[28:29], s[6:7], 2
	s_delay_alu instid0(SALU_CYCLE_1)
	s_add_u32 s0, s8, s28
	v_lshlrev_b32_e32 v2, 1, v1
	s_addc_u32 s8, s9, s29
	s_lshl_b64 s[4:5], s[4:5], 2
	ds_load_b128 v[13:16], v2
	ds_load_u16 v38, v2 offset:16
	ds_load_u16 v37, v2 offset:18
	;; [unrolled: 1-line block ×3, first 2 shown]
	s_add_u32 s0, s0, s4
	s_addc_u32 s4, s8, s5
	s_and_b32 vcc_lo, exec_lo, s23
	s_mov_b32 s5, -1
	s_waitcnt lgkmcnt(0)
	s_barrier
	buffer_gl0_inv
	s_cbranch_vccz .LBB595_32
; %bb.31:
	v_lshlrev_b32_e32 v7, 2, v0
	s_delay_alu instid0(VALU_DEP_1) | instskip(NEXT) | instid1(VALU_DEP_1)
	v_add_co_u32 v3, s5, s0, v7
	v_add_co_ci_u32_e64 v4, null, s4, 0, s5
	s_mov_b32 s5, 0
	s_delay_alu instid0(VALU_DEP_2) | instskip(NEXT) | instid1(VALU_DEP_2)
	v_add_co_u32 v5, vcc_lo, 0x1000, v3
	v_add_co_ci_u32_e32 v6, vcc_lo, 0, v4, vcc_lo
	s_clause 0xa
	flat_load_b32 v8, v[3:4]
	flat_load_b32 v9, v[3:4] offset:512
	flat_load_b32 v10, v[3:4] offset:1024
	;; [unrolled: 1-line block ×7, first 2 shown]
	flat_load_b32 v4, v[5:6]
	flat_load_b32 v19, v[5:6] offset:512
	flat_load_b32 v5, v[5:6] offset:1024
	s_waitcnt vmcnt(9) lgkmcnt(9)
	ds_store_2addr_stride64_b32 v7, v8, v9 offset1:2
	s_waitcnt vmcnt(7) lgkmcnt(8)
	ds_store_2addr_stride64_b32 v7, v10, v11 offset0:4 offset1:6
	s_waitcnt vmcnt(5) lgkmcnt(7)
	ds_store_2addr_stride64_b32 v7, v12, v17 offset0:8 offset1:10
	s_waitcnt vmcnt(3) lgkmcnt(6)
	ds_store_2addr_stride64_b32 v7, v18, v3 offset0:12 offset1:14
	s_waitcnt vmcnt(1) lgkmcnt(5)
	ds_store_2addr_stride64_b32 v7, v4, v19 offset0:16 offset1:18
	s_waitcnt vmcnt(0) lgkmcnt(5)
	ds_store_b32 v7, v5 offset:5120
	s_waitcnt lgkmcnt(0)
	s_barrier
.LBB595_32:
	s_and_not1_b32 vcc_lo, exec_lo, s5
	s_cbranch_vccnz .LBB595_56
; %bb.33:
	s_mov_b32 s5, exec_lo
                                        ; implicit-def: $vgpr3
	v_cmpx_gt_u32_e64 s25, v0
	s_cbranch_execz .LBB595_35
; %bb.34:
	v_lshlrev_b32_e32 v3, 2, v0
	s_delay_alu instid0(VALU_DEP_1) | instskip(NEXT) | instid1(VALU_DEP_1)
	v_add_co_u32 v3, s8, s0, v3
	v_add_co_ci_u32_e64 v4, null, s4, 0, s8
	flat_load_b32 v3, v[3:4]
.LBB595_35:
	s_or_b32 exec_lo, exec_lo, s5
	v_or_b32_e32 v4, 0x80, v0
	s_delay_alu instid0(VALU_DEP_1)
	v_cmp_gt_u32_e32 vcc_lo, s25, v4
                                        ; implicit-def: $vgpr4
	s_and_saveexec_b32 s5, vcc_lo
	s_cbranch_execz .LBB595_37
; %bb.36:
	v_lshlrev_b32_e32 v4, 2, v0
	s_delay_alu instid0(VALU_DEP_1) | instskip(NEXT) | instid1(VALU_DEP_1)
	v_add_co_u32 v4, s8, s0, v4
	v_add_co_ci_u32_e64 v5, null, s4, 0, s8
	flat_load_b32 v4, v[4:5] offset:512
.LBB595_37:
	s_or_b32 exec_lo, exec_lo, s5
	v_or_b32_e32 v5, 0x100, v0
	s_delay_alu instid0(VALU_DEP_1)
	v_cmp_gt_u32_e32 vcc_lo, s25, v5
                                        ; implicit-def: $vgpr5
	s_and_saveexec_b32 s5, vcc_lo
	s_cbranch_execz .LBB595_39
; %bb.38:
	v_lshlrev_b32_e32 v5, 2, v0
	s_delay_alu instid0(VALU_DEP_1) | instskip(NEXT) | instid1(VALU_DEP_1)
	v_add_co_u32 v5, s8, s0, v5
	v_add_co_ci_u32_e64 v6, null, s4, 0, s8
	flat_load_b32 v5, v[5:6] offset:1024
.LBB595_39:
	s_or_b32 exec_lo, exec_lo, s5
	v_or_b32_e32 v6, 0x180, v0
	s_delay_alu instid0(VALU_DEP_1)
	v_cmp_gt_u32_e32 vcc_lo, s25, v6
                                        ; implicit-def: $vgpr6
	s_and_saveexec_b32 s5, vcc_lo
	s_cbranch_execz .LBB595_41
; %bb.40:
	v_lshlrev_b32_e32 v6, 2, v0
	s_delay_alu instid0(VALU_DEP_1) | instskip(NEXT) | instid1(VALU_DEP_1)
	v_add_co_u32 v6, s8, s0, v6
	v_add_co_ci_u32_e64 v7, null, s4, 0, s8
	flat_load_b32 v6, v[6:7] offset:1536
.LBB595_41:
	s_or_b32 exec_lo, exec_lo, s5
	v_or_b32_e32 v7, 0x200, v0
	s_delay_alu instid0(VALU_DEP_1)
	v_cmp_gt_u32_e32 vcc_lo, s25, v7
                                        ; implicit-def: $vgpr7
	s_and_saveexec_b32 s5, vcc_lo
	s_cbranch_execz .LBB595_43
; %bb.42:
	v_lshlrev_b32_e32 v7, 2, v0
	s_delay_alu instid0(VALU_DEP_1) | instskip(NEXT) | instid1(VALU_DEP_1)
	v_add_co_u32 v7, s8, s0, v7
	v_add_co_ci_u32_e64 v8, null, s4, 0, s8
	flat_load_b32 v7, v[7:8] offset:2048
.LBB595_43:
	s_or_b32 exec_lo, exec_lo, s5
	v_or_b32_e32 v8, 0x280, v0
	s_delay_alu instid0(VALU_DEP_1)
	v_cmp_gt_u32_e32 vcc_lo, s25, v8
                                        ; implicit-def: $vgpr8
	s_and_saveexec_b32 s5, vcc_lo
	s_cbranch_execz .LBB595_45
; %bb.44:
	v_lshlrev_b32_e32 v8, 2, v0
	s_delay_alu instid0(VALU_DEP_1) | instskip(NEXT) | instid1(VALU_DEP_1)
	v_add_co_u32 v8, s8, s0, v8
	v_add_co_ci_u32_e64 v9, null, s4, 0, s8
	flat_load_b32 v8, v[8:9] offset:2560
.LBB595_45:
	s_or_b32 exec_lo, exec_lo, s5
	v_or_b32_e32 v9, 0x300, v0
	s_delay_alu instid0(VALU_DEP_1)
	v_cmp_gt_u32_e32 vcc_lo, s25, v9
                                        ; implicit-def: $vgpr9
	s_and_saveexec_b32 s5, vcc_lo
	s_cbranch_execz .LBB595_47
; %bb.46:
	v_lshlrev_b32_e32 v9, 2, v0
	s_delay_alu instid0(VALU_DEP_1) | instskip(NEXT) | instid1(VALU_DEP_1)
	v_add_co_u32 v9, s8, s0, v9
	v_add_co_ci_u32_e64 v10, null, s4, 0, s8
	flat_load_b32 v9, v[9:10] offset:3072
.LBB595_47:
	s_or_b32 exec_lo, exec_lo, s5
	v_or_b32_e32 v10, 0x380, v0
	s_delay_alu instid0(VALU_DEP_1)
	v_cmp_gt_u32_e32 vcc_lo, s25, v10
                                        ; implicit-def: $vgpr10
	s_and_saveexec_b32 s5, vcc_lo
	s_cbranch_execz .LBB595_49
; %bb.48:
	v_lshlrev_b32_e32 v10, 2, v0
	s_delay_alu instid0(VALU_DEP_1) | instskip(NEXT) | instid1(VALU_DEP_1)
	v_add_co_u32 v10, s8, s0, v10
	v_add_co_ci_u32_e64 v11, null, s4, 0, s8
	flat_load_b32 v10, v[10:11] offset:3584
.LBB595_49:
	s_or_b32 exec_lo, exec_lo, s5
	v_or_b32_e32 v12, 0x400, v0
	s_mov_b32 s5, exec_lo
                                        ; implicit-def: $vgpr11
	s_delay_alu instid0(VALU_DEP_1)
	v_cmpx_gt_u32_e64 s25, v12
	s_cbranch_execz .LBB595_51
; %bb.50:
	v_lshlrev_b32_e32 v11, 2, v12
	s_delay_alu instid0(VALU_DEP_1) | instskip(NEXT) | instid1(VALU_DEP_1)
	v_add_co_u32 v11, s8, s0, v11
	v_add_co_ci_u32_e64 v12, null, s4, 0, s8
	flat_load_b32 v11, v[11:12]
.LBB595_51:
	s_or_b32 exec_lo, exec_lo, s5
	v_or_b32_e32 v17, 0x480, v0
	s_mov_b32 s5, exec_lo
                                        ; implicit-def: $vgpr12
	s_delay_alu instid0(VALU_DEP_1)
	v_cmpx_gt_u32_e64 s25, v17
	s_cbranch_execz .LBB595_53
; %bb.52:
	v_lshlrev_b32_e32 v12, 2, v17
	s_delay_alu instid0(VALU_DEP_1) | instskip(NEXT) | instid1(VALU_DEP_1)
	v_add_co_u32 v17, s8, s0, v12
	v_add_co_ci_u32_e64 v18, null, s4, 0, s8
	flat_load_b32 v12, v[17:18]
.LBB595_53:
	s_or_b32 exec_lo, exec_lo, s5
	v_or_b32_e32 v18, 0x500, v0
	s_mov_b32 s5, exec_lo
                                        ; implicit-def: $vgpr17
	s_delay_alu instid0(VALU_DEP_1)
	v_cmpx_gt_u32_e64 s25, v18
	s_cbranch_execz .LBB595_55
; %bb.54:
	v_lshlrev_b32_e32 v17, 2, v18
	s_delay_alu instid0(VALU_DEP_1) | instskip(NEXT) | instid1(VALU_DEP_1)
	v_add_co_u32 v17, s0, s0, v17
	v_add_co_ci_u32_e64 v18, null, s4, 0, s0
	flat_load_b32 v17, v[17:18]
.LBB595_55:
	s_or_b32 exec_lo, exec_lo, s5
	v_mad_i32_i24 v2, 0xffffffee, v0, v2
	s_waitcnt vmcnt(0) lgkmcnt(0)
	ds_store_2addr_stride64_b32 v2, v3, v4 offset1:2
	ds_store_2addr_stride64_b32 v2, v5, v6 offset0:4 offset1:6
	ds_store_2addr_stride64_b32 v2, v7, v8 offset0:8 offset1:10
	;; [unrolled: 1-line block ×4, first 2 shown]
	ds_store_b32 v2, v17 offset:5120
	s_waitcnt lgkmcnt(0)
	s_barrier
.LBB595_56:
	v_lshlrev_b32_e32 v44, 2, v1
	buffer_gl0_inv
	s_cmp_lg_u32 s24, 0
	v_lshrrev_b32_e32 v43, 16, v13
	s_cselect_b32 s27, -1, 0
	ds_load_2addr_b32 v[28:29], v44 offset1:1
	ds_load_2addr_b32 v[26:27], v44 offset0:2 offset1:3
	ds_load_2addr_b32 v[24:25], v44 offset0:4 offset1:5
	;; [unrolled: 1-line block ×4, first 2 shown]
	ds_load_b32 v36, v44 offset:40
	s_cmp_lg_u64 s[6:7], 0
	v_lshrrev_b32_e32 v42, 16, v14
	s_cselect_b32 s0, -1, 0
	v_lshrrev_b32_e32 v41, 16, v15
	v_lshrrev_b32_e32 v40, 16, v16
	v_add_nc_u32_e32 v5, 1, v1
	v_add_nc_u32_e32 v6, 2, v1
	;; [unrolled: 1-line block ×10, first 2 shown]
	s_or_b32 s0, s0, s27
	s_mov_b32 s28, 0
	s_and_b32 vcc_lo, exec_lo, s0
	s_waitcnt lgkmcnt(0)
	s_barrier
	buffer_gl0_inv
	s_cbranch_vccz .LBB595_61
; %bb.57:
	v_add_co_u32 v17, s0, -2, s10
	s_delay_alu instid0(VALU_DEP_1)
	v_add_co_ci_u32_e64 v18, null, -1, s1, s0
	s_mov_b32 s1, -1
	s_and_b32 vcc_lo, exec_lo, s23
	flat_load_u16 v17, v[17:18]
	v_lshlrev_b32_e32 v18, 1, v0
	ds_store_b16 v18, v33
	s_cbranch_vccz .LBB595_63
; %bb.58:
	s_waitcnt vmcnt(0) lgkmcnt(1)
	v_mov_b32_e32 v19, v17
	s_waitcnt lgkmcnt(0)
	s_barrier
	buffer_gl0_inv
	s_and_saveexec_b32 s0, s3
	s_cbranch_execz .LBB595_60
; %bb.59:
	v_add_nc_u32_e32 v12, -2, v18
	ds_load_u16 v19, v12
.LBB595_60:
	s_or_b32 exec_lo, exec_lo, s0
	v_cmp_ne_u16_e32 vcc_lo, v16, v40
	s_waitcnt lgkmcnt(0)
	v_cmp_ne_u16_e64 s0, v19, v13
	v_cndmask_b32_e64 v12, 0, 1, vcc_lo
	v_cmp_ne_u16_e32 vcc_lo, v41, v16
	s_delay_alu instid0(VALU_DEP_2) | instskip(SKIP_2) | instid1(VALU_DEP_2)
	v_lshlrev_b16 v12, 8, v12
	v_cndmask_b32_e64 v30, 0, 1, vcc_lo
	v_cmp_ne_u16_e32 vcc_lo, v15, v41
	v_or_b32_e32 v30, v30, v12
	v_cndmask_b32_e64 v31, 0, 1, vcc_lo
	v_cmp_ne_u16_e32 vcc_lo, v42, v15
	s_delay_alu instid0(VALU_DEP_2) | instskip(SKIP_2) | instid1(VALU_DEP_2)
	v_lshlrev_b16 v31, 8, v31
	v_cndmask_b32_e64 v32, 0, 1, vcc_lo
	v_cmp_ne_u16_e32 vcc_lo, v14, v42
	v_or_b32_e32 v31, v32, v31
	v_cndmask_b32_e64 v34, 0, 1, vcc_lo
	v_cmp_ne_u16_e32 vcc_lo, v43, v14
	s_delay_alu instid0(VALU_DEP_3) | instskip(NEXT) | instid1(VALU_DEP_3)
	v_and_b32_e32 v31, 0xffff, v31
	v_lshlrev_b16 v45, 8, v34
	v_cndmask_b32_e64 v35, 0, 1, vcc_lo
	v_cmp_ne_u16_e32 vcc_lo, v13, v43
	s_delay_alu instid0(VALU_DEP_2) | instskip(SKIP_3) | instid1(VALU_DEP_4)
	v_or_b32_e32 v35, v35, v45
	v_cndmask_b32_e64 v39, 0, 1, vcc_lo
	v_cmp_ne_u16_e32 vcc_lo, v37, v33
	v_lshlrev_b32_e32 v45, 16, v30
	v_lshlrev_b32_e32 v35, 16, v35
	s_delay_alu instid0(VALU_DEP_4) | instskip(SKIP_3) | instid1(VALU_DEP_4)
	v_lshlrev_b16 v39, 8, v39
	v_cndmask_b32_e64 v34, 0, 1, vcc_lo
	v_cmp_ne_u16_e32 vcc_lo, v38, v37
	v_or_b32_e32 v31, v31, v45
	v_and_b32_e32 v39, 0xffff, v39
	v_cndmask_b32_e64 v12, 0, 1, vcc_lo
	v_cmp_ne_u16_e32 vcc_lo, v40, v38
	s_delay_alu instid0(VALU_DEP_3)
	v_or_b32_e32 v30, v39, v35
	v_cndmask_b32_e64 v32, 0, 1, vcc_lo
	s_branch .LBB595_67
.LBB595_61:
                                        ; implicit-def: $sgpr0
                                        ; implicit-def: $vgpr34
                                        ; implicit-def: $vgpr12
                                        ; implicit-def: $vgpr32
                                        ; implicit-def: $vgpr31
	s_branch .LBB595_68
.LBB595_62:
                                        ; implicit-def: $vgpr17_vgpr18_vgpr19
	s_and_saveexec_b32 s1, s28
	s_cbranch_execnz .LBB595_76
	s_branch .LBB595_77
.LBB595_63:
                                        ; implicit-def: $sgpr0
                                        ; implicit-def: $vgpr34
                                        ; implicit-def: $vgpr12
                                        ; implicit-def: $vgpr32
                                        ; implicit-def: $vgpr31
	s_and_b32 vcc_lo, exec_lo, s1
	s_cbranch_vccz .LBB595_67
; %bb.64:
	s_waitcnt vmcnt(0) lgkmcnt(0)
	s_barrier
	buffer_gl0_inv
	s_and_saveexec_b32 s0, s3
	s_cbranch_execz .LBB595_66
; %bb.65:
	v_add_nc_u32_e32 v12, -2, v18
	ds_load_u16 v17, v12
.LBB595_66:
	s_or_b32 exec_lo, exec_lo, s0
	v_cmp_gt_u32_e32 vcc_lo, s25, v9
	v_cmp_ne_u16_e64 s0, v37, v33
	v_cmp_gt_u32_e64 s1, s25, v10
	v_cmp_ne_u16_e64 s4, v38, v37
	v_cmp_gt_u32_e64 s5, s25, v5
	v_cmp_ne_u16_e64 s6, v13, v43
	s_and_b32 s0, vcc_lo, s0
	v_cmp_gt_u32_e32 vcc_lo, s25, v2
	v_cndmask_b32_e64 v34, 0, 1, s0
	v_cmp_ne_u16_e64 s0, v16, v40
	s_and_b32 s1, s1, s4
	v_cmp_ne_u16_e64 s4, v41, v16
	v_cndmask_b32_e64 v12, 0, 1, s1
	v_cmp_gt_u32_e64 s1, s25, v4
	s_and_b32 s0, vcc_lo, s0
	v_cmp_gt_u32_e32 vcc_lo, s25, v7
	v_cndmask_b32_e64 v18, 0, 1, s0
	v_cmp_ne_u16_e64 s0, v15, v41
	s_and_b32 s1, s1, s4
	v_cmp_ne_u16_e64 s4, v14, v42
	v_cndmask_b32_e64 v19, 0, 1, s1
	v_cmp_gt_u32_e64 s1, s25, v3
	;; [unrolled: 8-line block ×3, first 2 shown]
	s_and_b32 s0, vcc_lo, s0
	v_lshlrev_b16 v30, 8, v30
	v_cndmask_b32_e64 v32, 0, 1, s0
	v_lshlrev_b16 v31, 8, v31
	s_and_b32 s0, s1, s4
	v_lshlrev_b16 v18, 8, v18
	v_cndmask_b32_e64 v35, 0, 1, s0
	s_and_b32 s0, s5, s6
	v_or_b32_e32 v30, v32, v30
	v_cndmask_b32_e64 v39, 0, 1, s0
	v_or_b32_e32 v18, v19, v18
	v_or_b32_e32 v31, v35, v31
	v_cmp_gt_u32_e32 vcc_lo, s25, v11
	v_cmp_ne_u16_e64 s0, v40, v38
	v_lshlrev_b16 v35, 8, v39
	v_lshlrev_b32_e32 v18, 16, v18
	v_lshlrev_b32_e32 v19, 16, v31
	s_delay_alu instid0(VALU_DEP_4) | instskip(NEXT) | instid1(VALU_DEP_3)
	s_and_b32 s0, vcc_lo, s0
	v_and_b32_e32 v31, 0xffff, v35
	v_and_b32_e32 v35, 0xffff, v30
	v_cndmask_b32_e64 v32, 0, 1, s0
	v_cmp_gt_u32_e32 vcc_lo, s25, v1
	s_waitcnt lgkmcnt(0)
	v_cmp_ne_u16_e64 s0, v17, v13
	v_or_b32_e32 v30, v31, v19
	v_or_b32_e32 v31, v35, v18
	s_delay_alu instid0(VALU_DEP_3)
	s_and_b32 s0, vcc_lo, s0
.LBB595_67:
	s_mov_b32 s28, -1
	s_cbranch_execnz .LBB595_62
.LBB595_68:
	v_mad_i32_i24 v35, 0xffffffd6, v0, v44
	v_cmp_ne_u16_e64 s0, v37, v33
	v_cmp_ne_u16_e64 s9, v38, v37
	;; [unrolled: 1-line block ×10, first 2 shown]
	s_and_b32 vcc_lo, exec_lo, s23
	ds_store_b16 v35, v33
	s_cbranch_vccz .LBB595_72
; %bb.69:
	s_waitcnt vmcnt(0) lgkmcnt(2)
	v_cndmask_b32_e64 v17, 0, 1, s11
	v_cndmask_b32_e64 v12, 0, 1, s9
	v_cndmask_b32_e64 v18, 0, 1, s5
	v_cndmask_b32_e64 v30, 0, 1, s7
	v_cndmask_b32_e64 v31, 0, 1, s8
	v_lshlrev_b16 v17, 8, v17
	v_cndmask_b32_e64 v39, 0, 1, s4
	v_cndmask_b32_e64 v32, 0, 1, s10
	;; [unrolled: 1-line block ×4, first 2 shown]
	v_lshlrev_b16 v18, 8, v18
	v_lshlrev_b16 v45, 8, v12
	v_or_b32_e32 v17, v30, v17
	v_lshlrev_b16 v30, 8, v31
	v_lshlrev_b16 v31, 8, v39
	v_or_b32_e32 v18, v19, v18
	v_or_b32_e32 v19, v32, v45
	v_and_b32_e32 v17, 0xffff, v17
	v_or_b32_e32 v30, v34, v30
	v_or_b32_e32 v31, 1, v31
	v_lshlrev_b32_e32 v18, 16, v18
	v_and_b32_e32 v19, 0xffff, v19
	v_cndmask_b32_e64 v34, 0, 1, s0
	v_lshlrev_b32_e32 v30, 16, v30
	v_and_b32_e32 v39, 0xffff, v31
	v_or_b32_e32 v31, v17, v18
	s_waitcnt lgkmcnt(0)
	v_lshl_or_b32 v19, v34, 16, v19
	s_barrier
	v_or_b32_e32 v30, v39, v30
	buffer_gl0_inv
                                        ; implicit-def: $sgpr0
	s_and_saveexec_b32 s1, s3
	s_delay_alu instid0(SALU_CYCLE_1)
	s_xor_b32 s1, exec_lo, s1
	s_cbranch_execz .LBB595_71
; %bb.70:
	v_add_nc_u32_e32 v17, -2, v35
	s_or_b32 s28, s28, exec_lo
	ds_load_u16 v17, v17
	s_waitcnt lgkmcnt(0)
	v_cmp_ne_u16_e32 vcc_lo, v17, v13
                                        ; implicit-def: $vgpr17_vgpr18_vgpr19
	s_and_b32 s0, vcc_lo, exec_lo
.LBB595_71:
	s_or_b32 exec_lo, exec_lo, s1
	s_branch .LBB595_75
.LBB595_72:
                                        ; implicit-def: $sgpr0
                                        ; implicit-def: $vgpr34
                                        ; implicit-def: $vgpr12
                                        ; implicit-def: $vgpr32
                                        ; implicit-def: $vgpr31
                                        ; implicit-def: $vgpr17_vgpr18_vgpr19
	s_cbranch_execz .LBB595_75
; %bb.73:
	v_cmp_gt_u32_e32 vcc_lo, s25, v10
	v_cmp_ne_u16_e64 s0, v38, v37
	v_cmp_gt_u32_e64 s5, s25, v11
	v_cmp_ne_u16_e64 s6, v40, v38
	v_cmp_gt_u32_e64 s1, s25, v9
	v_cmp_ne_u16_e64 s4, v37, v33
	s_and_b32 s0, vcc_lo, s0
	v_cmp_gt_u32_e32 vcc_lo, s25, v2
	v_cndmask_b32_e64 v12, 0, 1, s0
	v_cmp_ne_u16_e64 s0, v16, v40
	s_and_b32 s5, s5, s6
	v_cmp_ne_u16_e64 s6, v41, v16
	v_cndmask_b32_e64 v32, 0, 1, s5
	v_cmp_gt_u32_e64 s5, s25, v4
	s_and_b32 s0, vcc_lo, s0
	v_cmp_gt_u32_e32 vcc_lo, s25, v7
	s_waitcnt vmcnt(0) lgkmcnt(2)
	v_cndmask_b32_e64 v17, 0, 1, s0
	v_cmp_ne_u16_e64 s0, v15, v41
	s_and_b32 s5, s5, s6
	v_cmp_ne_u16_e64 s6, v42, v15
	v_cndmask_b32_e64 v18, 0, 1, s5
	v_cmp_gt_u32_e64 s5, s25, v8
	s_and_b32 s0, vcc_lo, s0
	v_cmp_gt_u32_e32 vcc_lo, s25, v3
	v_cndmask_b32_e64 v19, 0, 1, s0
	v_cmp_ne_u16_e64 s0, v14, v42
	s_and_b32 s5, s5, s6
	v_cmp_ne_u16_e64 s6, v43, v14
	v_cndmask_b32_e64 v30, 0, 1, s5
	v_cmp_gt_u32_e64 s5, s25, v6
	s_and_b32 s0, vcc_lo, s0
	v_cmp_gt_u32_e32 vcc_lo, s25, v5
	v_cndmask_b32_e64 v31, 0, 1, s0
	v_cmp_ne_u16_e64 s0, v13, v43
	v_lshlrev_b16 v19, 8, v19
	v_lshlrev_b16 v17, 8, v17
	s_and_b32 s5, s5, s6
	v_lshlrev_b16 v45, 8, v12
	s_and_b32 s0, vcc_lo, s0
	v_cndmask_b32_e64 v34, 0, 1, s5
	v_cndmask_b32_e64 v39, 0, 1, s0
	v_or_b32_e32 v19, v30, v19
	v_or_b32_e32 v17, v18, v17
	v_lshlrev_b16 v18, 8, v31
	v_or_b32_e32 v31, v32, v45
	v_lshlrev_b16 v30, 8, v39
	s_and_b32 s0, s1, s4
	v_and_b32_e32 v19, 0xffff, v19
	v_or_b32_e32 v18, v34, v18
	v_lshlrev_b32_e32 v17, 16, v17
	v_or_b32_e32 v30, 1, v30
	v_and_b32_e32 v39, 0xffff, v31
	v_cndmask_b32_e64 v34, 0, 1, s0
	v_lshlrev_b32_e32 v18, 16, v18
	v_or_b32_e32 v31, v19, v17
	v_and_b32_e32 v30, 0xffff, v30
	s_waitcnt lgkmcnt(0)
	v_lshl_or_b32 v19, v34, 16, v39
	s_barrier
	buffer_gl0_inv
	v_or_b32_e32 v30, v30, v18
                                        ; implicit-def: $sgpr0
	s_and_saveexec_b32 s1, s3
	s_cbranch_execz .LBB595_254
; %bb.74:
	v_add_nc_u32_e32 v17, -2, v35
	v_cmp_gt_u32_e32 vcc_lo, s25, v1
	s_or_b32 s28, s28, exec_lo
	ds_load_u16 v17, v17
	s_waitcnt lgkmcnt(0)
	v_cmp_ne_u16_e64 s0, v17, v13
                                        ; implicit-def: $vgpr17_vgpr18_vgpr19
	s_delay_alu instid0(VALU_DEP_1) | instskip(NEXT) | instid1(SALU_CYCLE_1)
	s_and_b32 s0, vcc_lo, s0
	s_and_b32 s0, s0, exec_lo
	s_or_b32 exec_lo, exec_lo, s1
.LBB595_75:
	s_and_saveexec_b32 s1, s28
	s_cbranch_execz .LBB595_77
.LBB595_76:
	v_lshrrev_b32_e32 v18, 24, v30
	v_lshrrev_b32_e32 v19, 16, v30
	;; [unrolled: 1-line block ×3, first 2 shown]
	s_waitcnt vmcnt(0) lgkmcnt(1)
	v_cndmask_b32_e64 v17, 0, 1, s0
	v_lshlrev_b16 v12, 8, v12
	v_and_b32_e32 v32, 0xff, v32
	v_lshlrev_b16 v18, 8, v18
	v_and_b32_e32 v19, 0xff, v19
	;; [unrolled: 2-line block ×3, first 2 shown]
	v_or_b32_e32 v12, v32, v12
	s_delay_alu instid0(VALU_DEP_4) | instskip(NEXT) | instid1(VALU_DEP_4)
	v_or_b32_e32 v18, v19, v18
	v_or_b32_e32 v17, v17, v30
	s_delay_alu instid0(VALU_DEP_4) | instskip(NEXT) | instid1(VALU_DEP_4)
	v_lshlrev_b32_e32 v19, 16, v34
	v_and_b32_e32 v12, 0xffff, v12
	s_delay_alu instid0(VALU_DEP_4) | instskip(NEXT) | instid1(VALU_DEP_4)
	v_lshlrev_b32_e32 v18, 16, v18
	v_and_b32_e32 v17, 0xffff, v17
	s_delay_alu instid0(VALU_DEP_3) | instskip(NEXT) | instid1(VALU_DEP_2)
	v_or_b32_e32 v19, v12, v19
	v_or_b32_e32 v30, v17, v18
.LBB595_77:
	s_or_b32 exec_lo, exec_lo, s1
	s_delay_alu instid0(SALU_CYCLE_1)
	s_and_not1_b32 vcc_lo, exec_lo, s26
	s_cbranch_vccnz .LBB595_79
; %bb.78:
	v_cmp_gt_u32_e32 vcc_lo, s25, v1
	v_cmp_gt_u32_e64 s0, s25, v5
	v_cmp_gt_u32_e64 s3, s25, v6
	v_and_b32_e32 v5, 0xffffff00, v31
	v_cmp_gt_u32_e64 s1, s25, v10
	v_dual_cndmask_b32 v1, 0, v30 :: v_dual_and_b32 v12, 0xff000000, v19
	v_cmp_gt_u32_e32 vcc_lo, s25, v11
	v_cmp_gt_u32_e64 s5, s25, v3
	v_cmp_gt_u32_e64 s4, s25, v9
	s_delay_alu instid0(VALU_DEP_4) | instskip(SKIP_1) | instid1(VALU_DEP_2)
	v_and_b32_e32 v1, 0xff, v1
	v_cndmask_b32_e32 v11, v12, v19, vcc_lo
	v_cndmask_b32_e64 v1, v1, v30, s0
	v_cmp_gt_u32_e64 s0, s25, v8
	s_delay_alu instid0(VALU_DEP_3) | instskip(NEXT) | instid1(VALU_DEP_3)
	v_and_b32_e32 v11, 0xff0000ff, v11
	v_and_b32_e32 v1, 0xffff, v1
	s_delay_alu instid0(VALU_DEP_3) | instskip(NEXT) | instid1(VALU_DEP_3)
	v_cndmask_b32_e64 v5, v5, v31, s0
	v_cndmask_b32_e64 v8, v11, v19, s1
	s_or_b32 s1, s4, s1
	s_delay_alu instid0(VALU_DEP_3) | instskip(NEXT) | instid1(VALU_DEP_3)
	v_cndmask_b32_e64 v1, v1, v30, s3
	v_and_b32_e32 v5, 0xffff00ff, v5
	s_delay_alu instid0(VALU_DEP_3) | instskip(SKIP_1) | instid1(VALU_DEP_4)
	v_and_b32_e32 v6, 0xff00ffff, v8
	v_cmp_gt_u32_e64 s3, s25, v7
	v_and_b32_e32 v1, 0xffffff, v1
	s_delay_alu instid0(VALU_DEP_3) | instskip(NEXT) | instid1(VALU_DEP_3)
	v_cndmask_b32_e64 v6, v6, v19, s4
	v_cndmask_b32_e64 v5, v5, v31, s3
	s_delay_alu instid0(VALU_DEP_3) | instskip(NEXT) | instid1(VALU_DEP_2)
	v_cndmask_b32_e64 v1, v1, v30, s5
	v_and_b32_e32 v3, 0xff00ffff, v5
	s_delay_alu instid0(VALU_DEP_4) | instskip(NEXT) | instid1(VALU_DEP_3)
	v_lshrrev_b32_e32 v5, 8, v6
	v_cndmask_b32_e64 v1, v1, v30, s0
	v_cmp_gt_u32_e64 s0, s25, v4
	s_delay_alu instid0(VALU_DEP_3) | instskip(NEXT) | instid1(VALU_DEP_3)
	v_lshlrev_b16 v5, 8, v5
	v_cndmask_b32_e64 v1, v1, v30, s3
	v_cmp_gt_u32_e64 s3, s25, v2
	s_delay_alu instid0(VALU_DEP_4) | instskip(NEXT) | instid1(VALU_DEP_3)
	v_cndmask_b32_e64 v3, v3, v31, s0
	v_cndmask_b32_e64 v1, v1, v30, s0
	s_or_b32 s0, s1, vcc_lo
	s_delay_alu instid0(VALU_DEP_3) | instid1(SALU_CYCLE_1)
	s_or_b32 vcc_lo, s0, s3
	s_delay_alu instid0(VALU_DEP_1) | instskip(NEXT) | instid1(VALU_DEP_1)
	v_dual_cndmask_b32 v1, v1, v30 :: v_dual_and_b32 v2, 0xffffff, v3
	v_dual_cndmask_b32 v31, v2, v31 :: v_dual_and_b32 v4, 0xff, v6
	s_delay_alu instid0(VALU_DEP_2) | instskip(NEXT) | instid1(VALU_DEP_2)
	v_perm_b32 v30, v1, v1, 0x3020104
	v_or_b32_e32 v3, v4, v5
	s_delay_alu instid0(VALU_DEP_1) | instskip(NEXT) | instid1(VALU_DEP_1)
	v_and_b32_e32 v2, 0xffff, v3
	v_and_or_b32 v19, 0xff0000, v6, v2
.LBB595_79:
	s_delay_alu instid0(VALU_DEP_1)
	v_and_b32_e32 v45, 0xff, v30
	v_bfe_u32 v46, v30, 8, 8
	v_alignbit_b32 v1, v31, v30, 24
	v_bfe_u32 v47, v30, 16, 8
	v_and_b32_e32 v48, 0xff, v31
	v_bfe_u32 v50, v31, 8, 8
	v_bfe_u32 v51, v31, 16, 8
	v_and_b32_e32 v49, 0xff, v1
	v_add3_u32 v1, v46, v45, v47
	v_lshrrev_b32_e32 v39, 24, v31
	v_mbcnt_lo_u32_b32 v54, -1, 0
	v_and_b32_e32 v52, 0xff, v19
	v_bfe_u32 v53, v19, 8, 8
	v_add3_u32 v1, v1, v49, v48
	v_bfe_u32 v3, v19, 16, 8
	v_and_b32_e32 v2, 15, v54
	v_or_b32_e32 v4, 31, v0
	v_and_b32_e32 v5, 16, v54
	v_add3_u32 v1, v1, v50, v51
	v_lshrrev_b32_e32 v55, 5, v0
	v_cmp_eq_u32_e64 s6, 0, v2
	v_cmp_lt_u32_e64 s5, 1, v2
	v_cmp_lt_u32_e64 s4, 3, v2
	v_add3_u32 v1, v1, v39, v52
	v_cmp_lt_u32_e64 s3, 7, v2
	v_cmp_eq_u32_e64 s1, 0, v5
	v_cmp_eq_u32_e64 s0, v4, v0
	s_and_b32 vcc_lo, exec_lo, s27
	v_add3_u32 v56, v1, v53, v3
	s_mov_b32 s7, -1
	s_waitcnt vmcnt(0) lgkmcnt(0)
	s_barrier
	buffer_gl0_inv
	s_cbranch_vccz .LBB595_105
; %bb.80:
	v_mov_b32_dpp v1, v56 row_shr:1 row_mask:0xf bank_mask:0xf
	s_delay_alu instid0(VALU_DEP_1) | instskip(NEXT) | instid1(VALU_DEP_1)
	v_cndmask_b32_e64 v1, v1, 0, s6
	v_add_nc_u32_e32 v1, v1, v56
	s_delay_alu instid0(VALU_DEP_1) | instskip(NEXT) | instid1(VALU_DEP_1)
	v_mov_b32_dpp v2, v1 row_shr:2 row_mask:0xf bank_mask:0xf
	v_cndmask_b32_e64 v2, 0, v2, s5
	s_delay_alu instid0(VALU_DEP_1) | instskip(NEXT) | instid1(VALU_DEP_1)
	v_add_nc_u32_e32 v1, v1, v2
	v_mov_b32_dpp v2, v1 row_shr:4 row_mask:0xf bank_mask:0xf
	s_delay_alu instid0(VALU_DEP_1) | instskip(NEXT) | instid1(VALU_DEP_1)
	v_cndmask_b32_e64 v2, 0, v2, s4
	v_add_nc_u32_e32 v1, v1, v2
	s_delay_alu instid0(VALU_DEP_1) | instskip(NEXT) | instid1(VALU_DEP_1)
	v_mov_b32_dpp v2, v1 row_shr:8 row_mask:0xf bank_mask:0xf
	v_cndmask_b32_e64 v2, 0, v2, s3
	s_delay_alu instid0(VALU_DEP_1) | instskip(SKIP_3) | instid1(VALU_DEP_1)
	v_add_nc_u32_e32 v1, v1, v2
	ds_swizzle_b32 v2, v1 offset:swizzle(BROADCAST,32,15)
	s_waitcnt lgkmcnt(0)
	v_cndmask_b32_e64 v2, v2, 0, s1
	v_add_nc_u32_e32 v1, v1, v2
	s_and_saveexec_b32 s7, s0
	s_cbranch_execz .LBB595_82
; %bb.81:
	v_lshlrev_b32_e32 v2, 2, v55
	ds_store_b32 v2, v1
.LBB595_82:
	s_or_b32 exec_lo, exec_lo, s7
	s_delay_alu instid0(SALU_CYCLE_1)
	s_mov_b32 s7, exec_lo
	s_waitcnt lgkmcnt(0)
	s_barrier
	buffer_gl0_inv
	v_cmpx_gt_u32_e32 4, v0
	s_cbranch_execz .LBB595_84
; %bb.83:
	v_and_b32_e32 v4, 3, v54
	s_delay_alu instid0(VALU_DEP_1) | instskip(SKIP_4) | instid1(VALU_DEP_1)
	v_cmp_ne_u32_e32 vcc_lo, 0, v4
	v_lshlrev_b32_e32 v2, 2, v0
	ds_load_b32 v3, v2
	s_waitcnt lgkmcnt(0)
	v_mov_b32_dpp v5, v3 row_shr:1 row_mask:0xf bank_mask:0xf
	v_cndmask_b32_e32 v5, 0, v5, vcc_lo
	v_cmp_lt_u32_e32 vcc_lo, 1, v4
	s_delay_alu instid0(VALU_DEP_2) | instskip(NEXT) | instid1(VALU_DEP_1)
	v_add_nc_u32_e32 v3, v5, v3
	v_mov_b32_dpp v5, v3 row_shr:2 row_mask:0xf bank_mask:0xf
	s_delay_alu instid0(VALU_DEP_1) | instskip(NEXT) | instid1(VALU_DEP_1)
	v_cndmask_b32_e32 v4, 0, v5, vcc_lo
	v_add_nc_u32_e32 v3, v3, v4
	ds_store_b32 v2, v3
.LBB595_84:
	s_or_b32 exec_lo, exec_lo, s7
	v_cmp_gt_u32_e32 vcc_lo, 32, v0
	s_mov_b32 s8, exec_lo
	s_waitcnt lgkmcnt(0)
	s_barrier
	buffer_gl0_inv
                                        ; implicit-def: $vgpr9
	v_cmpx_lt_u32_e32 31, v0
	s_cbranch_execz .LBB595_86
; %bb.85:
	v_lshl_add_u32 v2, v55, 2, -4
	ds_load_b32 v9, v2
	s_waitcnt lgkmcnt(0)
	v_add_nc_u32_e32 v1, v9, v1
.LBB595_86:
	s_or_b32 exec_lo, exec_lo, s8
	v_add_nc_u32_e32 v2, -1, v54
	s_delay_alu instid0(VALU_DEP_1) | instskip(NEXT) | instid1(VALU_DEP_1)
	v_cmp_gt_i32_e64 s7, 0, v2
	v_cndmask_b32_e64 v2, v2, v54, s7
	v_cmp_eq_u32_e64 s7, 0, v54
	s_delay_alu instid0(VALU_DEP_2)
	v_lshlrev_b32_e32 v2, 2, v2
	ds_bpermute_b32 v10, v2, v1
	s_and_saveexec_b32 s8, vcc_lo
	s_cbranch_execz .LBB595_104
; %bb.87:
	v_mov_b32_e32 v5, 0
	ds_load_b32 v1, v5 offset:12
	s_and_saveexec_b32 s9, s7
	s_cbranch_execz .LBB595_89
; %bb.88:
	s_add_i32 s10, s24, 32
	s_mov_b32 s11, 0
	v_mov_b32_e32 v2, 1
	s_lshl_b64 s[10:11], s[10:11], 3
	s_delay_alu instid0(SALU_CYCLE_1)
	s_add_u32 s10, s20, s10
	s_addc_u32 s11, s21, s11
	s_waitcnt lgkmcnt(0)
	global_store_b64 v5, v[1:2], s[10:11]
.LBB595_89:
	s_or_b32 exec_lo, exec_lo, s9
	v_xad_u32 v3, v54, -1, s24
	s_mov_b32 s10, 0
	s_mov_b32 s9, exec_lo
	s_delay_alu instid0(VALU_DEP_1) | instskip(NEXT) | instid1(VALU_DEP_1)
	v_add_nc_u32_e32 v4, 32, v3
	v_lshlrev_b64 v[4:5], 3, v[4:5]
	s_delay_alu instid0(VALU_DEP_1) | instskip(NEXT) | instid1(VALU_DEP_2)
	v_add_co_u32 v7, vcc_lo, s20, v4
	v_add_co_ci_u32_e32 v8, vcc_lo, s21, v5, vcc_lo
	global_load_b64 v[5:6], v[7:8], off glc
	s_waitcnt vmcnt(0)
	v_and_b32_e32 v2, 0xff, v6
	s_delay_alu instid0(VALU_DEP_1)
	v_cmpx_eq_u16_e32 0, v2
	s_cbranch_execz .LBB595_92
.LBB595_90:                             ; =>This Inner Loop Header: Depth=1
	global_load_b64 v[5:6], v[7:8], off glc
	s_waitcnt vmcnt(0)
	v_and_b32_e32 v2, 0xff, v6
	s_delay_alu instid0(VALU_DEP_1) | instskip(SKIP_1) | instid1(SALU_CYCLE_1)
	v_cmp_ne_u16_e32 vcc_lo, 0, v2
	s_or_b32 s10, vcc_lo, s10
	s_and_not1_b32 exec_lo, exec_lo, s10
	s_cbranch_execnz .LBB595_90
; %bb.91:
	s_or_b32 exec_lo, exec_lo, s10
.LBB595_92:
	s_delay_alu instid0(SALU_CYCLE_1)
	s_or_b32 exec_lo, exec_lo, s9
	v_cmp_ne_u32_e32 vcc_lo, 31, v54
	v_lshlrev_b32_e64 v12, v54, -1
	v_add_nc_u32_e32 v18, 2, v54
	v_add_nc_u32_e32 v34, 4, v54
	;; [unrolled: 1-line block ×3, first 2 shown]
	v_add_co_ci_u32_e32 v2, vcc_lo, 0, v54, vcc_lo
	v_add_nc_u32_e32 v59, 16, v54
	s_delay_alu instid0(VALU_DEP_2)
	v_lshlrev_b32_e32 v11, 2, v2
	v_and_b32_e32 v2, 0xff, v6
	ds_bpermute_b32 v4, v11, v5
	v_cmp_eq_u16_e32 vcc_lo, 2, v2
	v_and_or_b32 v2, vcc_lo, v12, 0x80000000
	v_cmp_gt_u32_e32 vcc_lo, 30, v54
	s_delay_alu instid0(VALU_DEP_2) | instskip(SKIP_1) | instid1(VALU_DEP_2)
	v_ctz_i32_b32_e32 v2, v2
	v_cndmask_b32_e64 v7, 0, 1, vcc_lo
	v_cmp_lt_u32_e32 vcc_lo, v54, v2
	s_waitcnt lgkmcnt(0)
	s_delay_alu instid0(VALU_DEP_2) | instskip(NEXT) | instid1(VALU_DEP_1)
	v_dual_cndmask_b32 v4, 0, v4 :: v_dual_lshlrev_b32 v7, 1, v7
	v_add_lshl_u32 v17, v7, v54, 2
	v_cmp_gt_u32_e32 vcc_lo, 28, v54
	s_delay_alu instid0(VALU_DEP_3) | instskip(SKIP_4) | instid1(VALU_DEP_1)
	v_add_nc_u32_e32 v4, v4, v5
	v_cndmask_b32_e64 v7, 0, 1, vcc_lo
	v_cmp_le_u32_e32 vcc_lo, v18, v2
	ds_bpermute_b32 v5, v17, v4
	v_lshlrev_b32_e32 v7, 2, v7
	v_add_lshl_u32 v32, v7, v54, 2
	s_waitcnt lgkmcnt(0)
	v_cndmask_b32_e32 v5, 0, v5, vcc_lo
	v_cmp_gt_u32_e32 vcc_lo, 24, v54
	s_delay_alu instid0(VALU_DEP_2) | instskip(SKIP_4) | instid1(VALU_DEP_1)
	v_add_nc_u32_e32 v4, v4, v5
	v_cndmask_b32_e64 v7, 0, 1, vcc_lo
	v_cmp_le_u32_e32 vcc_lo, v34, v2
	ds_bpermute_b32 v5, v32, v4
	v_lshlrev_b32_e32 v7, 3, v7
	v_add_lshl_u32 v35, v7, v54, 2
	s_waitcnt lgkmcnt(0)
	v_cndmask_b32_e32 v5, 0, v5, vcc_lo
	v_cmp_gt_u32_e32 vcc_lo, 16, v54
	s_delay_alu instid0(VALU_DEP_2) | instskip(SKIP_4) | instid1(VALU_DEP_1)
	v_add_nc_u32_e32 v4, v4, v5
	v_cndmask_b32_e64 v7, 0, 1, vcc_lo
	v_cmp_le_u32_e32 vcc_lo, v57, v2
	ds_bpermute_b32 v5, v35, v4
	v_lshlrev_b32_e32 v7, 4, v7
	v_add_lshl_u32 v58, v7, v54, 2
	s_waitcnt lgkmcnt(0)
	v_cndmask_b32_e32 v5, 0, v5, vcc_lo
	v_cmp_le_u32_e32 vcc_lo, v59, v2
	s_delay_alu instid0(VALU_DEP_2) | instskip(SKIP_3) | instid1(VALU_DEP_1)
	v_add_nc_u32_e32 v4, v4, v5
	ds_bpermute_b32 v5, v58, v4
	s_waitcnt lgkmcnt(0)
	v_cndmask_b32_e32 v2, 0, v5, vcc_lo
	v_dual_mov_b32 v4, 0 :: v_dual_add_nc_u32 v5, v4, v2
	s_branch .LBB595_94
.LBB595_93:                             ;   in Loop: Header=BB595_94 Depth=1
	s_or_b32 exec_lo, exec_lo, s9
	ds_bpermute_b32 v8, v11, v5
	v_and_b32_e32 v7, 0xff, v6
	v_subrev_nc_u32_e32 v3, 32, v3
	s_delay_alu instid0(VALU_DEP_2) | instskip(SKIP_1) | instid1(VALU_DEP_1)
	v_cmp_eq_u16_e32 vcc_lo, 2, v7
	v_and_or_b32 v7, vcc_lo, v12, 0x80000000
	v_ctz_i32_b32_e32 v7, v7
	s_delay_alu instid0(VALU_DEP_1) | instskip(SKIP_3) | instid1(VALU_DEP_2)
	v_cmp_lt_u32_e32 vcc_lo, v54, v7
	s_waitcnt lgkmcnt(0)
	v_cndmask_b32_e32 v8, 0, v8, vcc_lo
	v_cmp_le_u32_e32 vcc_lo, v18, v7
	v_add_nc_u32_e32 v5, v8, v5
	ds_bpermute_b32 v8, v17, v5
	s_waitcnt lgkmcnt(0)
	v_cndmask_b32_e32 v8, 0, v8, vcc_lo
	v_cmp_le_u32_e32 vcc_lo, v34, v7
	s_delay_alu instid0(VALU_DEP_2) | instskip(SKIP_4) | instid1(VALU_DEP_2)
	v_add_nc_u32_e32 v5, v5, v8
	ds_bpermute_b32 v8, v32, v5
	s_waitcnt lgkmcnt(0)
	v_cndmask_b32_e32 v8, 0, v8, vcc_lo
	v_cmp_le_u32_e32 vcc_lo, v57, v7
	v_add_nc_u32_e32 v5, v5, v8
	ds_bpermute_b32 v8, v35, v5
	s_waitcnt lgkmcnt(0)
	v_cndmask_b32_e32 v8, 0, v8, vcc_lo
	v_cmp_le_u32_e32 vcc_lo, v59, v7
	s_delay_alu instid0(VALU_DEP_2) | instskip(SKIP_3) | instid1(VALU_DEP_1)
	v_add_nc_u32_e32 v5, v5, v8
	ds_bpermute_b32 v8, v58, v5
	s_waitcnt lgkmcnt(0)
	v_cndmask_b32_e32 v7, 0, v8, vcc_lo
	v_add3_u32 v5, v7, v2, v5
.LBB595_94:                             ; =>This Loop Header: Depth=1
                                        ;     Child Loop BB595_97 Depth 2
	v_and_b32_e32 v2, 0xff, v6
	s_delay_alu instid0(VALU_DEP_1) | instskip(SKIP_2) | instid1(VALU_DEP_1)
	v_cmp_ne_u16_e32 vcc_lo, 2, v2
	v_cndmask_b32_e64 v2, 0, 1, vcc_lo
	;;#ASMSTART
	;;#ASMEND
	v_cmp_ne_u32_e32 vcc_lo, 0, v2
	v_mov_b32_e32 v2, v5
	s_cmp_lg_u32 vcc_lo, exec_lo
	s_cbranch_scc1 .LBB595_99
; %bb.95:                               ;   in Loop: Header=BB595_94 Depth=1
	v_lshlrev_b64 v[5:6], 3, v[3:4]
	s_mov_b32 s9, exec_lo
	s_delay_alu instid0(VALU_DEP_1) | instskip(NEXT) | instid1(VALU_DEP_2)
	v_add_co_u32 v7, vcc_lo, s20, v5
	v_add_co_ci_u32_e32 v8, vcc_lo, s21, v6, vcc_lo
	global_load_b64 v[5:6], v[7:8], off glc
	s_waitcnt vmcnt(0)
	v_and_b32_e32 v60, 0xff, v6
	s_delay_alu instid0(VALU_DEP_1)
	v_cmpx_eq_u16_e32 0, v60
	s_cbranch_execz .LBB595_93
; %bb.96:                               ;   in Loop: Header=BB595_94 Depth=1
	s_mov_b32 s10, 0
.LBB595_97:                             ;   Parent Loop BB595_94 Depth=1
                                        ; =>  This Inner Loop Header: Depth=2
	global_load_b64 v[5:6], v[7:8], off glc
	s_waitcnt vmcnt(0)
	v_and_b32_e32 v60, 0xff, v6
	s_delay_alu instid0(VALU_DEP_1) | instskip(SKIP_1) | instid1(SALU_CYCLE_1)
	v_cmp_ne_u16_e32 vcc_lo, 0, v60
	s_or_b32 s10, vcc_lo, s10
	s_and_not1_b32 exec_lo, exec_lo, s10
	s_cbranch_execnz .LBB595_97
; %bb.98:                               ;   in Loop: Header=BB595_94 Depth=1
	s_or_b32 exec_lo, exec_lo, s10
	s_branch .LBB595_93
.LBB595_99:                             ;   in Loop: Header=BB595_94 Depth=1
                                        ; implicit-def: $vgpr5
                                        ; implicit-def: $vgpr6
	s_cbranch_execz .LBB595_94
; %bb.100:
	s_and_saveexec_b32 s9, s7
	s_cbranch_execz .LBB595_102
; %bb.101:
	s_add_i32 s10, s24, 32
	s_mov_b32 s11, 0
	v_dual_mov_b32 v4, 2 :: v_dual_add_nc_u32 v3, v2, v1
	s_lshl_b64 s[10:11], s[10:11], 3
	v_mov_b32_e32 v5, 0
	s_add_u32 s10, s20, s10
	s_addc_u32 s11, s21, s11
	global_store_b64 v5, v[3:4], s[10:11]
	ds_store_b64 v5, v[1:2] offset:5632
.LBB595_102:
	s_or_b32 exec_lo, exec_lo, s9
	s_delay_alu instid0(SALU_CYCLE_1)
	s_and_b32 exec_lo, exec_lo, s2
	s_cbranch_execz .LBB595_104
; %bb.103:
	v_mov_b32_e32 v1, 0
	ds_store_b32 v1, v2 offset:12
.LBB595_104:
	s_or_b32 exec_lo, exec_lo, s8
	s_waitcnt lgkmcnt(0)
	v_cndmask_b32_e64 v3, v10, v9, s7
	s_waitcnt_vscnt null, 0x0
	s_barrier
	buffer_gl0_inv
	v_cndmask_b32_e64 v3, v3, 0, s2
	v_mov_b32_e32 v1, 0
	ds_load_b32 v2, v1 offset:12
	s_waitcnt lgkmcnt(0)
	s_barrier
	buffer_gl0_inv
	v_add_nc_u32_e32 v2, v2, v3
	ds_load_b64 v[17:18], v1 offset:5632
	v_add_nc_u32_e32 v3, v2, v45
	s_delay_alu instid0(VALU_DEP_1) | instskip(SKIP_1) | instid1(VALU_DEP_1)
	v_add_nc_u32_e32 v4, v3, v46
	s_waitcnt lgkmcnt(0)
	v_dual_mov_b32 v32, v18 :: v_dual_add_nc_u32 v5, v4, v47
	s_delay_alu instid0(VALU_DEP_1) | instskip(NEXT) | instid1(VALU_DEP_1)
	v_add_nc_u32_e32 v6, v5, v49
	v_add_nc_u32_e32 v7, v6, v48
	s_delay_alu instid0(VALU_DEP_1) | instskip(NEXT) | instid1(VALU_DEP_1)
	v_add_nc_u32_e32 v8, v7, v50
	v_add_nc_u32_e32 v9, v8, v51
	;; [unrolled: 3-line block ×3, first 2 shown]
	s_delay_alu instid0(VALU_DEP_1)
	v_add_nc_u32_e32 v12, v11, v53
	v_lshrrev_b64 v[34:35], 24, v[30:31]
	s_branch .LBB595_115
.LBB595_105:
                                        ; implicit-def: $vgpr32
                                        ; implicit-def: $vgpr2_vgpr3_vgpr4_vgpr5_vgpr6_vgpr7_vgpr8_vgpr9_vgpr10_vgpr11_vgpr12
                                        ; implicit-def: $vgpr17
	v_lshrrev_b64 v[34:35], 24, v[30:31]
	s_and_b32 vcc_lo, exec_lo, s7
	s_cbranch_vccz .LBB595_115
; %bb.106:
	v_mov_b32_dpp v1, v56 row_shr:1 row_mask:0xf bank_mask:0xf
	s_delay_alu instid0(VALU_DEP_1) | instskip(NEXT) | instid1(VALU_DEP_1)
	v_cndmask_b32_e64 v1, v1, 0, s6
	v_add_nc_u32_e32 v1, v1, v56
	s_delay_alu instid0(VALU_DEP_1) | instskip(NEXT) | instid1(VALU_DEP_1)
	v_mov_b32_dpp v2, v1 row_shr:2 row_mask:0xf bank_mask:0xf
	v_cndmask_b32_e64 v2, 0, v2, s5
	s_delay_alu instid0(VALU_DEP_1) | instskip(NEXT) | instid1(VALU_DEP_1)
	v_add_nc_u32_e32 v1, v1, v2
	v_mov_b32_dpp v2, v1 row_shr:4 row_mask:0xf bank_mask:0xf
	s_delay_alu instid0(VALU_DEP_1) | instskip(NEXT) | instid1(VALU_DEP_1)
	v_cndmask_b32_e64 v2, 0, v2, s4
	v_add_nc_u32_e32 v1, v1, v2
	s_delay_alu instid0(VALU_DEP_1) | instskip(NEXT) | instid1(VALU_DEP_1)
	v_mov_b32_dpp v2, v1 row_shr:8 row_mask:0xf bank_mask:0xf
	v_cndmask_b32_e64 v2, 0, v2, s3
	s_delay_alu instid0(VALU_DEP_1) | instskip(SKIP_3) | instid1(VALU_DEP_1)
	v_add_nc_u32_e32 v1, v1, v2
	ds_swizzle_b32 v2, v1 offset:swizzle(BROADCAST,32,15)
	s_waitcnt lgkmcnt(0)
	v_cndmask_b32_e64 v2, v2, 0, s1
	v_add_nc_u32_e32 v1, v1, v2
	s_and_saveexec_b32 s1, s0
	s_cbranch_execz .LBB595_108
; %bb.107:
	v_lshlrev_b32_e32 v2, 2, v55
	ds_store_b32 v2, v1
.LBB595_108:
	s_or_b32 exec_lo, exec_lo, s1
	s_delay_alu instid0(SALU_CYCLE_1)
	s_mov_b32 s0, exec_lo
	s_waitcnt lgkmcnt(0)
	s_barrier
	buffer_gl0_inv
	v_cmpx_gt_u32_e32 4, v0
	s_cbranch_execz .LBB595_110
; %bb.109:
	v_mad_i32_i24 v2, 0xffffffd8, v0, v44
	ds_load_b32 v3, v2
	s_waitcnt lgkmcnt(0)
	v_mov_b32_dpp v5, v3 row_shr:1 row_mask:0xf bank_mask:0xf
	v_and_b32_e32 v4, 3, v54
	s_delay_alu instid0(VALU_DEP_1) | instskip(NEXT) | instid1(VALU_DEP_3)
	v_cmp_ne_u32_e32 vcc_lo, 0, v4
	v_cndmask_b32_e32 v5, 0, v5, vcc_lo
	v_cmp_lt_u32_e32 vcc_lo, 1, v4
	s_delay_alu instid0(VALU_DEP_2) | instskip(NEXT) | instid1(VALU_DEP_1)
	v_add_nc_u32_e32 v3, v5, v3
	v_mov_b32_dpp v5, v3 row_shr:2 row_mask:0xf bank_mask:0xf
	s_delay_alu instid0(VALU_DEP_1) | instskip(NEXT) | instid1(VALU_DEP_1)
	v_cndmask_b32_e32 v4, 0, v5, vcc_lo
	v_add_nc_u32_e32 v3, v3, v4
	ds_store_b32 v2, v3
.LBB595_110:
	s_or_b32 exec_lo, exec_lo, s0
	v_dual_mov_b32 v3, 0 :: v_dual_mov_b32 v2, 0
	s_mov_b32 s0, exec_lo
	s_waitcnt lgkmcnt(0)
	s_barrier
	buffer_gl0_inv
	v_cmpx_lt_u32_e32 31, v0
	s_cbranch_execz .LBB595_112
; %bb.111:
	v_lshl_add_u32 v2, v55, 2, -4
	ds_load_b32 v2, v2
.LBB595_112:
	s_or_b32 exec_lo, exec_lo, s0
	v_add_nc_u32_e32 v4, -1, v54
	ds_load_b32 v17, v3 offset:12
	s_waitcnt lgkmcnt(1)
	v_add_nc_u32_e32 v1, v2, v1
	v_cmp_gt_i32_e32 vcc_lo, 0, v4
	v_cndmask_b32_e32 v4, v4, v54, vcc_lo
	s_delay_alu instid0(VALU_DEP_1)
	v_lshlrev_b32_e32 v4, 2, v4
	ds_bpermute_b32 v1, v4, v1
	s_and_saveexec_b32 s0, s2
	s_cbranch_execz .LBB595_114
; %bb.113:
	v_dual_mov_b32 v3, 0 :: v_dual_mov_b32 v18, 2
	s_waitcnt lgkmcnt(1)
	global_store_b64 v3, v[17:18], s[20:21] offset:256
.LBB595_114:
	s_or_b32 exec_lo, exec_lo, s0
	v_cmp_eq_u32_e32 vcc_lo, 0, v54
	s_waitcnt lgkmcnt(0)
	s_waitcnt_vscnt null, 0x0
	s_barrier
	buffer_gl0_inv
	v_dual_mov_b32 v32, 0 :: v_dual_cndmask_b32 v1, v1, v2
	s_delay_alu instid0(VALU_DEP_1) | instskip(NEXT) | instid1(VALU_DEP_1)
	v_cndmask_b32_e64 v2, v1, 0, s2
	v_add_nc_u32_e32 v3, v2, v45
	s_delay_alu instid0(VALU_DEP_1) | instskip(NEXT) | instid1(VALU_DEP_1)
	v_add_nc_u32_e32 v4, v3, v46
	v_add_nc_u32_e32 v5, v4, v47
	s_delay_alu instid0(VALU_DEP_1) | instskip(NEXT) | instid1(VALU_DEP_1)
	v_add_nc_u32_e32 v6, v5, v49
	;; [unrolled: 3-line block ×4, first 2 shown]
	v_add_nc_u32_e32 v11, v10, v52
	s_delay_alu instid0(VALU_DEP_1)
	v_add_nc_u32_e32 v12, v11, v53
.LBB595_115:
	v_add_nc_u32_e32 v48, v32, v17
	v_cmp_gt_u32_e64 s0, 0x81, v17
	v_lshrrev_b32_e32 v18, 16, v19
	v_lshrrev_b32_e32 v46, 16, v30
	;; [unrolled: 1-line block ×6, first 2 shown]
	v_cmp_lt_u32_e64 s1, v2, v48
	s_and_b32 vcc_lo, exec_lo, s0
	s_mov_b32 s3, -1
	s_cbranch_vccz .LBB595_150
; %bb.116:
	s_lshl_b64 s[4:5], s[14:15], 1
	s_delay_alu instid0(SALU_CYCLE_1) | instskip(SKIP_2) | instid1(SALU_CYCLE_1)
	s_add_u32 s3, s16, s4
	s_addc_u32 s4, s17, s5
	s_or_b32 s5, s23, s1
	s_and_saveexec_b32 s1, s5
	s_cbranch_execz .LBB595_119
; %bb.117:
	v_and_b32_e32 v1, 1, v30
	s_delay_alu instid0(VALU_DEP_1)
	v_cmp_eq_u32_e32 vcc_lo, 1, v1
	s_and_b32 exec_lo, exec_lo, vcc_lo
	s_cbranch_execz .LBB595_119
; %bb.118:
	v_dual_mov_b32 v50, 0 :: v_dual_mov_b32 v49, v2
	s_delay_alu instid0(VALU_DEP_1) | instskip(NEXT) | instid1(VALU_DEP_1)
	v_lshlrev_b64 v[49:50], 1, v[49:50]
	v_add_co_u32 v49, vcc_lo, s3, v49
	s_delay_alu instid0(VALU_DEP_2)
	v_add_co_ci_u32_e32 v50, vcc_lo, s4, v50, vcc_lo
	global_store_b16 v[49:50], v13, off
.LBB595_119:
	s_or_b32 exec_lo, exec_lo, s1
	v_cmp_lt_u32_e32 vcc_lo, v3, v48
	s_or_b32 s5, s23, vcc_lo
	s_delay_alu instid0(SALU_CYCLE_1)
	s_and_saveexec_b32 s1, s5
	s_cbranch_execz .LBB595_122
; %bb.120:
	v_and_b32_e32 v1, 1, v47
	s_delay_alu instid0(VALU_DEP_1)
	v_cmp_eq_u32_e32 vcc_lo, 1, v1
	s_and_b32 exec_lo, exec_lo, vcc_lo
	s_cbranch_execz .LBB595_122
; %bb.121:
	v_dual_mov_b32 v50, 0 :: v_dual_mov_b32 v49, v3
	s_delay_alu instid0(VALU_DEP_1) | instskip(NEXT) | instid1(VALU_DEP_1)
	v_lshlrev_b64 v[49:50], 1, v[49:50]
	v_add_co_u32 v49, vcc_lo, s3, v49
	s_delay_alu instid0(VALU_DEP_2)
	v_add_co_ci_u32_e32 v50, vcc_lo, s4, v50, vcc_lo
	global_store_b16 v[49:50], v43, off
.LBB595_122:
	s_or_b32 exec_lo, exec_lo, s1
	v_cmp_lt_u32_e32 vcc_lo, v4, v48
	s_or_b32 s5, s23, vcc_lo
	s_delay_alu instid0(SALU_CYCLE_1)
	;; [unrolled: 21-line block ×10, first 2 shown]
	s_and_saveexec_b32 s1, s5
	s_cbranch_execz .LBB595_149
; %bb.147:
	v_and_b32_e32 v1, 1, v18
	s_delay_alu instid0(VALU_DEP_1)
	v_cmp_eq_u32_e32 vcc_lo, 1, v1
	s_and_b32 exec_lo, exec_lo, vcc_lo
	s_cbranch_execz .LBB595_149
; %bb.148:
	v_dual_mov_b32 v50, 0 :: v_dual_mov_b32 v49, v12
	s_delay_alu instid0(VALU_DEP_1) | instskip(NEXT) | instid1(VALU_DEP_1)
	v_lshlrev_b64 v[49:50], 1, v[49:50]
	v_add_co_u32 v49, vcc_lo, s3, v49
	s_delay_alu instid0(VALU_DEP_2)
	v_add_co_ci_u32_e32 v50, vcc_lo, s4, v50, vcc_lo
	global_store_b16 v[49:50], v33, off
.LBB595_149:
	s_or_b32 exec_lo, exec_lo, s1
	s_mov_b32 s3, 0
.LBB595_150:
	v_and_b32_e32 v30, 1, v30
	s_and_b32 vcc_lo, exec_lo, s3
	s_delay_alu instid0(VALU_DEP_1)
	v_cmp_eq_u32_e64 s1, 1, v30
	s_cbranch_vccz .LBB595_189
; %bb.151:
	s_delay_alu instid0(VALU_DEP_1)
	s_and_saveexec_b32 s3, s1
	s_cbranch_execz .LBB595_153
; %bb.152:
	v_sub_nc_u32_e32 v1, v2, v32
	s_delay_alu instid0(VALU_DEP_1)
	v_lshlrev_b32_e32 v1, 1, v1
	ds_store_b16 v1, v13
.LBB595_153:
	s_or_b32 exec_lo, exec_lo, s3
	v_and_b32_e32 v1, 1, v47
	s_mov_b32 s1, exec_lo
	s_delay_alu instid0(VALU_DEP_1)
	v_cmpx_eq_u32_e32 1, v1
	s_cbranch_execz .LBB595_155
; %bb.154:
	v_sub_nc_u32_e32 v1, v3, v32
	s_delay_alu instid0(VALU_DEP_1)
	v_lshlrev_b32_e32 v1, 1, v1
	ds_store_b16 v1, v43
.LBB595_155:
	s_or_b32 exec_lo, exec_lo, s1
	v_and_b32_e32 v1, 1, v46
	s_mov_b32 s1, exec_lo
	s_delay_alu instid0(VALU_DEP_1)
	v_cmpx_eq_u32_e32 1, v1
	;; [unrolled: 12-line block ×10, first 2 shown]
	s_cbranch_execz .LBB595_173
; %bb.172:
	v_sub_nc_u32_e32 v1, v12, v32
	s_delay_alu instid0(VALU_DEP_1)
	v_lshlrev_b32_e32 v1, 1, v1
	ds_store_b16 v1, v33
.LBB595_173:
	s_or_b32 exec_lo, exec_lo, s1
	s_delay_alu instid0(SALU_CYCLE_1)
	s_mov_b32 s4, exec_lo
	s_waitcnt lgkmcnt(0)
	s_waitcnt_vscnt null, 0x0
	s_barrier
	buffer_gl0_inv
	v_cmpx_lt_u32_e64 v0, v17
	s_cbranch_execz .LBB595_188
; %bb.174:
	v_mov_b32_e32 v33, 0
	s_lshl_b64 s[6:7], s[14:15], 1
	v_xad_u32 v1, v0, -1, v17
	s_add_u32 s3, s16, s6
	s_addc_u32 s5, s17, s7
	v_lshlrev_b64 v[13:14], 1, v[32:33]
	s_delay_alu instid0(VALU_DEP_2) | instskip(NEXT) | instid1(VALU_DEP_2)
	v_cmp_gt_u32_e32 vcc_lo, 0xc80, v1
	v_add_co_u32 v33, s3, s3, v13
	s_delay_alu instid0(VALU_DEP_1)
	v_add_co_ci_u32_e64 v37, s3, s5, v14, s3
	v_mov_b32_e32 v13, v0
	s_mov_b32 s3, -1
	s_mov_b32 s5, exec_lo
	v_cmpx_lt_u32_e32 0xc7f, v1
	s_cbranch_execz .LBB595_185
; %bb.175:
	v_sub_nc_u32_e32 v13, v0, v17
	s_delay_alu instid0(VALU_DEP_1) | instskip(NEXT) | instid1(VALU_DEP_1)
	v_or_b32_e32 v13, 0x7f, v13
	v_cmp_ge_u32_e64 s1, v13, v0
	v_mov_b32_e32 v13, v0
	s_delay_alu instid0(VALU_DEP_2)
	s_and_saveexec_b32 s6, s1
	s_cbranch_execz .LBB595_184
; %bb.176:
	v_lshrrev_b32_e32 v38, 7, v1
	v_or_b32_e32 v1, 0x80, v0
	v_dual_mov_b32 v49, 0 :: v_dual_lshlrev_b32 v40, 1, v0
	s_delay_alu instid0(VALU_DEP_3) | instskip(NEXT) | instid1(VALU_DEP_1)
	v_add_nc_u32_e32 v13, -1, v38
	v_lshrrev_b32_e32 v14, 1, v13
	v_cmp_lt_u32_e64 s1, 13, v13
	s_delay_alu instid0(VALU_DEP_2) | instskip(SKIP_1) | instid1(VALU_DEP_3)
	v_dual_mov_b32 v14, v1 :: v_dual_add_nc_u32 v41, 1, v14
	v_mov_b32_e32 v13, v0
	s_and_saveexec_b32 s3, s1
	s_cbranch_execz .LBB595_180
; %bb.177:
	v_mov_b32_e32 v14, v1
	v_dual_mov_b32 v43, v40 :: v_dual_and_b32 v42, -8, v41
	v_dual_mov_b32 v16, 0 :: v_dual_mov_b32 v13, v0
	s_mov_b32 s7, 0
	s_mov_b32 s8, 0
.LBB595_178:                            ; =>This Inner Loop Header: Depth=1
	s_delay_alu instid0(VALU_DEP_1) | instskip(NEXT) | instid1(VALU_DEP_2)
	v_dual_mov_b32 v15, v13 :: v_dual_add_nc_u32 v50, 0x100, v14
	v_dual_mov_b32 v63, v16 :: v_dual_add_nc_u32 v42, -8, v42
	v_dual_mov_b32 v51, v16 :: v_dual_add_nc_u32 v52, 0x200, v14
	s_delay_alu instid0(VALU_DEP_3) | instskip(SKIP_1) | instid1(VALU_DEP_4)
	v_lshlrev_b64 v[64:65], 1, v[15:16]
	v_dual_mov_b32 v53, v16 :: v_dual_add_nc_u32 v54, 0x300, v14
	v_cmp_eq_u32_e64 s1, 0, v42
	s_delay_alu instid0(VALU_DEP_4)
	v_lshlrev_b64 v[50:51], 1, v[50:51]
	v_dual_mov_b32 v55, v16 :: v_dual_add_nc_u32 v56, 0x400, v14
	s_add_i32 s8, s8, 16
	v_lshlrev_b64 v[52:53], 1, v[52:53]
	s_or_b32 s7, s1, s7
	v_add_co_u32 v64, s1, v33, v64
	v_dual_mov_b32 v57, v16 :: v_dual_add_nc_u32 v58, 0x500, v14
	v_add_co_ci_u32_e64 v65, s1, v37, v65, s1
	v_lshlrev_b64 v[54:55], 1, v[54:55]
	v_add_co_u32 v50, s1, v33, v50
	v_dual_mov_b32 v59, v16 :: v_dual_add_nc_u32 v60, 0x600, v14
	v_add_co_ci_u32_e64 v51, s1, v37, v51, s1
	v_lshlrev_b64 v[56:57], 1, v[56:57]
	;; [unrolled: 4-line block ×3, first 2 shown]
	v_add_co_u32 v54, s1, v33, v54
	v_mov_b32_e32 v15, v14
	v_add_co_ci_u32_e64 v55, s1, v37, v55, s1
	v_lshlrev_b64 v[60:61], 1, v[60:61]
	v_add_co_u32 v56, s1, v33, v56
	ds_load_u16 v1, v43
	ds_load_u16 v70, v43 offset:256
	ds_load_u16 v71, v43 offset:512
	;; [unrolled: 1-line block ×7, first 2 shown]
	v_add_co_ci_u32_e64 v57, s1, v37, v57, s1
	v_lshlrev_b64 v[62:63], 1, v[62:63]
	v_add_co_u32 v58, s1, v33, v58
	v_lshlrev_b64 v[66:67], 1, v[15:16]
	v_add_nc_u32_e32 v15, 0x100, v13
	v_add_co_ci_u32_e64 v59, s1, v37, v59, s1
	v_add_co_u32 v60, s1, v33, v60
	s_delay_alu instid0(VALU_DEP_1)
	v_add_co_ci_u32_e64 v61, s1, v37, v61, s1
	v_add_co_u32 v62, s1, v33, v62
	v_lshlrev_b64 v[68:69], 1, v[15:16]
	v_add_nc_u32_e32 v15, 0x200, v13
	v_add_co_ci_u32_e64 v63, s1, v37, v63, s1
	v_add_co_u32 v66, s1, v33, v66
	ds_load_u16 v77, v43 offset:2048
	ds_load_u16 v78, v43 offset:2304
	;; [unrolled: 1-line block ×8, first 2 shown]
	v_add_co_ci_u32_e64 v67, s1, v37, v67, s1
	s_waitcnt lgkmcnt(15)
	global_store_b16 v[64:65], v1, off
	v_lshlrev_b64 v[64:65], 1, v[15:16]
	v_add_nc_u32_e32 v15, 0x300, v13
	v_add_co_u32 v68, s1, v33, v68
	s_delay_alu instid0(VALU_DEP_1)
	v_add_co_ci_u32_e64 v69, s1, v37, v69, s1
	s_waitcnt lgkmcnt(14)
	global_store_b16 v[66:67], v70, off
	v_lshlrev_b64 v[66:67], 1, v[15:16]
	v_add_nc_u32_e32 v15, 0x400, v13
	s_waitcnt lgkmcnt(13)
	global_store_b16 v[68:69], v71, off
	s_waitcnt lgkmcnt(12)
	global_store_b16 v[50:51], v72, off
	v_add_co_u32 v50, s1, v33, v64
	s_delay_alu instid0(VALU_DEP_1) | instskip(SKIP_3) | instid1(VALU_DEP_1)
	v_add_co_ci_u32_e64 v51, s1, v37, v65, s1
	v_lshlrev_b64 v[64:65], 1, v[15:16]
	v_add_nc_u32_e32 v15, 0x500, v13
	v_add_co_u32 v66, s1, v33, v66
	v_add_co_ci_u32_e64 v67, s1, v37, v67, s1
	s_waitcnt lgkmcnt(11)
	global_store_b16 v[50:51], v73, off
	s_waitcnt lgkmcnt(10)
	global_store_b16 v[52:53], v74, off
	v_lshlrev_b64 v[50:51], 1, v[15:16]
	v_add_nc_u32_e32 v15, 0x600, v13
	v_add_co_u32 v52, s1, v33, v64
	s_waitcnt lgkmcnt(9)
	global_store_b16 v[66:67], v75, off
	s_waitcnt lgkmcnt(8)
	global_store_b16 v[54:55], v76, off
	v_add_co_ci_u32_e64 v53, s1, v37, v65, s1
	v_lshlrev_b64 v[54:55], 1, v[15:16]
	v_add_nc_u32_e32 v15, 0x700, v13
	v_add_co_u32 v50, s1, v33, v50
	s_delay_alu instid0(VALU_DEP_1)
	v_add_co_ci_u32_e64 v51, s1, v37, v51, s1
	s_waitcnt lgkmcnt(7)
	global_store_b16 v[52:53], v77, off
	s_waitcnt lgkmcnt(6)
	global_store_b16 v[56:57], v78, off
	v_lshlrev_b64 v[52:53], 1, v[15:16]
	v_add_nc_u32_e32 v43, 0x1000, v43
	s_waitcnt lgkmcnt(5)
	global_store_b16 v[50:51], v79, off
	v_add_co_u32 v50, s1, v33, v54
	v_dual_mov_b32 v49, s8 :: v_dual_add_nc_u32 v14, 0x800, v14
	v_add_nc_u32_e32 v13, 0x800, v13
	v_add_co_ci_u32_e64 v51, s1, v37, v55, s1
	v_add_co_u32 v52, s1, v33, v52
	s_delay_alu instid0(VALU_DEP_1)
	v_add_co_ci_u32_e64 v53, s1, v37, v53, s1
	s_waitcnt lgkmcnt(4)
	global_store_b16 v[58:59], v80, off
	s_waitcnt lgkmcnt(3)
	global_store_b16 v[50:51], v81, off
	s_waitcnt lgkmcnt(2)
	global_store_b16 v[60:61], v82, off
	s_waitcnt lgkmcnt(1)
	global_store_b16 v[52:53], v83, off
	s_waitcnt lgkmcnt(0)
	global_store_b16 v[62:63], v84, off
	s_and_not1_b32 exec_lo, exec_lo, s7
	s_cbranch_execnz .LBB595_178
; %bb.179:
	s_or_b32 exec_lo, exec_lo, s7
.LBB595_180:
	s_delay_alu instid0(SALU_CYCLE_1) | instskip(SKIP_3) | instid1(VALU_DEP_1)
	s_or_b32 exec_lo, exec_lo, s3
	v_and_b32_e32 v1, 7, v41
	s_mov_b32 s8, 0
	s_mov_b32 s7, exec_lo
	v_cmpx_ne_u32_e32 0, v1
	s_cbranch_execz .LBB595_183
; %bb.181:
	v_lshl_or_b32 v40, v49, 8, v40
	v_mov_b32_e32 v16, 0
	s_set_inst_prefetch_distance 0x1
	.p2align	6
.LBB595_182:                            ; =>This Inner Loop Header: Depth=1
	v_mov_b32_e32 v15, v13
	ds_load_u16 v43, v40
	ds_load_u16 v51, v40 offset:256
	v_add_nc_u32_e32 v40, 0x200, v40
	v_add_nc_u32_e32 v1, -1, v1
	v_add_nc_u32_e32 v13, 0x100, v13
	v_lshlrev_b64 v[41:42], 1, v[15:16]
	v_dual_mov_b32 v15, v14 :: v_dual_add_nc_u32 v14, 0x100, v14
	s_delay_alu instid0(VALU_DEP_4) | instskip(NEXT) | instid1(VALU_DEP_2)
	v_cmp_eq_u32_e64 s1, 0, v1
	v_lshlrev_b64 v[49:50], 1, v[15:16]
	s_delay_alu instid0(VALU_DEP_4) | instskip(NEXT) | instid1(VALU_DEP_1)
	v_add_co_u32 v41, s3, v33, v41
	v_add_co_ci_u32_e64 v42, s3, v37, v42, s3
	s_delay_alu instid0(VALU_DEP_4) | instskip(NEXT) | instid1(VALU_DEP_3)
	s_or_b32 s8, s1, s8
	v_add_co_u32 v49, s3, v33, v49
	s_delay_alu instid0(VALU_DEP_1)
	v_add_co_ci_u32_e64 v50, s3, v37, v50, s3
	s_waitcnt lgkmcnt(1)
	global_store_b16 v[41:42], v43, off
	s_waitcnt lgkmcnt(0)
	global_store_b16 v[49:50], v51, off
	s_and_not1_b32 exec_lo, exec_lo, s8
	s_cbranch_execnz .LBB595_182
.LBB595_183:
	s_set_inst_prefetch_distance 0x2
	s_or_b32 exec_lo, exec_lo, s7
	v_add_nc_u32_e32 v1, 1, v38
	s_delay_alu instid0(VALU_DEP_1) | instskip(NEXT) | instid1(VALU_DEP_1)
	v_and_b32_e32 v13, 0x3fffffe, v1
	v_cmp_ne_u32_e64 s1, v1, v13
	v_lshl_or_b32 v13, v13, 7, v0
	s_delay_alu instid0(VALU_DEP_2)
	s_or_not1_b32 s3, s1, exec_lo
.LBB595_184:
	s_or_b32 exec_lo, exec_lo, s6
	s_delay_alu instid0(SALU_CYCLE_1) | instskip(SKIP_1) | instid1(SALU_CYCLE_1)
	s_and_not1_b32 s1, vcc_lo, exec_lo
	s_and_b32 s3, s3, exec_lo
	s_or_b32 vcc_lo, s1, s3
.LBB595_185:
	s_or_b32 exec_lo, exec_lo, s5
	s_delay_alu instid0(SALU_CYCLE_1)
	s_and_b32 exec_lo, exec_lo, vcc_lo
	s_cbranch_execz .LBB595_188
; %bb.186:
	v_dual_mov_b32 v14, 0 :: v_dual_lshlrev_b32 v1, 1, v13
	s_mov_b32 s3, 0
	.p2align	6
.LBB595_187:                            ; =>This Inner Loop Header: Depth=1
	ds_load_u16 v38, v1
	v_lshlrev_b64 v[15:16], 1, v[13:14]
	v_add_nc_u32_e32 v13, 0x80, v13
	v_add_nc_u32_e32 v1, 0x100, v1
	s_delay_alu instid0(VALU_DEP_2) | instskip(NEXT) | instid1(VALU_DEP_4)
	v_cmp_ge_u32_e32 vcc_lo, v13, v17
	v_add_co_u32 v15, s1, v33, v15
	s_delay_alu instid0(VALU_DEP_1)
	v_add_co_ci_u32_e64 v16, s1, v37, v16, s1
	s_or_b32 s3, vcc_lo, s3
	s_waitcnt lgkmcnt(0)
	global_store_b16 v[15:16], v38, off
	s_and_not1_b32 exec_lo, exec_lo, s3
	s_cbranch_execnz .LBB595_187
.LBB595_188:
	s_or_b32 exec_lo, exec_lo, s4
.LBB595_189:
	s_delay_alu instid0(SALU_CYCLE_1)
	s_and_b32 vcc_lo, exec_lo, s0
	s_mov_b32 s0, -1
	s_waitcnt_vscnt null, 0x0
	s_barrier
	buffer_gl0_inv
	s_cbranch_vccnz .LBB595_193
; %bb.190:
	s_and_b32 vcc_lo, exec_lo, s0
	s_cbranch_vccnz .LBB595_227
.LBB595_191:
	s_and_b32 s0, s2, s22
	s_delay_alu instid0(SALU_CYCLE_1)
	s_and_saveexec_b32 s1, s0
	s_cbranch_execnz .LBB595_253
.LBB595_192:
	s_nop 0
	s_sendmsg sendmsg(MSG_DEALLOC_VGPRS)
	s_endpgm
.LBB595_193:
	v_cmp_lt_u32_e32 vcc_lo, v2, v48
	s_lshl_b64 s[0:1], s[14:15], 2
	s_delay_alu instid0(SALU_CYCLE_1) | instskip(SKIP_2) | instid1(SALU_CYCLE_1)
	s_add_u32 s0, s18, s0
	s_addc_u32 s1, s19, s1
	s_or_b32 s4, s23, vcc_lo
	s_and_saveexec_b32 s3, s4
	s_cbranch_execz .LBB595_196
; %bb.194:
	v_cmp_eq_u32_e32 vcc_lo, 1, v30
	s_and_b32 exec_lo, exec_lo, vcc_lo
	s_cbranch_execz .LBB595_196
; %bb.195:
	v_dual_mov_b32 v14, 0 :: v_dual_mov_b32 v13, v2
	s_delay_alu instid0(VALU_DEP_1) | instskip(NEXT) | instid1(VALU_DEP_1)
	v_lshlrev_b64 v[13:14], 2, v[13:14]
	v_add_co_u32 v13, vcc_lo, s0, v13
	s_delay_alu instid0(VALU_DEP_2)
	v_add_co_ci_u32_e32 v14, vcc_lo, s1, v14, vcc_lo
	global_store_b32 v[13:14], v28, off
.LBB595_196:
	s_or_b32 exec_lo, exec_lo, s3
	v_cmp_lt_u32_e32 vcc_lo, v3, v48
	s_or_b32 s4, s23, vcc_lo
	s_delay_alu instid0(SALU_CYCLE_1)
	s_and_saveexec_b32 s3, s4
	s_cbranch_execz .LBB595_199
; %bb.197:
	v_and_b32_e32 v1, 1, v47
	s_delay_alu instid0(VALU_DEP_1)
	v_cmp_eq_u32_e32 vcc_lo, 1, v1
	s_and_b32 exec_lo, exec_lo, vcc_lo
	s_cbranch_execz .LBB595_199
; %bb.198:
	v_dual_mov_b32 v14, 0 :: v_dual_mov_b32 v13, v3
	s_delay_alu instid0(VALU_DEP_1) | instskip(NEXT) | instid1(VALU_DEP_1)
	v_lshlrev_b64 v[13:14], 2, v[13:14]
	v_add_co_u32 v13, vcc_lo, s0, v13
	s_delay_alu instid0(VALU_DEP_2)
	v_add_co_ci_u32_e32 v14, vcc_lo, s1, v14, vcc_lo
	global_store_b32 v[13:14], v29, off
.LBB595_199:
	s_or_b32 exec_lo, exec_lo, s3
	v_cmp_lt_u32_e32 vcc_lo, v4, v48
	s_or_b32 s4, s23, vcc_lo
	s_delay_alu instid0(SALU_CYCLE_1)
	s_and_saveexec_b32 s3, s4
	s_cbranch_execz .LBB595_202
; %bb.200:
	v_and_b32_e32 v1, 1, v46
	s_delay_alu instid0(VALU_DEP_1)
	v_cmp_eq_u32_e32 vcc_lo, 1, v1
	s_and_b32 exec_lo, exec_lo, vcc_lo
	s_cbranch_execz .LBB595_202
; %bb.201:
	v_dual_mov_b32 v14, 0 :: v_dual_mov_b32 v13, v4
	s_delay_alu instid0(VALU_DEP_1) | instskip(NEXT) | instid1(VALU_DEP_1)
	v_lshlrev_b64 v[13:14], 2, v[13:14]
	v_add_co_u32 v13, vcc_lo, s0, v13
	s_delay_alu instid0(VALU_DEP_2)
	v_add_co_ci_u32_e32 v14, vcc_lo, s1, v14, vcc_lo
	global_store_b32 v[13:14], v26, off
.LBB595_202:
	;; [unrolled: 21-line block ×10, first 2 shown]
	s_or_b32 exec_lo, exec_lo, s3
	s_branch .LBB595_191
.LBB595_227:
	s_mov_b32 s0, exec_lo
	v_cmpx_eq_u32_e32 1, v30
	s_cbranch_execz .LBB595_229
; %bb.228:
	v_sub_nc_u32_e32 v1, v2, v32
	s_delay_alu instid0(VALU_DEP_1)
	v_lshlrev_b32_e32 v1, 2, v1
	ds_store_b32 v1, v28
.LBB595_229:
	s_or_b32 exec_lo, exec_lo, s0
	v_and_b32_e32 v1, 1, v47
	s_mov_b32 s0, exec_lo
	s_delay_alu instid0(VALU_DEP_1)
	v_cmpx_eq_u32_e32 1, v1
	s_cbranch_execz .LBB595_231
; %bb.230:
	v_sub_nc_u32_e32 v1, v3, v32
	s_delay_alu instid0(VALU_DEP_1)
	v_lshlrev_b32_e32 v1, 2, v1
	ds_store_b32 v1, v29
.LBB595_231:
	s_or_b32 exec_lo, exec_lo, s0
	v_and_b32_e32 v1, 1, v46
	s_mov_b32 s0, exec_lo
	s_delay_alu instid0(VALU_DEP_1)
	;; [unrolled: 12-line block ×10, first 2 shown]
	v_cmpx_eq_u32_e32 1, v1
	s_cbranch_execz .LBB595_249
; %bb.248:
	v_sub_nc_u32_e32 v1, v12, v32
	s_delay_alu instid0(VALU_DEP_1)
	v_lshlrev_b32_e32 v1, 2, v1
	ds_store_b32 v1, v36
.LBB595_249:
	s_or_b32 exec_lo, exec_lo, s0
	s_delay_alu instid0(SALU_CYCLE_1)
	s_mov_b32 s1, exec_lo
	s_waitcnt lgkmcnt(0)
	s_waitcnt_vscnt null, 0x0
	s_barrier
	buffer_gl0_inv
	v_cmpx_lt_u32_e64 v0, v17
	s_cbranch_execz .LBB595_252
; %bb.250:
	v_dual_mov_b32 v1, 0 :: v_dual_lshlrev_b32 v4, 2, v0
	s_lshl_b64 s[4:5], s[14:15], 2
	s_delay_alu instid0(SALU_CYCLE_1) | instskip(NEXT) | instid1(VALU_DEP_1)
	s_add_u32 s0, s18, s4
	v_mov_b32_e32 v33, v1
	s_addc_u32 s3, s19, s5
	s_delay_alu instid0(VALU_DEP_1) | instskip(NEXT) | instid1(VALU_DEP_1)
	v_lshlrev_b64 v[2:3], 2, v[32:33]
	v_add_co_u32 v2, vcc_lo, s0, v2
	s_delay_alu instid0(VALU_DEP_2)
	v_add_co_ci_u32_e32 v3, vcc_lo, s3, v3, vcc_lo
	s_mov_b32 s3, 0
	.p2align	6
.LBB595_251:                            ; =>This Inner Loop Header: Depth=1
	ds_load_b32 v7, v4
	v_lshlrev_b64 v[5:6], 2, v[0:1]
	v_add_nc_u32_e32 v0, 0x80, v0
	v_add_nc_u32_e32 v4, 0x200, v4
	s_delay_alu instid0(VALU_DEP_2) | instskip(NEXT) | instid1(VALU_DEP_4)
	v_cmp_ge_u32_e32 vcc_lo, v0, v17
	v_add_co_u32 v5, s0, v2, v5
	s_delay_alu instid0(VALU_DEP_1)
	v_add_co_ci_u32_e64 v6, s0, v3, v6, s0
	s_or_b32 s3, vcc_lo, s3
	s_waitcnt lgkmcnt(0)
	global_store_b32 v[5:6], v7, off
	s_and_not1_b32 exec_lo, exec_lo, s3
	s_cbranch_execnz .LBB595_251
.LBB595_252:
	s_or_b32 exec_lo, exec_lo, s1
	s_and_b32 s0, s2, s22
	s_delay_alu instid0(SALU_CYCLE_1)
	s_and_saveexec_b32 s1, s0
	s_cbranch_execz .LBB595_192
.LBB595_253:
	v_add_co_u32 v0, s0, s14, v17
	s_delay_alu instid0(VALU_DEP_1) | instskip(SKIP_1) | instid1(VALU_DEP_3)
	v_add_co_ci_u32_e64 v1, null, s15, 0, s0
	v_mov_b32_e32 v2, 0
	v_add_co_u32 v0, vcc_lo, v0, v32
	s_delay_alu instid0(VALU_DEP_3)
	v_add_co_ci_u32_e32 v1, vcc_lo, 0, v1, vcc_lo
	global_store_b64 v2, v[0:1], s[12:13]
	s_nop 0
	s_sendmsg sendmsg(MSG_DEALLOC_VGPRS)
	s_endpgm
.LBB595_254:
	s_or_b32 exec_lo, exec_lo, s1
	s_and_saveexec_b32 s1, s28
	s_cbranch_execnz .LBB595_76
	s_branch .LBB595_77
	.section	.rodata,"a",@progbits
	.p2align	6, 0x0
	.amdhsa_kernel _ZN7rocprim17ROCPRIM_400000_NS6detail17trampoline_kernelINS0_14default_configENS1_25partition_config_selectorILNS1_17partition_subalgoE9EtjbEEZZNS1_14partition_implILS5_9ELb0ES3_jN6thrust23THRUST_200600_302600_NS6detail15normal_iteratorINS9_10device_ptrItEEEENSB_INSC_IjEEEEPNS0_10empty_typeENS0_5tupleIJSE_SH_EEENSJ_IJSG_SI_EEENS0_18inequality_wrapperINS9_8equal_toItEEEEPmJSH_EEE10hipError_tPvRmT3_T4_T5_T6_T7_T9_mT8_P12ihipStream_tbDpT10_ENKUlT_T0_E_clISt17integral_constantIbLb0EES19_IbLb1EEEEDaS15_S16_EUlS15_E_NS1_11comp_targetILNS1_3genE9ELNS1_11target_archE1100ELNS1_3gpuE3ELNS1_3repE0EEENS1_30default_config_static_selectorELNS0_4arch9wavefront6targetE0EEEvT1_
		.amdhsa_group_segment_fixed_size 5640
		.amdhsa_private_segment_fixed_size 0
		.amdhsa_kernarg_size 128
		.amdhsa_user_sgpr_count 15
		.amdhsa_user_sgpr_dispatch_ptr 0
		.amdhsa_user_sgpr_queue_ptr 0
		.amdhsa_user_sgpr_kernarg_segment_ptr 1
		.amdhsa_user_sgpr_dispatch_id 0
		.amdhsa_user_sgpr_private_segment_size 0
		.amdhsa_wavefront_size32 1
		.amdhsa_uses_dynamic_stack 0
		.amdhsa_enable_private_segment 0
		.amdhsa_system_sgpr_workgroup_id_x 1
		.amdhsa_system_sgpr_workgroup_id_y 0
		.amdhsa_system_sgpr_workgroup_id_z 0
		.amdhsa_system_sgpr_workgroup_info 0
		.amdhsa_system_vgpr_workitem_id 0
		.amdhsa_next_free_vgpr 85
		.amdhsa_next_free_sgpr 30
		.amdhsa_reserve_vcc 1
		.amdhsa_float_round_mode_32 0
		.amdhsa_float_round_mode_16_64 0
		.amdhsa_float_denorm_mode_32 3
		.amdhsa_float_denorm_mode_16_64 3
		.amdhsa_dx10_clamp 1
		.amdhsa_ieee_mode 1
		.amdhsa_fp16_overflow 0
		.amdhsa_workgroup_processor_mode 1
		.amdhsa_memory_ordered 1
		.amdhsa_forward_progress 0
		.amdhsa_shared_vgpr_count 0
		.amdhsa_exception_fp_ieee_invalid_op 0
		.amdhsa_exception_fp_denorm_src 0
		.amdhsa_exception_fp_ieee_div_zero 0
		.amdhsa_exception_fp_ieee_overflow 0
		.amdhsa_exception_fp_ieee_underflow 0
		.amdhsa_exception_fp_ieee_inexact 0
		.amdhsa_exception_int_div_zero 0
	.end_amdhsa_kernel
	.section	.text._ZN7rocprim17ROCPRIM_400000_NS6detail17trampoline_kernelINS0_14default_configENS1_25partition_config_selectorILNS1_17partition_subalgoE9EtjbEEZZNS1_14partition_implILS5_9ELb0ES3_jN6thrust23THRUST_200600_302600_NS6detail15normal_iteratorINS9_10device_ptrItEEEENSB_INSC_IjEEEEPNS0_10empty_typeENS0_5tupleIJSE_SH_EEENSJ_IJSG_SI_EEENS0_18inequality_wrapperINS9_8equal_toItEEEEPmJSH_EEE10hipError_tPvRmT3_T4_T5_T6_T7_T9_mT8_P12ihipStream_tbDpT10_ENKUlT_T0_E_clISt17integral_constantIbLb0EES19_IbLb1EEEEDaS15_S16_EUlS15_E_NS1_11comp_targetILNS1_3genE9ELNS1_11target_archE1100ELNS1_3gpuE3ELNS1_3repE0EEENS1_30default_config_static_selectorELNS0_4arch9wavefront6targetE0EEEvT1_,"axG",@progbits,_ZN7rocprim17ROCPRIM_400000_NS6detail17trampoline_kernelINS0_14default_configENS1_25partition_config_selectorILNS1_17partition_subalgoE9EtjbEEZZNS1_14partition_implILS5_9ELb0ES3_jN6thrust23THRUST_200600_302600_NS6detail15normal_iteratorINS9_10device_ptrItEEEENSB_INSC_IjEEEEPNS0_10empty_typeENS0_5tupleIJSE_SH_EEENSJ_IJSG_SI_EEENS0_18inequality_wrapperINS9_8equal_toItEEEEPmJSH_EEE10hipError_tPvRmT3_T4_T5_T6_T7_T9_mT8_P12ihipStream_tbDpT10_ENKUlT_T0_E_clISt17integral_constantIbLb0EES19_IbLb1EEEEDaS15_S16_EUlS15_E_NS1_11comp_targetILNS1_3genE9ELNS1_11target_archE1100ELNS1_3gpuE3ELNS1_3repE0EEENS1_30default_config_static_selectorELNS0_4arch9wavefront6targetE0EEEvT1_,comdat
.Lfunc_end595:
	.size	_ZN7rocprim17ROCPRIM_400000_NS6detail17trampoline_kernelINS0_14default_configENS1_25partition_config_selectorILNS1_17partition_subalgoE9EtjbEEZZNS1_14partition_implILS5_9ELb0ES3_jN6thrust23THRUST_200600_302600_NS6detail15normal_iteratorINS9_10device_ptrItEEEENSB_INSC_IjEEEEPNS0_10empty_typeENS0_5tupleIJSE_SH_EEENSJ_IJSG_SI_EEENS0_18inequality_wrapperINS9_8equal_toItEEEEPmJSH_EEE10hipError_tPvRmT3_T4_T5_T6_T7_T9_mT8_P12ihipStream_tbDpT10_ENKUlT_T0_E_clISt17integral_constantIbLb0EES19_IbLb1EEEEDaS15_S16_EUlS15_E_NS1_11comp_targetILNS1_3genE9ELNS1_11target_archE1100ELNS1_3gpuE3ELNS1_3repE0EEENS1_30default_config_static_selectorELNS0_4arch9wavefront6targetE0EEEvT1_, .Lfunc_end595-_ZN7rocprim17ROCPRIM_400000_NS6detail17trampoline_kernelINS0_14default_configENS1_25partition_config_selectorILNS1_17partition_subalgoE9EtjbEEZZNS1_14partition_implILS5_9ELb0ES3_jN6thrust23THRUST_200600_302600_NS6detail15normal_iteratorINS9_10device_ptrItEEEENSB_INSC_IjEEEEPNS0_10empty_typeENS0_5tupleIJSE_SH_EEENSJ_IJSG_SI_EEENS0_18inequality_wrapperINS9_8equal_toItEEEEPmJSH_EEE10hipError_tPvRmT3_T4_T5_T6_T7_T9_mT8_P12ihipStream_tbDpT10_ENKUlT_T0_E_clISt17integral_constantIbLb0EES19_IbLb1EEEEDaS15_S16_EUlS15_E_NS1_11comp_targetILNS1_3genE9ELNS1_11target_archE1100ELNS1_3gpuE3ELNS1_3repE0EEENS1_30default_config_static_selectorELNS0_4arch9wavefront6targetE0EEEvT1_
                                        ; -- End function
	.section	.AMDGPU.csdata,"",@progbits
; Kernel info:
; codeLenInByte = 12000
; NumSgprs: 32
; NumVgprs: 85
; ScratchSize: 0
; MemoryBound: 0
; FloatMode: 240
; IeeeMode: 1
; LDSByteSize: 5640 bytes/workgroup (compile time only)
; SGPRBlocks: 3
; VGPRBlocks: 10
; NumSGPRsForWavesPerEU: 32
; NumVGPRsForWavesPerEU: 85
; Occupancy: 16
; WaveLimiterHint : 1
; COMPUTE_PGM_RSRC2:SCRATCH_EN: 0
; COMPUTE_PGM_RSRC2:USER_SGPR: 15
; COMPUTE_PGM_RSRC2:TRAP_HANDLER: 0
; COMPUTE_PGM_RSRC2:TGID_X_EN: 1
; COMPUTE_PGM_RSRC2:TGID_Y_EN: 0
; COMPUTE_PGM_RSRC2:TGID_Z_EN: 0
; COMPUTE_PGM_RSRC2:TIDIG_COMP_CNT: 0
	.section	.text._ZN7rocprim17ROCPRIM_400000_NS6detail17trampoline_kernelINS0_14default_configENS1_25partition_config_selectorILNS1_17partition_subalgoE9EtjbEEZZNS1_14partition_implILS5_9ELb0ES3_jN6thrust23THRUST_200600_302600_NS6detail15normal_iteratorINS9_10device_ptrItEEEENSB_INSC_IjEEEEPNS0_10empty_typeENS0_5tupleIJSE_SH_EEENSJ_IJSG_SI_EEENS0_18inequality_wrapperINS9_8equal_toItEEEEPmJSH_EEE10hipError_tPvRmT3_T4_T5_T6_T7_T9_mT8_P12ihipStream_tbDpT10_ENKUlT_T0_E_clISt17integral_constantIbLb0EES19_IbLb1EEEEDaS15_S16_EUlS15_E_NS1_11comp_targetILNS1_3genE8ELNS1_11target_archE1030ELNS1_3gpuE2ELNS1_3repE0EEENS1_30default_config_static_selectorELNS0_4arch9wavefront6targetE0EEEvT1_,"axG",@progbits,_ZN7rocprim17ROCPRIM_400000_NS6detail17trampoline_kernelINS0_14default_configENS1_25partition_config_selectorILNS1_17partition_subalgoE9EtjbEEZZNS1_14partition_implILS5_9ELb0ES3_jN6thrust23THRUST_200600_302600_NS6detail15normal_iteratorINS9_10device_ptrItEEEENSB_INSC_IjEEEEPNS0_10empty_typeENS0_5tupleIJSE_SH_EEENSJ_IJSG_SI_EEENS0_18inequality_wrapperINS9_8equal_toItEEEEPmJSH_EEE10hipError_tPvRmT3_T4_T5_T6_T7_T9_mT8_P12ihipStream_tbDpT10_ENKUlT_T0_E_clISt17integral_constantIbLb0EES19_IbLb1EEEEDaS15_S16_EUlS15_E_NS1_11comp_targetILNS1_3genE8ELNS1_11target_archE1030ELNS1_3gpuE2ELNS1_3repE0EEENS1_30default_config_static_selectorELNS0_4arch9wavefront6targetE0EEEvT1_,comdat
	.protected	_ZN7rocprim17ROCPRIM_400000_NS6detail17trampoline_kernelINS0_14default_configENS1_25partition_config_selectorILNS1_17partition_subalgoE9EtjbEEZZNS1_14partition_implILS5_9ELb0ES3_jN6thrust23THRUST_200600_302600_NS6detail15normal_iteratorINS9_10device_ptrItEEEENSB_INSC_IjEEEEPNS0_10empty_typeENS0_5tupleIJSE_SH_EEENSJ_IJSG_SI_EEENS0_18inequality_wrapperINS9_8equal_toItEEEEPmJSH_EEE10hipError_tPvRmT3_T4_T5_T6_T7_T9_mT8_P12ihipStream_tbDpT10_ENKUlT_T0_E_clISt17integral_constantIbLb0EES19_IbLb1EEEEDaS15_S16_EUlS15_E_NS1_11comp_targetILNS1_3genE8ELNS1_11target_archE1030ELNS1_3gpuE2ELNS1_3repE0EEENS1_30default_config_static_selectorELNS0_4arch9wavefront6targetE0EEEvT1_ ; -- Begin function _ZN7rocprim17ROCPRIM_400000_NS6detail17trampoline_kernelINS0_14default_configENS1_25partition_config_selectorILNS1_17partition_subalgoE9EtjbEEZZNS1_14partition_implILS5_9ELb0ES3_jN6thrust23THRUST_200600_302600_NS6detail15normal_iteratorINS9_10device_ptrItEEEENSB_INSC_IjEEEEPNS0_10empty_typeENS0_5tupleIJSE_SH_EEENSJ_IJSG_SI_EEENS0_18inequality_wrapperINS9_8equal_toItEEEEPmJSH_EEE10hipError_tPvRmT3_T4_T5_T6_T7_T9_mT8_P12ihipStream_tbDpT10_ENKUlT_T0_E_clISt17integral_constantIbLb0EES19_IbLb1EEEEDaS15_S16_EUlS15_E_NS1_11comp_targetILNS1_3genE8ELNS1_11target_archE1030ELNS1_3gpuE2ELNS1_3repE0EEENS1_30default_config_static_selectorELNS0_4arch9wavefront6targetE0EEEvT1_
	.globl	_ZN7rocprim17ROCPRIM_400000_NS6detail17trampoline_kernelINS0_14default_configENS1_25partition_config_selectorILNS1_17partition_subalgoE9EtjbEEZZNS1_14partition_implILS5_9ELb0ES3_jN6thrust23THRUST_200600_302600_NS6detail15normal_iteratorINS9_10device_ptrItEEEENSB_INSC_IjEEEEPNS0_10empty_typeENS0_5tupleIJSE_SH_EEENSJ_IJSG_SI_EEENS0_18inequality_wrapperINS9_8equal_toItEEEEPmJSH_EEE10hipError_tPvRmT3_T4_T5_T6_T7_T9_mT8_P12ihipStream_tbDpT10_ENKUlT_T0_E_clISt17integral_constantIbLb0EES19_IbLb1EEEEDaS15_S16_EUlS15_E_NS1_11comp_targetILNS1_3genE8ELNS1_11target_archE1030ELNS1_3gpuE2ELNS1_3repE0EEENS1_30default_config_static_selectorELNS0_4arch9wavefront6targetE0EEEvT1_
	.p2align	8
	.type	_ZN7rocprim17ROCPRIM_400000_NS6detail17trampoline_kernelINS0_14default_configENS1_25partition_config_selectorILNS1_17partition_subalgoE9EtjbEEZZNS1_14partition_implILS5_9ELb0ES3_jN6thrust23THRUST_200600_302600_NS6detail15normal_iteratorINS9_10device_ptrItEEEENSB_INSC_IjEEEEPNS0_10empty_typeENS0_5tupleIJSE_SH_EEENSJ_IJSG_SI_EEENS0_18inequality_wrapperINS9_8equal_toItEEEEPmJSH_EEE10hipError_tPvRmT3_T4_T5_T6_T7_T9_mT8_P12ihipStream_tbDpT10_ENKUlT_T0_E_clISt17integral_constantIbLb0EES19_IbLb1EEEEDaS15_S16_EUlS15_E_NS1_11comp_targetILNS1_3genE8ELNS1_11target_archE1030ELNS1_3gpuE2ELNS1_3repE0EEENS1_30default_config_static_selectorELNS0_4arch9wavefront6targetE0EEEvT1_,@function
_ZN7rocprim17ROCPRIM_400000_NS6detail17trampoline_kernelINS0_14default_configENS1_25partition_config_selectorILNS1_17partition_subalgoE9EtjbEEZZNS1_14partition_implILS5_9ELb0ES3_jN6thrust23THRUST_200600_302600_NS6detail15normal_iteratorINS9_10device_ptrItEEEENSB_INSC_IjEEEEPNS0_10empty_typeENS0_5tupleIJSE_SH_EEENSJ_IJSG_SI_EEENS0_18inequality_wrapperINS9_8equal_toItEEEEPmJSH_EEE10hipError_tPvRmT3_T4_T5_T6_T7_T9_mT8_P12ihipStream_tbDpT10_ENKUlT_T0_E_clISt17integral_constantIbLb0EES19_IbLb1EEEEDaS15_S16_EUlS15_E_NS1_11comp_targetILNS1_3genE8ELNS1_11target_archE1030ELNS1_3gpuE2ELNS1_3repE0EEENS1_30default_config_static_selectorELNS0_4arch9wavefront6targetE0EEEvT1_: ; @_ZN7rocprim17ROCPRIM_400000_NS6detail17trampoline_kernelINS0_14default_configENS1_25partition_config_selectorILNS1_17partition_subalgoE9EtjbEEZZNS1_14partition_implILS5_9ELb0ES3_jN6thrust23THRUST_200600_302600_NS6detail15normal_iteratorINS9_10device_ptrItEEEENSB_INSC_IjEEEEPNS0_10empty_typeENS0_5tupleIJSE_SH_EEENSJ_IJSG_SI_EEENS0_18inequality_wrapperINS9_8equal_toItEEEEPmJSH_EEE10hipError_tPvRmT3_T4_T5_T6_T7_T9_mT8_P12ihipStream_tbDpT10_ENKUlT_T0_E_clISt17integral_constantIbLb0EES19_IbLb1EEEEDaS15_S16_EUlS15_E_NS1_11comp_targetILNS1_3genE8ELNS1_11target_archE1030ELNS1_3gpuE2ELNS1_3repE0EEENS1_30default_config_static_selectorELNS0_4arch9wavefront6targetE0EEEvT1_
; %bb.0:
	.section	.rodata,"a",@progbits
	.p2align	6, 0x0
	.amdhsa_kernel _ZN7rocprim17ROCPRIM_400000_NS6detail17trampoline_kernelINS0_14default_configENS1_25partition_config_selectorILNS1_17partition_subalgoE9EtjbEEZZNS1_14partition_implILS5_9ELb0ES3_jN6thrust23THRUST_200600_302600_NS6detail15normal_iteratorINS9_10device_ptrItEEEENSB_INSC_IjEEEEPNS0_10empty_typeENS0_5tupleIJSE_SH_EEENSJ_IJSG_SI_EEENS0_18inequality_wrapperINS9_8equal_toItEEEEPmJSH_EEE10hipError_tPvRmT3_T4_T5_T6_T7_T9_mT8_P12ihipStream_tbDpT10_ENKUlT_T0_E_clISt17integral_constantIbLb0EES19_IbLb1EEEEDaS15_S16_EUlS15_E_NS1_11comp_targetILNS1_3genE8ELNS1_11target_archE1030ELNS1_3gpuE2ELNS1_3repE0EEENS1_30default_config_static_selectorELNS0_4arch9wavefront6targetE0EEEvT1_
		.amdhsa_group_segment_fixed_size 0
		.amdhsa_private_segment_fixed_size 0
		.amdhsa_kernarg_size 128
		.amdhsa_user_sgpr_count 15
		.amdhsa_user_sgpr_dispatch_ptr 0
		.amdhsa_user_sgpr_queue_ptr 0
		.amdhsa_user_sgpr_kernarg_segment_ptr 1
		.amdhsa_user_sgpr_dispatch_id 0
		.amdhsa_user_sgpr_private_segment_size 0
		.amdhsa_wavefront_size32 1
		.amdhsa_uses_dynamic_stack 0
		.amdhsa_enable_private_segment 0
		.amdhsa_system_sgpr_workgroup_id_x 1
		.amdhsa_system_sgpr_workgroup_id_y 0
		.amdhsa_system_sgpr_workgroup_id_z 0
		.amdhsa_system_sgpr_workgroup_info 0
		.amdhsa_system_vgpr_workitem_id 0
		.amdhsa_next_free_vgpr 1
		.amdhsa_next_free_sgpr 1
		.amdhsa_reserve_vcc 0
		.amdhsa_float_round_mode_32 0
		.amdhsa_float_round_mode_16_64 0
		.amdhsa_float_denorm_mode_32 3
		.amdhsa_float_denorm_mode_16_64 3
		.amdhsa_dx10_clamp 1
		.amdhsa_ieee_mode 1
		.amdhsa_fp16_overflow 0
		.amdhsa_workgroup_processor_mode 1
		.amdhsa_memory_ordered 1
		.amdhsa_forward_progress 0
		.amdhsa_shared_vgpr_count 0
		.amdhsa_exception_fp_ieee_invalid_op 0
		.amdhsa_exception_fp_denorm_src 0
		.amdhsa_exception_fp_ieee_div_zero 0
		.amdhsa_exception_fp_ieee_overflow 0
		.amdhsa_exception_fp_ieee_underflow 0
		.amdhsa_exception_fp_ieee_inexact 0
		.amdhsa_exception_int_div_zero 0
	.end_amdhsa_kernel
	.section	.text._ZN7rocprim17ROCPRIM_400000_NS6detail17trampoline_kernelINS0_14default_configENS1_25partition_config_selectorILNS1_17partition_subalgoE9EtjbEEZZNS1_14partition_implILS5_9ELb0ES3_jN6thrust23THRUST_200600_302600_NS6detail15normal_iteratorINS9_10device_ptrItEEEENSB_INSC_IjEEEEPNS0_10empty_typeENS0_5tupleIJSE_SH_EEENSJ_IJSG_SI_EEENS0_18inequality_wrapperINS9_8equal_toItEEEEPmJSH_EEE10hipError_tPvRmT3_T4_T5_T6_T7_T9_mT8_P12ihipStream_tbDpT10_ENKUlT_T0_E_clISt17integral_constantIbLb0EES19_IbLb1EEEEDaS15_S16_EUlS15_E_NS1_11comp_targetILNS1_3genE8ELNS1_11target_archE1030ELNS1_3gpuE2ELNS1_3repE0EEENS1_30default_config_static_selectorELNS0_4arch9wavefront6targetE0EEEvT1_,"axG",@progbits,_ZN7rocprim17ROCPRIM_400000_NS6detail17trampoline_kernelINS0_14default_configENS1_25partition_config_selectorILNS1_17partition_subalgoE9EtjbEEZZNS1_14partition_implILS5_9ELb0ES3_jN6thrust23THRUST_200600_302600_NS6detail15normal_iteratorINS9_10device_ptrItEEEENSB_INSC_IjEEEEPNS0_10empty_typeENS0_5tupleIJSE_SH_EEENSJ_IJSG_SI_EEENS0_18inequality_wrapperINS9_8equal_toItEEEEPmJSH_EEE10hipError_tPvRmT3_T4_T5_T6_T7_T9_mT8_P12ihipStream_tbDpT10_ENKUlT_T0_E_clISt17integral_constantIbLb0EES19_IbLb1EEEEDaS15_S16_EUlS15_E_NS1_11comp_targetILNS1_3genE8ELNS1_11target_archE1030ELNS1_3gpuE2ELNS1_3repE0EEENS1_30default_config_static_selectorELNS0_4arch9wavefront6targetE0EEEvT1_,comdat
.Lfunc_end596:
	.size	_ZN7rocprim17ROCPRIM_400000_NS6detail17trampoline_kernelINS0_14default_configENS1_25partition_config_selectorILNS1_17partition_subalgoE9EtjbEEZZNS1_14partition_implILS5_9ELb0ES3_jN6thrust23THRUST_200600_302600_NS6detail15normal_iteratorINS9_10device_ptrItEEEENSB_INSC_IjEEEEPNS0_10empty_typeENS0_5tupleIJSE_SH_EEENSJ_IJSG_SI_EEENS0_18inequality_wrapperINS9_8equal_toItEEEEPmJSH_EEE10hipError_tPvRmT3_T4_T5_T6_T7_T9_mT8_P12ihipStream_tbDpT10_ENKUlT_T0_E_clISt17integral_constantIbLb0EES19_IbLb1EEEEDaS15_S16_EUlS15_E_NS1_11comp_targetILNS1_3genE8ELNS1_11target_archE1030ELNS1_3gpuE2ELNS1_3repE0EEENS1_30default_config_static_selectorELNS0_4arch9wavefront6targetE0EEEvT1_, .Lfunc_end596-_ZN7rocprim17ROCPRIM_400000_NS6detail17trampoline_kernelINS0_14default_configENS1_25partition_config_selectorILNS1_17partition_subalgoE9EtjbEEZZNS1_14partition_implILS5_9ELb0ES3_jN6thrust23THRUST_200600_302600_NS6detail15normal_iteratorINS9_10device_ptrItEEEENSB_INSC_IjEEEEPNS0_10empty_typeENS0_5tupleIJSE_SH_EEENSJ_IJSG_SI_EEENS0_18inequality_wrapperINS9_8equal_toItEEEEPmJSH_EEE10hipError_tPvRmT3_T4_T5_T6_T7_T9_mT8_P12ihipStream_tbDpT10_ENKUlT_T0_E_clISt17integral_constantIbLb0EES19_IbLb1EEEEDaS15_S16_EUlS15_E_NS1_11comp_targetILNS1_3genE8ELNS1_11target_archE1030ELNS1_3gpuE2ELNS1_3repE0EEENS1_30default_config_static_selectorELNS0_4arch9wavefront6targetE0EEEvT1_
                                        ; -- End function
	.section	.AMDGPU.csdata,"",@progbits
; Kernel info:
; codeLenInByte = 0
; NumSgprs: 0
; NumVgprs: 0
; ScratchSize: 0
; MemoryBound: 0
; FloatMode: 240
; IeeeMode: 1
; LDSByteSize: 0 bytes/workgroup (compile time only)
; SGPRBlocks: 0
; VGPRBlocks: 0
; NumSGPRsForWavesPerEU: 1
; NumVGPRsForWavesPerEU: 1
; Occupancy: 16
; WaveLimiterHint : 0
; COMPUTE_PGM_RSRC2:SCRATCH_EN: 0
; COMPUTE_PGM_RSRC2:USER_SGPR: 15
; COMPUTE_PGM_RSRC2:TRAP_HANDLER: 0
; COMPUTE_PGM_RSRC2:TGID_X_EN: 1
; COMPUTE_PGM_RSRC2:TGID_Y_EN: 0
; COMPUTE_PGM_RSRC2:TGID_Z_EN: 0
; COMPUTE_PGM_RSRC2:TIDIG_COMP_CNT: 0
	.section	.text._ZN7rocprim17ROCPRIM_400000_NS6detail17trampoline_kernelINS0_14default_configENS1_25partition_config_selectorILNS1_17partition_subalgoE9ExjbEEZZNS1_14partition_implILS5_9ELb0ES3_jN6thrust23THRUST_200600_302600_NS6detail15normal_iteratorINS9_10device_ptrIxEEEENSB_INSC_IjEEEEPNS0_10empty_typeENS0_5tupleIJSE_SH_EEENSJ_IJSG_SI_EEENS0_18inequality_wrapperINS9_8equal_toIxEEEEPmJSH_EEE10hipError_tPvRmT3_T4_T5_T6_T7_T9_mT8_P12ihipStream_tbDpT10_ENKUlT_T0_E_clISt17integral_constantIbLb0EES1A_EEDaS15_S16_EUlS15_E_NS1_11comp_targetILNS1_3genE0ELNS1_11target_archE4294967295ELNS1_3gpuE0ELNS1_3repE0EEENS1_30default_config_static_selectorELNS0_4arch9wavefront6targetE0EEEvT1_,"axG",@progbits,_ZN7rocprim17ROCPRIM_400000_NS6detail17trampoline_kernelINS0_14default_configENS1_25partition_config_selectorILNS1_17partition_subalgoE9ExjbEEZZNS1_14partition_implILS5_9ELb0ES3_jN6thrust23THRUST_200600_302600_NS6detail15normal_iteratorINS9_10device_ptrIxEEEENSB_INSC_IjEEEEPNS0_10empty_typeENS0_5tupleIJSE_SH_EEENSJ_IJSG_SI_EEENS0_18inequality_wrapperINS9_8equal_toIxEEEEPmJSH_EEE10hipError_tPvRmT3_T4_T5_T6_T7_T9_mT8_P12ihipStream_tbDpT10_ENKUlT_T0_E_clISt17integral_constantIbLb0EES1A_EEDaS15_S16_EUlS15_E_NS1_11comp_targetILNS1_3genE0ELNS1_11target_archE4294967295ELNS1_3gpuE0ELNS1_3repE0EEENS1_30default_config_static_selectorELNS0_4arch9wavefront6targetE0EEEvT1_,comdat
	.protected	_ZN7rocprim17ROCPRIM_400000_NS6detail17trampoline_kernelINS0_14default_configENS1_25partition_config_selectorILNS1_17partition_subalgoE9ExjbEEZZNS1_14partition_implILS5_9ELb0ES3_jN6thrust23THRUST_200600_302600_NS6detail15normal_iteratorINS9_10device_ptrIxEEEENSB_INSC_IjEEEEPNS0_10empty_typeENS0_5tupleIJSE_SH_EEENSJ_IJSG_SI_EEENS0_18inequality_wrapperINS9_8equal_toIxEEEEPmJSH_EEE10hipError_tPvRmT3_T4_T5_T6_T7_T9_mT8_P12ihipStream_tbDpT10_ENKUlT_T0_E_clISt17integral_constantIbLb0EES1A_EEDaS15_S16_EUlS15_E_NS1_11comp_targetILNS1_3genE0ELNS1_11target_archE4294967295ELNS1_3gpuE0ELNS1_3repE0EEENS1_30default_config_static_selectorELNS0_4arch9wavefront6targetE0EEEvT1_ ; -- Begin function _ZN7rocprim17ROCPRIM_400000_NS6detail17trampoline_kernelINS0_14default_configENS1_25partition_config_selectorILNS1_17partition_subalgoE9ExjbEEZZNS1_14partition_implILS5_9ELb0ES3_jN6thrust23THRUST_200600_302600_NS6detail15normal_iteratorINS9_10device_ptrIxEEEENSB_INSC_IjEEEEPNS0_10empty_typeENS0_5tupleIJSE_SH_EEENSJ_IJSG_SI_EEENS0_18inequality_wrapperINS9_8equal_toIxEEEEPmJSH_EEE10hipError_tPvRmT3_T4_T5_T6_T7_T9_mT8_P12ihipStream_tbDpT10_ENKUlT_T0_E_clISt17integral_constantIbLb0EES1A_EEDaS15_S16_EUlS15_E_NS1_11comp_targetILNS1_3genE0ELNS1_11target_archE4294967295ELNS1_3gpuE0ELNS1_3repE0EEENS1_30default_config_static_selectorELNS0_4arch9wavefront6targetE0EEEvT1_
	.globl	_ZN7rocprim17ROCPRIM_400000_NS6detail17trampoline_kernelINS0_14default_configENS1_25partition_config_selectorILNS1_17partition_subalgoE9ExjbEEZZNS1_14partition_implILS5_9ELb0ES3_jN6thrust23THRUST_200600_302600_NS6detail15normal_iteratorINS9_10device_ptrIxEEEENSB_INSC_IjEEEEPNS0_10empty_typeENS0_5tupleIJSE_SH_EEENSJ_IJSG_SI_EEENS0_18inequality_wrapperINS9_8equal_toIxEEEEPmJSH_EEE10hipError_tPvRmT3_T4_T5_T6_T7_T9_mT8_P12ihipStream_tbDpT10_ENKUlT_T0_E_clISt17integral_constantIbLb0EES1A_EEDaS15_S16_EUlS15_E_NS1_11comp_targetILNS1_3genE0ELNS1_11target_archE4294967295ELNS1_3gpuE0ELNS1_3repE0EEENS1_30default_config_static_selectorELNS0_4arch9wavefront6targetE0EEEvT1_
	.p2align	8
	.type	_ZN7rocprim17ROCPRIM_400000_NS6detail17trampoline_kernelINS0_14default_configENS1_25partition_config_selectorILNS1_17partition_subalgoE9ExjbEEZZNS1_14partition_implILS5_9ELb0ES3_jN6thrust23THRUST_200600_302600_NS6detail15normal_iteratorINS9_10device_ptrIxEEEENSB_INSC_IjEEEEPNS0_10empty_typeENS0_5tupleIJSE_SH_EEENSJ_IJSG_SI_EEENS0_18inequality_wrapperINS9_8equal_toIxEEEEPmJSH_EEE10hipError_tPvRmT3_T4_T5_T6_T7_T9_mT8_P12ihipStream_tbDpT10_ENKUlT_T0_E_clISt17integral_constantIbLb0EES1A_EEDaS15_S16_EUlS15_E_NS1_11comp_targetILNS1_3genE0ELNS1_11target_archE4294967295ELNS1_3gpuE0ELNS1_3repE0EEENS1_30default_config_static_selectorELNS0_4arch9wavefront6targetE0EEEvT1_,@function
_ZN7rocprim17ROCPRIM_400000_NS6detail17trampoline_kernelINS0_14default_configENS1_25partition_config_selectorILNS1_17partition_subalgoE9ExjbEEZZNS1_14partition_implILS5_9ELb0ES3_jN6thrust23THRUST_200600_302600_NS6detail15normal_iteratorINS9_10device_ptrIxEEEENSB_INSC_IjEEEEPNS0_10empty_typeENS0_5tupleIJSE_SH_EEENSJ_IJSG_SI_EEENS0_18inequality_wrapperINS9_8equal_toIxEEEEPmJSH_EEE10hipError_tPvRmT3_T4_T5_T6_T7_T9_mT8_P12ihipStream_tbDpT10_ENKUlT_T0_E_clISt17integral_constantIbLb0EES1A_EEDaS15_S16_EUlS15_E_NS1_11comp_targetILNS1_3genE0ELNS1_11target_archE4294967295ELNS1_3gpuE0ELNS1_3repE0EEENS1_30default_config_static_selectorELNS0_4arch9wavefront6targetE0EEEvT1_: ; @_ZN7rocprim17ROCPRIM_400000_NS6detail17trampoline_kernelINS0_14default_configENS1_25partition_config_selectorILNS1_17partition_subalgoE9ExjbEEZZNS1_14partition_implILS5_9ELb0ES3_jN6thrust23THRUST_200600_302600_NS6detail15normal_iteratorINS9_10device_ptrIxEEEENSB_INSC_IjEEEEPNS0_10empty_typeENS0_5tupleIJSE_SH_EEENSJ_IJSG_SI_EEENS0_18inequality_wrapperINS9_8equal_toIxEEEEPmJSH_EEE10hipError_tPvRmT3_T4_T5_T6_T7_T9_mT8_P12ihipStream_tbDpT10_ENKUlT_T0_E_clISt17integral_constantIbLb0EES1A_EEDaS15_S16_EUlS15_E_NS1_11comp_targetILNS1_3genE0ELNS1_11target_archE4294967295ELNS1_3gpuE0ELNS1_3repE0EEENS1_30default_config_static_selectorELNS0_4arch9wavefront6targetE0EEEvT1_
; %bb.0:
	.section	.rodata,"a",@progbits
	.p2align	6, 0x0
	.amdhsa_kernel _ZN7rocprim17ROCPRIM_400000_NS6detail17trampoline_kernelINS0_14default_configENS1_25partition_config_selectorILNS1_17partition_subalgoE9ExjbEEZZNS1_14partition_implILS5_9ELb0ES3_jN6thrust23THRUST_200600_302600_NS6detail15normal_iteratorINS9_10device_ptrIxEEEENSB_INSC_IjEEEEPNS0_10empty_typeENS0_5tupleIJSE_SH_EEENSJ_IJSG_SI_EEENS0_18inequality_wrapperINS9_8equal_toIxEEEEPmJSH_EEE10hipError_tPvRmT3_T4_T5_T6_T7_T9_mT8_P12ihipStream_tbDpT10_ENKUlT_T0_E_clISt17integral_constantIbLb0EES1A_EEDaS15_S16_EUlS15_E_NS1_11comp_targetILNS1_3genE0ELNS1_11target_archE4294967295ELNS1_3gpuE0ELNS1_3repE0EEENS1_30default_config_static_selectorELNS0_4arch9wavefront6targetE0EEEvT1_
		.amdhsa_group_segment_fixed_size 0
		.amdhsa_private_segment_fixed_size 0
		.amdhsa_kernarg_size 112
		.amdhsa_user_sgpr_count 15
		.amdhsa_user_sgpr_dispatch_ptr 0
		.amdhsa_user_sgpr_queue_ptr 0
		.amdhsa_user_sgpr_kernarg_segment_ptr 1
		.amdhsa_user_sgpr_dispatch_id 0
		.amdhsa_user_sgpr_private_segment_size 0
		.amdhsa_wavefront_size32 1
		.amdhsa_uses_dynamic_stack 0
		.amdhsa_enable_private_segment 0
		.amdhsa_system_sgpr_workgroup_id_x 1
		.amdhsa_system_sgpr_workgroup_id_y 0
		.amdhsa_system_sgpr_workgroup_id_z 0
		.amdhsa_system_sgpr_workgroup_info 0
		.amdhsa_system_vgpr_workitem_id 0
		.amdhsa_next_free_vgpr 1
		.amdhsa_next_free_sgpr 1
		.amdhsa_reserve_vcc 0
		.amdhsa_float_round_mode_32 0
		.amdhsa_float_round_mode_16_64 0
		.amdhsa_float_denorm_mode_32 3
		.amdhsa_float_denorm_mode_16_64 3
		.amdhsa_dx10_clamp 1
		.amdhsa_ieee_mode 1
		.amdhsa_fp16_overflow 0
		.amdhsa_workgroup_processor_mode 1
		.amdhsa_memory_ordered 1
		.amdhsa_forward_progress 0
		.amdhsa_shared_vgpr_count 0
		.amdhsa_exception_fp_ieee_invalid_op 0
		.amdhsa_exception_fp_denorm_src 0
		.amdhsa_exception_fp_ieee_div_zero 0
		.amdhsa_exception_fp_ieee_overflow 0
		.amdhsa_exception_fp_ieee_underflow 0
		.amdhsa_exception_fp_ieee_inexact 0
		.amdhsa_exception_int_div_zero 0
	.end_amdhsa_kernel
	.section	.text._ZN7rocprim17ROCPRIM_400000_NS6detail17trampoline_kernelINS0_14default_configENS1_25partition_config_selectorILNS1_17partition_subalgoE9ExjbEEZZNS1_14partition_implILS5_9ELb0ES3_jN6thrust23THRUST_200600_302600_NS6detail15normal_iteratorINS9_10device_ptrIxEEEENSB_INSC_IjEEEEPNS0_10empty_typeENS0_5tupleIJSE_SH_EEENSJ_IJSG_SI_EEENS0_18inequality_wrapperINS9_8equal_toIxEEEEPmJSH_EEE10hipError_tPvRmT3_T4_T5_T6_T7_T9_mT8_P12ihipStream_tbDpT10_ENKUlT_T0_E_clISt17integral_constantIbLb0EES1A_EEDaS15_S16_EUlS15_E_NS1_11comp_targetILNS1_3genE0ELNS1_11target_archE4294967295ELNS1_3gpuE0ELNS1_3repE0EEENS1_30default_config_static_selectorELNS0_4arch9wavefront6targetE0EEEvT1_,"axG",@progbits,_ZN7rocprim17ROCPRIM_400000_NS6detail17trampoline_kernelINS0_14default_configENS1_25partition_config_selectorILNS1_17partition_subalgoE9ExjbEEZZNS1_14partition_implILS5_9ELb0ES3_jN6thrust23THRUST_200600_302600_NS6detail15normal_iteratorINS9_10device_ptrIxEEEENSB_INSC_IjEEEEPNS0_10empty_typeENS0_5tupleIJSE_SH_EEENSJ_IJSG_SI_EEENS0_18inequality_wrapperINS9_8equal_toIxEEEEPmJSH_EEE10hipError_tPvRmT3_T4_T5_T6_T7_T9_mT8_P12ihipStream_tbDpT10_ENKUlT_T0_E_clISt17integral_constantIbLb0EES1A_EEDaS15_S16_EUlS15_E_NS1_11comp_targetILNS1_3genE0ELNS1_11target_archE4294967295ELNS1_3gpuE0ELNS1_3repE0EEENS1_30default_config_static_selectorELNS0_4arch9wavefront6targetE0EEEvT1_,comdat
.Lfunc_end597:
	.size	_ZN7rocprim17ROCPRIM_400000_NS6detail17trampoline_kernelINS0_14default_configENS1_25partition_config_selectorILNS1_17partition_subalgoE9ExjbEEZZNS1_14partition_implILS5_9ELb0ES3_jN6thrust23THRUST_200600_302600_NS6detail15normal_iteratorINS9_10device_ptrIxEEEENSB_INSC_IjEEEEPNS0_10empty_typeENS0_5tupleIJSE_SH_EEENSJ_IJSG_SI_EEENS0_18inequality_wrapperINS9_8equal_toIxEEEEPmJSH_EEE10hipError_tPvRmT3_T4_T5_T6_T7_T9_mT8_P12ihipStream_tbDpT10_ENKUlT_T0_E_clISt17integral_constantIbLb0EES1A_EEDaS15_S16_EUlS15_E_NS1_11comp_targetILNS1_3genE0ELNS1_11target_archE4294967295ELNS1_3gpuE0ELNS1_3repE0EEENS1_30default_config_static_selectorELNS0_4arch9wavefront6targetE0EEEvT1_, .Lfunc_end597-_ZN7rocprim17ROCPRIM_400000_NS6detail17trampoline_kernelINS0_14default_configENS1_25partition_config_selectorILNS1_17partition_subalgoE9ExjbEEZZNS1_14partition_implILS5_9ELb0ES3_jN6thrust23THRUST_200600_302600_NS6detail15normal_iteratorINS9_10device_ptrIxEEEENSB_INSC_IjEEEEPNS0_10empty_typeENS0_5tupleIJSE_SH_EEENSJ_IJSG_SI_EEENS0_18inequality_wrapperINS9_8equal_toIxEEEEPmJSH_EEE10hipError_tPvRmT3_T4_T5_T6_T7_T9_mT8_P12ihipStream_tbDpT10_ENKUlT_T0_E_clISt17integral_constantIbLb0EES1A_EEDaS15_S16_EUlS15_E_NS1_11comp_targetILNS1_3genE0ELNS1_11target_archE4294967295ELNS1_3gpuE0ELNS1_3repE0EEENS1_30default_config_static_selectorELNS0_4arch9wavefront6targetE0EEEvT1_
                                        ; -- End function
	.section	.AMDGPU.csdata,"",@progbits
; Kernel info:
; codeLenInByte = 0
; NumSgprs: 0
; NumVgprs: 0
; ScratchSize: 0
; MemoryBound: 0
; FloatMode: 240
; IeeeMode: 1
; LDSByteSize: 0 bytes/workgroup (compile time only)
; SGPRBlocks: 0
; VGPRBlocks: 0
; NumSGPRsForWavesPerEU: 1
; NumVGPRsForWavesPerEU: 1
; Occupancy: 16
; WaveLimiterHint : 0
; COMPUTE_PGM_RSRC2:SCRATCH_EN: 0
; COMPUTE_PGM_RSRC2:USER_SGPR: 15
; COMPUTE_PGM_RSRC2:TRAP_HANDLER: 0
; COMPUTE_PGM_RSRC2:TGID_X_EN: 1
; COMPUTE_PGM_RSRC2:TGID_Y_EN: 0
; COMPUTE_PGM_RSRC2:TGID_Z_EN: 0
; COMPUTE_PGM_RSRC2:TIDIG_COMP_CNT: 0
	.section	.text._ZN7rocprim17ROCPRIM_400000_NS6detail17trampoline_kernelINS0_14default_configENS1_25partition_config_selectorILNS1_17partition_subalgoE9ExjbEEZZNS1_14partition_implILS5_9ELb0ES3_jN6thrust23THRUST_200600_302600_NS6detail15normal_iteratorINS9_10device_ptrIxEEEENSB_INSC_IjEEEEPNS0_10empty_typeENS0_5tupleIJSE_SH_EEENSJ_IJSG_SI_EEENS0_18inequality_wrapperINS9_8equal_toIxEEEEPmJSH_EEE10hipError_tPvRmT3_T4_T5_T6_T7_T9_mT8_P12ihipStream_tbDpT10_ENKUlT_T0_E_clISt17integral_constantIbLb0EES1A_EEDaS15_S16_EUlS15_E_NS1_11comp_targetILNS1_3genE5ELNS1_11target_archE942ELNS1_3gpuE9ELNS1_3repE0EEENS1_30default_config_static_selectorELNS0_4arch9wavefront6targetE0EEEvT1_,"axG",@progbits,_ZN7rocprim17ROCPRIM_400000_NS6detail17trampoline_kernelINS0_14default_configENS1_25partition_config_selectorILNS1_17partition_subalgoE9ExjbEEZZNS1_14partition_implILS5_9ELb0ES3_jN6thrust23THRUST_200600_302600_NS6detail15normal_iteratorINS9_10device_ptrIxEEEENSB_INSC_IjEEEEPNS0_10empty_typeENS0_5tupleIJSE_SH_EEENSJ_IJSG_SI_EEENS0_18inequality_wrapperINS9_8equal_toIxEEEEPmJSH_EEE10hipError_tPvRmT3_T4_T5_T6_T7_T9_mT8_P12ihipStream_tbDpT10_ENKUlT_T0_E_clISt17integral_constantIbLb0EES1A_EEDaS15_S16_EUlS15_E_NS1_11comp_targetILNS1_3genE5ELNS1_11target_archE942ELNS1_3gpuE9ELNS1_3repE0EEENS1_30default_config_static_selectorELNS0_4arch9wavefront6targetE0EEEvT1_,comdat
	.protected	_ZN7rocprim17ROCPRIM_400000_NS6detail17trampoline_kernelINS0_14default_configENS1_25partition_config_selectorILNS1_17partition_subalgoE9ExjbEEZZNS1_14partition_implILS5_9ELb0ES3_jN6thrust23THRUST_200600_302600_NS6detail15normal_iteratorINS9_10device_ptrIxEEEENSB_INSC_IjEEEEPNS0_10empty_typeENS0_5tupleIJSE_SH_EEENSJ_IJSG_SI_EEENS0_18inequality_wrapperINS9_8equal_toIxEEEEPmJSH_EEE10hipError_tPvRmT3_T4_T5_T6_T7_T9_mT8_P12ihipStream_tbDpT10_ENKUlT_T0_E_clISt17integral_constantIbLb0EES1A_EEDaS15_S16_EUlS15_E_NS1_11comp_targetILNS1_3genE5ELNS1_11target_archE942ELNS1_3gpuE9ELNS1_3repE0EEENS1_30default_config_static_selectorELNS0_4arch9wavefront6targetE0EEEvT1_ ; -- Begin function _ZN7rocprim17ROCPRIM_400000_NS6detail17trampoline_kernelINS0_14default_configENS1_25partition_config_selectorILNS1_17partition_subalgoE9ExjbEEZZNS1_14partition_implILS5_9ELb0ES3_jN6thrust23THRUST_200600_302600_NS6detail15normal_iteratorINS9_10device_ptrIxEEEENSB_INSC_IjEEEEPNS0_10empty_typeENS0_5tupleIJSE_SH_EEENSJ_IJSG_SI_EEENS0_18inequality_wrapperINS9_8equal_toIxEEEEPmJSH_EEE10hipError_tPvRmT3_T4_T5_T6_T7_T9_mT8_P12ihipStream_tbDpT10_ENKUlT_T0_E_clISt17integral_constantIbLb0EES1A_EEDaS15_S16_EUlS15_E_NS1_11comp_targetILNS1_3genE5ELNS1_11target_archE942ELNS1_3gpuE9ELNS1_3repE0EEENS1_30default_config_static_selectorELNS0_4arch9wavefront6targetE0EEEvT1_
	.globl	_ZN7rocprim17ROCPRIM_400000_NS6detail17trampoline_kernelINS0_14default_configENS1_25partition_config_selectorILNS1_17partition_subalgoE9ExjbEEZZNS1_14partition_implILS5_9ELb0ES3_jN6thrust23THRUST_200600_302600_NS6detail15normal_iteratorINS9_10device_ptrIxEEEENSB_INSC_IjEEEEPNS0_10empty_typeENS0_5tupleIJSE_SH_EEENSJ_IJSG_SI_EEENS0_18inequality_wrapperINS9_8equal_toIxEEEEPmJSH_EEE10hipError_tPvRmT3_T4_T5_T6_T7_T9_mT8_P12ihipStream_tbDpT10_ENKUlT_T0_E_clISt17integral_constantIbLb0EES1A_EEDaS15_S16_EUlS15_E_NS1_11comp_targetILNS1_3genE5ELNS1_11target_archE942ELNS1_3gpuE9ELNS1_3repE0EEENS1_30default_config_static_selectorELNS0_4arch9wavefront6targetE0EEEvT1_
	.p2align	8
	.type	_ZN7rocprim17ROCPRIM_400000_NS6detail17trampoline_kernelINS0_14default_configENS1_25partition_config_selectorILNS1_17partition_subalgoE9ExjbEEZZNS1_14partition_implILS5_9ELb0ES3_jN6thrust23THRUST_200600_302600_NS6detail15normal_iteratorINS9_10device_ptrIxEEEENSB_INSC_IjEEEEPNS0_10empty_typeENS0_5tupleIJSE_SH_EEENSJ_IJSG_SI_EEENS0_18inequality_wrapperINS9_8equal_toIxEEEEPmJSH_EEE10hipError_tPvRmT3_T4_T5_T6_T7_T9_mT8_P12ihipStream_tbDpT10_ENKUlT_T0_E_clISt17integral_constantIbLb0EES1A_EEDaS15_S16_EUlS15_E_NS1_11comp_targetILNS1_3genE5ELNS1_11target_archE942ELNS1_3gpuE9ELNS1_3repE0EEENS1_30default_config_static_selectorELNS0_4arch9wavefront6targetE0EEEvT1_,@function
_ZN7rocprim17ROCPRIM_400000_NS6detail17trampoline_kernelINS0_14default_configENS1_25partition_config_selectorILNS1_17partition_subalgoE9ExjbEEZZNS1_14partition_implILS5_9ELb0ES3_jN6thrust23THRUST_200600_302600_NS6detail15normal_iteratorINS9_10device_ptrIxEEEENSB_INSC_IjEEEEPNS0_10empty_typeENS0_5tupleIJSE_SH_EEENSJ_IJSG_SI_EEENS0_18inequality_wrapperINS9_8equal_toIxEEEEPmJSH_EEE10hipError_tPvRmT3_T4_T5_T6_T7_T9_mT8_P12ihipStream_tbDpT10_ENKUlT_T0_E_clISt17integral_constantIbLb0EES1A_EEDaS15_S16_EUlS15_E_NS1_11comp_targetILNS1_3genE5ELNS1_11target_archE942ELNS1_3gpuE9ELNS1_3repE0EEENS1_30default_config_static_selectorELNS0_4arch9wavefront6targetE0EEEvT1_: ; @_ZN7rocprim17ROCPRIM_400000_NS6detail17trampoline_kernelINS0_14default_configENS1_25partition_config_selectorILNS1_17partition_subalgoE9ExjbEEZZNS1_14partition_implILS5_9ELb0ES3_jN6thrust23THRUST_200600_302600_NS6detail15normal_iteratorINS9_10device_ptrIxEEEENSB_INSC_IjEEEEPNS0_10empty_typeENS0_5tupleIJSE_SH_EEENSJ_IJSG_SI_EEENS0_18inequality_wrapperINS9_8equal_toIxEEEEPmJSH_EEE10hipError_tPvRmT3_T4_T5_T6_T7_T9_mT8_P12ihipStream_tbDpT10_ENKUlT_T0_E_clISt17integral_constantIbLb0EES1A_EEDaS15_S16_EUlS15_E_NS1_11comp_targetILNS1_3genE5ELNS1_11target_archE942ELNS1_3gpuE9ELNS1_3repE0EEENS1_30default_config_static_selectorELNS0_4arch9wavefront6targetE0EEEvT1_
; %bb.0:
	.section	.rodata,"a",@progbits
	.p2align	6, 0x0
	.amdhsa_kernel _ZN7rocprim17ROCPRIM_400000_NS6detail17trampoline_kernelINS0_14default_configENS1_25partition_config_selectorILNS1_17partition_subalgoE9ExjbEEZZNS1_14partition_implILS5_9ELb0ES3_jN6thrust23THRUST_200600_302600_NS6detail15normal_iteratorINS9_10device_ptrIxEEEENSB_INSC_IjEEEEPNS0_10empty_typeENS0_5tupleIJSE_SH_EEENSJ_IJSG_SI_EEENS0_18inequality_wrapperINS9_8equal_toIxEEEEPmJSH_EEE10hipError_tPvRmT3_T4_T5_T6_T7_T9_mT8_P12ihipStream_tbDpT10_ENKUlT_T0_E_clISt17integral_constantIbLb0EES1A_EEDaS15_S16_EUlS15_E_NS1_11comp_targetILNS1_3genE5ELNS1_11target_archE942ELNS1_3gpuE9ELNS1_3repE0EEENS1_30default_config_static_selectorELNS0_4arch9wavefront6targetE0EEEvT1_
		.amdhsa_group_segment_fixed_size 0
		.amdhsa_private_segment_fixed_size 0
		.amdhsa_kernarg_size 112
		.amdhsa_user_sgpr_count 15
		.amdhsa_user_sgpr_dispatch_ptr 0
		.amdhsa_user_sgpr_queue_ptr 0
		.amdhsa_user_sgpr_kernarg_segment_ptr 1
		.amdhsa_user_sgpr_dispatch_id 0
		.amdhsa_user_sgpr_private_segment_size 0
		.amdhsa_wavefront_size32 1
		.amdhsa_uses_dynamic_stack 0
		.amdhsa_enable_private_segment 0
		.amdhsa_system_sgpr_workgroup_id_x 1
		.amdhsa_system_sgpr_workgroup_id_y 0
		.amdhsa_system_sgpr_workgroup_id_z 0
		.amdhsa_system_sgpr_workgroup_info 0
		.amdhsa_system_vgpr_workitem_id 0
		.amdhsa_next_free_vgpr 1
		.amdhsa_next_free_sgpr 1
		.amdhsa_reserve_vcc 0
		.amdhsa_float_round_mode_32 0
		.amdhsa_float_round_mode_16_64 0
		.amdhsa_float_denorm_mode_32 3
		.amdhsa_float_denorm_mode_16_64 3
		.amdhsa_dx10_clamp 1
		.amdhsa_ieee_mode 1
		.amdhsa_fp16_overflow 0
		.amdhsa_workgroup_processor_mode 1
		.amdhsa_memory_ordered 1
		.amdhsa_forward_progress 0
		.amdhsa_shared_vgpr_count 0
		.amdhsa_exception_fp_ieee_invalid_op 0
		.amdhsa_exception_fp_denorm_src 0
		.amdhsa_exception_fp_ieee_div_zero 0
		.amdhsa_exception_fp_ieee_overflow 0
		.amdhsa_exception_fp_ieee_underflow 0
		.amdhsa_exception_fp_ieee_inexact 0
		.amdhsa_exception_int_div_zero 0
	.end_amdhsa_kernel
	.section	.text._ZN7rocprim17ROCPRIM_400000_NS6detail17trampoline_kernelINS0_14default_configENS1_25partition_config_selectorILNS1_17partition_subalgoE9ExjbEEZZNS1_14partition_implILS5_9ELb0ES3_jN6thrust23THRUST_200600_302600_NS6detail15normal_iteratorINS9_10device_ptrIxEEEENSB_INSC_IjEEEEPNS0_10empty_typeENS0_5tupleIJSE_SH_EEENSJ_IJSG_SI_EEENS0_18inequality_wrapperINS9_8equal_toIxEEEEPmJSH_EEE10hipError_tPvRmT3_T4_T5_T6_T7_T9_mT8_P12ihipStream_tbDpT10_ENKUlT_T0_E_clISt17integral_constantIbLb0EES1A_EEDaS15_S16_EUlS15_E_NS1_11comp_targetILNS1_3genE5ELNS1_11target_archE942ELNS1_3gpuE9ELNS1_3repE0EEENS1_30default_config_static_selectorELNS0_4arch9wavefront6targetE0EEEvT1_,"axG",@progbits,_ZN7rocprim17ROCPRIM_400000_NS6detail17trampoline_kernelINS0_14default_configENS1_25partition_config_selectorILNS1_17partition_subalgoE9ExjbEEZZNS1_14partition_implILS5_9ELb0ES3_jN6thrust23THRUST_200600_302600_NS6detail15normal_iteratorINS9_10device_ptrIxEEEENSB_INSC_IjEEEEPNS0_10empty_typeENS0_5tupleIJSE_SH_EEENSJ_IJSG_SI_EEENS0_18inequality_wrapperINS9_8equal_toIxEEEEPmJSH_EEE10hipError_tPvRmT3_T4_T5_T6_T7_T9_mT8_P12ihipStream_tbDpT10_ENKUlT_T0_E_clISt17integral_constantIbLb0EES1A_EEDaS15_S16_EUlS15_E_NS1_11comp_targetILNS1_3genE5ELNS1_11target_archE942ELNS1_3gpuE9ELNS1_3repE0EEENS1_30default_config_static_selectorELNS0_4arch9wavefront6targetE0EEEvT1_,comdat
.Lfunc_end598:
	.size	_ZN7rocprim17ROCPRIM_400000_NS6detail17trampoline_kernelINS0_14default_configENS1_25partition_config_selectorILNS1_17partition_subalgoE9ExjbEEZZNS1_14partition_implILS5_9ELb0ES3_jN6thrust23THRUST_200600_302600_NS6detail15normal_iteratorINS9_10device_ptrIxEEEENSB_INSC_IjEEEEPNS0_10empty_typeENS0_5tupleIJSE_SH_EEENSJ_IJSG_SI_EEENS0_18inequality_wrapperINS9_8equal_toIxEEEEPmJSH_EEE10hipError_tPvRmT3_T4_T5_T6_T7_T9_mT8_P12ihipStream_tbDpT10_ENKUlT_T0_E_clISt17integral_constantIbLb0EES1A_EEDaS15_S16_EUlS15_E_NS1_11comp_targetILNS1_3genE5ELNS1_11target_archE942ELNS1_3gpuE9ELNS1_3repE0EEENS1_30default_config_static_selectorELNS0_4arch9wavefront6targetE0EEEvT1_, .Lfunc_end598-_ZN7rocprim17ROCPRIM_400000_NS6detail17trampoline_kernelINS0_14default_configENS1_25partition_config_selectorILNS1_17partition_subalgoE9ExjbEEZZNS1_14partition_implILS5_9ELb0ES3_jN6thrust23THRUST_200600_302600_NS6detail15normal_iteratorINS9_10device_ptrIxEEEENSB_INSC_IjEEEEPNS0_10empty_typeENS0_5tupleIJSE_SH_EEENSJ_IJSG_SI_EEENS0_18inequality_wrapperINS9_8equal_toIxEEEEPmJSH_EEE10hipError_tPvRmT3_T4_T5_T6_T7_T9_mT8_P12ihipStream_tbDpT10_ENKUlT_T0_E_clISt17integral_constantIbLb0EES1A_EEDaS15_S16_EUlS15_E_NS1_11comp_targetILNS1_3genE5ELNS1_11target_archE942ELNS1_3gpuE9ELNS1_3repE0EEENS1_30default_config_static_selectorELNS0_4arch9wavefront6targetE0EEEvT1_
                                        ; -- End function
	.section	.AMDGPU.csdata,"",@progbits
; Kernel info:
; codeLenInByte = 0
; NumSgprs: 0
; NumVgprs: 0
; ScratchSize: 0
; MemoryBound: 0
; FloatMode: 240
; IeeeMode: 1
; LDSByteSize: 0 bytes/workgroup (compile time only)
; SGPRBlocks: 0
; VGPRBlocks: 0
; NumSGPRsForWavesPerEU: 1
; NumVGPRsForWavesPerEU: 1
; Occupancy: 16
; WaveLimiterHint : 0
; COMPUTE_PGM_RSRC2:SCRATCH_EN: 0
; COMPUTE_PGM_RSRC2:USER_SGPR: 15
; COMPUTE_PGM_RSRC2:TRAP_HANDLER: 0
; COMPUTE_PGM_RSRC2:TGID_X_EN: 1
; COMPUTE_PGM_RSRC2:TGID_Y_EN: 0
; COMPUTE_PGM_RSRC2:TGID_Z_EN: 0
; COMPUTE_PGM_RSRC2:TIDIG_COMP_CNT: 0
	.section	.text._ZN7rocprim17ROCPRIM_400000_NS6detail17trampoline_kernelINS0_14default_configENS1_25partition_config_selectorILNS1_17partition_subalgoE9ExjbEEZZNS1_14partition_implILS5_9ELb0ES3_jN6thrust23THRUST_200600_302600_NS6detail15normal_iteratorINS9_10device_ptrIxEEEENSB_INSC_IjEEEEPNS0_10empty_typeENS0_5tupleIJSE_SH_EEENSJ_IJSG_SI_EEENS0_18inequality_wrapperINS9_8equal_toIxEEEEPmJSH_EEE10hipError_tPvRmT3_T4_T5_T6_T7_T9_mT8_P12ihipStream_tbDpT10_ENKUlT_T0_E_clISt17integral_constantIbLb0EES1A_EEDaS15_S16_EUlS15_E_NS1_11comp_targetILNS1_3genE4ELNS1_11target_archE910ELNS1_3gpuE8ELNS1_3repE0EEENS1_30default_config_static_selectorELNS0_4arch9wavefront6targetE0EEEvT1_,"axG",@progbits,_ZN7rocprim17ROCPRIM_400000_NS6detail17trampoline_kernelINS0_14default_configENS1_25partition_config_selectorILNS1_17partition_subalgoE9ExjbEEZZNS1_14partition_implILS5_9ELb0ES3_jN6thrust23THRUST_200600_302600_NS6detail15normal_iteratorINS9_10device_ptrIxEEEENSB_INSC_IjEEEEPNS0_10empty_typeENS0_5tupleIJSE_SH_EEENSJ_IJSG_SI_EEENS0_18inequality_wrapperINS9_8equal_toIxEEEEPmJSH_EEE10hipError_tPvRmT3_T4_T5_T6_T7_T9_mT8_P12ihipStream_tbDpT10_ENKUlT_T0_E_clISt17integral_constantIbLb0EES1A_EEDaS15_S16_EUlS15_E_NS1_11comp_targetILNS1_3genE4ELNS1_11target_archE910ELNS1_3gpuE8ELNS1_3repE0EEENS1_30default_config_static_selectorELNS0_4arch9wavefront6targetE0EEEvT1_,comdat
	.protected	_ZN7rocprim17ROCPRIM_400000_NS6detail17trampoline_kernelINS0_14default_configENS1_25partition_config_selectorILNS1_17partition_subalgoE9ExjbEEZZNS1_14partition_implILS5_9ELb0ES3_jN6thrust23THRUST_200600_302600_NS6detail15normal_iteratorINS9_10device_ptrIxEEEENSB_INSC_IjEEEEPNS0_10empty_typeENS0_5tupleIJSE_SH_EEENSJ_IJSG_SI_EEENS0_18inequality_wrapperINS9_8equal_toIxEEEEPmJSH_EEE10hipError_tPvRmT3_T4_T5_T6_T7_T9_mT8_P12ihipStream_tbDpT10_ENKUlT_T0_E_clISt17integral_constantIbLb0EES1A_EEDaS15_S16_EUlS15_E_NS1_11comp_targetILNS1_3genE4ELNS1_11target_archE910ELNS1_3gpuE8ELNS1_3repE0EEENS1_30default_config_static_selectorELNS0_4arch9wavefront6targetE0EEEvT1_ ; -- Begin function _ZN7rocprim17ROCPRIM_400000_NS6detail17trampoline_kernelINS0_14default_configENS1_25partition_config_selectorILNS1_17partition_subalgoE9ExjbEEZZNS1_14partition_implILS5_9ELb0ES3_jN6thrust23THRUST_200600_302600_NS6detail15normal_iteratorINS9_10device_ptrIxEEEENSB_INSC_IjEEEEPNS0_10empty_typeENS0_5tupleIJSE_SH_EEENSJ_IJSG_SI_EEENS0_18inequality_wrapperINS9_8equal_toIxEEEEPmJSH_EEE10hipError_tPvRmT3_T4_T5_T6_T7_T9_mT8_P12ihipStream_tbDpT10_ENKUlT_T0_E_clISt17integral_constantIbLb0EES1A_EEDaS15_S16_EUlS15_E_NS1_11comp_targetILNS1_3genE4ELNS1_11target_archE910ELNS1_3gpuE8ELNS1_3repE0EEENS1_30default_config_static_selectorELNS0_4arch9wavefront6targetE0EEEvT1_
	.globl	_ZN7rocprim17ROCPRIM_400000_NS6detail17trampoline_kernelINS0_14default_configENS1_25partition_config_selectorILNS1_17partition_subalgoE9ExjbEEZZNS1_14partition_implILS5_9ELb0ES3_jN6thrust23THRUST_200600_302600_NS6detail15normal_iteratorINS9_10device_ptrIxEEEENSB_INSC_IjEEEEPNS0_10empty_typeENS0_5tupleIJSE_SH_EEENSJ_IJSG_SI_EEENS0_18inequality_wrapperINS9_8equal_toIxEEEEPmJSH_EEE10hipError_tPvRmT3_T4_T5_T6_T7_T9_mT8_P12ihipStream_tbDpT10_ENKUlT_T0_E_clISt17integral_constantIbLb0EES1A_EEDaS15_S16_EUlS15_E_NS1_11comp_targetILNS1_3genE4ELNS1_11target_archE910ELNS1_3gpuE8ELNS1_3repE0EEENS1_30default_config_static_selectorELNS0_4arch9wavefront6targetE0EEEvT1_
	.p2align	8
	.type	_ZN7rocprim17ROCPRIM_400000_NS6detail17trampoline_kernelINS0_14default_configENS1_25partition_config_selectorILNS1_17partition_subalgoE9ExjbEEZZNS1_14partition_implILS5_9ELb0ES3_jN6thrust23THRUST_200600_302600_NS6detail15normal_iteratorINS9_10device_ptrIxEEEENSB_INSC_IjEEEEPNS0_10empty_typeENS0_5tupleIJSE_SH_EEENSJ_IJSG_SI_EEENS0_18inequality_wrapperINS9_8equal_toIxEEEEPmJSH_EEE10hipError_tPvRmT3_T4_T5_T6_T7_T9_mT8_P12ihipStream_tbDpT10_ENKUlT_T0_E_clISt17integral_constantIbLb0EES1A_EEDaS15_S16_EUlS15_E_NS1_11comp_targetILNS1_3genE4ELNS1_11target_archE910ELNS1_3gpuE8ELNS1_3repE0EEENS1_30default_config_static_selectorELNS0_4arch9wavefront6targetE0EEEvT1_,@function
_ZN7rocprim17ROCPRIM_400000_NS6detail17trampoline_kernelINS0_14default_configENS1_25partition_config_selectorILNS1_17partition_subalgoE9ExjbEEZZNS1_14partition_implILS5_9ELb0ES3_jN6thrust23THRUST_200600_302600_NS6detail15normal_iteratorINS9_10device_ptrIxEEEENSB_INSC_IjEEEEPNS0_10empty_typeENS0_5tupleIJSE_SH_EEENSJ_IJSG_SI_EEENS0_18inequality_wrapperINS9_8equal_toIxEEEEPmJSH_EEE10hipError_tPvRmT3_T4_T5_T6_T7_T9_mT8_P12ihipStream_tbDpT10_ENKUlT_T0_E_clISt17integral_constantIbLb0EES1A_EEDaS15_S16_EUlS15_E_NS1_11comp_targetILNS1_3genE4ELNS1_11target_archE910ELNS1_3gpuE8ELNS1_3repE0EEENS1_30default_config_static_selectorELNS0_4arch9wavefront6targetE0EEEvT1_: ; @_ZN7rocprim17ROCPRIM_400000_NS6detail17trampoline_kernelINS0_14default_configENS1_25partition_config_selectorILNS1_17partition_subalgoE9ExjbEEZZNS1_14partition_implILS5_9ELb0ES3_jN6thrust23THRUST_200600_302600_NS6detail15normal_iteratorINS9_10device_ptrIxEEEENSB_INSC_IjEEEEPNS0_10empty_typeENS0_5tupleIJSE_SH_EEENSJ_IJSG_SI_EEENS0_18inequality_wrapperINS9_8equal_toIxEEEEPmJSH_EEE10hipError_tPvRmT3_T4_T5_T6_T7_T9_mT8_P12ihipStream_tbDpT10_ENKUlT_T0_E_clISt17integral_constantIbLb0EES1A_EEDaS15_S16_EUlS15_E_NS1_11comp_targetILNS1_3genE4ELNS1_11target_archE910ELNS1_3gpuE8ELNS1_3repE0EEENS1_30default_config_static_selectorELNS0_4arch9wavefront6targetE0EEEvT1_
; %bb.0:
	.section	.rodata,"a",@progbits
	.p2align	6, 0x0
	.amdhsa_kernel _ZN7rocprim17ROCPRIM_400000_NS6detail17trampoline_kernelINS0_14default_configENS1_25partition_config_selectorILNS1_17partition_subalgoE9ExjbEEZZNS1_14partition_implILS5_9ELb0ES3_jN6thrust23THRUST_200600_302600_NS6detail15normal_iteratorINS9_10device_ptrIxEEEENSB_INSC_IjEEEEPNS0_10empty_typeENS0_5tupleIJSE_SH_EEENSJ_IJSG_SI_EEENS0_18inequality_wrapperINS9_8equal_toIxEEEEPmJSH_EEE10hipError_tPvRmT3_T4_T5_T6_T7_T9_mT8_P12ihipStream_tbDpT10_ENKUlT_T0_E_clISt17integral_constantIbLb0EES1A_EEDaS15_S16_EUlS15_E_NS1_11comp_targetILNS1_3genE4ELNS1_11target_archE910ELNS1_3gpuE8ELNS1_3repE0EEENS1_30default_config_static_selectorELNS0_4arch9wavefront6targetE0EEEvT1_
		.amdhsa_group_segment_fixed_size 0
		.amdhsa_private_segment_fixed_size 0
		.amdhsa_kernarg_size 112
		.amdhsa_user_sgpr_count 15
		.amdhsa_user_sgpr_dispatch_ptr 0
		.amdhsa_user_sgpr_queue_ptr 0
		.amdhsa_user_sgpr_kernarg_segment_ptr 1
		.amdhsa_user_sgpr_dispatch_id 0
		.amdhsa_user_sgpr_private_segment_size 0
		.amdhsa_wavefront_size32 1
		.amdhsa_uses_dynamic_stack 0
		.amdhsa_enable_private_segment 0
		.amdhsa_system_sgpr_workgroup_id_x 1
		.amdhsa_system_sgpr_workgroup_id_y 0
		.amdhsa_system_sgpr_workgroup_id_z 0
		.amdhsa_system_sgpr_workgroup_info 0
		.amdhsa_system_vgpr_workitem_id 0
		.amdhsa_next_free_vgpr 1
		.amdhsa_next_free_sgpr 1
		.amdhsa_reserve_vcc 0
		.amdhsa_float_round_mode_32 0
		.amdhsa_float_round_mode_16_64 0
		.amdhsa_float_denorm_mode_32 3
		.amdhsa_float_denorm_mode_16_64 3
		.amdhsa_dx10_clamp 1
		.amdhsa_ieee_mode 1
		.amdhsa_fp16_overflow 0
		.amdhsa_workgroup_processor_mode 1
		.amdhsa_memory_ordered 1
		.amdhsa_forward_progress 0
		.amdhsa_shared_vgpr_count 0
		.amdhsa_exception_fp_ieee_invalid_op 0
		.amdhsa_exception_fp_denorm_src 0
		.amdhsa_exception_fp_ieee_div_zero 0
		.amdhsa_exception_fp_ieee_overflow 0
		.amdhsa_exception_fp_ieee_underflow 0
		.amdhsa_exception_fp_ieee_inexact 0
		.amdhsa_exception_int_div_zero 0
	.end_amdhsa_kernel
	.section	.text._ZN7rocprim17ROCPRIM_400000_NS6detail17trampoline_kernelINS0_14default_configENS1_25partition_config_selectorILNS1_17partition_subalgoE9ExjbEEZZNS1_14partition_implILS5_9ELb0ES3_jN6thrust23THRUST_200600_302600_NS6detail15normal_iteratorINS9_10device_ptrIxEEEENSB_INSC_IjEEEEPNS0_10empty_typeENS0_5tupleIJSE_SH_EEENSJ_IJSG_SI_EEENS0_18inequality_wrapperINS9_8equal_toIxEEEEPmJSH_EEE10hipError_tPvRmT3_T4_T5_T6_T7_T9_mT8_P12ihipStream_tbDpT10_ENKUlT_T0_E_clISt17integral_constantIbLb0EES1A_EEDaS15_S16_EUlS15_E_NS1_11comp_targetILNS1_3genE4ELNS1_11target_archE910ELNS1_3gpuE8ELNS1_3repE0EEENS1_30default_config_static_selectorELNS0_4arch9wavefront6targetE0EEEvT1_,"axG",@progbits,_ZN7rocprim17ROCPRIM_400000_NS6detail17trampoline_kernelINS0_14default_configENS1_25partition_config_selectorILNS1_17partition_subalgoE9ExjbEEZZNS1_14partition_implILS5_9ELb0ES3_jN6thrust23THRUST_200600_302600_NS6detail15normal_iteratorINS9_10device_ptrIxEEEENSB_INSC_IjEEEEPNS0_10empty_typeENS0_5tupleIJSE_SH_EEENSJ_IJSG_SI_EEENS0_18inequality_wrapperINS9_8equal_toIxEEEEPmJSH_EEE10hipError_tPvRmT3_T4_T5_T6_T7_T9_mT8_P12ihipStream_tbDpT10_ENKUlT_T0_E_clISt17integral_constantIbLb0EES1A_EEDaS15_S16_EUlS15_E_NS1_11comp_targetILNS1_3genE4ELNS1_11target_archE910ELNS1_3gpuE8ELNS1_3repE0EEENS1_30default_config_static_selectorELNS0_4arch9wavefront6targetE0EEEvT1_,comdat
.Lfunc_end599:
	.size	_ZN7rocprim17ROCPRIM_400000_NS6detail17trampoline_kernelINS0_14default_configENS1_25partition_config_selectorILNS1_17partition_subalgoE9ExjbEEZZNS1_14partition_implILS5_9ELb0ES3_jN6thrust23THRUST_200600_302600_NS6detail15normal_iteratorINS9_10device_ptrIxEEEENSB_INSC_IjEEEEPNS0_10empty_typeENS0_5tupleIJSE_SH_EEENSJ_IJSG_SI_EEENS0_18inequality_wrapperINS9_8equal_toIxEEEEPmJSH_EEE10hipError_tPvRmT3_T4_T5_T6_T7_T9_mT8_P12ihipStream_tbDpT10_ENKUlT_T0_E_clISt17integral_constantIbLb0EES1A_EEDaS15_S16_EUlS15_E_NS1_11comp_targetILNS1_3genE4ELNS1_11target_archE910ELNS1_3gpuE8ELNS1_3repE0EEENS1_30default_config_static_selectorELNS0_4arch9wavefront6targetE0EEEvT1_, .Lfunc_end599-_ZN7rocprim17ROCPRIM_400000_NS6detail17trampoline_kernelINS0_14default_configENS1_25partition_config_selectorILNS1_17partition_subalgoE9ExjbEEZZNS1_14partition_implILS5_9ELb0ES3_jN6thrust23THRUST_200600_302600_NS6detail15normal_iteratorINS9_10device_ptrIxEEEENSB_INSC_IjEEEEPNS0_10empty_typeENS0_5tupleIJSE_SH_EEENSJ_IJSG_SI_EEENS0_18inequality_wrapperINS9_8equal_toIxEEEEPmJSH_EEE10hipError_tPvRmT3_T4_T5_T6_T7_T9_mT8_P12ihipStream_tbDpT10_ENKUlT_T0_E_clISt17integral_constantIbLb0EES1A_EEDaS15_S16_EUlS15_E_NS1_11comp_targetILNS1_3genE4ELNS1_11target_archE910ELNS1_3gpuE8ELNS1_3repE0EEENS1_30default_config_static_selectorELNS0_4arch9wavefront6targetE0EEEvT1_
                                        ; -- End function
	.section	.AMDGPU.csdata,"",@progbits
; Kernel info:
; codeLenInByte = 0
; NumSgprs: 0
; NumVgprs: 0
; ScratchSize: 0
; MemoryBound: 0
; FloatMode: 240
; IeeeMode: 1
; LDSByteSize: 0 bytes/workgroup (compile time only)
; SGPRBlocks: 0
; VGPRBlocks: 0
; NumSGPRsForWavesPerEU: 1
; NumVGPRsForWavesPerEU: 1
; Occupancy: 15
; WaveLimiterHint : 0
; COMPUTE_PGM_RSRC2:SCRATCH_EN: 0
; COMPUTE_PGM_RSRC2:USER_SGPR: 15
; COMPUTE_PGM_RSRC2:TRAP_HANDLER: 0
; COMPUTE_PGM_RSRC2:TGID_X_EN: 1
; COMPUTE_PGM_RSRC2:TGID_Y_EN: 0
; COMPUTE_PGM_RSRC2:TGID_Z_EN: 0
; COMPUTE_PGM_RSRC2:TIDIG_COMP_CNT: 0
	.section	.text._ZN7rocprim17ROCPRIM_400000_NS6detail17trampoline_kernelINS0_14default_configENS1_25partition_config_selectorILNS1_17partition_subalgoE9ExjbEEZZNS1_14partition_implILS5_9ELb0ES3_jN6thrust23THRUST_200600_302600_NS6detail15normal_iteratorINS9_10device_ptrIxEEEENSB_INSC_IjEEEEPNS0_10empty_typeENS0_5tupleIJSE_SH_EEENSJ_IJSG_SI_EEENS0_18inequality_wrapperINS9_8equal_toIxEEEEPmJSH_EEE10hipError_tPvRmT3_T4_T5_T6_T7_T9_mT8_P12ihipStream_tbDpT10_ENKUlT_T0_E_clISt17integral_constantIbLb0EES1A_EEDaS15_S16_EUlS15_E_NS1_11comp_targetILNS1_3genE3ELNS1_11target_archE908ELNS1_3gpuE7ELNS1_3repE0EEENS1_30default_config_static_selectorELNS0_4arch9wavefront6targetE0EEEvT1_,"axG",@progbits,_ZN7rocprim17ROCPRIM_400000_NS6detail17trampoline_kernelINS0_14default_configENS1_25partition_config_selectorILNS1_17partition_subalgoE9ExjbEEZZNS1_14partition_implILS5_9ELb0ES3_jN6thrust23THRUST_200600_302600_NS6detail15normal_iteratorINS9_10device_ptrIxEEEENSB_INSC_IjEEEEPNS0_10empty_typeENS0_5tupleIJSE_SH_EEENSJ_IJSG_SI_EEENS0_18inequality_wrapperINS9_8equal_toIxEEEEPmJSH_EEE10hipError_tPvRmT3_T4_T5_T6_T7_T9_mT8_P12ihipStream_tbDpT10_ENKUlT_T0_E_clISt17integral_constantIbLb0EES1A_EEDaS15_S16_EUlS15_E_NS1_11comp_targetILNS1_3genE3ELNS1_11target_archE908ELNS1_3gpuE7ELNS1_3repE0EEENS1_30default_config_static_selectorELNS0_4arch9wavefront6targetE0EEEvT1_,comdat
	.protected	_ZN7rocprim17ROCPRIM_400000_NS6detail17trampoline_kernelINS0_14default_configENS1_25partition_config_selectorILNS1_17partition_subalgoE9ExjbEEZZNS1_14partition_implILS5_9ELb0ES3_jN6thrust23THRUST_200600_302600_NS6detail15normal_iteratorINS9_10device_ptrIxEEEENSB_INSC_IjEEEEPNS0_10empty_typeENS0_5tupleIJSE_SH_EEENSJ_IJSG_SI_EEENS0_18inequality_wrapperINS9_8equal_toIxEEEEPmJSH_EEE10hipError_tPvRmT3_T4_T5_T6_T7_T9_mT8_P12ihipStream_tbDpT10_ENKUlT_T0_E_clISt17integral_constantIbLb0EES1A_EEDaS15_S16_EUlS15_E_NS1_11comp_targetILNS1_3genE3ELNS1_11target_archE908ELNS1_3gpuE7ELNS1_3repE0EEENS1_30default_config_static_selectorELNS0_4arch9wavefront6targetE0EEEvT1_ ; -- Begin function _ZN7rocprim17ROCPRIM_400000_NS6detail17trampoline_kernelINS0_14default_configENS1_25partition_config_selectorILNS1_17partition_subalgoE9ExjbEEZZNS1_14partition_implILS5_9ELb0ES3_jN6thrust23THRUST_200600_302600_NS6detail15normal_iteratorINS9_10device_ptrIxEEEENSB_INSC_IjEEEEPNS0_10empty_typeENS0_5tupleIJSE_SH_EEENSJ_IJSG_SI_EEENS0_18inequality_wrapperINS9_8equal_toIxEEEEPmJSH_EEE10hipError_tPvRmT3_T4_T5_T6_T7_T9_mT8_P12ihipStream_tbDpT10_ENKUlT_T0_E_clISt17integral_constantIbLb0EES1A_EEDaS15_S16_EUlS15_E_NS1_11comp_targetILNS1_3genE3ELNS1_11target_archE908ELNS1_3gpuE7ELNS1_3repE0EEENS1_30default_config_static_selectorELNS0_4arch9wavefront6targetE0EEEvT1_
	.globl	_ZN7rocprim17ROCPRIM_400000_NS6detail17trampoline_kernelINS0_14default_configENS1_25partition_config_selectorILNS1_17partition_subalgoE9ExjbEEZZNS1_14partition_implILS5_9ELb0ES3_jN6thrust23THRUST_200600_302600_NS6detail15normal_iteratorINS9_10device_ptrIxEEEENSB_INSC_IjEEEEPNS0_10empty_typeENS0_5tupleIJSE_SH_EEENSJ_IJSG_SI_EEENS0_18inequality_wrapperINS9_8equal_toIxEEEEPmJSH_EEE10hipError_tPvRmT3_T4_T5_T6_T7_T9_mT8_P12ihipStream_tbDpT10_ENKUlT_T0_E_clISt17integral_constantIbLb0EES1A_EEDaS15_S16_EUlS15_E_NS1_11comp_targetILNS1_3genE3ELNS1_11target_archE908ELNS1_3gpuE7ELNS1_3repE0EEENS1_30default_config_static_selectorELNS0_4arch9wavefront6targetE0EEEvT1_
	.p2align	8
	.type	_ZN7rocprim17ROCPRIM_400000_NS6detail17trampoline_kernelINS0_14default_configENS1_25partition_config_selectorILNS1_17partition_subalgoE9ExjbEEZZNS1_14partition_implILS5_9ELb0ES3_jN6thrust23THRUST_200600_302600_NS6detail15normal_iteratorINS9_10device_ptrIxEEEENSB_INSC_IjEEEEPNS0_10empty_typeENS0_5tupleIJSE_SH_EEENSJ_IJSG_SI_EEENS0_18inequality_wrapperINS9_8equal_toIxEEEEPmJSH_EEE10hipError_tPvRmT3_T4_T5_T6_T7_T9_mT8_P12ihipStream_tbDpT10_ENKUlT_T0_E_clISt17integral_constantIbLb0EES1A_EEDaS15_S16_EUlS15_E_NS1_11comp_targetILNS1_3genE3ELNS1_11target_archE908ELNS1_3gpuE7ELNS1_3repE0EEENS1_30default_config_static_selectorELNS0_4arch9wavefront6targetE0EEEvT1_,@function
_ZN7rocprim17ROCPRIM_400000_NS6detail17trampoline_kernelINS0_14default_configENS1_25partition_config_selectorILNS1_17partition_subalgoE9ExjbEEZZNS1_14partition_implILS5_9ELb0ES3_jN6thrust23THRUST_200600_302600_NS6detail15normal_iteratorINS9_10device_ptrIxEEEENSB_INSC_IjEEEEPNS0_10empty_typeENS0_5tupleIJSE_SH_EEENSJ_IJSG_SI_EEENS0_18inequality_wrapperINS9_8equal_toIxEEEEPmJSH_EEE10hipError_tPvRmT3_T4_T5_T6_T7_T9_mT8_P12ihipStream_tbDpT10_ENKUlT_T0_E_clISt17integral_constantIbLb0EES1A_EEDaS15_S16_EUlS15_E_NS1_11comp_targetILNS1_3genE3ELNS1_11target_archE908ELNS1_3gpuE7ELNS1_3repE0EEENS1_30default_config_static_selectorELNS0_4arch9wavefront6targetE0EEEvT1_: ; @_ZN7rocprim17ROCPRIM_400000_NS6detail17trampoline_kernelINS0_14default_configENS1_25partition_config_selectorILNS1_17partition_subalgoE9ExjbEEZZNS1_14partition_implILS5_9ELb0ES3_jN6thrust23THRUST_200600_302600_NS6detail15normal_iteratorINS9_10device_ptrIxEEEENSB_INSC_IjEEEEPNS0_10empty_typeENS0_5tupleIJSE_SH_EEENSJ_IJSG_SI_EEENS0_18inequality_wrapperINS9_8equal_toIxEEEEPmJSH_EEE10hipError_tPvRmT3_T4_T5_T6_T7_T9_mT8_P12ihipStream_tbDpT10_ENKUlT_T0_E_clISt17integral_constantIbLb0EES1A_EEDaS15_S16_EUlS15_E_NS1_11comp_targetILNS1_3genE3ELNS1_11target_archE908ELNS1_3gpuE7ELNS1_3repE0EEENS1_30default_config_static_selectorELNS0_4arch9wavefront6targetE0EEEvT1_
; %bb.0:
	.section	.rodata,"a",@progbits
	.p2align	6, 0x0
	.amdhsa_kernel _ZN7rocprim17ROCPRIM_400000_NS6detail17trampoline_kernelINS0_14default_configENS1_25partition_config_selectorILNS1_17partition_subalgoE9ExjbEEZZNS1_14partition_implILS5_9ELb0ES3_jN6thrust23THRUST_200600_302600_NS6detail15normal_iteratorINS9_10device_ptrIxEEEENSB_INSC_IjEEEEPNS0_10empty_typeENS0_5tupleIJSE_SH_EEENSJ_IJSG_SI_EEENS0_18inequality_wrapperINS9_8equal_toIxEEEEPmJSH_EEE10hipError_tPvRmT3_T4_T5_T6_T7_T9_mT8_P12ihipStream_tbDpT10_ENKUlT_T0_E_clISt17integral_constantIbLb0EES1A_EEDaS15_S16_EUlS15_E_NS1_11comp_targetILNS1_3genE3ELNS1_11target_archE908ELNS1_3gpuE7ELNS1_3repE0EEENS1_30default_config_static_selectorELNS0_4arch9wavefront6targetE0EEEvT1_
		.amdhsa_group_segment_fixed_size 0
		.amdhsa_private_segment_fixed_size 0
		.amdhsa_kernarg_size 112
		.amdhsa_user_sgpr_count 15
		.amdhsa_user_sgpr_dispatch_ptr 0
		.amdhsa_user_sgpr_queue_ptr 0
		.amdhsa_user_sgpr_kernarg_segment_ptr 1
		.amdhsa_user_sgpr_dispatch_id 0
		.amdhsa_user_sgpr_private_segment_size 0
		.amdhsa_wavefront_size32 1
		.amdhsa_uses_dynamic_stack 0
		.amdhsa_enable_private_segment 0
		.amdhsa_system_sgpr_workgroup_id_x 1
		.amdhsa_system_sgpr_workgroup_id_y 0
		.amdhsa_system_sgpr_workgroup_id_z 0
		.amdhsa_system_sgpr_workgroup_info 0
		.amdhsa_system_vgpr_workitem_id 0
		.amdhsa_next_free_vgpr 1
		.amdhsa_next_free_sgpr 1
		.amdhsa_reserve_vcc 0
		.amdhsa_float_round_mode_32 0
		.amdhsa_float_round_mode_16_64 0
		.amdhsa_float_denorm_mode_32 3
		.amdhsa_float_denorm_mode_16_64 3
		.amdhsa_dx10_clamp 1
		.amdhsa_ieee_mode 1
		.amdhsa_fp16_overflow 0
		.amdhsa_workgroup_processor_mode 1
		.amdhsa_memory_ordered 1
		.amdhsa_forward_progress 0
		.amdhsa_shared_vgpr_count 0
		.amdhsa_exception_fp_ieee_invalid_op 0
		.amdhsa_exception_fp_denorm_src 0
		.amdhsa_exception_fp_ieee_div_zero 0
		.amdhsa_exception_fp_ieee_overflow 0
		.amdhsa_exception_fp_ieee_underflow 0
		.amdhsa_exception_fp_ieee_inexact 0
		.amdhsa_exception_int_div_zero 0
	.end_amdhsa_kernel
	.section	.text._ZN7rocprim17ROCPRIM_400000_NS6detail17trampoline_kernelINS0_14default_configENS1_25partition_config_selectorILNS1_17partition_subalgoE9ExjbEEZZNS1_14partition_implILS5_9ELb0ES3_jN6thrust23THRUST_200600_302600_NS6detail15normal_iteratorINS9_10device_ptrIxEEEENSB_INSC_IjEEEEPNS0_10empty_typeENS0_5tupleIJSE_SH_EEENSJ_IJSG_SI_EEENS0_18inequality_wrapperINS9_8equal_toIxEEEEPmJSH_EEE10hipError_tPvRmT3_T4_T5_T6_T7_T9_mT8_P12ihipStream_tbDpT10_ENKUlT_T0_E_clISt17integral_constantIbLb0EES1A_EEDaS15_S16_EUlS15_E_NS1_11comp_targetILNS1_3genE3ELNS1_11target_archE908ELNS1_3gpuE7ELNS1_3repE0EEENS1_30default_config_static_selectorELNS0_4arch9wavefront6targetE0EEEvT1_,"axG",@progbits,_ZN7rocprim17ROCPRIM_400000_NS6detail17trampoline_kernelINS0_14default_configENS1_25partition_config_selectorILNS1_17partition_subalgoE9ExjbEEZZNS1_14partition_implILS5_9ELb0ES3_jN6thrust23THRUST_200600_302600_NS6detail15normal_iteratorINS9_10device_ptrIxEEEENSB_INSC_IjEEEEPNS0_10empty_typeENS0_5tupleIJSE_SH_EEENSJ_IJSG_SI_EEENS0_18inequality_wrapperINS9_8equal_toIxEEEEPmJSH_EEE10hipError_tPvRmT3_T4_T5_T6_T7_T9_mT8_P12ihipStream_tbDpT10_ENKUlT_T0_E_clISt17integral_constantIbLb0EES1A_EEDaS15_S16_EUlS15_E_NS1_11comp_targetILNS1_3genE3ELNS1_11target_archE908ELNS1_3gpuE7ELNS1_3repE0EEENS1_30default_config_static_selectorELNS0_4arch9wavefront6targetE0EEEvT1_,comdat
.Lfunc_end600:
	.size	_ZN7rocprim17ROCPRIM_400000_NS6detail17trampoline_kernelINS0_14default_configENS1_25partition_config_selectorILNS1_17partition_subalgoE9ExjbEEZZNS1_14partition_implILS5_9ELb0ES3_jN6thrust23THRUST_200600_302600_NS6detail15normal_iteratorINS9_10device_ptrIxEEEENSB_INSC_IjEEEEPNS0_10empty_typeENS0_5tupleIJSE_SH_EEENSJ_IJSG_SI_EEENS0_18inequality_wrapperINS9_8equal_toIxEEEEPmJSH_EEE10hipError_tPvRmT3_T4_T5_T6_T7_T9_mT8_P12ihipStream_tbDpT10_ENKUlT_T0_E_clISt17integral_constantIbLb0EES1A_EEDaS15_S16_EUlS15_E_NS1_11comp_targetILNS1_3genE3ELNS1_11target_archE908ELNS1_3gpuE7ELNS1_3repE0EEENS1_30default_config_static_selectorELNS0_4arch9wavefront6targetE0EEEvT1_, .Lfunc_end600-_ZN7rocprim17ROCPRIM_400000_NS6detail17trampoline_kernelINS0_14default_configENS1_25partition_config_selectorILNS1_17partition_subalgoE9ExjbEEZZNS1_14partition_implILS5_9ELb0ES3_jN6thrust23THRUST_200600_302600_NS6detail15normal_iteratorINS9_10device_ptrIxEEEENSB_INSC_IjEEEEPNS0_10empty_typeENS0_5tupleIJSE_SH_EEENSJ_IJSG_SI_EEENS0_18inequality_wrapperINS9_8equal_toIxEEEEPmJSH_EEE10hipError_tPvRmT3_T4_T5_T6_T7_T9_mT8_P12ihipStream_tbDpT10_ENKUlT_T0_E_clISt17integral_constantIbLb0EES1A_EEDaS15_S16_EUlS15_E_NS1_11comp_targetILNS1_3genE3ELNS1_11target_archE908ELNS1_3gpuE7ELNS1_3repE0EEENS1_30default_config_static_selectorELNS0_4arch9wavefront6targetE0EEEvT1_
                                        ; -- End function
	.section	.AMDGPU.csdata,"",@progbits
; Kernel info:
; codeLenInByte = 0
; NumSgprs: 0
; NumVgprs: 0
; ScratchSize: 0
; MemoryBound: 0
; FloatMode: 240
; IeeeMode: 1
; LDSByteSize: 0 bytes/workgroup (compile time only)
; SGPRBlocks: 0
; VGPRBlocks: 0
; NumSGPRsForWavesPerEU: 1
; NumVGPRsForWavesPerEU: 1
; Occupancy: 16
; WaveLimiterHint : 0
; COMPUTE_PGM_RSRC2:SCRATCH_EN: 0
; COMPUTE_PGM_RSRC2:USER_SGPR: 15
; COMPUTE_PGM_RSRC2:TRAP_HANDLER: 0
; COMPUTE_PGM_RSRC2:TGID_X_EN: 1
; COMPUTE_PGM_RSRC2:TGID_Y_EN: 0
; COMPUTE_PGM_RSRC2:TGID_Z_EN: 0
; COMPUTE_PGM_RSRC2:TIDIG_COMP_CNT: 0
	.section	.text._ZN7rocprim17ROCPRIM_400000_NS6detail17trampoline_kernelINS0_14default_configENS1_25partition_config_selectorILNS1_17partition_subalgoE9ExjbEEZZNS1_14partition_implILS5_9ELb0ES3_jN6thrust23THRUST_200600_302600_NS6detail15normal_iteratorINS9_10device_ptrIxEEEENSB_INSC_IjEEEEPNS0_10empty_typeENS0_5tupleIJSE_SH_EEENSJ_IJSG_SI_EEENS0_18inequality_wrapperINS9_8equal_toIxEEEEPmJSH_EEE10hipError_tPvRmT3_T4_T5_T6_T7_T9_mT8_P12ihipStream_tbDpT10_ENKUlT_T0_E_clISt17integral_constantIbLb0EES1A_EEDaS15_S16_EUlS15_E_NS1_11comp_targetILNS1_3genE2ELNS1_11target_archE906ELNS1_3gpuE6ELNS1_3repE0EEENS1_30default_config_static_selectorELNS0_4arch9wavefront6targetE0EEEvT1_,"axG",@progbits,_ZN7rocprim17ROCPRIM_400000_NS6detail17trampoline_kernelINS0_14default_configENS1_25partition_config_selectorILNS1_17partition_subalgoE9ExjbEEZZNS1_14partition_implILS5_9ELb0ES3_jN6thrust23THRUST_200600_302600_NS6detail15normal_iteratorINS9_10device_ptrIxEEEENSB_INSC_IjEEEEPNS0_10empty_typeENS0_5tupleIJSE_SH_EEENSJ_IJSG_SI_EEENS0_18inequality_wrapperINS9_8equal_toIxEEEEPmJSH_EEE10hipError_tPvRmT3_T4_T5_T6_T7_T9_mT8_P12ihipStream_tbDpT10_ENKUlT_T0_E_clISt17integral_constantIbLb0EES1A_EEDaS15_S16_EUlS15_E_NS1_11comp_targetILNS1_3genE2ELNS1_11target_archE906ELNS1_3gpuE6ELNS1_3repE0EEENS1_30default_config_static_selectorELNS0_4arch9wavefront6targetE0EEEvT1_,comdat
	.protected	_ZN7rocprim17ROCPRIM_400000_NS6detail17trampoline_kernelINS0_14default_configENS1_25partition_config_selectorILNS1_17partition_subalgoE9ExjbEEZZNS1_14partition_implILS5_9ELb0ES3_jN6thrust23THRUST_200600_302600_NS6detail15normal_iteratorINS9_10device_ptrIxEEEENSB_INSC_IjEEEEPNS0_10empty_typeENS0_5tupleIJSE_SH_EEENSJ_IJSG_SI_EEENS0_18inequality_wrapperINS9_8equal_toIxEEEEPmJSH_EEE10hipError_tPvRmT3_T4_T5_T6_T7_T9_mT8_P12ihipStream_tbDpT10_ENKUlT_T0_E_clISt17integral_constantIbLb0EES1A_EEDaS15_S16_EUlS15_E_NS1_11comp_targetILNS1_3genE2ELNS1_11target_archE906ELNS1_3gpuE6ELNS1_3repE0EEENS1_30default_config_static_selectorELNS0_4arch9wavefront6targetE0EEEvT1_ ; -- Begin function _ZN7rocprim17ROCPRIM_400000_NS6detail17trampoline_kernelINS0_14default_configENS1_25partition_config_selectorILNS1_17partition_subalgoE9ExjbEEZZNS1_14partition_implILS5_9ELb0ES3_jN6thrust23THRUST_200600_302600_NS6detail15normal_iteratorINS9_10device_ptrIxEEEENSB_INSC_IjEEEEPNS0_10empty_typeENS0_5tupleIJSE_SH_EEENSJ_IJSG_SI_EEENS0_18inequality_wrapperINS9_8equal_toIxEEEEPmJSH_EEE10hipError_tPvRmT3_T4_T5_T6_T7_T9_mT8_P12ihipStream_tbDpT10_ENKUlT_T0_E_clISt17integral_constantIbLb0EES1A_EEDaS15_S16_EUlS15_E_NS1_11comp_targetILNS1_3genE2ELNS1_11target_archE906ELNS1_3gpuE6ELNS1_3repE0EEENS1_30default_config_static_selectorELNS0_4arch9wavefront6targetE0EEEvT1_
	.globl	_ZN7rocprim17ROCPRIM_400000_NS6detail17trampoline_kernelINS0_14default_configENS1_25partition_config_selectorILNS1_17partition_subalgoE9ExjbEEZZNS1_14partition_implILS5_9ELb0ES3_jN6thrust23THRUST_200600_302600_NS6detail15normal_iteratorINS9_10device_ptrIxEEEENSB_INSC_IjEEEEPNS0_10empty_typeENS0_5tupleIJSE_SH_EEENSJ_IJSG_SI_EEENS0_18inequality_wrapperINS9_8equal_toIxEEEEPmJSH_EEE10hipError_tPvRmT3_T4_T5_T6_T7_T9_mT8_P12ihipStream_tbDpT10_ENKUlT_T0_E_clISt17integral_constantIbLb0EES1A_EEDaS15_S16_EUlS15_E_NS1_11comp_targetILNS1_3genE2ELNS1_11target_archE906ELNS1_3gpuE6ELNS1_3repE0EEENS1_30default_config_static_selectorELNS0_4arch9wavefront6targetE0EEEvT1_
	.p2align	8
	.type	_ZN7rocprim17ROCPRIM_400000_NS6detail17trampoline_kernelINS0_14default_configENS1_25partition_config_selectorILNS1_17partition_subalgoE9ExjbEEZZNS1_14partition_implILS5_9ELb0ES3_jN6thrust23THRUST_200600_302600_NS6detail15normal_iteratorINS9_10device_ptrIxEEEENSB_INSC_IjEEEEPNS0_10empty_typeENS0_5tupleIJSE_SH_EEENSJ_IJSG_SI_EEENS0_18inequality_wrapperINS9_8equal_toIxEEEEPmJSH_EEE10hipError_tPvRmT3_T4_T5_T6_T7_T9_mT8_P12ihipStream_tbDpT10_ENKUlT_T0_E_clISt17integral_constantIbLb0EES1A_EEDaS15_S16_EUlS15_E_NS1_11comp_targetILNS1_3genE2ELNS1_11target_archE906ELNS1_3gpuE6ELNS1_3repE0EEENS1_30default_config_static_selectorELNS0_4arch9wavefront6targetE0EEEvT1_,@function
_ZN7rocprim17ROCPRIM_400000_NS6detail17trampoline_kernelINS0_14default_configENS1_25partition_config_selectorILNS1_17partition_subalgoE9ExjbEEZZNS1_14partition_implILS5_9ELb0ES3_jN6thrust23THRUST_200600_302600_NS6detail15normal_iteratorINS9_10device_ptrIxEEEENSB_INSC_IjEEEEPNS0_10empty_typeENS0_5tupleIJSE_SH_EEENSJ_IJSG_SI_EEENS0_18inequality_wrapperINS9_8equal_toIxEEEEPmJSH_EEE10hipError_tPvRmT3_T4_T5_T6_T7_T9_mT8_P12ihipStream_tbDpT10_ENKUlT_T0_E_clISt17integral_constantIbLb0EES1A_EEDaS15_S16_EUlS15_E_NS1_11comp_targetILNS1_3genE2ELNS1_11target_archE906ELNS1_3gpuE6ELNS1_3repE0EEENS1_30default_config_static_selectorELNS0_4arch9wavefront6targetE0EEEvT1_: ; @_ZN7rocprim17ROCPRIM_400000_NS6detail17trampoline_kernelINS0_14default_configENS1_25partition_config_selectorILNS1_17partition_subalgoE9ExjbEEZZNS1_14partition_implILS5_9ELb0ES3_jN6thrust23THRUST_200600_302600_NS6detail15normal_iteratorINS9_10device_ptrIxEEEENSB_INSC_IjEEEEPNS0_10empty_typeENS0_5tupleIJSE_SH_EEENSJ_IJSG_SI_EEENS0_18inequality_wrapperINS9_8equal_toIxEEEEPmJSH_EEE10hipError_tPvRmT3_T4_T5_T6_T7_T9_mT8_P12ihipStream_tbDpT10_ENKUlT_T0_E_clISt17integral_constantIbLb0EES1A_EEDaS15_S16_EUlS15_E_NS1_11comp_targetILNS1_3genE2ELNS1_11target_archE906ELNS1_3gpuE6ELNS1_3repE0EEENS1_30default_config_static_selectorELNS0_4arch9wavefront6targetE0EEEvT1_
; %bb.0:
	.section	.rodata,"a",@progbits
	.p2align	6, 0x0
	.amdhsa_kernel _ZN7rocprim17ROCPRIM_400000_NS6detail17trampoline_kernelINS0_14default_configENS1_25partition_config_selectorILNS1_17partition_subalgoE9ExjbEEZZNS1_14partition_implILS5_9ELb0ES3_jN6thrust23THRUST_200600_302600_NS6detail15normal_iteratorINS9_10device_ptrIxEEEENSB_INSC_IjEEEEPNS0_10empty_typeENS0_5tupleIJSE_SH_EEENSJ_IJSG_SI_EEENS0_18inequality_wrapperINS9_8equal_toIxEEEEPmJSH_EEE10hipError_tPvRmT3_T4_T5_T6_T7_T9_mT8_P12ihipStream_tbDpT10_ENKUlT_T0_E_clISt17integral_constantIbLb0EES1A_EEDaS15_S16_EUlS15_E_NS1_11comp_targetILNS1_3genE2ELNS1_11target_archE906ELNS1_3gpuE6ELNS1_3repE0EEENS1_30default_config_static_selectorELNS0_4arch9wavefront6targetE0EEEvT1_
		.amdhsa_group_segment_fixed_size 0
		.amdhsa_private_segment_fixed_size 0
		.amdhsa_kernarg_size 112
		.amdhsa_user_sgpr_count 15
		.amdhsa_user_sgpr_dispatch_ptr 0
		.amdhsa_user_sgpr_queue_ptr 0
		.amdhsa_user_sgpr_kernarg_segment_ptr 1
		.amdhsa_user_sgpr_dispatch_id 0
		.amdhsa_user_sgpr_private_segment_size 0
		.amdhsa_wavefront_size32 1
		.amdhsa_uses_dynamic_stack 0
		.amdhsa_enable_private_segment 0
		.amdhsa_system_sgpr_workgroup_id_x 1
		.amdhsa_system_sgpr_workgroup_id_y 0
		.amdhsa_system_sgpr_workgroup_id_z 0
		.amdhsa_system_sgpr_workgroup_info 0
		.amdhsa_system_vgpr_workitem_id 0
		.amdhsa_next_free_vgpr 1
		.amdhsa_next_free_sgpr 1
		.amdhsa_reserve_vcc 0
		.amdhsa_float_round_mode_32 0
		.amdhsa_float_round_mode_16_64 0
		.amdhsa_float_denorm_mode_32 3
		.amdhsa_float_denorm_mode_16_64 3
		.amdhsa_dx10_clamp 1
		.amdhsa_ieee_mode 1
		.amdhsa_fp16_overflow 0
		.amdhsa_workgroup_processor_mode 1
		.amdhsa_memory_ordered 1
		.amdhsa_forward_progress 0
		.amdhsa_shared_vgpr_count 0
		.amdhsa_exception_fp_ieee_invalid_op 0
		.amdhsa_exception_fp_denorm_src 0
		.amdhsa_exception_fp_ieee_div_zero 0
		.amdhsa_exception_fp_ieee_overflow 0
		.amdhsa_exception_fp_ieee_underflow 0
		.amdhsa_exception_fp_ieee_inexact 0
		.amdhsa_exception_int_div_zero 0
	.end_amdhsa_kernel
	.section	.text._ZN7rocprim17ROCPRIM_400000_NS6detail17trampoline_kernelINS0_14default_configENS1_25partition_config_selectorILNS1_17partition_subalgoE9ExjbEEZZNS1_14partition_implILS5_9ELb0ES3_jN6thrust23THRUST_200600_302600_NS6detail15normal_iteratorINS9_10device_ptrIxEEEENSB_INSC_IjEEEEPNS0_10empty_typeENS0_5tupleIJSE_SH_EEENSJ_IJSG_SI_EEENS0_18inequality_wrapperINS9_8equal_toIxEEEEPmJSH_EEE10hipError_tPvRmT3_T4_T5_T6_T7_T9_mT8_P12ihipStream_tbDpT10_ENKUlT_T0_E_clISt17integral_constantIbLb0EES1A_EEDaS15_S16_EUlS15_E_NS1_11comp_targetILNS1_3genE2ELNS1_11target_archE906ELNS1_3gpuE6ELNS1_3repE0EEENS1_30default_config_static_selectorELNS0_4arch9wavefront6targetE0EEEvT1_,"axG",@progbits,_ZN7rocprim17ROCPRIM_400000_NS6detail17trampoline_kernelINS0_14default_configENS1_25partition_config_selectorILNS1_17partition_subalgoE9ExjbEEZZNS1_14partition_implILS5_9ELb0ES3_jN6thrust23THRUST_200600_302600_NS6detail15normal_iteratorINS9_10device_ptrIxEEEENSB_INSC_IjEEEEPNS0_10empty_typeENS0_5tupleIJSE_SH_EEENSJ_IJSG_SI_EEENS0_18inequality_wrapperINS9_8equal_toIxEEEEPmJSH_EEE10hipError_tPvRmT3_T4_T5_T6_T7_T9_mT8_P12ihipStream_tbDpT10_ENKUlT_T0_E_clISt17integral_constantIbLb0EES1A_EEDaS15_S16_EUlS15_E_NS1_11comp_targetILNS1_3genE2ELNS1_11target_archE906ELNS1_3gpuE6ELNS1_3repE0EEENS1_30default_config_static_selectorELNS0_4arch9wavefront6targetE0EEEvT1_,comdat
.Lfunc_end601:
	.size	_ZN7rocprim17ROCPRIM_400000_NS6detail17trampoline_kernelINS0_14default_configENS1_25partition_config_selectorILNS1_17partition_subalgoE9ExjbEEZZNS1_14partition_implILS5_9ELb0ES3_jN6thrust23THRUST_200600_302600_NS6detail15normal_iteratorINS9_10device_ptrIxEEEENSB_INSC_IjEEEEPNS0_10empty_typeENS0_5tupleIJSE_SH_EEENSJ_IJSG_SI_EEENS0_18inequality_wrapperINS9_8equal_toIxEEEEPmJSH_EEE10hipError_tPvRmT3_T4_T5_T6_T7_T9_mT8_P12ihipStream_tbDpT10_ENKUlT_T0_E_clISt17integral_constantIbLb0EES1A_EEDaS15_S16_EUlS15_E_NS1_11comp_targetILNS1_3genE2ELNS1_11target_archE906ELNS1_3gpuE6ELNS1_3repE0EEENS1_30default_config_static_selectorELNS0_4arch9wavefront6targetE0EEEvT1_, .Lfunc_end601-_ZN7rocprim17ROCPRIM_400000_NS6detail17trampoline_kernelINS0_14default_configENS1_25partition_config_selectorILNS1_17partition_subalgoE9ExjbEEZZNS1_14partition_implILS5_9ELb0ES3_jN6thrust23THRUST_200600_302600_NS6detail15normal_iteratorINS9_10device_ptrIxEEEENSB_INSC_IjEEEEPNS0_10empty_typeENS0_5tupleIJSE_SH_EEENSJ_IJSG_SI_EEENS0_18inequality_wrapperINS9_8equal_toIxEEEEPmJSH_EEE10hipError_tPvRmT3_T4_T5_T6_T7_T9_mT8_P12ihipStream_tbDpT10_ENKUlT_T0_E_clISt17integral_constantIbLb0EES1A_EEDaS15_S16_EUlS15_E_NS1_11comp_targetILNS1_3genE2ELNS1_11target_archE906ELNS1_3gpuE6ELNS1_3repE0EEENS1_30default_config_static_selectorELNS0_4arch9wavefront6targetE0EEEvT1_
                                        ; -- End function
	.section	.AMDGPU.csdata,"",@progbits
; Kernel info:
; codeLenInByte = 0
; NumSgprs: 0
; NumVgprs: 0
; ScratchSize: 0
; MemoryBound: 0
; FloatMode: 240
; IeeeMode: 1
; LDSByteSize: 0 bytes/workgroup (compile time only)
; SGPRBlocks: 0
; VGPRBlocks: 0
; NumSGPRsForWavesPerEU: 1
; NumVGPRsForWavesPerEU: 1
; Occupancy: 16
; WaveLimiterHint : 0
; COMPUTE_PGM_RSRC2:SCRATCH_EN: 0
; COMPUTE_PGM_RSRC2:USER_SGPR: 15
; COMPUTE_PGM_RSRC2:TRAP_HANDLER: 0
; COMPUTE_PGM_RSRC2:TGID_X_EN: 1
; COMPUTE_PGM_RSRC2:TGID_Y_EN: 0
; COMPUTE_PGM_RSRC2:TGID_Z_EN: 0
; COMPUTE_PGM_RSRC2:TIDIG_COMP_CNT: 0
	.section	.text._ZN7rocprim17ROCPRIM_400000_NS6detail17trampoline_kernelINS0_14default_configENS1_25partition_config_selectorILNS1_17partition_subalgoE9ExjbEEZZNS1_14partition_implILS5_9ELb0ES3_jN6thrust23THRUST_200600_302600_NS6detail15normal_iteratorINS9_10device_ptrIxEEEENSB_INSC_IjEEEEPNS0_10empty_typeENS0_5tupleIJSE_SH_EEENSJ_IJSG_SI_EEENS0_18inequality_wrapperINS9_8equal_toIxEEEEPmJSH_EEE10hipError_tPvRmT3_T4_T5_T6_T7_T9_mT8_P12ihipStream_tbDpT10_ENKUlT_T0_E_clISt17integral_constantIbLb0EES1A_EEDaS15_S16_EUlS15_E_NS1_11comp_targetILNS1_3genE10ELNS1_11target_archE1200ELNS1_3gpuE4ELNS1_3repE0EEENS1_30default_config_static_selectorELNS0_4arch9wavefront6targetE0EEEvT1_,"axG",@progbits,_ZN7rocprim17ROCPRIM_400000_NS6detail17trampoline_kernelINS0_14default_configENS1_25partition_config_selectorILNS1_17partition_subalgoE9ExjbEEZZNS1_14partition_implILS5_9ELb0ES3_jN6thrust23THRUST_200600_302600_NS6detail15normal_iteratorINS9_10device_ptrIxEEEENSB_INSC_IjEEEEPNS0_10empty_typeENS0_5tupleIJSE_SH_EEENSJ_IJSG_SI_EEENS0_18inequality_wrapperINS9_8equal_toIxEEEEPmJSH_EEE10hipError_tPvRmT3_T4_T5_T6_T7_T9_mT8_P12ihipStream_tbDpT10_ENKUlT_T0_E_clISt17integral_constantIbLb0EES1A_EEDaS15_S16_EUlS15_E_NS1_11comp_targetILNS1_3genE10ELNS1_11target_archE1200ELNS1_3gpuE4ELNS1_3repE0EEENS1_30default_config_static_selectorELNS0_4arch9wavefront6targetE0EEEvT1_,comdat
	.protected	_ZN7rocprim17ROCPRIM_400000_NS6detail17trampoline_kernelINS0_14default_configENS1_25partition_config_selectorILNS1_17partition_subalgoE9ExjbEEZZNS1_14partition_implILS5_9ELb0ES3_jN6thrust23THRUST_200600_302600_NS6detail15normal_iteratorINS9_10device_ptrIxEEEENSB_INSC_IjEEEEPNS0_10empty_typeENS0_5tupleIJSE_SH_EEENSJ_IJSG_SI_EEENS0_18inequality_wrapperINS9_8equal_toIxEEEEPmJSH_EEE10hipError_tPvRmT3_T4_T5_T6_T7_T9_mT8_P12ihipStream_tbDpT10_ENKUlT_T0_E_clISt17integral_constantIbLb0EES1A_EEDaS15_S16_EUlS15_E_NS1_11comp_targetILNS1_3genE10ELNS1_11target_archE1200ELNS1_3gpuE4ELNS1_3repE0EEENS1_30default_config_static_selectorELNS0_4arch9wavefront6targetE0EEEvT1_ ; -- Begin function _ZN7rocprim17ROCPRIM_400000_NS6detail17trampoline_kernelINS0_14default_configENS1_25partition_config_selectorILNS1_17partition_subalgoE9ExjbEEZZNS1_14partition_implILS5_9ELb0ES3_jN6thrust23THRUST_200600_302600_NS6detail15normal_iteratorINS9_10device_ptrIxEEEENSB_INSC_IjEEEEPNS0_10empty_typeENS0_5tupleIJSE_SH_EEENSJ_IJSG_SI_EEENS0_18inequality_wrapperINS9_8equal_toIxEEEEPmJSH_EEE10hipError_tPvRmT3_T4_T5_T6_T7_T9_mT8_P12ihipStream_tbDpT10_ENKUlT_T0_E_clISt17integral_constantIbLb0EES1A_EEDaS15_S16_EUlS15_E_NS1_11comp_targetILNS1_3genE10ELNS1_11target_archE1200ELNS1_3gpuE4ELNS1_3repE0EEENS1_30default_config_static_selectorELNS0_4arch9wavefront6targetE0EEEvT1_
	.globl	_ZN7rocprim17ROCPRIM_400000_NS6detail17trampoline_kernelINS0_14default_configENS1_25partition_config_selectorILNS1_17partition_subalgoE9ExjbEEZZNS1_14partition_implILS5_9ELb0ES3_jN6thrust23THRUST_200600_302600_NS6detail15normal_iteratorINS9_10device_ptrIxEEEENSB_INSC_IjEEEEPNS0_10empty_typeENS0_5tupleIJSE_SH_EEENSJ_IJSG_SI_EEENS0_18inequality_wrapperINS9_8equal_toIxEEEEPmJSH_EEE10hipError_tPvRmT3_T4_T5_T6_T7_T9_mT8_P12ihipStream_tbDpT10_ENKUlT_T0_E_clISt17integral_constantIbLb0EES1A_EEDaS15_S16_EUlS15_E_NS1_11comp_targetILNS1_3genE10ELNS1_11target_archE1200ELNS1_3gpuE4ELNS1_3repE0EEENS1_30default_config_static_selectorELNS0_4arch9wavefront6targetE0EEEvT1_
	.p2align	8
	.type	_ZN7rocprim17ROCPRIM_400000_NS6detail17trampoline_kernelINS0_14default_configENS1_25partition_config_selectorILNS1_17partition_subalgoE9ExjbEEZZNS1_14partition_implILS5_9ELb0ES3_jN6thrust23THRUST_200600_302600_NS6detail15normal_iteratorINS9_10device_ptrIxEEEENSB_INSC_IjEEEEPNS0_10empty_typeENS0_5tupleIJSE_SH_EEENSJ_IJSG_SI_EEENS0_18inequality_wrapperINS9_8equal_toIxEEEEPmJSH_EEE10hipError_tPvRmT3_T4_T5_T6_T7_T9_mT8_P12ihipStream_tbDpT10_ENKUlT_T0_E_clISt17integral_constantIbLb0EES1A_EEDaS15_S16_EUlS15_E_NS1_11comp_targetILNS1_3genE10ELNS1_11target_archE1200ELNS1_3gpuE4ELNS1_3repE0EEENS1_30default_config_static_selectorELNS0_4arch9wavefront6targetE0EEEvT1_,@function
_ZN7rocprim17ROCPRIM_400000_NS6detail17trampoline_kernelINS0_14default_configENS1_25partition_config_selectorILNS1_17partition_subalgoE9ExjbEEZZNS1_14partition_implILS5_9ELb0ES3_jN6thrust23THRUST_200600_302600_NS6detail15normal_iteratorINS9_10device_ptrIxEEEENSB_INSC_IjEEEEPNS0_10empty_typeENS0_5tupleIJSE_SH_EEENSJ_IJSG_SI_EEENS0_18inequality_wrapperINS9_8equal_toIxEEEEPmJSH_EEE10hipError_tPvRmT3_T4_T5_T6_T7_T9_mT8_P12ihipStream_tbDpT10_ENKUlT_T0_E_clISt17integral_constantIbLb0EES1A_EEDaS15_S16_EUlS15_E_NS1_11comp_targetILNS1_3genE10ELNS1_11target_archE1200ELNS1_3gpuE4ELNS1_3repE0EEENS1_30default_config_static_selectorELNS0_4arch9wavefront6targetE0EEEvT1_: ; @_ZN7rocprim17ROCPRIM_400000_NS6detail17trampoline_kernelINS0_14default_configENS1_25partition_config_selectorILNS1_17partition_subalgoE9ExjbEEZZNS1_14partition_implILS5_9ELb0ES3_jN6thrust23THRUST_200600_302600_NS6detail15normal_iteratorINS9_10device_ptrIxEEEENSB_INSC_IjEEEEPNS0_10empty_typeENS0_5tupleIJSE_SH_EEENSJ_IJSG_SI_EEENS0_18inequality_wrapperINS9_8equal_toIxEEEEPmJSH_EEE10hipError_tPvRmT3_T4_T5_T6_T7_T9_mT8_P12ihipStream_tbDpT10_ENKUlT_T0_E_clISt17integral_constantIbLb0EES1A_EEDaS15_S16_EUlS15_E_NS1_11comp_targetILNS1_3genE10ELNS1_11target_archE1200ELNS1_3gpuE4ELNS1_3repE0EEENS1_30default_config_static_selectorELNS0_4arch9wavefront6targetE0EEEvT1_
; %bb.0:
	.section	.rodata,"a",@progbits
	.p2align	6, 0x0
	.amdhsa_kernel _ZN7rocprim17ROCPRIM_400000_NS6detail17trampoline_kernelINS0_14default_configENS1_25partition_config_selectorILNS1_17partition_subalgoE9ExjbEEZZNS1_14partition_implILS5_9ELb0ES3_jN6thrust23THRUST_200600_302600_NS6detail15normal_iteratorINS9_10device_ptrIxEEEENSB_INSC_IjEEEEPNS0_10empty_typeENS0_5tupleIJSE_SH_EEENSJ_IJSG_SI_EEENS0_18inequality_wrapperINS9_8equal_toIxEEEEPmJSH_EEE10hipError_tPvRmT3_T4_T5_T6_T7_T9_mT8_P12ihipStream_tbDpT10_ENKUlT_T0_E_clISt17integral_constantIbLb0EES1A_EEDaS15_S16_EUlS15_E_NS1_11comp_targetILNS1_3genE10ELNS1_11target_archE1200ELNS1_3gpuE4ELNS1_3repE0EEENS1_30default_config_static_selectorELNS0_4arch9wavefront6targetE0EEEvT1_
		.amdhsa_group_segment_fixed_size 0
		.amdhsa_private_segment_fixed_size 0
		.amdhsa_kernarg_size 112
		.amdhsa_user_sgpr_count 15
		.amdhsa_user_sgpr_dispatch_ptr 0
		.amdhsa_user_sgpr_queue_ptr 0
		.amdhsa_user_sgpr_kernarg_segment_ptr 1
		.amdhsa_user_sgpr_dispatch_id 0
		.amdhsa_user_sgpr_private_segment_size 0
		.amdhsa_wavefront_size32 1
		.amdhsa_uses_dynamic_stack 0
		.amdhsa_enable_private_segment 0
		.amdhsa_system_sgpr_workgroup_id_x 1
		.amdhsa_system_sgpr_workgroup_id_y 0
		.amdhsa_system_sgpr_workgroup_id_z 0
		.amdhsa_system_sgpr_workgroup_info 0
		.amdhsa_system_vgpr_workitem_id 0
		.amdhsa_next_free_vgpr 1
		.amdhsa_next_free_sgpr 1
		.amdhsa_reserve_vcc 0
		.amdhsa_float_round_mode_32 0
		.amdhsa_float_round_mode_16_64 0
		.amdhsa_float_denorm_mode_32 3
		.amdhsa_float_denorm_mode_16_64 3
		.amdhsa_dx10_clamp 1
		.amdhsa_ieee_mode 1
		.amdhsa_fp16_overflow 0
		.amdhsa_workgroup_processor_mode 1
		.amdhsa_memory_ordered 1
		.amdhsa_forward_progress 0
		.amdhsa_shared_vgpr_count 0
		.amdhsa_exception_fp_ieee_invalid_op 0
		.amdhsa_exception_fp_denorm_src 0
		.amdhsa_exception_fp_ieee_div_zero 0
		.amdhsa_exception_fp_ieee_overflow 0
		.amdhsa_exception_fp_ieee_underflow 0
		.amdhsa_exception_fp_ieee_inexact 0
		.amdhsa_exception_int_div_zero 0
	.end_amdhsa_kernel
	.section	.text._ZN7rocprim17ROCPRIM_400000_NS6detail17trampoline_kernelINS0_14default_configENS1_25partition_config_selectorILNS1_17partition_subalgoE9ExjbEEZZNS1_14partition_implILS5_9ELb0ES3_jN6thrust23THRUST_200600_302600_NS6detail15normal_iteratorINS9_10device_ptrIxEEEENSB_INSC_IjEEEEPNS0_10empty_typeENS0_5tupleIJSE_SH_EEENSJ_IJSG_SI_EEENS0_18inequality_wrapperINS9_8equal_toIxEEEEPmJSH_EEE10hipError_tPvRmT3_T4_T5_T6_T7_T9_mT8_P12ihipStream_tbDpT10_ENKUlT_T0_E_clISt17integral_constantIbLb0EES1A_EEDaS15_S16_EUlS15_E_NS1_11comp_targetILNS1_3genE10ELNS1_11target_archE1200ELNS1_3gpuE4ELNS1_3repE0EEENS1_30default_config_static_selectorELNS0_4arch9wavefront6targetE0EEEvT1_,"axG",@progbits,_ZN7rocprim17ROCPRIM_400000_NS6detail17trampoline_kernelINS0_14default_configENS1_25partition_config_selectorILNS1_17partition_subalgoE9ExjbEEZZNS1_14partition_implILS5_9ELb0ES3_jN6thrust23THRUST_200600_302600_NS6detail15normal_iteratorINS9_10device_ptrIxEEEENSB_INSC_IjEEEEPNS0_10empty_typeENS0_5tupleIJSE_SH_EEENSJ_IJSG_SI_EEENS0_18inequality_wrapperINS9_8equal_toIxEEEEPmJSH_EEE10hipError_tPvRmT3_T4_T5_T6_T7_T9_mT8_P12ihipStream_tbDpT10_ENKUlT_T0_E_clISt17integral_constantIbLb0EES1A_EEDaS15_S16_EUlS15_E_NS1_11comp_targetILNS1_3genE10ELNS1_11target_archE1200ELNS1_3gpuE4ELNS1_3repE0EEENS1_30default_config_static_selectorELNS0_4arch9wavefront6targetE0EEEvT1_,comdat
.Lfunc_end602:
	.size	_ZN7rocprim17ROCPRIM_400000_NS6detail17trampoline_kernelINS0_14default_configENS1_25partition_config_selectorILNS1_17partition_subalgoE9ExjbEEZZNS1_14partition_implILS5_9ELb0ES3_jN6thrust23THRUST_200600_302600_NS6detail15normal_iteratorINS9_10device_ptrIxEEEENSB_INSC_IjEEEEPNS0_10empty_typeENS0_5tupleIJSE_SH_EEENSJ_IJSG_SI_EEENS0_18inequality_wrapperINS9_8equal_toIxEEEEPmJSH_EEE10hipError_tPvRmT3_T4_T5_T6_T7_T9_mT8_P12ihipStream_tbDpT10_ENKUlT_T0_E_clISt17integral_constantIbLb0EES1A_EEDaS15_S16_EUlS15_E_NS1_11comp_targetILNS1_3genE10ELNS1_11target_archE1200ELNS1_3gpuE4ELNS1_3repE0EEENS1_30default_config_static_selectorELNS0_4arch9wavefront6targetE0EEEvT1_, .Lfunc_end602-_ZN7rocprim17ROCPRIM_400000_NS6detail17trampoline_kernelINS0_14default_configENS1_25partition_config_selectorILNS1_17partition_subalgoE9ExjbEEZZNS1_14partition_implILS5_9ELb0ES3_jN6thrust23THRUST_200600_302600_NS6detail15normal_iteratorINS9_10device_ptrIxEEEENSB_INSC_IjEEEEPNS0_10empty_typeENS0_5tupleIJSE_SH_EEENSJ_IJSG_SI_EEENS0_18inequality_wrapperINS9_8equal_toIxEEEEPmJSH_EEE10hipError_tPvRmT3_T4_T5_T6_T7_T9_mT8_P12ihipStream_tbDpT10_ENKUlT_T0_E_clISt17integral_constantIbLb0EES1A_EEDaS15_S16_EUlS15_E_NS1_11comp_targetILNS1_3genE10ELNS1_11target_archE1200ELNS1_3gpuE4ELNS1_3repE0EEENS1_30default_config_static_selectorELNS0_4arch9wavefront6targetE0EEEvT1_
                                        ; -- End function
	.section	.AMDGPU.csdata,"",@progbits
; Kernel info:
; codeLenInByte = 0
; NumSgprs: 0
; NumVgprs: 0
; ScratchSize: 0
; MemoryBound: 0
; FloatMode: 240
; IeeeMode: 1
; LDSByteSize: 0 bytes/workgroup (compile time only)
; SGPRBlocks: 0
; VGPRBlocks: 0
; NumSGPRsForWavesPerEU: 1
; NumVGPRsForWavesPerEU: 1
; Occupancy: 15
; WaveLimiterHint : 0
; COMPUTE_PGM_RSRC2:SCRATCH_EN: 0
; COMPUTE_PGM_RSRC2:USER_SGPR: 15
; COMPUTE_PGM_RSRC2:TRAP_HANDLER: 0
; COMPUTE_PGM_RSRC2:TGID_X_EN: 1
; COMPUTE_PGM_RSRC2:TGID_Y_EN: 0
; COMPUTE_PGM_RSRC2:TGID_Z_EN: 0
; COMPUTE_PGM_RSRC2:TIDIG_COMP_CNT: 0
	.section	.text._ZN7rocprim17ROCPRIM_400000_NS6detail17trampoline_kernelINS0_14default_configENS1_25partition_config_selectorILNS1_17partition_subalgoE9ExjbEEZZNS1_14partition_implILS5_9ELb0ES3_jN6thrust23THRUST_200600_302600_NS6detail15normal_iteratorINS9_10device_ptrIxEEEENSB_INSC_IjEEEEPNS0_10empty_typeENS0_5tupleIJSE_SH_EEENSJ_IJSG_SI_EEENS0_18inequality_wrapperINS9_8equal_toIxEEEEPmJSH_EEE10hipError_tPvRmT3_T4_T5_T6_T7_T9_mT8_P12ihipStream_tbDpT10_ENKUlT_T0_E_clISt17integral_constantIbLb0EES1A_EEDaS15_S16_EUlS15_E_NS1_11comp_targetILNS1_3genE9ELNS1_11target_archE1100ELNS1_3gpuE3ELNS1_3repE0EEENS1_30default_config_static_selectorELNS0_4arch9wavefront6targetE0EEEvT1_,"axG",@progbits,_ZN7rocprim17ROCPRIM_400000_NS6detail17trampoline_kernelINS0_14default_configENS1_25partition_config_selectorILNS1_17partition_subalgoE9ExjbEEZZNS1_14partition_implILS5_9ELb0ES3_jN6thrust23THRUST_200600_302600_NS6detail15normal_iteratorINS9_10device_ptrIxEEEENSB_INSC_IjEEEEPNS0_10empty_typeENS0_5tupleIJSE_SH_EEENSJ_IJSG_SI_EEENS0_18inequality_wrapperINS9_8equal_toIxEEEEPmJSH_EEE10hipError_tPvRmT3_T4_T5_T6_T7_T9_mT8_P12ihipStream_tbDpT10_ENKUlT_T0_E_clISt17integral_constantIbLb0EES1A_EEDaS15_S16_EUlS15_E_NS1_11comp_targetILNS1_3genE9ELNS1_11target_archE1100ELNS1_3gpuE3ELNS1_3repE0EEENS1_30default_config_static_selectorELNS0_4arch9wavefront6targetE0EEEvT1_,comdat
	.protected	_ZN7rocprim17ROCPRIM_400000_NS6detail17trampoline_kernelINS0_14default_configENS1_25partition_config_selectorILNS1_17partition_subalgoE9ExjbEEZZNS1_14partition_implILS5_9ELb0ES3_jN6thrust23THRUST_200600_302600_NS6detail15normal_iteratorINS9_10device_ptrIxEEEENSB_INSC_IjEEEEPNS0_10empty_typeENS0_5tupleIJSE_SH_EEENSJ_IJSG_SI_EEENS0_18inequality_wrapperINS9_8equal_toIxEEEEPmJSH_EEE10hipError_tPvRmT3_T4_T5_T6_T7_T9_mT8_P12ihipStream_tbDpT10_ENKUlT_T0_E_clISt17integral_constantIbLb0EES1A_EEDaS15_S16_EUlS15_E_NS1_11comp_targetILNS1_3genE9ELNS1_11target_archE1100ELNS1_3gpuE3ELNS1_3repE0EEENS1_30default_config_static_selectorELNS0_4arch9wavefront6targetE0EEEvT1_ ; -- Begin function _ZN7rocprim17ROCPRIM_400000_NS6detail17trampoline_kernelINS0_14default_configENS1_25partition_config_selectorILNS1_17partition_subalgoE9ExjbEEZZNS1_14partition_implILS5_9ELb0ES3_jN6thrust23THRUST_200600_302600_NS6detail15normal_iteratorINS9_10device_ptrIxEEEENSB_INSC_IjEEEEPNS0_10empty_typeENS0_5tupleIJSE_SH_EEENSJ_IJSG_SI_EEENS0_18inequality_wrapperINS9_8equal_toIxEEEEPmJSH_EEE10hipError_tPvRmT3_T4_T5_T6_T7_T9_mT8_P12ihipStream_tbDpT10_ENKUlT_T0_E_clISt17integral_constantIbLb0EES1A_EEDaS15_S16_EUlS15_E_NS1_11comp_targetILNS1_3genE9ELNS1_11target_archE1100ELNS1_3gpuE3ELNS1_3repE0EEENS1_30default_config_static_selectorELNS0_4arch9wavefront6targetE0EEEvT1_
	.globl	_ZN7rocprim17ROCPRIM_400000_NS6detail17trampoline_kernelINS0_14default_configENS1_25partition_config_selectorILNS1_17partition_subalgoE9ExjbEEZZNS1_14partition_implILS5_9ELb0ES3_jN6thrust23THRUST_200600_302600_NS6detail15normal_iteratorINS9_10device_ptrIxEEEENSB_INSC_IjEEEEPNS0_10empty_typeENS0_5tupleIJSE_SH_EEENSJ_IJSG_SI_EEENS0_18inequality_wrapperINS9_8equal_toIxEEEEPmJSH_EEE10hipError_tPvRmT3_T4_T5_T6_T7_T9_mT8_P12ihipStream_tbDpT10_ENKUlT_T0_E_clISt17integral_constantIbLb0EES1A_EEDaS15_S16_EUlS15_E_NS1_11comp_targetILNS1_3genE9ELNS1_11target_archE1100ELNS1_3gpuE3ELNS1_3repE0EEENS1_30default_config_static_selectorELNS0_4arch9wavefront6targetE0EEEvT1_
	.p2align	8
	.type	_ZN7rocprim17ROCPRIM_400000_NS6detail17trampoline_kernelINS0_14default_configENS1_25partition_config_selectorILNS1_17partition_subalgoE9ExjbEEZZNS1_14partition_implILS5_9ELb0ES3_jN6thrust23THRUST_200600_302600_NS6detail15normal_iteratorINS9_10device_ptrIxEEEENSB_INSC_IjEEEEPNS0_10empty_typeENS0_5tupleIJSE_SH_EEENSJ_IJSG_SI_EEENS0_18inequality_wrapperINS9_8equal_toIxEEEEPmJSH_EEE10hipError_tPvRmT3_T4_T5_T6_T7_T9_mT8_P12ihipStream_tbDpT10_ENKUlT_T0_E_clISt17integral_constantIbLb0EES1A_EEDaS15_S16_EUlS15_E_NS1_11comp_targetILNS1_3genE9ELNS1_11target_archE1100ELNS1_3gpuE3ELNS1_3repE0EEENS1_30default_config_static_selectorELNS0_4arch9wavefront6targetE0EEEvT1_,@function
_ZN7rocprim17ROCPRIM_400000_NS6detail17trampoline_kernelINS0_14default_configENS1_25partition_config_selectorILNS1_17partition_subalgoE9ExjbEEZZNS1_14partition_implILS5_9ELb0ES3_jN6thrust23THRUST_200600_302600_NS6detail15normal_iteratorINS9_10device_ptrIxEEEENSB_INSC_IjEEEEPNS0_10empty_typeENS0_5tupleIJSE_SH_EEENSJ_IJSG_SI_EEENS0_18inequality_wrapperINS9_8equal_toIxEEEEPmJSH_EEE10hipError_tPvRmT3_T4_T5_T6_T7_T9_mT8_P12ihipStream_tbDpT10_ENKUlT_T0_E_clISt17integral_constantIbLb0EES1A_EEDaS15_S16_EUlS15_E_NS1_11comp_targetILNS1_3genE9ELNS1_11target_archE1100ELNS1_3gpuE3ELNS1_3repE0EEENS1_30default_config_static_selectorELNS0_4arch9wavefront6targetE0EEEvT1_: ; @_ZN7rocprim17ROCPRIM_400000_NS6detail17trampoline_kernelINS0_14default_configENS1_25partition_config_selectorILNS1_17partition_subalgoE9ExjbEEZZNS1_14partition_implILS5_9ELb0ES3_jN6thrust23THRUST_200600_302600_NS6detail15normal_iteratorINS9_10device_ptrIxEEEENSB_INSC_IjEEEEPNS0_10empty_typeENS0_5tupleIJSE_SH_EEENSJ_IJSG_SI_EEENS0_18inequality_wrapperINS9_8equal_toIxEEEEPmJSH_EEE10hipError_tPvRmT3_T4_T5_T6_T7_T9_mT8_P12ihipStream_tbDpT10_ENKUlT_T0_E_clISt17integral_constantIbLb0EES1A_EEDaS15_S16_EUlS15_E_NS1_11comp_targetILNS1_3genE9ELNS1_11target_archE1100ELNS1_3gpuE3ELNS1_3repE0EEENS1_30default_config_static_selectorELNS0_4arch9wavefront6targetE0EEEvT1_
; %bb.0:
	s_clause 0x4
	s_load_b128 s[4:7], s[0:1], 0x8
	s_load_b32 s14, s[0:1], 0x68
	s_load_b128 s[16:19], s[0:1], 0x40
	s_load_b64 s[2:3], s[0:1], 0x50
	s_load_b64 s[12:13], s[0:1], 0x18
	s_mov_b32 s9, 0
	v_lshlrev_b32_e32 v47, 3, v0
	v_lshrrev_b32_e32 v24, 2, v0
	v_or_b32_e32 v21, 0x200, v0
	v_or_b32_e32 v20, 0x400, v0
	;; [unrolled: 1-line block ×7, first 2 shown]
	s_waitcnt lgkmcnt(0)
	s_lshl_b64 s[10:11], s[6:7], 3
	s_delay_alu instid0(SALU_CYCLE_1)
	s_add_u32 s21, s4, s10
	s_addc_u32 s22, s5, s11
	s_add_i32 s20, s14, -1
	s_load_b64 s[10:11], s[18:19], 0x0
	s_lshl_b32 s4, s20, 12
	s_lshl_b32 s5, s14, 12
	s_add_i32 s4, s6, s4
	s_lshl_b32 s8, s15, 12
	s_sub_i32 s19, s2, s4
	s_add_u32 s4, s6, s5
	s_addc_u32 s5, s7, 0
	s_cmp_eq_u32 s15, s20
	v_cmp_ge_u64_e64 s2, s[4:5], s[2:3]
	s_cselect_b32 s14, -1, 0
	s_mov_b32 s5, -1
	s_delay_alu instid0(VALU_DEP_1)
	s_and_b32 s20, s14, s2
	s_lshl_b64 s[2:3], s[8:9], 3
	s_xor_b32 s18, s20, -1
	s_add_u32 s4, s21, s2
	s_addc_u32 s3, s22, s3
	s_and_b32 vcc_lo, exec_lo, s18
	s_cbranch_vccz .LBB603_2
; %bb.1:
	v_add_co_u32 v1, s2, s4, v47
	s_delay_alu instid0(VALU_DEP_1) | instskip(SKIP_1) | instid1(VALU_DEP_3)
	v_add_co_ci_u32_e64 v2, null, s3, 0, s2
	v_lshrrev_b32_e32 v26, 2, v21
	v_add_co_u32 v3, vcc_lo, 0x1000, v1
	s_delay_alu instid0(VALU_DEP_3)
	v_add_co_ci_u32_e32 v4, vcc_lo, 0, v2, vcc_lo
	v_add_co_u32 v5, vcc_lo, 0x2000, v1
	v_add_co_ci_u32_e32 v6, vcc_lo, 0, v2, vcc_lo
	v_add_co_u32 v7, vcc_lo, 0x3000, v1
	;; [unrolled: 2-line block ×6, first 2 shown]
	v_add_co_ci_u32_e32 v16, vcc_lo, 0, v2, vcc_lo
	s_clause 0x7
	flat_load_b64 v[1:2], v[1:2]
	flat_load_b64 v[3:4], v[3:4]
	flat_load_b64 v[5:6], v[5:6]
	flat_load_b64 v[7:8], v[7:8]
	flat_load_b64 v[9:10], v[9:10]
	flat_load_b64 v[11:12], v[11:12]
	flat_load_b64 v[13:14], v[13:14]
	flat_load_b64 v[15:16], v[15:16]
	v_lshrrev_b32_e32 v27, 2, v20
	v_lshrrev_b32_e32 v28, 2, v23
	;; [unrolled: 1-line block ×3, first 2 shown]
	v_and_b32_e32 v25, 0x78, v24
	v_lshrrev_b32_e32 v30, 2, v18
	v_lshrrev_b32_e32 v31, 2, v17
	;; [unrolled: 1-line block ×3, first 2 shown]
	v_and_b32_e32 v26, 0xf8, v26
	v_and_b32_e32 v27, 0x178, v27
	;; [unrolled: 1-line block ×4, first 2 shown]
	v_add_nc_u32_e32 v25, v25, v47
	v_and_b32_e32 v30, 0x2f8, v30
	v_and_b32_e32 v31, 0x378, v31
	;; [unrolled: 1-line block ×3, first 2 shown]
	v_add_nc_u32_e32 v26, v26, v47
	v_add_nc_u32_e32 v27, v27, v47
	;; [unrolled: 1-line block ×4, first 2 shown]
	s_mov_b32 s5, s9
	v_add_nc_u32_e32 v30, v30, v47
	v_add_nc_u32_e32 v31, v31, v47
	;; [unrolled: 1-line block ×3, first 2 shown]
	s_waitcnt vmcnt(7) lgkmcnt(0)
	ds_store_b64 v25, v[1:2]
	s_waitcnt vmcnt(6)
	ds_store_b64 v26, v[3:4] offset:4096
	s_waitcnt vmcnt(5)
	ds_store_b64 v27, v[5:6] offset:8192
	;; [unrolled: 2-line block ×7, first 2 shown]
	s_waitcnt lgkmcnt(0)
	s_barrier
.LBB603_2:
	v_cmp_gt_u32_e64 s2, s19, v0
	s_and_not1_b32 vcc_lo, exec_lo, s5
	s_cbranch_vccnz .LBB603_20
; %bb.3:
                                        ; implicit-def: $vgpr1_vgpr2_vgpr3_vgpr4_vgpr5_vgpr6_vgpr7_vgpr8_vgpr9_vgpr10_vgpr11_vgpr12_vgpr13_vgpr14_vgpr15_vgpr16
	s_delay_alu instid0(VALU_DEP_1)
	s_and_saveexec_b32 s5, s2
	s_cbranch_execz .LBB603_11
; %bb.4:
	v_add_co_u32 v1, s2, s4, v47
	s_delay_alu instid0(VALU_DEP_1) | instskip(SKIP_2) | instid1(SALU_CYCLE_1)
	v_add_co_ci_u32_e64 v2, null, s3, 0, s2
	flat_load_b64 v[1:2], v[1:2]
	s_or_b32 exec_lo, exec_lo, s5
	s_mov_b32 s2, exec_lo
	v_cmpx_gt_u32_e64 s19, v21
	s_cbranch_execnz .LBB603_12
.LBB603_5:
	s_or_b32 exec_lo, exec_lo, s2
	s_delay_alu instid0(SALU_CYCLE_1)
	s_mov_b32 s2, exec_lo
	v_cmpx_gt_u32_e64 s19, v20
	s_cbranch_execz .LBB603_13
.LBB603_6:
	v_lshlrev_b32_e32 v5, 3, v20
	s_delay_alu instid0(VALU_DEP_1) | instskip(NEXT) | instid1(VALU_DEP_1)
	v_add_co_u32 v5, s5, s4, v5
	v_add_co_ci_u32_e64 v6, null, s3, 0, s5
	flat_load_b64 v[5:6], v[5:6]
	s_or_b32 exec_lo, exec_lo, s2
	s_delay_alu instid0(SALU_CYCLE_1)
	s_mov_b32 s2, exec_lo
	v_cmpx_gt_u32_e64 s19, v23
	s_cbranch_execnz .LBB603_14
.LBB603_7:
	s_or_b32 exec_lo, exec_lo, s2
	s_delay_alu instid0(SALU_CYCLE_1)
	s_mov_b32 s2, exec_lo
	v_cmpx_gt_u32_e64 s19, v22
	s_cbranch_execz .LBB603_15
.LBB603_8:
	v_lshlrev_b32_e32 v9, 3, v22
	s_delay_alu instid0(VALU_DEP_1) | instskip(NEXT) | instid1(VALU_DEP_1)
	v_add_co_u32 v9, s5, s4, v9
	v_add_co_ci_u32_e64 v10, null, s3, 0, s5
	flat_load_b64 v[9:10], v[9:10]
	s_or_b32 exec_lo, exec_lo, s2
	s_delay_alu instid0(SALU_CYCLE_1)
	s_mov_b32 s2, exec_lo
	v_cmpx_gt_u32_e64 s19, v18
	s_cbranch_execnz .LBB603_16
.LBB603_9:
	s_or_b32 exec_lo, exec_lo, s2
	s_delay_alu instid0(SALU_CYCLE_1)
	s_mov_b32 s2, exec_lo
	v_cmpx_gt_u32_e64 s19, v17
	s_cbranch_execz .LBB603_17
.LBB603_10:
	v_lshlrev_b32_e32 v13, 3, v17
	s_delay_alu instid0(VALU_DEP_1) | instskip(NEXT) | instid1(VALU_DEP_1)
	v_add_co_u32 v13, s5, s4, v13
	v_add_co_ci_u32_e64 v14, null, s3, 0, s5
	flat_load_b64 v[13:14], v[13:14]
	s_or_b32 exec_lo, exec_lo, s2
	s_delay_alu instid0(SALU_CYCLE_1)
	s_mov_b32 s2, exec_lo
	v_cmpx_gt_u32_e64 s19, v19
	s_cbranch_execnz .LBB603_18
	s_branch .LBB603_19
.LBB603_11:
	s_or_b32 exec_lo, exec_lo, s5
	s_delay_alu instid0(SALU_CYCLE_1)
	s_mov_b32 s2, exec_lo
	v_cmpx_gt_u32_e64 s19, v21
	s_cbranch_execz .LBB603_5
.LBB603_12:
	v_lshlrev_b32_e32 v3, 3, v21
	s_delay_alu instid0(VALU_DEP_1) | instskip(NEXT) | instid1(VALU_DEP_1)
	v_add_co_u32 v3, s5, s4, v3
	v_add_co_ci_u32_e64 v4, null, s3, 0, s5
	flat_load_b64 v[3:4], v[3:4]
	s_or_b32 exec_lo, exec_lo, s2
	s_delay_alu instid0(SALU_CYCLE_1)
	s_mov_b32 s2, exec_lo
	v_cmpx_gt_u32_e64 s19, v20
	s_cbranch_execnz .LBB603_6
.LBB603_13:
	s_or_b32 exec_lo, exec_lo, s2
	s_delay_alu instid0(SALU_CYCLE_1)
	s_mov_b32 s2, exec_lo
	v_cmpx_gt_u32_e64 s19, v23
	s_cbranch_execz .LBB603_7
.LBB603_14:
	v_lshlrev_b32_e32 v7, 3, v23
	s_delay_alu instid0(VALU_DEP_1) | instskip(NEXT) | instid1(VALU_DEP_1)
	v_add_co_u32 v7, s5, s4, v7
	v_add_co_ci_u32_e64 v8, null, s3, 0, s5
	flat_load_b64 v[7:8], v[7:8]
	s_or_b32 exec_lo, exec_lo, s2
	s_delay_alu instid0(SALU_CYCLE_1)
	s_mov_b32 s2, exec_lo
	v_cmpx_gt_u32_e64 s19, v22
	s_cbranch_execnz .LBB603_8
.LBB603_15:
	s_or_b32 exec_lo, exec_lo, s2
	s_delay_alu instid0(SALU_CYCLE_1)
	s_mov_b32 s2, exec_lo
	v_cmpx_gt_u32_e64 s19, v18
	s_cbranch_execz .LBB603_9
.LBB603_16:
	v_lshlrev_b32_e32 v11, 3, v18
	s_delay_alu instid0(VALU_DEP_1) | instskip(NEXT) | instid1(VALU_DEP_1)
	v_add_co_u32 v11, s5, s4, v11
	v_add_co_ci_u32_e64 v12, null, s3, 0, s5
	flat_load_b64 v[11:12], v[11:12]
	s_or_b32 exec_lo, exec_lo, s2
	s_delay_alu instid0(SALU_CYCLE_1)
	s_mov_b32 s2, exec_lo
	v_cmpx_gt_u32_e64 s19, v17
	s_cbranch_execnz .LBB603_10
.LBB603_17:
	s_or_b32 exec_lo, exec_lo, s2
	s_delay_alu instid0(SALU_CYCLE_1)
	s_mov_b32 s2, exec_lo
	v_cmpx_gt_u32_e64 s19, v19
	s_cbranch_execz .LBB603_19
.LBB603_18:
	v_lshlrev_b32_e32 v15, 3, v19
	s_delay_alu instid0(VALU_DEP_1) | instskip(NEXT) | instid1(VALU_DEP_1)
	v_add_co_u32 v15, s5, s4, v15
	v_add_co_ci_u32_e64 v16, null, s3, 0, s5
	flat_load_b64 v[15:16], v[15:16]
.LBB603_19:
	s_or_b32 exec_lo, exec_lo, s2
	v_lshrrev_b32_e32 v25, 2, v21
	v_lshrrev_b32_e32 v26, 2, v20
	;; [unrolled: 1-line block ×4, first 2 shown]
	v_and_b32_e32 v27, 0x78, v24
	v_lshrrev_b32_e32 v30, 2, v18
	v_lshrrev_b32_e32 v31, 2, v17
	v_lshrrev_b32_e32 v32, 2, v19
	v_and_b32_e32 v25, 0xf8, v25
	v_and_b32_e32 v26, 0x1f8, v26
	;; [unrolled: 1-line block ×4, first 2 shown]
	v_add_nc_u32_e32 v27, v27, v47
	v_and_b32_e32 v30, 0x3f8, v30
	v_and_b32_e32 v31, 0x3f8, v31
	;; [unrolled: 1-line block ×3, first 2 shown]
	v_add_nc_u32_e32 v25, v25, v47
	v_add_nc_u32_e32 v26, v26, v47
	v_add_nc_u32_e32 v28, v28, v47
	v_add_nc_u32_e32 v29, v29, v47
	v_add_nc_u32_e32 v30, v30, v47
	v_add_nc_u32_e32 v31, v31, v47
	v_add_nc_u32_e32 v32, v32, v47
	s_waitcnt vmcnt(0) lgkmcnt(0)
	ds_store_b64 v27, v[1:2]
	ds_store_b64 v25, v[3:4] offset:4096
	ds_store_b64 v26, v[5:6] offset:8192
	;; [unrolled: 1-line block ×7, first 2 shown]
	s_waitcnt lgkmcnt(0)
	s_barrier
.LBB603_20:
	v_add_nc_u32_e32 v24, v24, v47
	s_waitcnt lgkmcnt(0)
	buffer_gl0_inv
	s_lshl_b64 s[22:23], s[6:7], 2
	v_lshrrev_b32_e32 v26, 3, v0
	s_add_u32 s2, s12, s22
	v_lshlrev_b32_e32 v25, 3, v24
	s_addc_u32 s5, s13, s23
	s_lshl_b64 s[8:9], s[8:9], 2
	ds_load_2addr_b64 v[13:16], v25 offset1:1
	ds_load_2addr_b64 v[9:12], v25 offset0:2 offset1:3
	ds_load_2addr_b64 v[5:8], v25 offset0:4 offset1:5
	ds_load_2addr_b64 v[1:4], v25 offset0:6 offset1:7
	s_add_u32 s2, s2, s8
	s_addc_u32 s5, s5, s9
	s_and_b32 vcc_lo, exec_lo, s18
	s_mov_b32 s8, -1
	s_waitcnt lgkmcnt(0)
	s_barrier
	buffer_gl0_inv
	s_cbranch_vccz .LBB603_22
; %bb.21:
	v_lshlrev_b32_e32 v35, 2, v0
	v_lshrrev_b32_e32 v37, 3, v21
	v_lshrrev_b32_e32 v38, 3, v20
	;; [unrolled: 1-line block ×4, first 2 shown]
	v_add_co_u32 v27, s8, s2, v35
	s_delay_alu instid0(VALU_DEP_1) | instskip(SKIP_1) | instid1(VALU_DEP_3)
	v_add_co_ci_u32_e64 v28, null, s5, 0, s8
	v_lshrrev_b32_e32 v41, 3, v18
	v_add_co_u32 v29, vcc_lo, 0x1000, v27
	s_delay_alu instid0(VALU_DEP_3)
	v_add_co_ci_u32_e32 v30, vcc_lo, 0, v28, vcc_lo
	v_add_co_u32 v31, vcc_lo, 0x2000, v27
	v_add_co_ci_u32_e32 v32, vcc_lo, 0, v28, vcc_lo
	v_add_co_u32 v33, vcc_lo, 0x3000, v27
	v_add_co_ci_u32_e32 v34, vcc_lo, 0, v28, vcc_lo
	s_clause 0x7
	flat_load_b32 v36, v[27:28]
	flat_load_b32 v27, v[27:28] offset:2048
	flat_load_b32 v28, v[29:30]
	flat_load_b32 v29, v[29:30] offset:2048
	;; [unrolled: 2-line block ×4, first 2 shown]
	v_and_b32_e32 v34, 60, v26
	v_lshrrev_b32_e32 v42, 3, v17
	v_lshrrev_b32_e32 v43, 3, v19
	v_and_b32_e32 v37, 0x7c, v37
	v_and_b32_e32 v38, 0xbc, v38
	;; [unrolled: 1-line block ×4, first 2 shown]
	v_add_nc_u32_e32 v34, v34, v35
	v_and_b32_e32 v41, 0x17c, v41
	v_and_b32_e32 v42, 0x1bc, v42
	;; [unrolled: 1-line block ×3, first 2 shown]
	v_add_nc_u32_e32 v37, v37, v35
	v_add_nc_u32_e32 v38, v38, v35
	;; [unrolled: 1-line block ×4, first 2 shown]
	s_mov_b32 s8, 0
	v_add_nc_u32_e32 v41, v41, v35
	v_add_nc_u32_e32 v42, v42, v35
	;; [unrolled: 1-line block ×3, first 2 shown]
	s_waitcnt vmcnt(7) lgkmcnt(7)
	ds_store_b32 v34, v36
	s_waitcnt vmcnt(6) lgkmcnt(7)
	ds_store_b32 v37, v27 offset:2048
	s_waitcnt vmcnt(5) lgkmcnt(7)
	ds_store_b32 v38, v28 offset:4096
	;; [unrolled: 2-line block ×7, first 2 shown]
	s_waitcnt lgkmcnt(0)
	s_barrier
.LBB603_22:
	s_and_not1_b32 vcc_lo, exec_lo, s8
	s_cbranch_vccnz .LBB603_40
; %bb.23:
	s_mov_b32 s8, exec_lo
                                        ; implicit-def: $vgpr27
	v_cmpx_gt_u32_e64 s19, v0
	s_cbranch_execz .LBB603_25
; %bb.24:
	v_lshlrev_b32_e32 v27, 2, v0
	s_delay_alu instid0(VALU_DEP_1) | instskip(NEXT) | instid1(VALU_DEP_1)
	v_add_co_u32 v27, s9, s2, v27
	v_add_co_ci_u32_e64 v28, null, s5, 0, s9
	flat_load_b32 v27, v[27:28]
.LBB603_25:
	s_or_b32 exec_lo, exec_lo, s8
	s_delay_alu instid0(SALU_CYCLE_1)
	s_mov_b32 s8, exec_lo
                                        ; implicit-def: $vgpr28
	v_cmpx_gt_u32_e64 s19, v21
	s_cbranch_execz .LBB603_27
; %bb.26:
	v_lshlrev_b32_e32 v28, 2, v0
	s_delay_alu instid0(VALU_DEP_1) | instskip(NEXT) | instid1(VALU_DEP_1)
	v_add_co_u32 v28, s9, s2, v28
	v_add_co_ci_u32_e64 v29, null, s5, 0, s9
	flat_load_b32 v28, v[28:29] offset:2048
.LBB603_27:
	s_or_b32 exec_lo, exec_lo, s8
	s_delay_alu instid0(SALU_CYCLE_1)
	s_mov_b32 s8, exec_lo
                                        ; implicit-def: $vgpr29
	v_cmpx_gt_u32_e64 s19, v20
	s_cbranch_execz .LBB603_29
; %bb.28:
	v_lshlrev_b32_e32 v29, 2, v20
	s_delay_alu instid0(VALU_DEP_1) | instskip(NEXT) | instid1(VALU_DEP_1)
	v_add_co_u32 v29, s9, s2, v29
	v_add_co_ci_u32_e64 v30, null, s5, 0, s9
	flat_load_b32 v29, v[29:30]
.LBB603_29:
	s_or_b32 exec_lo, exec_lo, s8
	s_delay_alu instid0(SALU_CYCLE_1)
	s_mov_b32 s8, exec_lo
                                        ; implicit-def: $vgpr30
	v_cmpx_gt_u32_e64 s19, v23
	s_cbranch_execz .LBB603_31
; %bb.30:
	v_lshlrev_b32_e32 v30, 2, v23
	s_delay_alu instid0(VALU_DEP_1) | instskip(NEXT) | instid1(VALU_DEP_1)
	v_add_co_u32 v30, s9, s2, v30
	v_add_co_ci_u32_e64 v31, null, s5, 0, s9
	flat_load_b32 v30, v[30:31]
.LBB603_31:
	s_or_b32 exec_lo, exec_lo, s8
	s_delay_alu instid0(SALU_CYCLE_1)
	s_mov_b32 s8, exec_lo
                                        ; implicit-def: $vgpr31
	v_cmpx_gt_u32_e64 s19, v22
	s_cbranch_execz .LBB603_33
; %bb.32:
	v_lshlrev_b32_e32 v31, 2, v22
	s_delay_alu instid0(VALU_DEP_1) | instskip(NEXT) | instid1(VALU_DEP_1)
	v_add_co_u32 v31, s9, s2, v31
	v_add_co_ci_u32_e64 v32, null, s5, 0, s9
	flat_load_b32 v31, v[31:32]
.LBB603_33:
	s_or_b32 exec_lo, exec_lo, s8
	s_delay_alu instid0(SALU_CYCLE_1)
	s_mov_b32 s8, exec_lo
                                        ; implicit-def: $vgpr32
	v_cmpx_gt_u32_e64 s19, v18
	s_cbranch_execz .LBB603_35
; %bb.34:
	v_lshlrev_b32_e32 v32, 2, v18
	s_delay_alu instid0(VALU_DEP_1) | instskip(NEXT) | instid1(VALU_DEP_1)
	v_add_co_u32 v32, s9, s2, v32
	v_add_co_ci_u32_e64 v33, null, s5, 0, s9
	flat_load_b32 v32, v[32:33]
.LBB603_35:
	s_or_b32 exec_lo, exec_lo, s8
	s_delay_alu instid0(SALU_CYCLE_1)
	s_mov_b32 s8, exec_lo
                                        ; implicit-def: $vgpr33
	v_cmpx_gt_u32_e64 s19, v17
	s_cbranch_execz .LBB603_37
; %bb.36:
	v_lshlrev_b32_e32 v33, 2, v17
	s_delay_alu instid0(VALU_DEP_1) | instskip(NEXT) | instid1(VALU_DEP_1)
	v_add_co_u32 v33, s9, s2, v33
	v_add_co_ci_u32_e64 v34, null, s5, 0, s9
	flat_load_b32 v33, v[33:34]
.LBB603_37:
	s_or_b32 exec_lo, exec_lo, s8
	s_delay_alu instid0(SALU_CYCLE_1)
	s_mov_b32 s8, exec_lo
                                        ; implicit-def: $vgpr34
	v_cmpx_gt_u32_e64 s19, v19
	s_cbranch_execz .LBB603_39
; %bb.38:
	v_lshlrev_b32_e32 v34, 2, v19
	s_delay_alu instid0(VALU_DEP_1) | instskip(NEXT) | instid1(VALU_DEP_1)
	v_add_co_u32 v34, s2, s2, v34
	v_add_co_ci_u32_e64 v35, null, s5, 0, s2
	flat_load_b32 v34, v[34:35]
.LBB603_39:
	s_or_b32 exec_lo, exec_lo, s8
	v_lshrrev_b32_e32 v21, 3, v21
	v_lshrrev_b32_e32 v20, 3, v20
	;; [unrolled: 1-line block ×4, first 2 shown]
	v_and_b32_e32 v26, 60, v26
	v_lshlrev_b32_e32 v35, 2, v0
	v_lshrrev_b32_e32 v18, 3, v18
	v_lshrrev_b32_e32 v17, 3, v17
	;; [unrolled: 1-line block ×3, first 2 shown]
	v_and_b32_e32 v21, 0x7c, v21
	v_and_b32_e32 v20, 0xfc, v20
	;; [unrolled: 1-line block ×4, first 2 shown]
	v_add_nc_u32_e32 v26, v26, v35
	v_and_b32_e32 v18, 0x1fc, v18
	v_and_b32_e32 v17, 0x1fc, v17
	;; [unrolled: 1-line block ×3, first 2 shown]
	v_add_nc_u32_e32 v21, v21, v35
	v_add_nc_u32_e32 v20, v20, v35
	;; [unrolled: 1-line block ×7, first 2 shown]
	s_waitcnt vmcnt(0) lgkmcnt(0)
	ds_store_b32 v26, v27
	ds_store_b32 v21, v28 offset:2048
	ds_store_b32 v20, v29 offset:4096
	;; [unrolled: 1-line block ×7, first 2 shown]
	s_waitcnt lgkmcnt(0)
	s_barrier
.LBB603_40:
	v_lshlrev_b32_e32 v17, 2, v24
	buffer_gl0_inv
	s_cmp_lg_u32 s15, 0
	s_mov_b32 s12, 0
	s_cselect_b32 s9, -1, 0
	v_sub_nc_u32_e32 v17, v25, v17
	s_cmp_lg_u64 s[6:7], 0
	ds_load_2addr_b32 v[23:24], v17 offset1:1
	ds_load_2addr_b32 v[21:22], v17 offset0:2 offset1:3
	ds_load_2addr_b32 v[19:20], v17 offset0:4 offset1:5
	;; [unrolled: 1-line block ×3, first 2 shown]
	s_cselect_b32 s2, -1, 0
	s_waitcnt lgkmcnt(0)
	s_or_b32 s2, s9, s2
	s_barrier
	s_and_b32 vcc_lo, exec_lo, s2
	buffer_gl0_inv
	s_cbranch_vccz .LBB603_45
; %bb.41:
	v_add_co_u32 v25, s2, -8, s4
	s_delay_alu instid0(VALU_DEP_1)
	v_add_co_ci_u32_e64 v26, null, -1, s3, s2
	s_mov_b32 s3, -1
	s_and_b32 vcc_lo, exec_lo, s18
	flat_load_b64 v[27:28], v[25:26]
	ds_store_b64 v47, v[3:4]
	s_cbranch_vccz .LBB603_46
; %bb.42:
	s_waitcnt vmcnt(0) lgkmcnt(1)
	v_dual_mov_b32 v25, v27 :: v_dual_mov_b32 v26, v28
	s_mov_b32 s3, 0
	s_mov_b32 s2, exec_lo
	s_waitcnt lgkmcnt(0)
	s_barrier
	buffer_gl0_inv
	v_cmpx_ne_u32_e32 0, v0
	s_cbranch_execz .LBB603_44
; %bb.43:
	v_add_nc_u32_e32 v25, -8, v47
	ds_load_b64 v[25:26], v25
.LBB603_44:
	s_or_b32 exec_lo, exec_lo, s2
	v_cmp_ne_u64_e32 vcc_lo, v[1:2], v[3:4]
	s_waitcnt lgkmcnt(0)
	v_cmp_ne_u64_e64 s2, v[25:26], v[13:14]
	v_cndmask_b32_e64 v29, 0, 1, vcc_lo
	v_cmp_ne_u64_e32 vcc_lo, v[7:8], v[1:2]
	s_delay_alu instid0(VALU_DEP_2) | instskip(SKIP_2) | instid1(VALU_DEP_2)
	v_lshlrev_b16 v29, 8, v29
	v_cndmask_b32_e64 v30, 0, 1, vcc_lo
	v_cmp_ne_u64_e32 vcc_lo, v[5:6], v[7:8]
	v_or_b32_e32 v29, v30, v29
	v_cndmask_b32_e64 v31, 0, 1, vcc_lo
	v_cmp_ne_u64_e32 vcc_lo, v[9:10], v[11:12]
	s_delay_alu instid0(VALU_DEP_3) | instskip(NEXT) | instid1(VALU_DEP_3)
	v_lshlrev_b32_e32 v29, 16, v29
	v_lshlrev_b16 v31, 8, v31
	v_cndmask_b32_e64 v32, 0, 1, vcc_lo
	v_cmp_ne_u64_e32 vcc_lo, v[11:12], v[5:6]
	s_delay_alu instid0(VALU_DEP_2) | instskip(SKIP_2) | instid1(VALU_DEP_2)
	v_lshlrev_b16 v32, 8, v32
	v_cndmask_b32_e64 v33, 0, 1, vcc_lo
	v_cmp_ne_u64_e32 vcc_lo, v[15:16], v[9:10]
	v_or_b32_e32 v31, v33, v31
	v_cndmask_b32_e64 v34, 0, 1, vcc_lo
	v_cmp_ne_u64_e32 vcc_lo, v[13:14], v[15:16]
	s_delay_alu instid0(VALU_DEP_3) | instskip(NEXT) | instid1(VALU_DEP_3)
	v_and_b32_e32 v31, 0xffff, v31
	v_or_b32_e32 v32, v34, v32
	v_cndmask_b32_e64 v35, 0, 1, vcc_lo
	s_delay_alu instid0(VALU_DEP_3) | instskip(NEXT) | instid1(VALU_DEP_3)
	v_or_b32_e32 v26, v31, v29
	v_lshlrev_b32_e32 v30, 16, v32
	s_delay_alu instid0(VALU_DEP_3) | instskip(NEXT) | instid1(VALU_DEP_1)
	v_lshlrev_b16 v34, 8, v35
	v_and_b32_e32 v32, 0xffff, v34
	s_delay_alu instid0(VALU_DEP_1)
	v_or_b32_e32 v25, v32, v30
	s_and_b32 vcc_lo, exec_lo, s3
	s_cbranch_vccnz .LBB603_47
	s_branch .LBB603_50
.LBB603_45:
                                        ; implicit-def: $sgpr2
                                        ; implicit-def: $vgpr26
	s_branch .LBB603_51
.LBB603_46:
                                        ; implicit-def: $sgpr2
                                        ; implicit-def: $vgpr26
	s_and_b32 vcc_lo, exec_lo, s3
	s_cbranch_vccz .LBB603_50
.LBB603_47:
	s_mov_b32 s2, exec_lo
	s_waitcnt vmcnt(0) lgkmcnt(0)
	s_barrier
	buffer_gl0_inv
	v_cmpx_ne_u32_e32 0, v0
	s_cbranch_execz .LBB603_49
; %bb.48:
	v_add_nc_u32_e32 v25, -8, v47
	ds_load_b64 v[27:28], v25
.LBB603_49:
	s_or_b32 exec_lo, exec_lo, s2
	v_or_b32_e32 v25, 7, v47
	v_or_b32_e32 v26, 6, v47
	v_cmp_ne_u64_e32 vcc_lo, v[1:2], v[3:4]
	v_or_b32_e32 v29, 5, v47
	v_cmp_ne_u64_e64 s3, v[7:8], v[1:2]
	v_cmp_gt_u32_e64 s2, s19, v25
	v_cmp_gt_u32_e64 s4, s19, v26
	v_cmp_ne_u64_e64 s5, v[5:6], v[7:8]
	v_cmp_gt_u32_e64 s6, s19, v29
	v_or_b32_e32 v29, 3, v47
	s_and_b32 s2, s2, vcc_lo
	v_or_b32_e32 v30, 4, v47
	v_cndmask_b32_e64 v25, 0, 1, s2
	s_and_b32 s2, s4, s3
	v_cmp_ne_u64_e32 vcc_lo, v[9:10], v[11:12]
	v_cndmask_b32_e64 v26, 0, 1, s2
	s_and_b32 s2, s6, s5
	v_cmp_gt_u32_e64 s3, s19, v30
	v_cndmask_b32_e64 v31, 0, 1, s2
	v_cmp_gt_u32_e64 s2, s19, v29
	v_or_b32_e32 v29, 2, v47
	v_or_b32_e32 v30, 1, v47
	v_cmp_ne_u64_e64 s4, v[11:12], v[5:6]
	v_cmp_ne_u64_e64 s6, v[13:14], v[15:16]
	s_and_b32 s2, s2, vcc_lo
	v_cmp_ne_u64_e32 vcc_lo, v[15:16], v[9:10]
	v_cndmask_b32_e64 v32, 0, 1, s2
	v_cmp_gt_u32_e64 s2, s19, v29
	v_cmp_gt_u32_e64 s5, s19, v30
	s_and_b32 s3, s3, s4
	v_lshlrev_b16 v31, 8, v31
	v_cndmask_b32_e64 v29, 0, 1, s3
	s_and_b32 s2, s2, vcc_lo
	v_lshlrev_b16 v32, 8, v32
	v_cndmask_b32_e64 v30, 0, 1, s2
	s_and_b32 s2, s5, s6
	v_lshlrev_b16 v25, 8, v25
	v_cndmask_b32_e64 v33, 0, 1, s2
	v_or_b32_e32 v29, v29, v31
	v_or_b32_e32 v30, v30, v32
	s_waitcnt lgkmcnt(0)
	v_cmp_ne_u64_e32 vcc_lo, v[27:28], v[13:14]
	v_or_b32_e32 v25, v26, v25
	v_lshlrev_b16 v32, 8, v33
	v_and_b32_e32 v29, 0xffff, v29
	v_lshlrev_b32_e32 v26, 16, v30
	v_cmp_gt_u32_e64 s2, s19, v47
	v_lshlrev_b32_e32 v31, 16, v25
	v_and_b32_e32 v30, 0xffff, v32
	s_delay_alu instid0(VALU_DEP_3) | instskip(NEXT) | instid1(VALU_DEP_1)
	s_and_b32 s2, s2, vcc_lo
	v_or_b32_e32 v25, v30, v26
	s_delay_alu instid0(VALU_DEP_3)
	v_or_b32_e32 v26, v29, v31
.LBB603_50:
	s_mov_b32 s12, -1
	s_cbranch_execnz .LBB603_59
.LBB603_51:
	v_cmp_ne_u64_e64 s3, v[1:2], v[3:4]
	v_cmp_ne_u64_e64 s4, v[7:8], v[1:2]
	v_cmp_ne_u64_e64 s5, v[5:6], v[7:8]
	v_cmp_ne_u64_e64 s6, v[11:12], v[5:6]
	v_cmp_ne_u64_e64 s7, v[9:10], v[11:12]
	v_cmp_ne_u64_e64 s2, v[15:16], v[9:10]
	v_cmp_ne_u64_e64 s8, v[13:14], v[15:16]
	s_and_b32 vcc_lo, exec_lo, s18
	ds_store_b64 v47, v[3:4]
	s_cbranch_vccz .LBB603_55
; %bb.52:
	v_cndmask_b32_e64 v25, 0, 1, s3
	s_waitcnt vmcnt(0) lgkmcnt(2)
	v_cndmask_b32_e64 v27, 0, 1, s5
	v_cndmask_b32_e64 v29, 0, 1, s7
	;; [unrolled: 1-line block ×6, first 2 shown]
	v_lshlrev_b16 v27, 8, v27
	v_lshlrev_b16 v25, 8, v25
	;; [unrolled: 1-line block ×4, first 2 shown]
	s_mov_b32 s3, 0
	v_or_b32_e32 v27, v28, v27
	v_or_b32_e32 v25, v26, v25
	;; [unrolled: 1-line block ×4, first 2 shown]
	s_mov_b32 s4, exec_lo
	v_and_b32_e32 v27, 0xffff, v27
	v_lshlrev_b32_e32 v25, 16, v25
	v_lshlrev_b32_e32 v29, 16, v26
	v_and_b32_e32 v28, 0xffff, v28
	s_waitcnt lgkmcnt(0)
	s_barrier
	v_or_b32_e32 v26, v27, v25
	buffer_gl0_inv
	v_or_b32_e32 v25, v28, v29
                                        ; implicit-def: $sgpr2
	v_cmpx_ne_u32_e32 0, v0
	s_xor_b32 s4, exec_lo, s4
	s_cbranch_execz .LBB603_54
; %bb.53:
	v_add_nc_u32_e32 v27, -8, v47
	s_or_b32 s12, s12, exec_lo
	ds_load_b64 v[27:28], v27
	s_waitcnt lgkmcnt(0)
	v_cmp_ne_u64_e32 vcc_lo, v[27:28], v[13:14]
	s_and_b32 s2, vcc_lo, exec_lo
.LBB603_54:
	s_or_b32 exec_lo, exec_lo, s4
	s_delay_alu instid0(SALU_CYCLE_1)
	s_and_b32 vcc_lo, exec_lo, s3
	s_cbranch_vccnz .LBB603_56
	s_branch .LBB603_59
.LBB603_55:
                                        ; implicit-def: $sgpr2
                                        ; implicit-def: $vgpr26
	s_cbranch_execz .LBB603_59
.LBB603_56:
	v_or_b32_e32 v25, 7, v47
	v_or_b32_e32 v26, 6, v47
	v_cmp_ne_u64_e32 vcc_lo, v[1:2], v[3:4]
	v_cmp_ne_u64_e64 s2, v[7:8], v[1:2]
	s_waitcnt vmcnt(0) lgkmcnt(2)
	v_or_b32_e32 v27, 4, v47
	v_cmp_gt_u32_e64 s3, s19, v25
	v_or_b32_e32 v25, 5, v47
	v_cmp_gt_u32_e64 s5, s19, v26
	v_cmp_ne_u64_e64 s4, v[5:6], v[7:8]
	v_cmp_ne_u64_e64 s6, v[11:12], v[5:6]
	s_and_b32 s3, s3, vcc_lo
	v_cmp_gt_u32_e32 vcc_lo, s19, v25
	v_cndmask_b32_e64 v26, 0, 1, s3
	v_cmp_gt_u32_e64 s3, s19, v27
	s_and_b32 s2, s5, s2
	v_or_b32_e32 v28, 3, v47
	v_cndmask_b32_e64 v25, 0, 1, s2
	s_and_b32 s2, vcc_lo, s4
	v_or_b32_e32 v30, 1, v47
	v_cndmask_b32_e64 v27, 0, 1, s2
	s_and_b32 s2, s3, s6
	v_cmp_ne_u64_e32 vcc_lo, v[9:10], v[11:12]
	v_cndmask_b32_e64 v29, 0, 1, s2
	v_cmp_gt_u32_e64 s2, s19, v28
	v_cmp_ne_u64_e64 s3, v[13:14], v[15:16]
	v_or_b32_e32 v31, 2, v47
	v_cmp_gt_u32_e64 s4, s19, v30
	v_cmp_ne_u64_e64 s5, v[15:16], v[9:10]
	s_and_b32 s2, s2, vcc_lo
	v_lshlrev_b16 v27, 8, v27
	v_cmp_gt_u32_e64 s6, s19, v31
	v_cndmask_b32_e64 v28, 0, 1, s2
	s_and_b32 s2, s4, s3
	v_lshlrev_b16 v26, 8, v26
	v_cndmask_b32_e64 v30, 0, 1, s2
	s_and_b32 s2, s6, s5
	v_lshlrev_b16 v28, 8, v28
	v_cndmask_b32_e64 v31, 0, 1, s2
	v_or_b32_e32 v27, v29, v27
	v_lshlrev_b16 v30, 8, v30
	v_or_b32_e32 v25, v25, v26
	s_mov_b32 s3, exec_lo
	v_or_b32_e32 v26, v31, v28
	v_and_b32_e32 v27, 0xffff, v27
	v_or_b32_e32 v28, 1, v30
	v_lshlrev_b32_e32 v25, 16, v25
	s_waitcnt lgkmcnt(0)
	v_lshlrev_b32_e32 v29, 16, v26
	s_barrier
	v_and_b32_e32 v28, 0xffff, v28
	v_or_b32_e32 v26, v27, v25
	buffer_gl0_inv
                                        ; implicit-def: $sgpr2
	v_or_b32_e32 v25, v28, v29
	v_cmpx_ne_u32_e32 0, v0
	s_cbranch_execz .LBB603_58
; %bb.57:
	v_add_nc_u32_e32 v27, -8, v47
	v_cmp_gt_u32_e64 s2, s19, v47
	s_or_b32 s12, s12, exec_lo
	ds_load_b64 v[27:28], v27
	s_waitcnt lgkmcnt(0)
	v_cmp_ne_u64_e32 vcc_lo, v[27:28], v[13:14]
	s_and_b32 s2, s2, vcc_lo
	s_delay_alu instid0(SALU_CYCLE_1)
	s_and_b32 s2, s2, exec_lo
.LBB603_58:
	s_or_b32 exec_lo, exec_lo, s3
.LBB603_59:
	s_and_saveexec_b32 s3, s12
	s_cbranch_execz .LBB603_61
; %bb.60:
	s_waitcnt vmcnt(0) lgkmcnt(1)
	v_and_b32_e32 v27, 0xffffff00, v25
	v_cndmask_b32_e64 v28, 0, 1, s2
	s_delay_alu instid0(VALU_DEP_1) | instskip(NEXT) | instid1(VALU_DEP_1)
	v_or_b32_e32 v27, v28, v27
	v_and_b32_e32 v27, 0xffff, v27
	s_delay_alu instid0(VALU_DEP_1)
	v_and_or_b32 v25, 0xffff0000, v25, v27
.LBB603_61:
	s_or_b32 exec_lo, exec_lo, s3
	s_load_b64 s[12:13], s[0:1], 0x60
	s_and_not1_b32 vcc_lo, exec_lo, s20
	s_cbranch_vccnz .LBB603_63
; %bb.62:
	v_cmp_gt_u32_e32 vcc_lo, s19, v47
	s_waitcnt vmcnt(0) lgkmcnt(0)
	v_or_b32_e32 v28, 1, v47
	v_and_b32_e32 v29, 0xffffff00, v26
	v_or_b32_e32 v30, 2, v47
	v_cndmask_b32_e32 v27, 0, v25, vcc_lo
	s_delay_alu instid0(VALU_DEP_4) | instskip(SKIP_1) | instid1(VALU_DEP_4)
	v_cmp_gt_u32_e32 vcc_lo, s19, v28
	v_or_b32_e32 v28, 4, v47
	v_cmp_gt_u32_e64 s2, s19, v30
	v_or_b32_e32 v30, 3, v47
	v_and_b32_e32 v27, 0xff, v27
	s_delay_alu instid0(VALU_DEP_2) | instskip(NEXT) | instid1(VALU_DEP_2)
	v_cmp_gt_u32_e64 s3, s19, v30
	v_cndmask_b32_e32 v27, v27, v25, vcc_lo
	v_cmp_gt_u32_e32 vcc_lo, s19, v28
	v_cndmask_b32_e32 v28, v29, v26, vcc_lo
	v_or_b32_e32 v29, 5, v47
	s_delay_alu instid0(VALU_DEP_2) | instskip(SKIP_1) | instid1(VALU_DEP_1)
	v_and_b32_e32 v28, 0xffff00ff, v28
	v_and_b32_e32 v27, 0xffff, v27
	v_cndmask_b32_e64 v27, v27, v25, s2
	s_delay_alu instid0(VALU_DEP_4) | instskip(SKIP_1) | instid1(VALU_DEP_3)
	v_cmp_gt_u32_e64 s2, s19, v29
	v_or_b32_e32 v29, 6, v47
	v_and_b32_e32 v27, 0xffffff, v27
	s_delay_alu instid0(VALU_DEP_3) | instskip(NEXT) | instid1(VALU_DEP_2)
	v_cndmask_b32_e64 v28, v28, v26, s2
	v_cndmask_b32_e64 v27, v27, v25, s3
	s_delay_alu instid0(VALU_DEP_1) | instskip(SKIP_2) | instid1(VALU_DEP_3)
	v_dual_cndmask_b32 v27, v27, v25 :: v_dual_and_b32 v28, 0xff00ffff, v28
	v_cmp_gt_u32_e32 vcc_lo, s19, v29
	v_or_b32_e32 v29, 7, v47
	v_cndmask_b32_e64 v27, v27, v25, s2
	s_delay_alu instid0(VALU_DEP_1) | instskip(NEXT) | instid1(VALU_DEP_1)
	v_dual_cndmask_b32 v28, v28, v26 :: v_dual_cndmask_b32 v27, v27, v25
	v_and_b32_e32 v28, 0xffffff, v28
	s_delay_alu instid0(VALU_DEP_4) | instskip(NEXT) | instid1(VALU_DEP_2)
	v_cmp_gt_u32_e32 vcc_lo, s19, v29
	v_dual_cndmask_b32 v26, v28, v26 :: v_dual_cndmask_b32 v25, v27, v25
.LBB603_63:
	s_delay_alu instid0(VALU_DEP_1) | instskip(SKIP_1) | instid1(VALU_DEP_2)
	v_and_b32_e32 v36, 0xff, v25
	s_waitcnt vmcnt(0) lgkmcnt(0)
	v_alignbit_b32 v27, v26, v25, 24
	v_bfe_u32 v38, v25, 8, 8
	v_bfe_u32 v40, v25, 16, 8
	v_and_b32_e32 v44, 0xff, v26
	v_bfe_u32 v46, v26, 8, 8
	v_and_b32_e32 v42, 0xff, v27
	v_add_nc_u32_e32 v27, v38, v36
	v_mbcnt_lo_u32_b32 v50, -1, 0
	v_bfe_u32 v49, v26, 16, 8
	v_lshrrev_b32_e32 v48, 24, v26
	v_lshrrev_b32_e32 v51, 5, v0
	v_add3_u32 v27, v27, v40, v42
	v_and_b32_e32 v28, 15, v50
	v_and_b32_e32 v29, 16, v50
	s_and_b32 vcc_lo, exec_lo, s9
	s_mov_b32 s9, -1
	v_add3_u32 v27, v27, v44, v46
	v_cmp_eq_u32_e64 s4, 0, v28
	v_cmp_lt_u32_e64 s2, 1, v28
	v_cmp_lt_u32_e64 s5, 3, v28
	;; [unrolled: 1-line block ×3, first 2 shown]
	v_add3_u32 v52, v27, v49, v48
	v_or_b32_e32 v27, 31, v0
	v_cmp_eq_u32_e64 s7, 0, v29
	s_barrier
	buffer_gl0_inv
	v_cmp_eq_u32_e64 s6, v27, v0
	s_cbranch_vccz .LBB603_89
; %bb.64:
	v_mov_b32_dpp v27, v52 row_shr:1 row_mask:0xf bank_mask:0xf
	s_delay_alu instid0(VALU_DEP_1) | instskip(NEXT) | instid1(VALU_DEP_1)
	v_cndmask_b32_e64 v27, v27, 0, s4
	v_add_nc_u32_e32 v27, v27, v52
	s_delay_alu instid0(VALU_DEP_1) | instskip(NEXT) | instid1(VALU_DEP_1)
	v_mov_b32_dpp v28, v27 row_shr:2 row_mask:0xf bank_mask:0xf
	v_cndmask_b32_e64 v28, 0, v28, s2
	s_delay_alu instid0(VALU_DEP_1) | instskip(NEXT) | instid1(VALU_DEP_1)
	v_add_nc_u32_e32 v27, v27, v28
	v_mov_b32_dpp v28, v27 row_shr:4 row_mask:0xf bank_mask:0xf
	s_delay_alu instid0(VALU_DEP_1) | instskip(NEXT) | instid1(VALU_DEP_1)
	v_cndmask_b32_e64 v28, 0, v28, s5
	v_add_nc_u32_e32 v27, v27, v28
	s_delay_alu instid0(VALU_DEP_1) | instskip(NEXT) | instid1(VALU_DEP_1)
	v_mov_b32_dpp v28, v27 row_shr:8 row_mask:0xf bank_mask:0xf
	v_cndmask_b32_e64 v28, 0, v28, s3
	s_delay_alu instid0(VALU_DEP_1) | instskip(SKIP_3) | instid1(VALU_DEP_1)
	v_add_nc_u32_e32 v27, v27, v28
	ds_swizzle_b32 v28, v27 offset:swizzle(BROADCAST,32,15)
	s_waitcnt lgkmcnt(0)
	v_cndmask_b32_e64 v28, v28, 0, s7
	v_add_nc_u32_e32 v27, v27, v28
	s_and_saveexec_b32 s8, s6
	s_cbranch_execz .LBB603_66
; %bb.65:
	v_lshlrev_b32_e32 v28, 2, v51
	ds_store_b32 v28, v27
.LBB603_66:
	s_or_b32 exec_lo, exec_lo, s8
	s_delay_alu instid0(SALU_CYCLE_1)
	s_mov_b32 s8, exec_lo
	s_waitcnt lgkmcnt(0)
	s_barrier
	buffer_gl0_inv
	v_cmpx_gt_u32_e32 16, v0
	s_cbranch_execz .LBB603_68
; %bb.67:
	v_lshlrev_b32_e32 v28, 2, v0
	ds_load_b32 v29, v28
	s_waitcnt lgkmcnt(0)
	v_mov_b32_dpp v30, v29 row_shr:1 row_mask:0xf bank_mask:0xf
	s_delay_alu instid0(VALU_DEP_1) | instskip(NEXT) | instid1(VALU_DEP_1)
	v_cndmask_b32_e64 v30, v30, 0, s4
	v_add_nc_u32_e32 v29, v30, v29
	s_delay_alu instid0(VALU_DEP_1) | instskip(NEXT) | instid1(VALU_DEP_1)
	v_mov_b32_dpp v30, v29 row_shr:2 row_mask:0xf bank_mask:0xf
	v_cndmask_b32_e64 v30, 0, v30, s2
	s_delay_alu instid0(VALU_DEP_1) | instskip(NEXT) | instid1(VALU_DEP_1)
	v_add_nc_u32_e32 v29, v29, v30
	v_mov_b32_dpp v30, v29 row_shr:4 row_mask:0xf bank_mask:0xf
	s_delay_alu instid0(VALU_DEP_1) | instskip(NEXT) | instid1(VALU_DEP_1)
	v_cndmask_b32_e64 v30, 0, v30, s5
	v_add_nc_u32_e32 v29, v29, v30
	s_delay_alu instid0(VALU_DEP_1) | instskip(NEXT) | instid1(VALU_DEP_1)
	v_mov_b32_dpp v30, v29 row_shr:8 row_mask:0xf bank_mask:0xf
	v_cndmask_b32_e64 v30, 0, v30, s3
	s_delay_alu instid0(VALU_DEP_1)
	v_add_nc_u32_e32 v29, v29, v30
	ds_store_b32 v28, v29
.LBB603_68:
	s_or_b32 exec_lo, exec_lo, s8
	v_cmp_gt_u32_e32 vcc_lo, 32, v0
	s_mov_b32 s9, exec_lo
	s_waitcnt lgkmcnt(0)
	s_barrier
	buffer_gl0_inv
                                        ; implicit-def: $vgpr35
	v_cmpx_lt_u32_e32 31, v0
	s_cbranch_execz .LBB603_70
; %bb.69:
	v_lshl_add_u32 v28, v51, 2, -4
	ds_load_b32 v35, v28
	s_waitcnt lgkmcnt(0)
	v_add_nc_u32_e32 v27, v35, v27
.LBB603_70:
	s_or_b32 exec_lo, exec_lo, s9
	v_add_nc_u32_e32 v28, -1, v50
	s_delay_alu instid0(VALU_DEP_1) | instskip(NEXT) | instid1(VALU_DEP_1)
	v_cmp_gt_i32_e64 s8, 0, v28
	v_cndmask_b32_e64 v28, v28, v50, s8
	v_cmp_eq_u32_e64 s8, 0, v50
	s_delay_alu instid0(VALU_DEP_2)
	v_lshlrev_b32_e32 v28, 2, v28
	ds_bpermute_b32 v37, v28, v27
	s_and_saveexec_b32 s9, vcc_lo
	s_cbranch_execz .LBB603_88
; %bb.71:
	v_mov_b32_e32 v31, 0
	ds_load_b32 v27, v31 offset:60
	s_and_saveexec_b32 s19, s8
	s_cbranch_execz .LBB603_73
; %bb.72:
	s_add_i32 s20, s15, 32
	s_mov_b32 s21, 0
	v_mov_b32_e32 v28, 1
	s_lshl_b64 s[20:21], s[20:21], 3
	s_delay_alu instid0(SALU_CYCLE_1)
	s_add_u32 s20, s12, s20
	s_addc_u32 s21, s13, s21
	s_waitcnt lgkmcnt(0)
	global_store_b64 v31, v[27:28], s[20:21]
.LBB603_73:
	s_or_b32 exec_lo, exec_lo, s19
	v_xad_u32 v29, v50, -1, s15
	s_mov_b32 s20, 0
	s_mov_b32 s19, exec_lo
	s_delay_alu instid0(VALU_DEP_1) | instskip(NEXT) | instid1(VALU_DEP_1)
	v_add_nc_u32_e32 v30, 32, v29
	v_lshlrev_b64 v[30:31], 3, v[30:31]
	s_delay_alu instid0(VALU_DEP_1) | instskip(NEXT) | instid1(VALU_DEP_2)
	v_add_co_u32 v33, vcc_lo, s12, v30
	v_add_co_ci_u32_e32 v34, vcc_lo, s13, v31, vcc_lo
	global_load_b64 v[31:32], v[33:34], off glc
	s_waitcnt vmcnt(0)
	v_and_b32_e32 v28, 0xff, v32
	s_delay_alu instid0(VALU_DEP_1)
	v_cmpx_eq_u16_e32 0, v28
	s_cbranch_execz .LBB603_76
.LBB603_74:                             ; =>This Inner Loop Header: Depth=1
	global_load_b64 v[31:32], v[33:34], off glc
	s_waitcnt vmcnt(0)
	v_and_b32_e32 v28, 0xff, v32
	s_delay_alu instid0(VALU_DEP_1) | instskip(SKIP_1) | instid1(SALU_CYCLE_1)
	v_cmp_ne_u16_e32 vcc_lo, 0, v28
	s_or_b32 s20, vcc_lo, s20
	s_and_not1_b32 exec_lo, exec_lo, s20
	s_cbranch_execnz .LBB603_74
; %bb.75:
	s_or_b32 exec_lo, exec_lo, s20
.LBB603_76:
	s_delay_alu instid0(SALU_CYCLE_1)
	s_or_b32 exec_lo, exec_lo, s19
	v_cmp_ne_u32_e32 vcc_lo, 31, v50
	v_lshlrev_b32_e64 v41, v50, -1
	v_add_nc_u32_e32 v45, 2, v50
	v_add_nc_u32_e32 v58, 16, v50
	v_add_co_ci_u32_e32 v28, vcc_lo, 0, v50, vcc_lo
	s_delay_alu instid0(VALU_DEP_1)
	v_lshlrev_b32_e32 v39, 2, v28
	v_and_b32_e32 v28, 0xff, v32
	ds_bpermute_b32 v30, v39, v31
	v_cmp_eq_u16_e32 vcc_lo, 2, v28
	v_and_or_b32 v28, vcc_lo, v41, 0x80000000
	v_cmp_gt_u32_e32 vcc_lo, 30, v50
	s_delay_alu instid0(VALU_DEP_2) | instskip(SKIP_1) | instid1(VALU_DEP_2)
	v_ctz_i32_b32_e32 v28, v28
	v_cndmask_b32_e64 v33, 0, 1, vcc_lo
	v_cmp_lt_u32_e32 vcc_lo, v50, v28
	s_waitcnt lgkmcnt(0)
	s_delay_alu instid0(VALU_DEP_2) | instskip(NEXT) | instid1(VALU_DEP_1)
	v_dual_cndmask_b32 v30, 0, v30 :: v_dual_lshlrev_b32 v33, 1, v33
	v_add_lshl_u32 v43, v33, v50, 2
	v_cmp_gt_u32_e32 vcc_lo, 28, v50
	s_delay_alu instid0(VALU_DEP_3) | instskip(SKIP_4) | instid1(VALU_DEP_1)
	v_add_nc_u32_e32 v30, v30, v31
	v_cndmask_b32_e64 v33, 0, 1, vcc_lo
	v_cmp_le_u32_e32 vcc_lo, v45, v28
	ds_bpermute_b32 v31, v43, v30
	v_lshlrev_b32_e32 v33, 2, v33
	v_add_lshl_u32 v53, v33, v50, 2
	s_waitcnt lgkmcnt(0)
	v_cndmask_b32_e32 v31, 0, v31, vcc_lo
	v_cmp_gt_u32_e32 vcc_lo, 24, v50
	s_delay_alu instid0(VALU_DEP_2) | instskip(SKIP_4) | instid1(VALU_DEP_2)
	v_add_nc_u32_e32 v30, v30, v31
	v_cndmask_b32_e64 v33, 0, 1, vcc_lo
	ds_bpermute_b32 v31, v53, v30
	v_add_nc_u32_e32 v54, 4, v50
	v_lshlrev_b32_e32 v33, 3, v33
	v_cmp_le_u32_e32 vcc_lo, v54, v28
	s_delay_alu instid0(VALU_DEP_2) | instskip(SKIP_3) | instid1(VALU_DEP_2)
	v_add_lshl_u32 v55, v33, v50, 2
	s_waitcnt lgkmcnt(0)
	v_cndmask_b32_e32 v31, 0, v31, vcc_lo
	v_cmp_gt_u32_e32 vcc_lo, 16, v50
	v_add_nc_u32_e32 v30, v30, v31
	v_cndmask_b32_e64 v33, 0, 1, vcc_lo
	ds_bpermute_b32 v31, v55, v30
	v_add_nc_u32_e32 v56, 8, v50
	v_lshlrev_b32_e32 v33, 4, v33
	s_delay_alu instid0(VALU_DEP_2) | instskip(NEXT) | instid1(VALU_DEP_2)
	v_cmp_le_u32_e32 vcc_lo, v56, v28
	v_add_lshl_u32 v57, v33, v50, 2
	s_waitcnt lgkmcnt(0)
	v_cndmask_b32_e32 v31, 0, v31, vcc_lo
	v_cmp_le_u32_e32 vcc_lo, v58, v28
	s_delay_alu instid0(VALU_DEP_2) | instskip(SKIP_3) | instid1(VALU_DEP_1)
	v_add_nc_u32_e32 v30, v30, v31
	ds_bpermute_b32 v31, v57, v30
	s_waitcnt lgkmcnt(0)
	v_cndmask_b32_e32 v28, 0, v31, vcc_lo
	v_dual_mov_b32 v30, 0 :: v_dual_add_nc_u32 v31, v30, v28
	s_branch .LBB603_78
.LBB603_77:                             ;   in Loop: Header=BB603_78 Depth=1
	s_or_b32 exec_lo, exec_lo, s19
	ds_bpermute_b32 v34, v39, v31
	v_and_b32_e32 v33, 0xff, v32
	v_subrev_nc_u32_e32 v29, 32, v29
	s_delay_alu instid0(VALU_DEP_2) | instskip(SKIP_1) | instid1(VALU_DEP_1)
	v_cmp_eq_u16_e32 vcc_lo, 2, v33
	v_and_or_b32 v33, vcc_lo, v41, 0x80000000
	v_ctz_i32_b32_e32 v33, v33
	s_delay_alu instid0(VALU_DEP_1) | instskip(SKIP_3) | instid1(VALU_DEP_2)
	v_cmp_lt_u32_e32 vcc_lo, v50, v33
	s_waitcnt lgkmcnt(0)
	v_cndmask_b32_e32 v34, 0, v34, vcc_lo
	v_cmp_le_u32_e32 vcc_lo, v45, v33
	v_add_nc_u32_e32 v31, v34, v31
	ds_bpermute_b32 v34, v43, v31
	s_waitcnt lgkmcnt(0)
	v_cndmask_b32_e32 v34, 0, v34, vcc_lo
	v_cmp_le_u32_e32 vcc_lo, v54, v33
	s_delay_alu instid0(VALU_DEP_2) | instskip(SKIP_4) | instid1(VALU_DEP_2)
	v_add_nc_u32_e32 v31, v31, v34
	ds_bpermute_b32 v34, v53, v31
	s_waitcnt lgkmcnt(0)
	v_cndmask_b32_e32 v34, 0, v34, vcc_lo
	v_cmp_le_u32_e32 vcc_lo, v56, v33
	v_add_nc_u32_e32 v31, v31, v34
	ds_bpermute_b32 v34, v55, v31
	s_waitcnt lgkmcnt(0)
	v_cndmask_b32_e32 v34, 0, v34, vcc_lo
	v_cmp_le_u32_e32 vcc_lo, v58, v33
	s_delay_alu instid0(VALU_DEP_2) | instskip(SKIP_3) | instid1(VALU_DEP_1)
	v_add_nc_u32_e32 v31, v31, v34
	ds_bpermute_b32 v34, v57, v31
	s_waitcnt lgkmcnt(0)
	v_cndmask_b32_e32 v33, 0, v34, vcc_lo
	v_add3_u32 v31, v33, v28, v31
.LBB603_78:                             ; =>This Loop Header: Depth=1
                                        ;     Child Loop BB603_81 Depth 2
	v_and_b32_e32 v28, 0xff, v32
	s_delay_alu instid0(VALU_DEP_1) | instskip(SKIP_2) | instid1(VALU_DEP_1)
	v_cmp_ne_u16_e32 vcc_lo, 2, v28
	v_cndmask_b32_e64 v28, 0, 1, vcc_lo
	;;#ASMSTART
	;;#ASMEND
	v_cmp_ne_u32_e32 vcc_lo, 0, v28
	v_mov_b32_e32 v28, v31
	s_cmp_lg_u32 vcc_lo, exec_lo
	s_cbranch_scc1 .LBB603_83
; %bb.79:                               ;   in Loop: Header=BB603_78 Depth=1
	v_lshlrev_b64 v[31:32], 3, v[29:30]
	s_mov_b32 s19, exec_lo
	s_delay_alu instid0(VALU_DEP_1) | instskip(NEXT) | instid1(VALU_DEP_2)
	v_add_co_u32 v33, vcc_lo, s12, v31
	v_add_co_ci_u32_e32 v34, vcc_lo, s13, v32, vcc_lo
	global_load_b64 v[31:32], v[33:34], off glc
	s_waitcnt vmcnt(0)
	v_and_b32_e32 v59, 0xff, v32
	s_delay_alu instid0(VALU_DEP_1)
	v_cmpx_eq_u16_e32 0, v59
	s_cbranch_execz .LBB603_77
; %bb.80:                               ;   in Loop: Header=BB603_78 Depth=1
	s_mov_b32 s20, 0
.LBB603_81:                             ;   Parent Loop BB603_78 Depth=1
                                        ; =>  This Inner Loop Header: Depth=2
	global_load_b64 v[31:32], v[33:34], off glc
	s_waitcnt vmcnt(0)
	v_and_b32_e32 v59, 0xff, v32
	s_delay_alu instid0(VALU_DEP_1) | instskip(SKIP_1) | instid1(SALU_CYCLE_1)
	v_cmp_ne_u16_e32 vcc_lo, 0, v59
	s_or_b32 s20, vcc_lo, s20
	s_and_not1_b32 exec_lo, exec_lo, s20
	s_cbranch_execnz .LBB603_81
; %bb.82:                               ;   in Loop: Header=BB603_78 Depth=1
	s_or_b32 exec_lo, exec_lo, s20
	s_branch .LBB603_77
.LBB603_83:                             ;   in Loop: Header=BB603_78 Depth=1
                                        ; implicit-def: $vgpr31
                                        ; implicit-def: $vgpr32
	s_cbranch_execz .LBB603_78
; %bb.84:
	s_and_saveexec_b32 s19, s8
	s_cbranch_execz .LBB603_86
; %bb.85:
	s_add_i32 s20, s15, 32
	s_mov_b32 s21, 0
	v_dual_mov_b32 v30, 2 :: v_dual_add_nc_u32 v29, v28, v27
	s_lshl_b64 s[20:21], s[20:21], 3
	v_mov_b32_e32 v31, 0
	s_add_u32 s20, s12, s20
	s_addc_u32 s21, s13, s21
	global_store_b64 v31, v[29:30], s[20:21]
	ds_store_b64 v31, v[27:28] offset:33792
.LBB603_86:
	s_or_b32 exec_lo, exec_lo, s19
	v_cmp_eq_u32_e32 vcc_lo, 0, v0
	s_and_b32 exec_lo, exec_lo, vcc_lo
	s_cbranch_execz .LBB603_88
; %bb.87:
	v_mov_b32_e32 v27, 0
	ds_store_b32 v27, v28 offset:60
.LBB603_88:
	s_or_b32 exec_lo, exec_lo, s9
	v_mov_b32_e32 v27, 0
	s_waitcnt lgkmcnt(0)
	s_waitcnt_vscnt null, 0x0
	s_barrier
	buffer_gl0_inv
	v_cndmask_b32_e64 v29, v37, v35, s8
	ds_load_b32 v28, v27 offset:60
	v_cmp_ne_u32_e32 vcc_lo, 0, v0
	s_waitcnt lgkmcnt(0)
	s_barrier
	buffer_gl0_inv
	v_cndmask_b32_e32 v29, 0, v29, vcc_lo
	s_delay_alu instid0(VALU_DEP_1) | instskip(SKIP_2) | instid1(VALU_DEP_1)
	v_add_nc_u32_e32 v45, v28, v29
	ds_load_b64 v[27:28], v27 offset:33792
	v_add_nc_u32_e32 v43, v45, v36
	v_add_nc_u32_e32 v41, v43, v38
	s_delay_alu instid0(VALU_DEP_1) | instskip(NEXT) | instid1(VALU_DEP_1)
	v_add_nc_u32_e32 v39, v41, v40
	v_add_nc_u32_e32 v37, v39, v42
	s_waitcnt lgkmcnt(0)
	v_readfirstlane_b32 s8, v28
	s_delay_alu instid0(VALU_DEP_2) | instskip(NEXT) | instid1(VALU_DEP_1)
	v_add_nc_u32_e32 v35, v37, v44
	v_add_nc_u32_e32 v33, v35, v46
	s_delay_alu instid0(VALU_DEP_1)
	v_add_nc_u32_e32 v31, v33, v49
	v_lshrrev_b64 v[29:30], 24, v[25:26]
	s_branch .LBB603_99
.LBB603_89:
                                        ; implicit-def: $vgpr31
                                        ; implicit-def: $vgpr33
                                        ; implicit-def: $vgpr35
                                        ; implicit-def: $vgpr37
                                        ; implicit-def: $vgpr39
                                        ; implicit-def: $vgpr41
                                        ; implicit-def: $vgpr43
                                        ; implicit-def: $vgpr45
                                        ; implicit-def: $sgpr8
                                        ; implicit-def: $vgpr27
	v_lshrrev_b64 v[29:30], 24, v[25:26]
	s_and_b32 vcc_lo, exec_lo, s9
	s_cbranch_vccz .LBB603_99
; %bb.90:
	v_mov_b32_dpp v27, v52 row_shr:1 row_mask:0xf bank_mask:0xf
	s_delay_alu instid0(VALU_DEP_1) | instskip(NEXT) | instid1(VALU_DEP_1)
	v_cndmask_b32_e64 v27, v27, 0, s4
	v_add_nc_u32_e32 v27, v27, v52
	s_delay_alu instid0(VALU_DEP_1) | instskip(NEXT) | instid1(VALU_DEP_1)
	v_mov_b32_dpp v28, v27 row_shr:2 row_mask:0xf bank_mask:0xf
	v_cndmask_b32_e64 v28, 0, v28, s2
	s_delay_alu instid0(VALU_DEP_1) | instskip(NEXT) | instid1(VALU_DEP_1)
	v_add_nc_u32_e32 v27, v27, v28
	v_mov_b32_dpp v28, v27 row_shr:4 row_mask:0xf bank_mask:0xf
	s_delay_alu instid0(VALU_DEP_1) | instskip(NEXT) | instid1(VALU_DEP_1)
	v_cndmask_b32_e64 v28, 0, v28, s5
	v_add_nc_u32_e32 v27, v27, v28
	s_delay_alu instid0(VALU_DEP_1) | instskip(NEXT) | instid1(VALU_DEP_1)
	v_mov_b32_dpp v28, v27 row_shr:8 row_mask:0xf bank_mask:0xf
	v_cndmask_b32_e64 v28, 0, v28, s3
	s_delay_alu instid0(VALU_DEP_1) | instskip(SKIP_3) | instid1(VALU_DEP_1)
	v_add_nc_u32_e32 v27, v27, v28
	ds_swizzle_b32 v28, v27 offset:swizzle(BROADCAST,32,15)
	s_waitcnt lgkmcnt(0)
	v_cndmask_b32_e64 v28, v28, 0, s7
	v_add_nc_u32_e32 v27, v27, v28
	s_and_saveexec_b32 s7, s6
	s_cbranch_execz .LBB603_92
; %bb.91:
	v_lshlrev_b32_e32 v28, 2, v51
	ds_store_b32 v28, v27
.LBB603_92:
	s_or_b32 exec_lo, exec_lo, s7
	s_delay_alu instid0(SALU_CYCLE_1)
	s_mov_b32 s6, exec_lo
	s_waitcnt lgkmcnt(0)
	s_barrier
	buffer_gl0_inv
	v_cmpx_gt_u32_e32 16, v0
	s_cbranch_execz .LBB603_94
; %bb.93:
	v_lshlrev_b32_e32 v28, 2, v0
	ds_load_b32 v30, v28
	s_waitcnt lgkmcnt(0)
	v_mov_b32_dpp v31, v30 row_shr:1 row_mask:0xf bank_mask:0xf
	s_delay_alu instid0(VALU_DEP_1) | instskip(NEXT) | instid1(VALU_DEP_1)
	v_cndmask_b32_e64 v31, v31, 0, s4
	v_add_nc_u32_e32 v30, v31, v30
	s_delay_alu instid0(VALU_DEP_1) | instskip(NEXT) | instid1(VALU_DEP_1)
	v_mov_b32_dpp v31, v30 row_shr:2 row_mask:0xf bank_mask:0xf
	v_cndmask_b32_e64 v31, 0, v31, s2
	s_delay_alu instid0(VALU_DEP_1) | instskip(NEXT) | instid1(VALU_DEP_1)
	v_add_nc_u32_e32 v30, v30, v31
	v_mov_b32_dpp v31, v30 row_shr:4 row_mask:0xf bank_mask:0xf
	s_delay_alu instid0(VALU_DEP_1) | instskip(NEXT) | instid1(VALU_DEP_1)
	v_cndmask_b32_e64 v31, 0, v31, s5
	v_add_nc_u32_e32 v30, v30, v31
	s_delay_alu instid0(VALU_DEP_1) | instskip(NEXT) | instid1(VALU_DEP_1)
	v_mov_b32_dpp v31, v30 row_shr:8 row_mask:0xf bank_mask:0xf
	v_cndmask_b32_e64 v31, 0, v31, s3
	s_delay_alu instid0(VALU_DEP_1)
	v_add_nc_u32_e32 v30, v30, v31
	ds_store_b32 v28, v30
.LBB603_94:
	s_or_b32 exec_lo, exec_lo, s6
	v_mov_b32_e32 v28, 0
	v_mov_b32_e32 v30, 0
	s_mov_b32 s2, exec_lo
	s_waitcnt lgkmcnt(0)
	s_barrier
	buffer_gl0_inv
	v_cmpx_lt_u32_e32 31, v0
	s_cbranch_execz .LBB603_96
; %bb.95:
	v_lshl_add_u32 v30, v51, 2, -4
	ds_load_b32 v30, v30
.LBB603_96:
	s_or_b32 exec_lo, exec_lo, s2
	v_add_nc_u32_e32 v31, -1, v50
	s_waitcnt lgkmcnt(0)
	v_add_nc_u32_e32 v27, v30, v27
	s_mov_b32 s8, 0
	s_delay_alu instid0(VALU_DEP_2) | instskip(SKIP_2) | instid1(VALU_DEP_2)
	v_cmp_gt_i32_e32 vcc_lo, 0, v31
	v_cndmask_b32_e32 v31, v31, v50, vcc_lo
	v_cmp_eq_u32_e32 vcc_lo, 0, v0
	v_lshlrev_b32_e32 v31, 2, v31
	ds_bpermute_b32 v31, v31, v27
	ds_load_b32 v27, v28 offset:60
	s_and_saveexec_b32 s2, vcc_lo
	s_cbranch_execz .LBB603_98
; %bb.97:
	v_mov_b32_e32 v32, 0
	v_mov_b32_e32 v28, 2
	s_waitcnt lgkmcnt(0)
	global_store_b64 v32, v[27:28], s[12:13] offset:256
.LBB603_98:
	s_or_b32 exec_lo, exec_lo, s2
	v_cmp_eq_u32_e64 s2, 0, v50
	s_waitcnt lgkmcnt(0)
	s_waitcnt_vscnt null, 0x0
	s_barrier
	buffer_gl0_inv
	v_cndmask_b32_e64 v28, v31, v30, s2
	s_delay_alu instid0(VALU_DEP_1) | instskip(NEXT) | instid1(VALU_DEP_1)
	v_cndmask_b32_e64 v45, v28, 0, vcc_lo
	v_add_nc_u32_e32 v43, v45, v36
	s_delay_alu instid0(VALU_DEP_1) | instskip(NEXT) | instid1(VALU_DEP_1)
	v_add_nc_u32_e32 v41, v43, v38
	v_add_nc_u32_e32 v39, v41, v40
	s_delay_alu instid0(VALU_DEP_1) | instskip(NEXT) | instid1(VALU_DEP_1)
	v_add_nc_u32_e32 v37, v39, v42
	;; [unrolled: 3-line block ×3, first 2 shown]
	v_add_nc_u32_e32 v31, v33, v49
.LBB603_99:
	s_load_b128 s[4:7], s[0:1], 0x28
	v_add_nc_u32_e32 v51, s8, v27
	v_cmp_gt_u32_e64 s0, 0x201, v27
	v_lshrrev_b32_e32 v50, 8, v25
	v_lshrrev_b32_e32 v49, 16, v25
	;; [unrolled: 1-line block ×4, first 2 shown]
	v_cmp_lt_u32_e64 s1, v45, v51
	s_and_b32 vcc_lo, exec_lo, s0
	s_mov_b32 s2, -1
	s_cbranch_vccz .LBB603_125
; %bb.100:
	s_lshl_b64 s[2:3], s[10:11], 3
	s_waitcnt lgkmcnt(0)
	s_add_u32 s2, s4, s2
	s_addc_u32 s3, s5, s3
	s_or_b32 s9, s18, s1
	s_delay_alu instid0(SALU_CYCLE_1)
	s_and_saveexec_b32 s1, s9
	s_cbranch_execz .LBB603_103
; %bb.101:
	v_and_b32_e32 v32, 1, v25
	s_delay_alu instid0(VALU_DEP_1)
	v_cmp_eq_u32_e32 vcc_lo, 1, v32
	s_and_b32 exec_lo, exec_lo, vcc_lo
	s_cbranch_execz .LBB603_103
; %bb.102:
	v_mov_b32_e32 v46, 0
	s_delay_alu instid0(VALU_DEP_1) | instskip(NEXT) | instid1(VALU_DEP_1)
	v_lshlrev_b64 v[52:53], 3, v[45:46]
	v_add_co_u32 v52, vcc_lo, s2, v52
	s_delay_alu instid0(VALU_DEP_2)
	v_add_co_ci_u32_e32 v53, vcc_lo, s3, v53, vcc_lo
	global_store_b64 v[52:53], v[13:14], off
.LBB603_103:
	s_or_b32 exec_lo, exec_lo, s1
	v_cmp_lt_u32_e32 vcc_lo, v43, v51
	s_or_b32 s9, s18, vcc_lo
	s_delay_alu instid0(SALU_CYCLE_1)
	s_and_saveexec_b32 s1, s9
	s_cbranch_execz .LBB603_106
; %bb.104:
	v_and_b32_e32 v32, 1, v50
	s_delay_alu instid0(VALU_DEP_1)
	v_cmp_eq_u32_e32 vcc_lo, 1, v32
	s_and_b32 exec_lo, exec_lo, vcc_lo
	s_cbranch_execz .LBB603_106
; %bb.105:
	v_mov_b32_e32 v44, 0
	s_delay_alu instid0(VALU_DEP_1) | instskip(NEXT) | instid1(VALU_DEP_1)
	v_lshlrev_b64 v[52:53], 3, v[43:44]
	v_add_co_u32 v52, vcc_lo, s2, v52
	s_delay_alu instid0(VALU_DEP_2)
	v_add_co_ci_u32_e32 v53, vcc_lo, s3, v53, vcc_lo
	global_store_b64 v[52:53], v[15:16], off
.LBB603_106:
	s_or_b32 exec_lo, exec_lo, s1
	v_cmp_lt_u32_e32 vcc_lo, v41, v51
	s_or_b32 s9, s18, vcc_lo
	;; [unrolled: 21-line block ×7, first 2 shown]
	s_delay_alu instid0(SALU_CYCLE_1)
	s_and_saveexec_b32 s1, s9
	s_cbranch_execz .LBB603_124
; %bb.122:
	v_and_b32_e32 v32, 1, v48
	s_delay_alu instid0(VALU_DEP_1)
	v_cmp_eq_u32_e32 vcc_lo, 1, v32
	s_and_b32 exec_lo, exec_lo, vcc_lo
	s_cbranch_execz .LBB603_124
; %bb.123:
	v_mov_b32_e32 v32, 0
	s_delay_alu instid0(VALU_DEP_1) | instskip(NEXT) | instid1(VALU_DEP_1)
	v_lshlrev_b64 v[52:53], 3, v[31:32]
	v_add_co_u32 v52, vcc_lo, s2, v52
	s_delay_alu instid0(VALU_DEP_2)
	v_add_co_ci_u32_e32 v53, vcc_lo, s3, v53, vcc_lo
	global_store_b64 v[52:53], v[3:4], off
.LBB603_124:
	s_or_b32 exec_lo, exec_lo, s1
	s_mov_b32 s2, 0
.LBB603_125:
	v_and_b32_e32 v25, 1, v25
	s_and_b32 vcc_lo, exec_lo, s2
	s_delay_alu instid0(VALU_DEP_1)
	v_cmp_eq_u32_e64 s1, 1, v25
	s_cbranch_vccz .LBB603_146
; %bb.126:
	s_delay_alu instid0(VALU_DEP_1)
	s_and_saveexec_b32 s2, s1
	s_cbranch_execz .LBB603_128
; %bb.127:
	v_subrev_nc_u32_e32 v32, s8, v45
	s_delay_alu instid0(VALU_DEP_1)
	v_lshlrev_b32_e32 v32, 3, v32
	ds_store_b64 v32, v[13:14]
.LBB603_128:
	s_or_b32 exec_lo, exec_lo, s2
	v_and_b32_e32 v13, 1, v50
	s_mov_b32 s1, exec_lo
	s_delay_alu instid0(VALU_DEP_1)
	v_cmpx_eq_u32_e32 1, v13
	s_cbranch_execz .LBB603_130
; %bb.129:
	v_subrev_nc_u32_e32 v13, s8, v43
	s_delay_alu instid0(VALU_DEP_1)
	v_lshlrev_b32_e32 v13, 3, v13
	ds_store_b64 v13, v[15:16]
.LBB603_130:
	s_or_b32 exec_lo, exec_lo, s1
	v_and_b32_e32 v13, 1, v49
	s_mov_b32 s1, exec_lo
	s_delay_alu instid0(VALU_DEP_1)
	v_cmpx_eq_u32_e32 1, v13
	s_cbranch_execz .LBB603_132
; %bb.131:
	v_subrev_nc_u32_e32 v13, s8, v41
	s_delay_alu instid0(VALU_DEP_1)
	v_lshlrev_b32_e32 v13, 3, v13
	ds_store_b64 v13, v[9:10]
.LBB603_132:
	s_or_b32 exec_lo, exec_lo, s1
	v_and_b32_e32 v9, 1, v29
	s_mov_b32 s1, exec_lo
	s_delay_alu instid0(VALU_DEP_1)
	v_cmpx_eq_u32_e32 1, v9
	s_cbranch_execz .LBB603_134
; %bb.133:
	v_subrev_nc_u32_e32 v9, s8, v39
	s_delay_alu instid0(VALU_DEP_1)
	v_lshlrev_b32_e32 v9, 3, v9
	ds_store_b64 v9, v[11:12]
.LBB603_134:
	s_or_b32 exec_lo, exec_lo, s1
	v_and_b32_e32 v9, 1, v26
	s_mov_b32 s1, exec_lo
	s_delay_alu instid0(VALU_DEP_1)
	v_cmpx_eq_u32_e32 1, v9
	s_cbranch_execz .LBB603_136
; %bb.135:
	v_subrev_nc_u32_e32 v9, s8, v37
	s_delay_alu instid0(VALU_DEP_1)
	v_lshlrev_b32_e32 v9, 3, v9
	ds_store_b64 v9, v[5:6]
.LBB603_136:
	s_or_b32 exec_lo, exec_lo, s1
	v_and_b32_e32 v5, 1, v30
	s_mov_b32 s1, exec_lo
	s_delay_alu instid0(VALU_DEP_1)
	v_cmpx_eq_u32_e32 1, v5
	s_cbranch_execz .LBB603_138
; %bb.137:
	v_subrev_nc_u32_e32 v5, s8, v35
	s_delay_alu instid0(VALU_DEP_1)
	v_lshlrev_b32_e32 v5, 3, v5
	ds_store_b64 v5, v[7:8]
.LBB603_138:
	s_or_b32 exec_lo, exec_lo, s1
	v_and_b32_e32 v5, 1, v28
	s_mov_b32 s1, exec_lo
	s_delay_alu instid0(VALU_DEP_1)
	v_cmpx_eq_u32_e32 1, v5
	s_cbranch_execz .LBB603_140
; %bb.139:
	v_subrev_nc_u32_e32 v5, s8, v33
	s_delay_alu instid0(VALU_DEP_1)
	v_lshlrev_b32_e32 v5, 3, v5
	ds_store_b64 v5, v[1:2]
.LBB603_140:
	s_or_b32 exec_lo, exec_lo, s1
	v_and_b32_e32 v1, 1, v48
	s_mov_b32 s1, exec_lo
	s_delay_alu instid0(VALU_DEP_1)
	v_cmpx_eq_u32_e32 1, v1
	s_cbranch_execz .LBB603_142
; %bb.141:
	v_subrev_nc_u32_e32 v1, s8, v31
	s_delay_alu instid0(VALU_DEP_1)
	v_lshlrev_b32_e32 v1, 3, v1
	ds_store_b64 v1, v[3:4]
.LBB603_142:
	s_or_b32 exec_lo, exec_lo, s1
	s_delay_alu instid0(SALU_CYCLE_1)
	s_mov_b32 s2, exec_lo
	s_waitcnt lgkmcnt(0)
	s_waitcnt_vscnt null, 0x0
	s_barrier
	buffer_gl0_inv
	v_cmpx_lt_u32_e64 v0, v27
	s_cbranch_execz .LBB603_145
; %bb.143:
	s_mov_b32 s9, 0
	s_lshl_b64 s[12:13], s[10:11], 3
	s_lshl_b64 s[20:21], s[8:9], 3
	v_mov_b32_e32 v3, v0
	s_add_u32 s1, s12, s20
	s_addc_u32 s3, s13, s21
	s_add_u32 s1, s4, s1
	s_addc_u32 s3, s5, s3
	v_add_co_u32 v1, s1, s1, v47
	s_delay_alu instid0(VALU_DEP_1)
	v_add_co_ci_u32_e64 v2, null, s3, 0, s1
	.p2align	6
.LBB603_144:                            ; =>This Inner Loop Header: Depth=1
	ds_load_b64 v[4:5], v47
	v_add_nc_u32_e32 v3, 0x200, v3
	v_add_nc_u32_e32 v47, 0x1000, v47
	s_delay_alu instid0(VALU_DEP_2) | instskip(SKIP_4) | instid1(VALU_DEP_1)
	v_cmp_ge_u32_e32 vcc_lo, v3, v27
	s_or_b32 s9, vcc_lo, s9
	s_waitcnt lgkmcnt(0)
	global_store_b64 v[1:2], v[4:5], off
	v_add_co_u32 v1, s1, 0x1000, v1
	v_add_co_ci_u32_e64 v2, s1, 0, v2, s1
	s_and_not1_b32 exec_lo, exec_lo, s9
	s_cbranch_execnz .LBB603_144
.LBB603_145:
	s_or_b32 exec_lo, exec_lo, s2
.LBB603_146:
	s_delay_alu instid0(SALU_CYCLE_1)
	s_and_b32 vcc_lo, exec_lo, s0
	s_mov_b32 s0, -1
	s_waitcnt lgkmcnt(0)
	s_waitcnt_vscnt null, 0x0
	s_barrier
	buffer_gl0_inv
	s_cbranch_vccz .LBB603_174
; %bb.147:
	v_cmp_lt_u32_e32 vcc_lo, v45, v51
	s_lshl_b64 s[0:1], s[10:11], 2
	s_delay_alu instid0(SALU_CYCLE_1) | instskip(SKIP_2) | instid1(SALU_CYCLE_1)
	s_add_u32 s0, s6, s0
	s_addc_u32 s1, s7, s1
	s_or_b32 s3, s18, vcc_lo
	s_and_saveexec_b32 s2, s3
	s_cbranch_execz .LBB603_150
; %bb.148:
	v_cmp_eq_u32_e32 vcc_lo, 1, v25
	s_and_b32 exec_lo, exec_lo, vcc_lo
	s_cbranch_execz .LBB603_150
; %bb.149:
	v_mov_b32_e32 v46, 0
	s_delay_alu instid0(VALU_DEP_1) | instskip(NEXT) | instid1(VALU_DEP_1)
	v_lshlrev_b64 v[1:2], 2, v[45:46]
	v_add_co_u32 v1, vcc_lo, s0, v1
	s_delay_alu instid0(VALU_DEP_2)
	v_add_co_ci_u32_e32 v2, vcc_lo, s1, v2, vcc_lo
	global_store_b32 v[1:2], v23, off
.LBB603_150:
	s_or_b32 exec_lo, exec_lo, s2
	v_cmp_lt_u32_e32 vcc_lo, v43, v51
	s_or_b32 s3, s18, vcc_lo
	s_delay_alu instid0(SALU_CYCLE_1)
	s_and_saveexec_b32 s2, s3
	s_cbranch_execz .LBB603_153
; %bb.151:
	v_and_b32_e32 v1, 1, v50
	s_delay_alu instid0(VALU_DEP_1)
	v_cmp_eq_u32_e32 vcc_lo, 1, v1
	s_and_b32 exec_lo, exec_lo, vcc_lo
	s_cbranch_execz .LBB603_153
; %bb.152:
	v_mov_b32_e32 v44, 0
	s_delay_alu instid0(VALU_DEP_1) | instskip(NEXT) | instid1(VALU_DEP_1)
	v_lshlrev_b64 v[1:2], 2, v[43:44]
	v_add_co_u32 v1, vcc_lo, s0, v1
	s_delay_alu instid0(VALU_DEP_2)
	v_add_co_ci_u32_e32 v2, vcc_lo, s1, v2, vcc_lo
	global_store_b32 v[1:2], v24, off
.LBB603_153:
	s_or_b32 exec_lo, exec_lo, s2
	v_cmp_lt_u32_e32 vcc_lo, v41, v51
	s_or_b32 s3, s18, vcc_lo
	s_delay_alu instid0(SALU_CYCLE_1)
	s_and_saveexec_b32 s2, s3
	s_cbranch_execz .LBB603_156
; %bb.154:
	v_and_b32_e32 v1, 1, v49
	s_delay_alu instid0(VALU_DEP_1)
	v_cmp_eq_u32_e32 vcc_lo, 1, v1
	s_and_b32 exec_lo, exec_lo, vcc_lo
	s_cbranch_execz .LBB603_156
; %bb.155:
	v_mov_b32_e32 v42, 0
	s_delay_alu instid0(VALU_DEP_1) | instskip(NEXT) | instid1(VALU_DEP_1)
	v_lshlrev_b64 v[1:2], 2, v[41:42]
	v_add_co_u32 v1, vcc_lo, s0, v1
	s_delay_alu instid0(VALU_DEP_2)
	v_add_co_ci_u32_e32 v2, vcc_lo, s1, v2, vcc_lo
	global_store_b32 v[1:2], v21, off
.LBB603_156:
	;; [unrolled: 21-line block ×7, first 2 shown]
	s_or_b32 exec_lo, exec_lo, s2
.LBB603_172:
	v_cmp_eq_u32_e32 vcc_lo, 0, v0
	s_and_b32 s0, vcc_lo, s14
	s_delay_alu instid0(SALU_CYCLE_1)
	s_and_saveexec_b32 s1, s0
	s_cbranch_execz .LBB603_195
.LBB603_173:
	v_add_co_u32 v0, s0, s10, v27
	s_delay_alu instid0(VALU_DEP_1) | instskip(SKIP_1) | instid1(VALU_DEP_3)
	v_add_co_ci_u32_e64 v1, null, s11, 0, s0
	v_mov_b32_e32 v2, 0
	v_add_co_u32 v0, vcc_lo, v0, s8
	s_delay_alu instid0(VALU_DEP_3)
	v_add_co_ci_u32_e32 v1, vcc_lo, 0, v1, vcc_lo
	global_store_b64 v2, v[0:1], s[16:17]
	s_nop 0
	s_sendmsg sendmsg(MSG_DEALLOC_VGPRS)
	s_endpgm
.LBB603_174:
	s_and_b32 vcc_lo, exec_lo, s0
	s_cbranch_vccz .LBB603_172
; %bb.175:
	s_mov_b32 s0, exec_lo
	v_cmpx_eq_u32_e32 1, v25
	s_cbranch_execz .LBB603_177
; %bb.176:
	v_subrev_nc_u32_e32 v1, s8, v45
	s_delay_alu instid0(VALU_DEP_1)
	v_lshlrev_b32_e32 v1, 2, v1
	ds_store_b32 v1, v23
.LBB603_177:
	s_or_b32 exec_lo, exec_lo, s0
	v_and_b32_e32 v1, 1, v50
	s_mov_b32 s0, exec_lo
	s_delay_alu instid0(VALU_DEP_1)
	v_cmpx_eq_u32_e32 1, v1
	s_cbranch_execz .LBB603_179
; %bb.178:
	v_subrev_nc_u32_e32 v1, s8, v43
	s_delay_alu instid0(VALU_DEP_1)
	v_lshlrev_b32_e32 v1, 2, v1
	ds_store_b32 v1, v24
.LBB603_179:
	s_or_b32 exec_lo, exec_lo, s0
	v_and_b32_e32 v1, 1, v49
	s_mov_b32 s0, exec_lo
	s_delay_alu instid0(VALU_DEP_1)
	v_cmpx_eq_u32_e32 1, v1
	s_cbranch_execz .LBB603_181
; %bb.180:
	v_subrev_nc_u32_e32 v1, s8, v41
	s_delay_alu instid0(VALU_DEP_1)
	v_lshlrev_b32_e32 v1, 2, v1
	ds_store_b32 v1, v21
.LBB603_181:
	s_or_b32 exec_lo, exec_lo, s0
	v_and_b32_e32 v1, 1, v29
	s_mov_b32 s0, exec_lo
	s_delay_alu instid0(VALU_DEP_1)
	v_cmpx_eq_u32_e32 1, v1
	s_cbranch_execz .LBB603_183
; %bb.182:
	v_subrev_nc_u32_e32 v1, s8, v39
	s_delay_alu instid0(VALU_DEP_1)
	v_lshlrev_b32_e32 v1, 2, v1
	ds_store_b32 v1, v22
.LBB603_183:
	s_or_b32 exec_lo, exec_lo, s0
	v_and_b32_e32 v1, 1, v26
	s_mov_b32 s0, exec_lo
	s_delay_alu instid0(VALU_DEP_1)
	v_cmpx_eq_u32_e32 1, v1
	s_cbranch_execz .LBB603_185
; %bb.184:
	v_subrev_nc_u32_e32 v1, s8, v37
	s_delay_alu instid0(VALU_DEP_1)
	v_lshlrev_b32_e32 v1, 2, v1
	ds_store_b32 v1, v19
.LBB603_185:
	s_or_b32 exec_lo, exec_lo, s0
	v_and_b32_e32 v1, 1, v30
	s_mov_b32 s0, exec_lo
	s_delay_alu instid0(VALU_DEP_1)
	v_cmpx_eq_u32_e32 1, v1
	s_cbranch_execz .LBB603_187
; %bb.186:
	v_subrev_nc_u32_e32 v1, s8, v35
	s_delay_alu instid0(VALU_DEP_1)
	v_lshlrev_b32_e32 v1, 2, v1
	ds_store_b32 v1, v20
.LBB603_187:
	s_or_b32 exec_lo, exec_lo, s0
	v_and_b32_e32 v1, 1, v28
	s_mov_b32 s0, exec_lo
	s_delay_alu instid0(VALU_DEP_1)
	v_cmpx_eq_u32_e32 1, v1
	s_cbranch_execz .LBB603_189
; %bb.188:
	v_subrev_nc_u32_e32 v1, s8, v33
	s_delay_alu instid0(VALU_DEP_1)
	v_lshlrev_b32_e32 v1, 2, v1
	ds_store_b32 v1, v17
.LBB603_189:
	s_or_b32 exec_lo, exec_lo, s0
	v_and_b32_e32 v1, 1, v48
	s_mov_b32 s0, exec_lo
	s_delay_alu instid0(VALU_DEP_1)
	v_cmpx_eq_u32_e32 1, v1
	s_cbranch_execz .LBB603_191
; %bb.190:
	v_subrev_nc_u32_e32 v1, s8, v31
	s_delay_alu instid0(VALU_DEP_1)
	v_lshlrev_b32_e32 v1, 2, v1
	ds_store_b32 v1, v18
.LBB603_191:
	s_or_b32 exec_lo, exec_lo, s0
	s_delay_alu instid0(SALU_CYCLE_1)
	s_mov_b32 s1, exec_lo
	s_waitcnt lgkmcnt(0)
	s_waitcnt_vscnt null, 0x0
	s_barrier
	buffer_gl0_inv
	v_cmpx_lt_u32_e64 v0, v27
	s_cbranch_execz .LBB603_194
; %bb.192:
	s_mov_b32 s9, 0
	s_lshl_b64 s[2:3], s[10:11], 2
	s_lshl_b64 s[4:5], s[8:9], 2
	v_dual_mov_b32 v4, v0 :: v_dual_lshlrev_b32 v3, 2, v0
	s_add_u32 s0, s2, s4
	s_addc_u32 s2, s3, s5
	s_add_u32 s0, s6, s0
	s_addc_u32 s2, s7, s2
	v_add_co_u32 v1, s0, s0, v3
	s_delay_alu instid0(VALU_DEP_1)
	v_add_co_ci_u32_e64 v2, null, s2, 0, s0
	.p2align	6
.LBB603_193:                            ; =>This Inner Loop Header: Depth=1
	ds_load_b32 v5, v3
	v_add_nc_u32_e32 v4, 0x200, v4
	v_add_nc_u32_e32 v3, 0x800, v3
	s_delay_alu instid0(VALU_DEP_2) | instskip(SKIP_4) | instid1(VALU_DEP_1)
	v_cmp_ge_u32_e32 vcc_lo, v4, v27
	s_or_b32 s9, vcc_lo, s9
	s_waitcnt lgkmcnt(0)
	global_store_b32 v[1:2], v5, off
	v_add_co_u32 v1, s0, 0x800, v1
	v_add_co_ci_u32_e64 v2, s0, 0, v2, s0
	s_and_not1_b32 exec_lo, exec_lo, s9
	s_cbranch_execnz .LBB603_193
.LBB603_194:
	s_or_b32 exec_lo, exec_lo, s1
	v_cmp_eq_u32_e32 vcc_lo, 0, v0
	s_and_b32 s0, vcc_lo, s14
	s_delay_alu instid0(SALU_CYCLE_1)
	s_and_saveexec_b32 s1, s0
	s_cbranch_execnz .LBB603_173
.LBB603_195:
	s_nop 0
	s_sendmsg sendmsg(MSG_DEALLOC_VGPRS)
	s_endpgm
	.section	.rodata,"a",@progbits
	.p2align	6, 0x0
	.amdhsa_kernel _ZN7rocprim17ROCPRIM_400000_NS6detail17trampoline_kernelINS0_14default_configENS1_25partition_config_selectorILNS1_17partition_subalgoE9ExjbEEZZNS1_14partition_implILS5_9ELb0ES3_jN6thrust23THRUST_200600_302600_NS6detail15normal_iteratorINS9_10device_ptrIxEEEENSB_INSC_IjEEEEPNS0_10empty_typeENS0_5tupleIJSE_SH_EEENSJ_IJSG_SI_EEENS0_18inequality_wrapperINS9_8equal_toIxEEEEPmJSH_EEE10hipError_tPvRmT3_T4_T5_T6_T7_T9_mT8_P12ihipStream_tbDpT10_ENKUlT_T0_E_clISt17integral_constantIbLb0EES1A_EEDaS15_S16_EUlS15_E_NS1_11comp_targetILNS1_3genE9ELNS1_11target_archE1100ELNS1_3gpuE3ELNS1_3repE0EEENS1_30default_config_static_selectorELNS0_4arch9wavefront6targetE0EEEvT1_
		.amdhsa_group_segment_fixed_size 33800
		.amdhsa_private_segment_fixed_size 0
		.amdhsa_kernarg_size 112
		.amdhsa_user_sgpr_count 15
		.amdhsa_user_sgpr_dispatch_ptr 0
		.amdhsa_user_sgpr_queue_ptr 0
		.amdhsa_user_sgpr_kernarg_segment_ptr 1
		.amdhsa_user_sgpr_dispatch_id 0
		.amdhsa_user_sgpr_private_segment_size 0
		.amdhsa_wavefront_size32 1
		.amdhsa_uses_dynamic_stack 0
		.amdhsa_enable_private_segment 0
		.amdhsa_system_sgpr_workgroup_id_x 1
		.amdhsa_system_sgpr_workgroup_id_y 0
		.amdhsa_system_sgpr_workgroup_id_z 0
		.amdhsa_system_sgpr_workgroup_info 0
		.amdhsa_system_vgpr_workitem_id 0
		.amdhsa_next_free_vgpr 60
		.amdhsa_next_free_sgpr 24
		.amdhsa_reserve_vcc 1
		.amdhsa_float_round_mode_32 0
		.amdhsa_float_round_mode_16_64 0
		.amdhsa_float_denorm_mode_32 3
		.amdhsa_float_denorm_mode_16_64 3
		.amdhsa_dx10_clamp 1
		.amdhsa_ieee_mode 1
		.amdhsa_fp16_overflow 0
		.amdhsa_workgroup_processor_mode 1
		.amdhsa_memory_ordered 1
		.amdhsa_forward_progress 0
		.amdhsa_shared_vgpr_count 0
		.amdhsa_exception_fp_ieee_invalid_op 0
		.amdhsa_exception_fp_denorm_src 0
		.amdhsa_exception_fp_ieee_div_zero 0
		.amdhsa_exception_fp_ieee_overflow 0
		.amdhsa_exception_fp_ieee_underflow 0
		.amdhsa_exception_fp_ieee_inexact 0
		.amdhsa_exception_int_div_zero 0
	.end_amdhsa_kernel
	.section	.text._ZN7rocprim17ROCPRIM_400000_NS6detail17trampoline_kernelINS0_14default_configENS1_25partition_config_selectorILNS1_17partition_subalgoE9ExjbEEZZNS1_14partition_implILS5_9ELb0ES3_jN6thrust23THRUST_200600_302600_NS6detail15normal_iteratorINS9_10device_ptrIxEEEENSB_INSC_IjEEEEPNS0_10empty_typeENS0_5tupleIJSE_SH_EEENSJ_IJSG_SI_EEENS0_18inequality_wrapperINS9_8equal_toIxEEEEPmJSH_EEE10hipError_tPvRmT3_T4_T5_T6_T7_T9_mT8_P12ihipStream_tbDpT10_ENKUlT_T0_E_clISt17integral_constantIbLb0EES1A_EEDaS15_S16_EUlS15_E_NS1_11comp_targetILNS1_3genE9ELNS1_11target_archE1100ELNS1_3gpuE3ELNS1_3repE0EEENS1_30default_config_static_selectorELNS0_4arch9wavefront6targetE0EEEvT1_,"axG",@progbits,_ZN7rocprim17ROCPRIM_400000_NS6detail17trampoline_kernelINS0_14default_configENS1_25partition_config_selectorILNS1_17partition_subalgoE9ExjbEEZZNS1_14partition_implILS5_9ELb0ES3_jN6thrust23THRUST_200600_302600_NS6detail15normal_iteratorINS9_10device_ptrIxEEEENSB_INSC_IjEEEEPNS0_10empty_typeENS0_5tupleIJSE_SH_EEENSJ_IJSG_SI_EEENS0_18inequality_wrapperINS9_8equal_toIxEEEEPmJSH_EEE10hipError_tPvRmT3_T4_T5_T6_T7_T9_mT8_P12ihipStream_tbDpT10_ENKUlT_T0_E_clISt17integral_constantIbLb0EES1A_EEDaS15_S16_EUlS15_E_NS1_11comp_targetILNS1_3genE9ELNS1_11target_archE1100ELNS1_3gpuE3ELNS1_3repE0EEENS1_30default_config_static_selectorELNS0_4arch9wavefront6targetE0EEEvT1_,comdat
.Lfunc_end603:
	.size	_ZN7rocprim17ROCPRIM_400000_NS6detail17trampoline_kernelINS0_14default_configENS1_25partition_config_selectorILNS1_17partition_subalgoE9ExjbEEZZNS1_14partition_implILS5_9ELb0ES3_jN6thrust23THRUST_200600_302600_NS6detail15normal_iteratorINS9_10device_ptrIxEEEENSB_INSC_IjEEEEPNS0_10empty_typeENS0_5tupleIJSE_SH_EEENSJ_IJSG_SI_EEENS0_18inequality_wrapperINS9_8equal_toIxEEEEPmJSH_EEE10hipError_tPvRmT3_T4_T5_T6_T7_T9_mT8_P12ihipStream_tbDpT10_ENKUlT_T0_E_clISt17integral_constantIbLb0EES1A_EEDaS15_S16_EUlS15_E_NS1_11comp_targetILNS1_3genE9ELNS1_11target_archE1100ELNS1_3gpuE3ELNS1_3repE0EEENS1_30default_config_static_selectorELNS0_4arch9wavefront6targetE0EEEvT1_, .Lfunc_end603-_ZN7rocprim17ROCPRIM_400000_NS6detail17trampoline_kernelINS0_14default_configENS1_25partition_config_selectorILNS1_17partition_subalgoE9ExjbEEZZNS1_14partition_implILS5_9ELb0ES3_jN6thrust23THRUST_200600_302600_NS6detail15normal_iteratorINS9_10device_ptrIxEEEENSB_INSC_IjEEEEPNS0_10empty_typeENS0_5tupleIJSE_SH_EEENSJ_IJSG_SI_EEENS0_18inequality_wrapperINS9_8equal_toIxEEEEPmJSH_EEE10hipError_tPvRmT3_T4_T5_T6_T7_T9_mT8_P12ihipStream_tbDpT10_ENKUlT_T0_E_clISt17integral_constantIbLb0EES1A_EEDaS15_S16_EUlS15_E_NS1_11comp_targetILNS1_3genE9ELNS1_11target_archE1100ELNS1_3gpuE3ELNS1_3repE0EEENS1_30default_config_static_selectorELNS0_4arch9wavefront6targetE0EEEvT1_
                                        ; -- End function
	.section	.AMDGPU.csdata,"",@progbits
; Kernel info:
; codeLenInByte = 9296
; NumSgprs: 26
; NumVgprs: 60
; ScratchSize: 0
; MemoryBound: 0
; FloatMode: 240
; IeeeMode: 1
; LDSByteSize: 33800 bytes/workgroup (compile time only)
; SGPRBlocks: 3
; VGPRBlocks: 7
; NumSGPRsForWavesPerEU: 26
; NumVGPRsForWavesPerEU: 60
; Occupancy: 12
; WaveLimiterHint : 1
; COMPUTE_PGM_RSRC2:SCRATCH_EN: 0
; COMPUTE_PGM_RSRC2:USER_SGPR: 15
; COMPUTE_PGM_RSRC2:TRAP_HANDLER: 0
; COMPUTE_PGM_RSRC2:TGID_X_EN: 1
; COMPUTE_PGM_RSRC2:TGID_Y_EN: 0
; COMPUTE_PGM_RSRC2:TGID_Z_EN: 0
; COMPUTE_PGM_RSRC2:TIDIG_COMP_CNT: 0
	.section	.text._ZN7rocprim17ROCPRIM_400000_NS6detail17trampoline_kernelINS0_14default_configENS1_25partition_config_selectorILNS1_17partition_subalgoE9ExjbEEZZNS1_14partition_implILS5_9ELb0ES3_jN6thrust23THRUST_200600_302600_NS6detail15normal_iteratorINS9_10device_ptrIxEEEENSB_INSC_IjEEEEPNS0_10empty_typeENS0_5tupleIJSE_SH_EEENSJ_IJSG_SI_EEENS0_18inequality_wrapperINS9_8equal_toIxEEEEPmJSH_EEE10hipError_tPvRmT3_T4_T5_T6_T7_T9_mT8_P12ihipStream_tbDpT10_ENKUlT_T0_E_clISt17integral_constantIbLb0EES1A_EEDaS15_S16_EUlS15_E_NS1_11comp_targetILNS1_3genE8ELNS1_11target_archE1030ELNS1_3gpuE2ELNS1_3repE0EEENS1_30default_config_static_selectorELNS0_4arch9wavefront6targetE0EEEvT1_,"axG",@progbits,_ZN7rocprim17ROCPRIM_400000_NS6detail17trampoline_kernelINS0_14default_configENS1_25partition_config_selectorILNS1_17partition_subalgoE9ExjbEEZZNS1_14partition_implILS5_9ELb0ES3_jN6thrust23THRUST_200600_302600_NS6detail15normal_iteratorINS9_10device_ptrIxEEEENSB_INSC_IjEEEEPNS0_10empty_typeENS0_5tupleIJSE_SH_EEENSJ_IJSG_SI_EEENS0_18inequality_wrapperINS9_8equal_toIxEEEEPmJSH_EEE10hipError_tPvRmT3_T4_T5_T6_T7_T9_mT8_P12ihipStream_tbDpT10_ENKUlT_T0_E_clISt17integral_constantIbLb0EES1A_EEDaS15_S16_EUlS15_E_NS1_11comp_targetILNS1_3genE8ELNS1_11target_archE1030ELNS1_3gpuE2ELNS1_3repE0EEENS1_30default_config_static_selectorELNS0_4arch9wavefront6targetE0EEEvT1_,comdat
	.protected	_ZN7rocprim17ROCPRIM_400000_NS6detail17trampoline_kernelINS0_14default_configENS1_25partition_config_selectorILNS1_17partition_subalgoE9ExjbEEZZNS1_14partition_implILS5_9ELb0ES3_jN6thrust23THRUST_200600_302600_NS6detail15normal_iteratorINS9_10device_ptrIxEEEENSB_INSC_IjEEEEPNS0_10empty_typeENS0_5tupleIJSE_SH_EEENSJ_IJSG_SI_EEENS0_18inequality_wrapperINS9_8equal_toIxEEEEPmJSH_EEE10hipError_tPvRmT3_T4_T5_T6_T7_T9_mT8_P12ihipStream_tbDpT10_ENKUlT_T0_E_clISt17integral_constantIbLb0EES1A_EEDaS15_S16_EUlS15_E_NS1_11comp_targetILNS1_3genE8ELNS1_11target_archE1030ELNS1_3gpuE2ELNS1_3repE0EEENS1_30default_config_static_selectorELNS0_4arch9wavefront6targetE0EEEvT1_ ; -- Begin function _ZN7rocprim17ROCPRIM_400000_NS6detail17trampoline_kernelINS0_14default_configENS1_25partition_config_selectorILNS1_17partition_subalgoE9ExjbEEZZNS1_14partition_implILS5_9ELb0ES3_jN6thrust23THRUST_200600_302600_NS6detail15normal_iteratorINS9_10device_ptrIxEEEENSB_INSC_IjEEEEPNS0_10empty_typeENS0_5tupleIJSE_SH_EEENSJ_IJSG_SI_EEENS0_18inequality_wrapperINS9_8equal_toIxEEEEPmJSH_EEE10hipError_tPvRmT3_T4_T5_T6_T7_T9_mT8_P12ihipStream_tbDpT10_ENKUlT_T0_E_clISt17integral_constantIbLb0EES1A_EEDaS15_S16_EUlS15_E_NS1_11comp_targetILNS1_3genE8ELNS1_11target_archE1030ELNS1_3gpuE2ELNS1_3repE0EEENS1_30default_config_static_selectorELNS0_4arch9wavefront6targetE0EEEvT1_
	.globl	_ZN7rocprim17ROCPRIM_400000_NS6detail17trampoline_kernelINS0_14default_configENS1_25partition_config_selectorILNS1_17partition_subalgoE9ExjbEEZZNS1_14partition_implILS5_9ELb0ES3_jN6thrust23THRUST_200600_302600_NS6detail15normal_iteratorINS9_10device_ptrIxEEEENSB_INSC_IjEEEEPNS0_10empty_typeENS0_5tupleIJSE_SH_EEENSJ_IJSG_SI_EEENS0_18inequality_wrapperINS9_8equal_toIxEEEEPmJSH_EEE10hipError_tPvRmT3_T4_T5_T6_T7_T9_mT8_P12ihipStream_tbDpT10_ENKUlT_T0_E_clISt17integral_constantIbLb0EES1A_EEDaS15_S16_EUlS15_E_NS1_11comp_targetILNS1_3genE8ELNS1_11target_archE1030ELNS1_3gpuE2ELNS1_3repE0EEENS1_30default_config_static_selectorELNS0_4arch9wavefront6targetE0EEEvT1_
	.p2align	8
	.type	_ZN7rocprim17ROCPRIM_400000_NS6detail17trampoline_kernelINS0_14default_configENS1_25partition_config_selectorILNS1_17partition_subalgoE9ExjbEEZZNS1_14partition_implILS5_9ELb0ES3_jN6thrust23THRUST_200600_302600_NS6detail15normal_iteratorINS9_10device_ptrIxEEEENSB_INSC_IjEEEEPNS0_10empty_typeENS0_5tupleIJSE_SH_EEENSJ_IJSG_SI_EEENS0_18inequality_wrapperINS9_8equal_toIxEEEEPmJSH_EEE10hipError_tPvRmT3_T4_T5_T6_T7_T9_mT8_P12ihipStream_tbDpT10_ENKUlT_T0_E_clISt17integral_constantIbLb0EES1A_EEDaS15_S16_EUlS15_E_NS1_11comp_targetILNS1_3genE8ELNS1_11target_archE1030ELNS1_3gpuE2ELNS1_3repE0EEENS1_30default_config_static_selectorELNS0_4arch9wavefront6targetE0EEEvT1_,@function
_ZN7rocprim17ROCPRIM_400000_NS6detail17trampoline_kernelINS0_14default_configENS1_25partition_config_selectorILNS1_17partition_subalgoE9ExjbEEZZNS1_14partition_implILS5_9ELb0ES3_jN6thrust23THRUST_200600_302600_NS6detail15normal_iteratorINS9_10device_ptrIxEEEENSB_INSC_IjEEEEPNS0_10empty_typeENS0_5tupleIJSE_SH_EEENSJ_IJSG_SI_EEENS0_18inequality_wrapperINS9_8equal_toIxEEEEPmJSH_EEE10hipError_tPvRmT3_T4_T5_T6_T7_T9_mT8_P12ihipStream_tbDpT10_ENKUlT_T0_E_clISt17integral_constantIbLb0EES1A_EEDaS15_S16_EUlS15_E_NS1_11comp_targetILNS1_3genE8ELNS1_11target_archE1030ELNS1_3gpuE2ELNS1_3repE0EEENS1_30default_config_static_selectorELNS0_4arch9wavefront6targetE0EEEvT1_: ; @_ZN7rocprim17ROCPRIM_400000_NS6detail17trampoline_kernelINS0_14default_configENS1_25partition_config_selectorILNS1_17partition_subalgoE9ExjbEEZZNS1_14partition_implILS5_9ELb0ES3_jN6thrust23THRUST_200600_302600_NS6detail15normal_iteratorINS9_10device_ptrIxEEEENSB_INSC_IjEEEEPNS0_10empty_typeENS0_5tupleIJSE_SH_EEENSJ_IJSG_SI_EEENS0_18inequality_wrapperINS9_8equal_toIxEEEEPmJSH_EEE10hipError_tPvRmT3_T4_T5_T6_T7_T9_mT8_P12ihipStream_tbDpT10_ENKUlT_T0_E_clISt17integral_constantIbLb0EES1A_EEDaS15_S16_EUlS15_E_NS1_11comp_targetILNS1_3genE8ELNS1_11target_archE1030ELNS1_3gpuE2ELNS1_3repE0EEENS1_30default_config_static_selectorELNS0_4arch9wavefront6targetE0EEEvT1_
; %bb.0:
	.section	.rodata,"a",@progbits
	.p2align	6, 0x0
	.amdhsa_kernel _ZN7rocprim17ROCPRIM_400000_NS6detail17trampoline_kernelINS0_14default_configENS1_25partition_config_selectorILNS1_17partition_subalgoE9ExjbEEZZNS1_14partition_implILS5_9ELb0ES3_jN6thrust23THRUST_200600_302600_NS6detail15normal_iteratorINS9_10device_ptrIxEEEENSB_INSC_IjEEEEPNS0_10empty_typeENS0_5tupleIJSE_SH_EEENSJ_IJSG_SI_EEENS0_18inequality_wrapperINS9_8equal_toIxEEEEPmJSH_EEE10hipError_tPvRmT3_T4_T5_T6_T7_T9_mT8_P12ihipStream_tbDpT10_ENKUlT_T0_E_clISt17integral_constantIbLb0EES1A_EEDaS15_S16_EUlS15_E_NS1_11comp_targetILNS1_3genE8ELNS1_11target_archE1030ELNS1_3gpuE2ELNS1_3repE0EEENS1_30default_config_static_selectorELNS0_4arch9wavefront6targetE0EEEvT1_
		.amdhsa_group_segment_fixed_size 0
		.amdhsa_private_segment_fixed_size 0
		.amdhsa_kernarg_size 112
		.amdhsa_user_sgpr_count 15
		.amdhsa_user_sgpr_dispatch_ptr 0
		.amdhsa_user_sgpr_queue_ptr 0
		.amdhsa_user_sgpr_kernarg_segment_ptr 1
		.amdhsa_user_sgpr_dispatch_id 0
		.amdhsa_user_sgpr_private_segment_size 0
		.amdhsa_wavefront_size32 1
		.amdhsa_uses_dynamic_stack 0
		.amdhsa_enable_private_segment 0
		.amdhsa_system_sgpr_workgroup_id_x 1
		.amdhsa_system_sgpr_workgroup_id_y 0
		.amdhsa_system_sgpr_workgroup_id_z 0
		.amdhsa_system_sgpr_workgroup_info 0
		.amdhsa_system_vgpr_workitem_id 0
		.amdhsa_next_free_vgpr 1
		.amdhsa_next_free_sgpr 1
		.amdhsa_reserve_vcc 0
		.amdhsa_float_round_mode_32 0
		.amdhsa_float_round_mode_16_64 0
		.amdhsa_float_denorm_mode_32 3
		.amdhsa_float_denorm_mode_16_64 3
		.amdhsa_dx10_clamp 1
		.amdhsa_ieee_mode 1
		.amdhsa_fp16_overflow 0
		.amdhsa_workgroup_processor_mode 1
		.amdhsa_memory_ordered 1
		.amdhsa_forward_progress 0
		.amdhsa_shared_vgpr_count 0
		.amdhsa_exception_fp_ieee_invalid_op 0
		.amdhsa_exception_fp_denorm_src 0
		.amdhsa_exception_fp_ieee_div_zero 0
		.amdhsa_exception_fp_ieee_overflow 0
		.amdhsa_exception_fp_ieee_underflow 0
		.amdhsa_exception_fp_ieee_inexact 0
		.amdhsa_exception_int_div_zero 0
	.end_amdhsa_kernel
	.section	.text._ZN7rocprim17ROCPRIM_400000_NS6detail17trampoline_kernelINS0_14default_configENS1_25partition_config_selectorILNS1_17partition_subalgoE9ExjbEEZZNS1_14partition_implILS5_9ELb0ES3_jN6thrust23THRUST_200600_302600_NS6detail15normal_iteratorINS9_10device_ptrIxEEEENSB_INSC_IjEEEEPNS0_10empty_typeENS0_5tupleIJSE_SH_EEENSJ_IJSG_SI_EEENS0_18inequality_wrapperINS9_8equal_toIxEEEEPmJSH_EEE10hipError_tPvRmT3_T4_T5_T6_T7_T9_mT8_P12ihipStream_tbDpT10_ENKUlT_T0_E_clISt17integral_constantIbLb0EES1A_EEDaS15_S16_EUlS15_E_NS1_11comp_targetILNS1_3genE8ELNS1_11target_archE1030ELNS1_3gpuE2ELNS1_3repE0EEENS1_30default_config_static_selectorELNS0_4arch9wavefront6targetE0EEEvT1_,"axG",@progbits,_ZN7rocprim17ROCPRIM_400000_NS6detail17trampoline_kernelINS0_14default_configENS1_25partition_config_selectorILNS1_17partition_subalgoE9ExjbEEZZNS1_14partition_implILS5_9ELb0ES3_jN6thrust23THRUST_200600_302600_NS6detail15normal_iteratorINS9_10device_ptrIxEEEENSB_INSC_IjEEEEPNS0_10empty_typeENS0_5tupleIJSE_SH_EEENSJ_IJSG_SI_EEENS0_18inequality_wrapperINS9_8equal_toIxEEEEPmJSH_EEE10hipError_tPvRmT3_T4_T5_T6_T7_T9_mT8_P12ihipStream_tbDpT10_ENKUlT_T0_E_clISt17integral_constantIbLb0EES1A_EEDaS15_S16_EUlS15_E_NS1_11comp_targetILNS1_3genE8ELNS1_11target_archE1030ELNS1_3gpuE2ELNS1_3repE0EEENS1_30default_config_static_selectorELNS0_4arch9wavefront6targetE0EEEvT1_,comdat
.Lfunc_end604:
	.size	_ZN7rocprim17ROCPRIM_400000_NS6detail17trampoline_kernelINS0_14default_configENS1_25partition_config_selectorILNS1_17partition_subalgoE9ExjbEEZZNS1_14partition_implILS5_9ELb0ES3_jN6thrust23THRUST_200600_302600_NS6detail15normal_iteratorINS9_10device_ptrIxEEEENSB_INSC_IjEEEEPNS0_10empty_typeENS0_5tupleIJSE_SH_EEENSJ_IJSG_SI_EEENS0_18inequality_wrapperINS9_8equal_toIxEEEEPmJSH_EEE10hipError_tPvRmT3_T4_T5_T6_T7_T9_mT8_P12ihipStream_tbDpT10_ENKUlT_T0_E_clISt17integral_constantIbLb0EES1A_EEDaS15_S16_EUlS15_E_NS1_11comp_targetILNS1_3genE8ELNS1_11target_archE1030ELNS1_3gpuE2ELNS1_3repE0EEENS1_30default_config_static_selectorELNS0_4arch9wavefront6targetE0EEEvT1_, .Lfunc_end604-_ZN7rocprim17ROCPRIM_400000_NS6detail17trampoline_kernelINS0_14default_configENS1_25partition_config_selectorILNS1_17partition_subalgoE9ExjbEEZZNS1_14partition_implILS5_9ELb0ES3_jN6thrust23THRUST_200600_302600_NS6detail15normal_iteratorINS9_10device_ptrIxEEEENSB_INSC_IjEEEEPNS0_10empty_typeENS0_5tupleIJSE_SH_EEENSJ_IJSG_SI_EEENS0_18inequality_wrapperINS9_8equal_toIxEEEEPmJSH_EEE10hipError_tPvRmT3_T4_T5_T6_T7_T9_mT8_P12ihipStream_tbDpT10_ENKUlT_T0_E_clISt17integral_constantIbLb0EES1A_EEDaS15_S16_EUlS15_E_NS1_11comp_targetILNS1_3genE8ELNS1_11target_archE1030ELNS1_3gpuE2ELNS1_3repE0EEENS1_30default_config_static_selectorELNS0_4arch9wavefront6targetE0EEEvT1_
                                        ; -- End function
	.section	.AMDGPU.csdata,"",@progbits
; Kernel info:
; codeLenInByte = 0
; NumSgprs: 0
; NumVgprs: 0
; ScratchSize: 0
; MemoryBound: 0
; FloatMode: 240
; IeeeMode: 1
; LDSByteSize: 0 bytes/workgroup (compile time only)
; SGPRBlocks: 0
; VGPRBlocks: 0
; NumSGPRsForWavesPerEU: 1
; NumVGPRsForWavesPerEU: 1
; Occupancy: 16
; WaveLimiterHint : 0
; COMPUTE_PGM_RSRC2:SCRATCH_EN: 0
; COMPUTE_PGM_RSRC2:USER_SGPR: 15
; COMPUTE_PGM_RSRC2:TRAP_HANDLER: 0
; COMPUTE_PGM_RSRC2:TGID_X_EN: 1
; COMPUTE_PGM_RSRC2:TGID_Y_EN: 0
; COMPUTE_PGM_RSRC2:TGID_Z_EN: 0
; COMPUTE_PGM_RSRC2:TIDIG_COMP_CNT: 0
	.section	.text._ZN7rocprim17ROCPRIM_400000_NS6detail17trampoline_kernelINS0_14default_configENS1_25partition_config_selectorILNS1_17partition_subalgoE9ExjbEEZZNS1_14partition_implILS5_9ELb0ES3_jN6thrust23THRUST_200600_302600_NS6detail15normal_iteratorINS9_10device_ptrIxEEEENSB_INSC_IjEEEEPNS0_10empty_typeENS0_5tupleIJSE_SH_EEENSJ_IJSG_SI_EEENS0_18inequality_wrapperINS9_8equal_toIxEEEEPmJSH_EEE10hipError_tPvRmT3_T4_T5_T6_T7_T9_mT8_P12ihipStream_tbDpT10_ENKUlT_T0_E_clISt17integral_constantIbLb1EES1A_EEDaS15_S16_EUlS15_E_NS1_11comp_targetILNS1_3genE0ELNS1_11target_archE4294967295ELNS1_3gpuE0ELNS1_3repE0EEENS1_30default_config_static_selectorELNS0_4arch9wavefront6targetE0EEEvT1_,"axG",@progbits,_ZN7rocprim17ROCPRIM_400000_NS6detail17trampoline_kernelINS0_14default_configENS1_25partition_config_selectorILNS1_17partition_subalgoE9ExjbEEZZNS1_14partition_implILS5_9ELb0ES3_jN6thrust23THRUST_200600_302600_NS6detail15normal_iteratorINS9_10device_ptrIxEEEENSB_INSC_IjEEEEPNS0_10empty_typeENS0_5tupleIJSE_SH_EEENSJ_IJSG_SI_EEENS0_18inequality_wrapperINS9_8equal_toIxEEEEPmJSH_EEE10hipError_tPvRmT3_T4_T5_T6_T7_T9_mT8_P12ihipStream_tbDpT10_ENKUlT_T0_E_clISt17integral_constantIbLb1EES1A_EEDaS15_S16_EUlS15_E_NS1_11comp_targetILNS1_3genE0ELNS1_11target_archE4294967295ELNS1_3gpuE0ELNS1_3repE0EEENS1_30default_config_static_selectorELNS0_4arch9wavefront6targetE0EEEvT1_,comdat
	.protected	_ZN7rocprim17ROCPRIM_400000_NS6detail17trampoline_kernelINS0_14default_configENS1_25partition_config_selectorILNS1_17partition_subalgoE9ExjbEEZZNS1_14partition_implILS5_9ELb0ES3_jN6thrust23THRUST_200600_302600_NS6detail15normal_iteratorINS9_10device_ptrIxEEEENSB_INSC_IjEEEEPNS0_10empty_typeENS0_5tupleIJSE_SH_EEENSJ_IJSG_SI_EEENS0_18inequality_wrapperINS9_8equal_toIxEEEEPmJSH_EEE10hipError_tPvRmT3_T4_T5_T6_T7_T9_mT8_P12ihipStream_tbDpT10_ENKUlT_T0_E_clISt17integral_constantIbLb1EES1A_EEDaS15_S16_EUlS15_E_NS1_11comp_targetILNS1_3genE0ELNS1_11target_archE4294967295ELNS1_3gpuE0ELNS1_3repE0EEENS1_30default_config_static_selectorELNS0_4arch9wavefront6targetE0EEEvT1_ ; -- Begin function _ZN7rocprim17ROCPRIM_400000_NS6detail17trampoline_kernelINS0_14default_configENS1_25partition_config_selectorILNS1_17partition_subalgoE9ExjbEEZZNS1_14partition_implILS5_9ELb0ES3_jN6thrust23THRUST_200600_302600_NS6detail15normal_iteratorINS9_10device_ptrIxEEEENSB_INSC_IjEEEEPNS0_10empty_typeENS0_5tupleIJSE_SH_EEENSJ_IJSG_SI_EEENS0_18inequality_wrapperINS9_8equal_toIxEEEEPmJSH_EEE10hipError_tPvRmT3_T4_T5_T6_T7_T9_mT8_P12ihipStream_tbDpT10_ENKUlT_T0_E_clISt17integral_constantIbLb1EES1A_EEDaS15_S16_EUlS15_E_NS1_11comp_targetILNS1_3genE0ELNS1_11target_archE4294967295ELNS1_3gpuE0ELNS1_3repE0EEENS1_30default_config_static_selectorELNS0_4arch9wavefront6targetE0EEEvT1_
	.globl	_ZN7rocprim17ROCPRIM_400000_NS6detail17trampoline_kernelINS0_14default_configENS1_25partition_config_selectorILNS1_17partition_subalgoE9ExjbEEZZNS1_14partition_implILS5_9ELb0ES3_jN6thrust23THRUST_200600_302600_NS6detail15normal_iteratorINS9_10device_ptrIxEEEENSB_INSC_IjEEEEPNS0_10empty_typeENS0_5tupleIJSE_SH_EEENSJ_IJSG_SI_EEENS0_18inequality_wrapperINS9_8equal_toIxEEEEPmJSH_EEE10hipError_tPvRmT3_T4_T5_T6_T7_T9_mT8_P12ihipStream_tbDpT10_ENKUlT_T0_E_clISt17integral_constantIbLb1EES1A_EEDaS15_S16_EUlS15_E_NS1_11comp_targetILNS1_3genE0ELNS1_11target_archE4294967295ELNS1_3gpuE0ELNS1_3repE0EEENS1_30default_config_static_selectorELNS0_4arch9wavefront6targetE0EEEvT1_
	.p2align	8
	.type	_ZN7rocprim17ROCPRIM_400000_NS6detail17trampoline_kernelINS0_14default_configENS1_25partition_config_selectorILNS1_17partition_subalgoE9ExjbEEZZNS1_14partition_implILS5_9ELb0ES3_jN6thrust23THRUST_200600_302600_NS6detail15normal_iteratorINS9_10device_ptrIxEEEENSB_INSC_IjEEEEPNS0_10empty_typeENS0_5tupleIJSE_SH_EEENSJ_IJSG_SI_EEENS0_18inequality_wrapperINS9_8equal_toIxEEEEPmJSH_EEE10hipError_tPvRmT3_T4_T5_T6_T7_T9_mT8_P12ihipStream_tbDpT10_ENKUlT_T0_E_clISt17integral_constantIbLb1EES1A_EEDaS15_S16_EUlS15_E_NS1_11comp_targetILNS1_3genE0ELNS1_11target_archE4294967295ELNS1_3gpuE0ELNS1_3repE0EEENS1_30default_config_static_selectorELNS0_4arch9wavefront6targetE0EEEvT1_,@function
_ZN7rocprim17ROCPRIM_400000_NS6detail17trampoline_kernelINS0_14default_configENS1_25partition_config_selectorILNS1_17partition_subalgoE9ExjbEEZZNS1_14partition_implILS5_9ELb0ES3_jN6thrust23THRUST_200600_302600_NS6detail15normal_iteratorINS9_10device_ptrIxEEEENSB_INSC_IjEEEEPNS0_10empty_typeENS0_5tupleIJSE_SH_EEENSJ_IJSG_SI_EEENS0_18inequality_wrapperINS9_8equal_toIxEEEEPmJSH_EEE10hipError_tPvRmT3_T4_T5_T6_T7_T9_mT8_P12ihipStream_tbDpT10_ENKUlT_T0_E_clISt17integral_constantIbLb1EES1A_EEDaS15_S16_EUlS15_E_NS1_11comp_targetILNS1_3genE0ELNS1_11target_archE4294967295ELNS1_3gpuE0ELNS1_3repE0EEENS1_30default_config_static_selectorELNS0_4arch9wavefront6targetE0EEEvT1_: ; @_ZN7rocprim17ROCPRIM_400000_NS6detail17trampoline_kernelINS0_14default_configENS1_25partition_config_selectorILNS1_17partition_subalgoE9ExjbEEZZNS1_14partition_implILS5_9ELb0ES3_jN6thrust23THRUST_200600_302600_NS6detail15normal_iteratorINS9_10device_ptrIxEEEENSB_INSC_IjEEEEPNS0_10empty_typeENS0_5tupleIJSE_SH_EEENSJ_IJSG_SI_EEENS0_18inequality_wrapperINS9_8equal_toIxEEEEPmJSH_EEE10hipError_tPvRmT3_T4_T5_T6_T7_T9_mT8_P12ihipStream_tbDpT10_ENKUlT_T0_E_clISt17integral_constantIbLb1EES1A_EEDaS15_S16_EUlS15_E_NS1_11comp_targetILNS1_3genE0ELNS1_11target_archE4294967295ELNS1_3gpuE0ELNS1_3repE0EEENS1_30default_config_static_selectorELNS0_4arch9wavefront6targetE0EEEvT1_
; %bb.0:
	.section	.rodata,"a",@progbits
	.p2align	6, 0x0
	.amdhsa_kernel _ZN7rocprim17ROCPRIM_400000_NS6detail17trampoline_kernelINS0_14default_configENS1_25partition_config_selectorILNS1_17partition_subalgoE9ExjbEEZZNS1_14partition_implILS5_9ELb0ES3_jN6thrust23THRUST_200600_302600_NS6detail15normal_iteratorINS9_10device_ptrIxEEEENSB_INSC_IjEEEEPNS0_10empty_typeENS0_5tupleIJSE_SH_EEENSJ_IJSG_SI_EEENS0_18inequality_wrapperINS9_8equal_toIxEEEEPmJSH_EEE10hipError_tPvRmT3_T4_T5_T6_T7_T9_mT8_P12ihipStream_tbDpT10_ENKUlT_T0_E_clISt17integral_constantIbLb1EES1A_EEDaS15_S16_EUlS15_E_NS1_11comp_targetILNS1_3genE0ELNS1_11target_archE4294967295ELNS1_3gpuE0ELNS1_3repE0EEENS1_30default_config_static_selectorELNS0_4arch9wavefront6targetE0EEEvT1_
		.amdhsa_group_segment_fixed_size 0
		.amdhsa_private_segment_fixed_size 0
		.amdhsa_kernarg_size 128
		.amdhsa_user_sgpr_count 15
		.amdhsa_user_sgpr_dispatch_ptr 0
		.amdhsa_user_sgpr_queue_ptr 0
		.amdhsa_user_sgpr_kernarg_segment_ptr 1
		.amdhsa_user_sgpr_dispatch_id 0
		.amdhsa_user_sgpr_private_segment_size 0
		.amdhsa_wavefront_size32 1
		.amdhsa_uses_dynamic_stack 0
		.amdhsa_enable_private_segment 0
		.amdhsa_system_sgpr_workgroup_id_x 1
		.amdhsa_system_sgpr_workgroup_id_y 0
		.amdhsa_system_sgpr_workgroup_id_z 0
		.amdhsa_system_sgpr_workgroup_info 0
		.amdhsa_system_vgpr_workitem_id 0
		.amdhsa_next_free_vgpr 1
		.amdhsa_next_free_sgpr 1
		.amdhsa_reserve_vcc 0
		.amdhsa_float_round_mode_32 0
		.amdhsa_float_round_mode_16_64 0
		.amdhsa_float_denorm_mode_32 3
		.amdhsa_float_denorm_mode_16_64 3
		.amdhsa_dx10_clamp 1
		.amdhsa_ieee_mode 1
		.amdhsa_fp16_overflow 0
		.amdhsa_workgroup_processor_mode 1
		.amdhsa_memory_ordered 1
		.amdhsa_forward_progress 0
		.amdhsa_shared_vgpr_count 0
		.amdhsa_exception_fp_ieee_invalid_op 0
		.amdhsa_exception_fp_denorm_src 0
		.amdhsa_exception_fp_ieee_div_zero 0
		.amdhsa_exception_fp_ieee_overflow 0
		.amdhsa_exception_fp_ieee_underflow 0
		.amdhsa_exception_fp_ieee_inexact 0
		.amdhsa_exception_int_div_zero 0
	.end_amdhsa_kernel
	.section	.text._ZN7rocprim17ROCPRIM_400000_NS6detail17trampoline_kernelINS0_14default_configENS1_25partition_config_selectorILNS1_17partition_subalgoE9ExjbEEZZNS1_14partition_implILS5_9ELb0ES3_jN6thrust23THRUST_200600_302600_NS6detail15normal_iteratorINS9_10device_ptrIxEEEENSB_INSC_IjEEEEPNS0_10empty_typeENS0_5tupleIJSE_SH_EEENSJ_IJSG_SI_EEENS0_18inequality_wrapperINS9_8equal_toIxEEEEPmJSH_EEE10hipError_tPvRmT3_T4_T5_T6_T7_T9_mT8_P12ihipStream_tbDpT10_ENKUlT_T0_E_clISt17integral_constantIbLb1EES1A_EEDaS15_S16_EUlS15_E_NS1_11comp_targetILNS1_3genE0ELNS1_11target_archE4294967295ELNS1_3gpuE0ELNS1_3repE0EEENS1_30default_config_static_selectorELNS0_4arch9wavefront6targetE0EEEvT1_,"axG",@progbits,_ZN7rocprim17ROCPRIM_400000_NS6detail17trampoline_kernelINS0_14default_configENS1_25partition_config_selectorILNS1_17partition_subalgoE9ExjbEEZZNS1_14partition_implILS5_9ELb0ES3_jN6thrust23THRUST_200600_302600_NS6detail15normal_iteratorINS9_10device_ptrIxEEEENSB_INSC_IjEEEEPNS0_10empty_typeENS0_5tupleIJSE_SH_EEENSJ_IJSG_SI_EEENS0_18inequality_wrapperINS9_8equal_toIxEEEEPmJSH_EEE10hipError_tPvRmT3_T4_T5_T6_T7_T9_mT8_P12ihipStream_tbDpT10_ENKUlT_T0_E_clISt17integral_constantIbLb1EES1A_EEDaS15_S16_EUlS15_E_NS1_11comp_targetILNS1_3genE0ELNS1_11target_archE4294967295ELNS1_3gpuE0ELNS1_3repE0EEENS1_30default_config_static_selectorELNS0_4arch9wavefront6targetE0EEEvT1_,comdat
.Lfunc_end605:
	.size	_ZN7rocprim17ROCPRIM_400000_NS6detail17trampoline_kernelINS0_14default_configENS1_25partition_config_selectorILNS1_17partition_subalgoE9ExjbEEZZNS1_14partition_implILS5_9ELb0ES3_jN6thrust23THRUST_200600_302600_NS6detail15normal_iteratorINS9_10device_ptrIxEEEENSB_INSC_IjEEEEPNS0_10empty_typeENS0_5tupleIJSE_SH_EEENSJ_IJSG_SI_EEENS0_18inequality_wrapperINS9_8equal_toIxEEEEPmJSH_EEE10hipError_tPvRmT3_T4_T5_T6_T7_T9_mT8_P12ihipStream_tbDpT10_ENKUlT_T0_E_clISt17integral_constantIbLb1EES1A_EEDaS15_S16_EUlS15_E_NS1_11comp_targetILNS1_3genE0ELNS1_11target_archE4294967295ELNS1_3gpuE0ELNS1_3repE0EEENS1_30default_config_static_selectorELNS0_4arch9wavefront6targetE0EEEvT1_, .Lfunc_end605-_ZN7rocprim17ROCPRIM_400000_NS6detail17trampoline_kernelINS0_14default_configENS1_25partition_config_selectorILNS1_17partition_subalgoE9ExjbEEZZNS1_14partition_implILS5_9ELb0ES3_jN6thrust23THRUST_200600_302600_NS6detail15normal_iteratorINS9_10device_ptrIxEEEENSB_INSC_IjEEEEPNS0_10empty_typeENS0_5tupleIJSE_SH_EEENSJ_IJSG_SI_EEENS0_18inequality_wrapperINS9_8equal_toIxEEEEPmJSH_EEE10hipError_tPvRmT3_T4_T5_T6_T7_T9_mT8_P12ihipStream_tbDpT10_ENKUlT_T0_E_clISt17integral_constantIbLb1EES1A_EEDaS15_S16_EUlS15_E_NS1_11comp_targetILNS1_3genE0ELNS1_11target_archE4294967295ELNS1_3gpuE0ELNS1_3repE0EEENS1_30default_config_static_selectorELNS0_4arch9wavefront6targetE0EEEvT1_
                                        ; -- End function
	.section	.AMDGPU.csdata,"",@progbits
; Kernel info:
; codeLenInByte = 0
; NumSgprs: 0
; NumVgprs: 0
; ScratchSize: 0
; MemoryBound: 0
; FloatMode: 240
; IeeeMode: 1
; LDSByteSize: 0 bytes/workgroup (compile time only)
; SGPRBlocks: 0
; VGPRBlocks: 0
; NumSGPRsForWavesPerEU: 1
; NumVGPRsForWavesPerEU: 1
; Occupancy: 16
; WaveLimiterHint : 0
; COMPUTE_PGM_RSRC2:SCRATCH_EN: 0
; COMPUTE_PGM_RSRC2:USER_SGPR: 15
; COMPUTE_PGM_RSRC2:TRAP_HANDLER: 0
; COMPUTE_PGM_RSRC2:TGID_X_EN: 1
; COMPUTE_PGM_RSRC2:TGID_Y_EN: 0
; COMPUTE_PGM_RSRC2:TGID_Z_EN: 0
; COMPUTE_PGM_RSRC2:TIDIG_COMP_CNT: 0
	.section	.text._ZN7rocprim17ROCPRIM_400000_NS6detail17trampoline_kernelINS0_14default_configENS1_25partition_config_selectorILNS1_17partition_subalgoE9ExjbEEZZNS1_14partition_implILS5_9ELb0ES3_jN6thrust23THRUST_200600_302600_NS6detail15normal_iteratorINS9_10device_ptrIxEEEENSB_INSC_IjEEEEPNS0_10empty_typeENS0_5tupleIJSE_SH_EEENSJ_IJSG_SI_EEENS0_18inequality_wrapperINS9_8equal_toIxEEEEPmJSH_EEE10hipError_tPvRmT3_T4_T5_T6_T7_T9_mT8_P12ihipStream_tbDpT10_ENKUlT_T0_E_clISt17integral_constantIbLb1EES1A_EEDaS15_S16_EUlS15_E_NS1_11comp_targetILNS1_3genE5ELNS1_11target_archE942ELNS1_3gpuE9ELNS1_3repE0EEENS1_30default_config_static_selectorELNS0_4arch9wavefront6targetE0EEEvT1_,"axG",@progbits,_ZN7rocprim17ROCPRIM_400000_NS6detail17trampoline_kernelINS0_14default_configENS1_25partition_config_selectorILNS1_17partition_subalgoE9ExjbEEZZNS1_14partition_implILS5_9ELb0ES3_jN6thrust23THRUST_200600_302600_NS6detail15normal_iteratorINS9_10device_ptrIxEEEENSB_INSC_IjEEEEPNS0_10empty_typeENS0_5tupleIJSE_SH_EEENSJ_IJSG_SI_EEENS0_18inequality_wrapperINS9_8equal_toIxEEEEPmJSH_EEE10hipError_tPvRmT3_T4_T5_T6_T7_T9_mT8_P12ihipStream_tbDpT10_ENKUlT_T0_E_clISt17integral_constantIbLb1EES1A_EEDaS15_S16_EUlS15_E_NS1_11comp_targetILNS1_3genE5ELNS1_11target_archE942ELNS1_3gpuE9ELNS1_3repE0EEENS1_30default_config_static_selectorELNS0_4arch9wavefront6targetE0EEEvT1_,comdat
	.protected	_ZN7rocprim17ROCPRIM_400000_NS6detail17trampoline_kernelINS0_14default_configENS1_25partition_config_selectorILNS1_17partition_subalgoE9ExjbEEZZNS1_14partition_implILS5_9ELb0ES3_jN6thrust23THRUST_200600_302600_NS6detail15normal_iteratorINS9_10device_ptrIxEEEENSB_INSC_IjEEEEPNS0_10empty_typeENS0_5tupleIJSE_SH_EEENSJ_IJSG_SI_EEENS0_18inequality_wrapperINS9_8equal_toIxEEEEPmJSH_EEE10hipError_tPvRmT3_T4_T5_T6_T7_T9_mT8_P12ihipStream_tbDpT10_ENKUlT_T0_E_clISt17integral_constantIbLb1EES1A_EEDaS15_S16_EUlS15_E_NS1_11comp_targetILNS1_3genE5ELNS1_11target_archE942ELNS1_3gpuE9ELNS1_3repE0EEENS1_30default_config_static_selectorELNS0_4arch9wavefront6targetE0EEEvT1_ ; -- Begin function _ZN7rocprim17ROCPRIM_400000_NS6detail17trampoline_kernelINS0_14default_configENS1_25partition_config_selectorILNS1_17partition_subalgoE9ExjbEEZZNS1_14partition_implILS5_9ELb0ES3_jN6thrust23THRUST_200600_302600_NS6detail15normal_iteratorINS9_10device_ptrIxEEEENSB_INSC_IjEEEEPNS0_10empty_typeENS0_5tupleIJSE_SH_EEENSJ_IJSG_SI_EEENS0_18inequality_wrapperINS9_8equal_toIxEEEEPmJSH_EEE10hipError_tPvRmT3_T4_T5_T6_T7_T9_mT8_P12ihipStream_tbDpT10_ENKUlT_T0_E_clISt17integral_constantIbLb1EES1A_EEDaS15_S16_EUlS15_E_NS1_11comp_targetILNS1_3genE5ELNS1_11target_archE942ELNS1_3gpuE9ELNS1_3repE0EEENS1_30default_config_static_selectorELNS0_4arch9wavefront6targetE0EEEvT1_
	.globl	_ZN7rocprim17ROCPRIM_400000_NS6detail17trampoline_kernelINS0_14default_configENS1_25partition_config_selectorILNS1_17partition_subalgoE9ExjbEEZZNS1_14partition_implILS5_9ELb0ES3_jN6thrust23THRUST_200600_302600_NS6detail15normal_iteratorINS9_10device_ptrIxEEEENSB_INSC_IjEEEEPNS0_10empty_typeENS0_5tupleIJSE_SH_EEENSJ_IJSG_SI_EEENS0_18inequality_wrapperINS9_8equal_toIxEEEEPmJSH_EEE10hipError_tPvRmT3_T4_T5_T6_T7_T9_mT8_P12ihipStream_tbDpT10_ENKUlT_T0_E_clISt17integral_constantIbLb1EES1A_EEDaS15_S16_EUlS15_E_NS1_11comp_targetILNS1_3genE5ELNS1_11target_archE942ELNS1_3gpuE9ELNS1_3repE0EEENS1_30default_config_static_selectorELNS0_4arch9wavefront6targetE0EEEvT1_
	.p2align	8
	.type	_ZN7rocprim17ROCPRIM_400000_NS6detail17trampoline_kernelINS0_14default_configENS1_25partition_config_selectorILNS1_17partition_subalgoE9ExjbEEZZNS1_14partition_implILS5_9ELb0ES3_jN6thrust23THRUST_200600_302600_NS6detail15normal_iteratorINS9_10device_ptrIxEEEENSB_INSC_IjEEEEPNS0_10empty_typeENS0_5tupleIJSE_SH_EEENSJ_IJSG_SI_EEENS0_18inequality_wrapperINS9_8equal_toIxEEEEPmJSH_EEE10hipError_tPvRmT3_T4_T5_T6_T7_T9_mT8_P12ihipStream_tbDpT10_ENKUlT_T0_E_clISt17integral_constantIbLb1EES1A_EEDaS15_S16_EUlS15_E_NS1_11comp_targetILNS1_3genE5ELNS1_11target_archE942ELNS1_3gpuE9ELNS1_3repE0EEENS1_30default_config_static_selectorELNS0_4arch9wavefront6targetE0EEEvT1_,@function
_ZN7rocprim17ROCPRIM_400000_NS6detail17trampoline_kernelINS0_14default_configENS1_25partition_config_selectorILNS1_17partition_subalgoE9ExjbEEZZNS1_14partition_implILS5_9ELb0ES3_jN6thrust23THRUST_200600_302600_NS6detail15normal_iteratorINS9_10device_ptrIxEEEENSB_INSC_IjEEEEPNS0_10empty_typeENS0_5tupleIJSE_SH_EEENSJ_IJSG_SI_EEENS0_18inequality_wrapperINS9_8equal_toIxEEEEPmJSH_EEE10hipError_tPvRmT3_T4_T5_T6_T7_T9_mT8_P12ihipStream_tbDpT10_ENKUlT_T0_E_clISt17integral_constantIbLb1EES1A_EEDaS15_S16_EUlS15_E_NS1_11comp_targetILNS1_3genE5ELNS1_11target_archE942ELNS1_3gpuE9ELNS1_3repE0EEENS1_30default_config_static_selectorELNS0_4arch9wavefront6targetE0EEEvT1_: ; @_ZN7rocprim17ROCPRIM_400000_NS6detail17trampoline_kernelINS0_14default_configENS1_25partition_config_selectorILNS1_17partition_subalgoE9ExjbEEZZNS1_14partition_implILS5_9ELb0ES3_jN6thrust23THRUST_200600_302600_NS6detail15normal_iteratorINS9_10device_ptrIxEEEENSB_INSC_IjEEEEPNS0_10empty_typeENS0_5tupleIJSE_SH_EEENSJ_IJSG_SI_EEENS0_18inequality_wrapperINS9_8equal_toIxEEEEPmJSH_EEE10hipError_tPvRmT3_T4_T5_T6_T7_T9_mT8_P12ihipStream_tbDpT10_ENKUlT_T0_E_clISt17integral_constantIbLb1EES1A_EEDaS15_S16_EUlS15_E_NS1_11comp_targetILNS1_3genE5ELNS1_11target_archE942ELNS1_3gpuE9ELNS1_3repE0EEENS1_30default_config_static_selectorELNS0_4arch9wavefront6targetE0EEEvT1_
; %bb.0:
	.section	.rodata,"a",@progbits
	.p2align	6, 0x0
	.amdhsa_kernel _ZN7rocprim17ROCPRIM_400000_NS6detail17trampoline_kernelINS0_14default_configENS1_25partition_config_selectorILNS1_17partition_subalgoE9ExjbEEZZNS1_14partition_implILS5_9ELb0ES3_jN6thrust23THRUST_200600_302600_NS6detail15normal_iteratorINS9_10device_ptrIxEEEENSB_INSC_IjEEEEPNS0_10empty_typeENS0_5tupleIJSE_SH_EEENSJ_IJSG_SI_EEENS0_18inequality_wrapperINS9_8equal_toIxEEEEPmJSH_EEE10hipError_tPvRmT3_T4_T5_T6_T7_T9_mT8_P12ihipStream_tbDpT10_ENKUlT_T0_E_clISt17integral_constantIbLb1EES1A_EEDaS15_S16_EUlS15_E_NS1_11comp_targetILNS1_3genE5ELNS1_11target_archE942ELNS1_3gpuE9ELNS1_3repE0EEENS1_30default_config_static_selectorELNS0_4arch9wavefront6targetE0EEEvT1_
		.amdhsa_group_segment_fixed_size 0
		.amdhsa_private_segment_fixed_size 0
		.amdhsa_kernarg_size 128
		.amdhsa_user_sgpr_count 15
		.amdhsa_user_sgpr_dispatch_ptr 0
		.amdhsa_user_sgpr_queue_ptr 0
		.amdhsa_user_sgpr_kernarg_segment_ptr 1
		.amdhsa_user_sgpr_dispatch_id 0
		.amdhsa_user_sgpr_private_segment_size 0
		.amdhsa_wavefront_size32 1
		.amdhsa_uses_dynamic_stack 0
		.amdhsa_enable_private_segment 0
		.amdhsa_system_sgpr_workgroup_id_x 1
		.amdhsa_system_sgpr_workgroup_id_y 0
		.amdhsa_system_sgpr_workgroup_id_z 0
		.amdhsa_system_sgpr_workgroup_info 0
		.amdhsa_system_vgpr_workitem_id 0
		.amdhsa_next_free_vgpr 1
		.amdhsa_next_free_sgpr 1
		.amdhsa_reserve_vcc 0
		.amdhsa_float_round_mode_32 0
		.amdhsa_float_round_mode_16_64 0
		.amdhsa_float_denorm_mode_32 3
		.amdhsa_float_denorm_mode_16_64 3
		.amdhsa_dx10_clamp 1
		.amdhsa_ieee_mode 1
		.amdhsa_fp16_overflow 0
		.amdhsa_workgroup_processor_mode 1
		.amdhsa_memory_ordered 1
		.amdhsa_forward_progress 0
		.amdhsa_shared_vgpr_count 0
		.amdhsa_exception_fp_ieee_invalid_op 0
		.amdhsa_exception_fp_denorm_src 0
		.amdhsa_exception_fp_ieee_div_zero 0
		.amdhsa_exception_fp_ieee_overflow 0
		.amdhsa_exception_fp_ieee_underflow 0
		.amdhsa_exception_fp_ieee_inexact 0
		.amdhsa_exception_int_div_zero 0
	.end_amdhsa_kernel
	.section	.text._ZN7rocprim17ROCPRIM_400000_NS6detail17trampoline_kernelINS0_14default_configENS1_25partition_config_selectorILNS1_17partition_subalgoE9ExjbEEZZNS1_14partition_implILS5_9ELb0ES3_jN6thrust23THRUST_200600_302600_NS6detail15normal_iteratorINS9_10device_ptrIxEEEENSB_INSC_IjEEEEPNS0_10empty_typeENS0_5tupleIJSE_SH_EEENSJ_IJSG_SI_EEENS0_18inequality_wrapperINS9_8equal_toIxEEEEPmJSH_EEE10hipError_tPvRmT3_T4_T5_T6_T7_T9_mT8_P12ihipStream_tbDpT10_ENKUlT_T0_E_clISt17integral_constantIbLb1EES1A_EEDaS15_S16_EUlS15_E_NS1_11comp_targetILNS1_3genE5ELNS1_11target_archE942ELNS1_3gpuE9ELNS1_3repE0EEENS1_30default_config_static_selectorELNS0_4arch9wavefront6targetE0EEEvT1_,"axG",@progbits,_ZN7rocprim17ROCPRIM_400000_NS6detail17trampoline_kernelINS0_14default_configENS1_25partition_config_selectorILNS1_17partition_subalgoE9ExjbEEZZNS1_14partition_implILS5_9ELb0ES3_jN6thrust23THRUST_200600_302600_NS6detail15normal_iteratorINS9_10device_ptrIxEEEENSB_INSC_IjEEEEPNS0_10empty_typeENS0_5tupleIJSE_SH_EEENSJ_IJSG_SI_EEENS0_18inequality_wrapperINS9_8equal_toIxEEEEPmJSH_EEE10hipError_tPvRmT3_T4_T5_T6_T7_T9_mT8_P12ihipStream_tbDpT10_ENKUlT_T0_E_clISt17integral_constantIbLb1EES1A_EEDaS15_S16_EUlS15_E_NS1_11comp_targetILNS1_3genE5ELNS1_11target_archE942ELNS1_3gpuE9ELNS1_3repE0EEENS1_30default_config_static_selectorELNS0_4arch9wavefront6targetE0EEEvT1_,comdat
.Lfunc_end606:
	.size	_ZN7rocprim17ROCPRIM_400000_NS6detail17trampoline_kernelINS0_14default_configENS1_25partition_config_selectorILNS1_17partition_subalgoE9ExjbEEZZNS1_14partition_implILS5_9ELb0ES3_jN6thrust23THRUST_200600_302600_NS6detail15normal_iteratorINS9_10device_ptrIxEEEENSB_INSC_IjEEEEPNS0_10empty_typeENS0_5tupleIJSE_SH_EEENSJ_IJSG_SI_EEENS0_18inequality_wrapperINS9_8equal_toIxEEEEPmJSH_EEE10hipError_tPvRmT3_T4_T5_T6_T7_T9_mT8_P12ihipStream_tbDpT10_ENKUlT_T0_E_clISt17integral_constantIbLb1EES1A_EEDaS15_S16_EUlS15_E_NS1_11comp_targetILNS1_3genE5ELNS1_11target_archE942ELNS1_3gpuE9ELNS1_3repE0EEENS1_30default_config_static_selectorELNS0_4arch9wavefront6targetE0EEEvT1_, .Lfunc_end606-_ZN7rocprim17ROCPRIM_400000_NS6detail17trampoline_kernelINS0_14default_configENS1_25partition_config_selectorILNS1_17partition_subalgoE9ExjbEEZZNS1_14partition_implILS5_9ELb0ES3_jN6thrust23THRUST_200600_302600_NS6detail15normal_iteratorINS9_10device_ptrIxEEEENSB_INSC_IjEEEEPNS0_10empty_typeENS0_5tupleIJSE_SH_EEENSJ_IJSG_SI_EEENS0_18inequality_wrapperINS9_8equal_toIxEEEEPmJSH_EEE10hipError_tPvRmT3_T4_T5_T6_T7_T9_mT8_P12ihipStream_tbDpT10_ENKUlT_T0_E_clISt17integral_constantIbLb1EES1A_EEDaS15_S16_EUlS15_E_NS1_11comp_targetILNS1_3genE5ELNS1_11target_archE942ELNS1_3gpuE9ELNS1_3repE0EEENS1_30default_config_static_selectorELNS0_4arch9wavefront6targetE0EEEvT1_
                                        ; -- End function
	.section	.AMDGPU.csdata,"",@progbits
; Kernel info:
; codeLenInByte = 0
; NumSgprs: 0
; NumVgprs: 0
; ScratchSize: 0
; MemoryBound: 0
; FloatMode: 240
; IeeeMode: 1
; LDSByteSize: 0 bytes/workgroup (compile time only)
; SGPRBlocks: 0
; VGPRBlocks: 0
; NumSGPRsForWavesPerEU: 1
; NumVGPRsForWavesPerEU: 1
; Occupancy: 16
; WaveLimiterHint : 0
; COMPUTE_PGM_RSRC2:SCRATCH_EN: 0
; COMPUTE_PGM_RSRC2:USER_SGPR: 15
; COMPUTE_PGM_RSRC2:TRAP_HANDLER: 0
; COMPUTE_PGM_RSRC2:TGID_X_EN: 1
; COMPUTE_PGM_RSRC2:TGID_Y_EN: 0
; COMPUTE_PGM_RSRC2:TGID_Z_EN: 0
; COMPUTE_PGM_RSRC2:TIDIG_COMP_CNT: 0
	.section	.text._ZN7rocprim17ROCPRIM_400000_NS6detail17trampoline_kernelINS0_14default_configENS1_25partition_config_selectorILNS1_17partition_subalgoE9ExjbEEZZNS1_14partition_implILS5_9ELb0ES3_jN6thrust23THRUST_200600_302600_NS6detail15normal_iteratorINS9_10device_ptrIxEEEENSB_INSC_IjEEEEPNS0_10empty_typeENS0_5tupleIJSE_SH_EEENSJ_IJSG_SI_EEENS0_18inequality_wrapperINS9_8equal_toIxEEEEPmJSH_EEE10hipError_tPvRmT3_T4_T5_T6_T7_T9_mT8_P12ihipStream_tbDpT10_ENKUlT_T0_E_clISt17integral_constantIbLb1EES1A_EEDaS15_S16_EUlS15_E_NS1_11comp_targetILNS1_3genE4ELNS1_11target_archE910ELNS1_3gpuE8ELNS1_3repE0EEENS1_30default_config_static_selectorELNS0_4arch9wavefront6targetE0EEEvT1_,"axG",@progbits,_ZN7rocprim17ROCPRIM_400000_NS6detail17trampoline_kernelINS0_14default_configENS1_25partition_config_selectorILNS1_17partition_subalgoE9ExjbEEZZNS1_14partition_implILS5_9ELb0ES3_jN6thrust23THRUST_200600_302600_NS6detail15normal_iteratorINS9_10device_ptrIxEEEENSB_INSC_IjEEEEPNS0_10empty_typeENS0_5tupleIJSE_SH_EEENSJ_IJSG_SI_EEENS0_18inequality_wrapperINS9_8equal_toIxEEEEPmJSH_EEE10hipError_tPvRmT3_T4_T5_T6_T7_T9_mT8_P12ihipStream_tbDpT10_ENKUlT_T0_E_clISt17integral_constantIbLb1EES1A_EEDaS15_S16_EUlS15_E_NS1_11comp_targetILNS1_3genE4ELNS1_11target_archE910ELNS1_3gpuE8ELNS1_3repE0EEENS1_30default_config_static_selectorELNS0_4arch9wavefront6targetE0EEEvT1_,comdat
	.protected	_ZN7rocprim17ROCPRIM_400000_NS6detail17trampoline_kernelINS0_14default_configENS1_25partition_config_selectorILNS1_17partition_subalgoE9ExjbEEZZNS1_14partition_implILS5_9ELb0ES3_jN6thrust23THRUST_200600_302600_NS6detail15normal_iteratorINS9_10device_ptrIxEEEENSB_INSC_IjEEEEPNS0_10empty_typeENS0_5tupleIJSE_SH_EEENSJ_IJSG_SI_EEENS0_18inequality_wrapperINS9_8equal_toIxEEEEPmJSH_EEE10hipError_tPvRmT3_T4_T5_T6_T7_T9_mT8_P12ihipStream_tbDpT10_ENKUlT_T0_E_clISt17integral_constantIbLb1EES1A_EEDaS15_S16_EUlS15_E_NS1_11comp_targetILNS1_3genE4ELNS1_11target_archE910ELNS1_3gpuE8ELNS1_3repE0EEENS1_30default_config_static_selectorELNS0_4arch9wavefront6targetE0EEEvT1_ ; -- Begin function _ZN7rocprim17ROCPRIM_400000_NS6detail17trampoline_kernelINS0_14default_configENS1_25partition_config_selectorILNS1_17partition_subalgoE9ExjbEEZZNS1_14partition_implILS5_9ELb0ES3_jN6thrust23THRUST_200600_302600_NS6detail15normal_iteratorINS9_10device_ptrIxEEEENSB_INSC_IjEEEEPNS0_10empty_typeENS0_5tupleIJSE_SH_EEENSJ_IJSG_SI_EEENS0_18inequality_wrapperINS9_8equal_toIxEEEEPmJSH_EEE10hipError_tPvRmT3_T4_T5_T6_T7_T9_mT8_P12ihipStream_tbDpT10_ENKUlT_T0_E_clISt17integral_constantIbLb1EES1A_EEDaS15_S16_EUlS15_E_NS1_11comp_targetILNS1_3genE4ELNS1_11target_archE910ELNS1_3gpuE8ELNS1_3repE0EEENS1_30default_config_static_selectorELNS0_4arch9wavefront6targetE0EEEvT1_
	.globl	_ZN7rocprim17ROCPRIM_400000_NS6detail17trampoline_kernelINS0_14default_configENS1_25partition_config_selectorILNS1_17partition_subalgoE9ExjbEEZZNS1_14partition_implILS5_9ELb0ES3_jN6thrust23THRUST_200600_302600_NS6detail15normal_iteratorINS9_10device_ptrIxEEEENSB_INSC_IjEEEEPNS0_10empty_typeENS0_5tupleIJSE_SH_EEENSJ_IJSG_SI_EEENS0_18inequality_wrapperINS9_8equal_toIxEEEEPmJSH_EEE10hipError_tPvRmT3_T4_T5_T6_T7_T9_mT8_P12ihipStream_tbDpT10_ENKUlT_T0_E_clISt17integral_constantIbLb1EES1A_EEDaS15_S16_EUlS15_E_NS1_11comp_targetILNS1_3genE4ELNS1_11target_archE910ELNS1_3gpuE8ELNS1_3repE0EEENS1_30default_config_static_selectorELNS0_4arch9wavefront6targetE0EEEvT1_
	.p2align	8
	.type	_ZN7rocprim17ROCPRIM_400000_NS6detail17trampoline_kernelINS0_14default_configENS1_25partition_config_selectorILNS1_17partition_subalgoE9ExjbEEZZNS1_14partition_implILS5_9ELb0ES3_jN6thrust23THRUST_200600_302600_NS6detail15normal_iteratorINS9_10device_ptrIxEEEENSB_INSC_IjEEEEPNS0_10empty_typeENS0_5tupleIJSE_SH_EEENSJ_IJSG_SI_EEENS0_18inequality_wrapperINS9_8equal_toIxEEEEPmJSH_EEE10hipError_tPvRmT3_T4_T5_T6_T7_T9_mT8_P12ihipStream_tbDpT10_ENKUlT_T0_E_clISt17integral_constantIbLb1EES1A_EEDaS15_S16_EUlS15_E_NS1_11comp_targetILNS1_3genE4ELNS1_11target_archE910ELNS1_3gpuE8ELNS1_3repE0EEENS1_30default_config_static_selectorELNS0_4arch9wavefront6targetE0EEEvT1_,@function
_ZN7rocprim17ROCPRIM_400000_NS6detail17trampoline_kernelINS0_14default_configENS1_25partition_config_selectorILNS1_17partition_subalgoE9ExjbEEZZNS1_14partition_implILS5_9ELb0ES3_jN6thrust23THRUST_200600_302600_NS6detail15normal_iteratorINS9_10device_ptrIxEEEENSB_INSC_IjEEEEPNS0_10empty_typeENS0_5tupleIJSE_SH_EEENSJ_IJSG_SI_EEENS0_18inequality_wrapperINS9_8equal_toIxEEEEPmJSH_EEE10hipError_tPvRmT3_T4_T5_T6_T7_T9_mT8_P12ihipStream_tbDpT10_ENKUlT_T0_E_clISt17integral_constantIbLb1EES1A_EEDaS15_S16_EUlS15_E_NS1_11comp_targetILNS1_3genE4ELNS1_11target_archE910ELNS1_3gpuE8ELNS1_3repE0EEENS1_30default_config_static_selectorELNS0_4arch9wavefront6targetE0EEEvT1_: ; @_ZN7rocprim17ROCPRIM_400000_NS6detail17trampoline_kernelINS0_14default_configENS1_25partition_config_selectorILNS1_17partition_subalgoE9ExjbEEZZNS1_14partition_implILS5_9ELb0ES3_jN6thrust23THRUST_200600_302600_NS6detail15normal_iteratorINS9_10device_ptrIxEEEENSB_INSC_IjEEEEPNS0_10empty_typeENS0_5tupleIJSE_SH_EEENSJ_IJSG_SI_EEENS0_18inequality_wrapperINS9_8equal_toIxEEEEPmJSH_EEE10hipError_tPvRmT3_T4_T5_T6_T7_T9_mT8_P12ihipStream_tbDpT10_ENKUlT_T0_E_clISt17integral_constantIbLb1EES1A_EEDaS15_S16_EUlS15_E_NS1_11comp_targetILNS1_3genE4ELNS1_11target_archE910ELNS1_3gpuE8ELNS1_3repE0EEENS1_30default_config_static_selectorELNS0_4arch9wavefront6targetE0EEEvT1_
; %bb.0:
	.section	.rodata,"a",@progbits
	.p2align	6, 0x0
	.amdhsa_kernel _ZN7rocprim17ROCPRIM_400000_NS6detail17trampoline_kernelINS0_14default_configENS1_25partition_config_selectorILNS1_17partition_subalgoE9ExjbEEZZNS1_14partition_implILS5_9ELb0ES3_jN6thrust23THRUST_200600_302600_NS6detail15normal_iteratorINS9_10device_ptrIxEEEENSB_INSC_IjEEEEPNS0_10empty_typeENS0_5tupleIJSE_SH_EEENSJ_IJSG_SI_EEENS0_18inequality_wrapperINS9_8equal_toIxEEEEPmJSH_EEE10hipError_tPvRmT3_T4_T5_T6_T7_T9_mT8_P12ihipStream_tbDpT10_ENKUlT_T0_E_clISt17integral_constantIbLb1EES1A_EEDaS15_S16_EUlS15_E_NS1_11comp_targetILNS1_3genE4ELNS1_11target_archE910ELNS1_3gpuE8ELNS1_3repE0EEENS1_30default_config_static_selectorELNS0_4arch9wavefront6targetE0EEEvT1_
		.amdhsa_group_segment_fixed_size 0
		.amdhsa_private_segment_fixed_size 0
		.amdhsa_kernarg_size 128
		.amdhsa_user_sgpr_count 15
		.amdhsa_user_sgpr_dispatch_ptr 0
		.amdhsa_user_sgpr_queue_ptr 0
		.amdhsa_user_sgpr_kernarg_segment_ptr 1
		.amdhsa_user_sgpr_dispatch_id 0
		.amdhsa_user_sgpr_private_segment_size 0
		.amdhsa_wavefront_size32 1
		.amdhsa_uses_dynamic_stack 0
		.amdhsa_enable_private_segment 0
		.amdhsa_system_sgpr_workgroup_id_x 1
		.amdhsa_system_sgpr_workgroup_id_y 0
		.amdhsa_system_sgpr_workgroup_id_z 0
		.amdhsa_system_sgpr_workgroup_info 0
		.amdhsa_system_vgpr_workitem_id 0
		.amdhsa_next_free_vgpr 1
		.amdhsa_next_free_sgpr 1
		.amdhsa_reserve_vcc 0
		.amdhsa_float_round_mode_32 0
		.amdhsa_float_round_mode_16_64 0
		.amdhsa_float_denorm_mode_32 3
		.amdhsa_float_denorm_mode_16_64 3
		.amdhsa_dx10_clamp 1
		.amdhsa_ieee_mode 1
		.amdhsa_fp16_overflow 0
		.amdhsa_workgroup_processor_mode 1
		.amdhsa_memory_ordered 1
		.amdhsa_forward_progress 0
		.amdhsa_shared_vgpr_count 0
		.amdhsa_exception_fp_ieee_invalid_op 0
		.amdhsa_exception_fp_denorm_src 0
		.amdhsa_exception_fp_ieee_div_zero 0
		.amdhsa_exception_fp_ieee_overflow 0
		.amdhsa_exception_fp_ieee_underflow 0
		.amdhsa_exception_fp_ieee_inexact 0
		.amdhsa_exception_int_div_zero 0
	.end_amdhsa_kernel
	.section	.text._ZN7rocprim17ROCPRIM_400000_NS6detail17trampoline_kernelINS0_14default_configENS1_25partition_config_selectorILNS1_17partition_subalgoE9ExjbEEZZNS1_14partition_implILS5_9ELb0ES3_jN6thrust23THRUST_200600_302600_NS6detail15normal_iteratorINS9_10device_ptrIxEEEENSB_INSC_IjEEEEPNS0_10empty_typeENS0_5tupleIJSE_SH_EEENSJ_IJSG_SI_EEENS0_18inequality_wrapperINS9_8equal_toIxEEEEPmJSH_EEE10hipError_tPvRmT3_T4_T5_T6_T7_T9_mT8_P12ihipStream_tbDpT10_ENKUlT_T0_E_clISt17integral_constantIbLb1EES1A_EEDaS15_S16_EUlS15_E_NS1_11comp_targetILNS1_3genE4ELNS1_11target_archE910ELNS1_3gpuE8ELNS1_3repE0EEENS1_30default_config_static_selectorELNS0_4arch9wavefront6targetE0EEEvT1_,"axG",@progbits,_ZN7rocprim17ROCPRIM_400000_NS6detail17trampoline_kernelINS0_14default_configENS1_25partition_config_selectorILNS1_17partition_subalgoE9ExjbEEZZNS1_14partition_implILS5_9ELb0ES3_jN6thrust23THRUST_200600_302600_NS6detail15normal_iteratorINS9_10device_ptrIxEEEENSB_INSC_IjEEEEPNS0_10empty_typeENS0_5tupleIJSE_SH_EEENSJ_IJSG_SI_EEENS0_18inequality_wrapperINS9_8equal_toIxEEEEPmJSH_EEE10hipError_tPvRmT3_T4_T5_T6_T7_T9_mT8_P12ihipStream_tbDpT10_ENKUlT_T0_E_clISt17integral_constantIbLb1EES1A_EEDaS15_S16_EUlS15_E_NS1_11comp_targetILNS1_3genE4ELNS1_11target_archE910ELNS1_3gpuE8ELNS1_3repE0EEENS1_30default_config_static_selectorELNS0_4arch9wavefront6targetE0EEEvT1_,comdat
.Lfunc_end607:
	.size	_ZN7rocprim17ROCPRIM_400000_NS6detail17trampoline_kernelINS0_14default_configENS1_25partition_config_selectorILNS1_17partition_subalgoE9ExjbEEZZNS1_14partition_implILS5_9ELb0ES3_jN6thrust23THRUST_200600_302600_NS6detail15normal_iteratorINS9_10device_ptrIxEEEENSB_INSC_IjEEEEPNS0_10empty_typeENS0_5tupleIJSE_SH_EEENSJ_IJSG_SI_EEENS0_18inequality_wrapperINS9_8equal_toIxEEEEPmJSH_EEE10hipError_tPvRmT3_T4_T5_T6_T7_T9_mT8_P12ihipStream_tbDpT10_ENKUlT_T0_E_clISt17integral_constantIbLb1EES1A_EEDaS15_S16_EUlS15_E_NS1_11comp_targetILNS1_3genE4ELNS1_11target_archE910ELNS1_3gpuE8ELNS1_3repE0EEENS1_30default_config_static_selectorELNS0_4arch9wavefront6targetE0EEEvT1_, .Lfunc_end607-_ZN7rocprim17ROCPRIM_400000_NS6detail17trampoline_kernelINS0_14default_configENS1_25partition_config_selectorILNS1_17partition_subalgoE9ExjbEEZZNS1_14partition_implILS5_9ELb0ES3_jN6thrust23THRUST_200600_302600_NS6detail15normal_iteratorINS9_10device_ptrIxEEEENSB_INSC_IjEEEEPNS0_10empty_typeENS0_5tupleIJSE_SH_EEENSJ_IJSG_SI_EEENS0_18inequality_wrapperINS9_8equal_toIxEEEEPmJSH_EEE10hipError_tPvRmT3_T4_T5_T6_T7_T9_mT8_P12ihipStream_tbDpT10_ENKUlT_T0_E_clISt17integral_constantIbLb1EES1A_EEDaS15_S16_EUlS15_E_NS1_11comp_targetILNS1_3genE4ELNS1_11target_archE910ELNS1_3gpuE8ELNS1_3repE0EEENS1_30default_config_static_selectorELNS0_4arch9wavefront6targetE0EEEvT1_
                                        ; -- End function
	.section	.AMDGPU.csdata,"",@progbits
; Kernel info:
; codeLenInByte = 0
; NumSgprs: 0
; NumVgprs: 0
; ScratchSize: 0
; MemoryBound: 0
; FloatMode: 240
; IeeeMode: 1
; LDSByteSize: 0 bytes/workgroup (compile time only)
; SGPRBlocks: 0
; VGPRBlocks: 0
; NumSGPRsForWavesPerEU: 1
; NumVGPRsForWavesPerEU: 1
; Occupancy: 15
; WaveLimiterHint : 0
; COMPUTE_PGM_RSRC2:SCRATCH_EN: 0
; COMPUTE_PGM_RSRC2:USER_SGPR: 15
; COMPUTE_PGM_RSRC2:TRAP_HANDLER: 0
; COMPUTE_PGM_RSRC2:TGID_X_EN: 1
; COMPUTE_PGM_RSRC2:TGID_Y_EN: 0
; COMPUTE_PGM_RSRC2:TGID_Z_EN: 0
; COMPUTE_PGM_RSRC2:TIDIG_COMP_CNT: 0
	.section	.text._ZN7rocprim17ROCPRIM_400000_NS6detail17trampoline_kernelINS0_14default_configENS1_25partition_config_selectorILNS1_17partition_subalgoE9ExjbEEZZNS1_14partition_implILS5_9ELb0ES3_jN6thrust23THRUST_200600_302600_NS6detail15normal_iteratorINS9_10device_ptrIxEEEENSB_INSC_IjEEEEPNS0_10empty_typeENS0_5tupleIJSE_SH_EEENSJ_IJSG_SI_EEENS0_18inequality_wrapperINS9_8equal_toIxEEEEPmJSH_EEE10hipError_tPvRmT3_T4_T5_T6_T7_T9_mT8_P12ihipStream_tbDpT10_ENKUlT_T0_E_clISt17integral_constantIbLb1EES1A_EEDaS15_S16_EUlS15_E_NS1_11comp_targetILNS1_3genE3ELNS1_11target_archE908ELNS1_3gpuE7ELNS1_3repE0EEENS1_30default_config_static_selectorELNS0_4arch9wavefront6targetE0EEEvT1_,"axG",@progbits,_ZN7rocprim17ROCPRIM_400000_NS6detail17trampoline_kernelINS0_14default_configENS1_25partition_config_selectorILNS1_17partition_subalgoE9ExjbEEZZNS1_14partition_implILS5_9ELb0ES3_jN6thrust23THRUST_200600_302600_NS6detail15normal_iteratorINS9_10device_ptrIxEEEENSB_INSC_IjEEEEPNS0_10empty_typeENS0_5tupleIJSE_SH_EEENSJ_IJSG_SI_EEENS0_18inequality_wrapperINS9_8equal_toIxEEEEPmJSH_EEE10hipError_tPvRmT3_T4_T5_T6_T7_T9_mT8_P12ihipStream_tbDpT10_ENKUlT_T0_E_clISt17integral_constantIbLb1EES1A_EEDaS15_S16_EUlS15_E_NS1_11comp_targetILNS1_3genE3ELNS1_11target_archE908ELNS1_3gpuE7ELNS1_3repE0EEENS1_30default_config_static_selectorELNS0_4arch9wavefront6targetE0EEEvT1_,comdat
	.protected	_ZN7rocprim17ROCPRIM_400000_NS6detail17trampoline_kernelINS0_14default_configENS1_25partition_config_selectorILNS1_17partition_subalgoE9ExjbEEZZNS1_14partition_implILS5_9ELb0ES3_jN6thrust23THRUST_200600_302600_NS6detail15normal_iteratorINS9_10device_ptrIxEEEENSB_INSC_IjEEEEPNS0_10empty_typeENS0_5tupleIJSE_SH_EEENSJ_IJSG_SI_EEENS0_18inequality_wrapperINS9_8equal_toIxEEEEPmJSH_EEE10hipError_tPvRmT3_T4_T5_T6_T7_T9_mT8_P12ihipStream_tbDpT10_ENKUlT_T0_E_clISt17integral_constantIbLb1EES1A_EEDaS15_S16_EUlS15_E_NS1_11comp_targetILNS1_3genE3ELNS1_11target_archE908ELNS1_3gpuE7ELNS1_3repE0EEENS1_30default_config_static_selectorELNS0_4arch9wavefront6targetE0EEEvT1_ ; -- Begin function _ZN7rocprim17ROCPRIM_400000_NS6detail17trampoline_kernelINS0_14default_configENS1_25partition_config_selectorILNS1_17partition_subalgoE9ExjbEEZZNS1_14partition_implILS5_9ELb0ES3_jN6thrust23THRUST_200600_302600_NS6detail15normal_iteratorINS9_10device_ptrIxEEEENSB_INSC_IjEEEEPNS0_10empty_typeENS0_5tupleIJSE_SH_EEENSJ_IJSG_SI_EEENS0_18inequality_wrapperINS9_8equal_toIxEEEEPmJSH_EEE10hipError_tPvRmT3_T4_T5_T6_T7_T9_mT8_P12ihipStream_tbDpT10_ENKUlT_T0_E_clISt17integral_constantIbLb1EES1A_EEDaS15_S16_EUlS15_E_NS1_11comp_targetILNS1_3genE3ELNS1_11target_archE908ELNS1_3gpuE7ELNS1_3repE0EEENS1_30default_config_static_selectorELNS0_4arch9wavefront6targetE0EEEvT1_
	.globl	_ZN7rocprim17ROCPRIM_400000_NS6detail17trampoline_kernelINS0_14default_configENS1_25partition_config_selectorILNS1_17partition_subalgoE9ExjbEEZZNS1_14partition_implILS5_9ELb0ES3_jN6thrust23THRUST_200600_302600_NS6detail15normal_iteratorINS9_10device_ptrIxEEEENSB_INSC_IjEEEEPNS0_10empty_typeENS0_5tupleIJSE_SH_EEENSJ_IJSG_SI_EEENS0_18inequality_wrapperINS9_8equal_toIxEEEEPmJSH_EEE10hipError_tPvRmT3_T4_T5_T6_T7_T9_mT8_P12ihipStream_tbDpT10_ENKUlT_T0_E_clISt17integral_constantIbLb1EES1A_EEDaS15_S16_EUlS15_E_NS1_11comp_targetILNS1_3genE3ELNS1_11target_archE908ELNS1_3gpuE7ELNS1_3repE0EEENS1_30default_config_static_selectorELNS0_4arch9wavefront6targetE0EEEvT1_
	.p2align	8
	.type	_ZN7rocprim17ROCPRIM_400000_NS6detail17trampoline_kernelINS0_14default_configENS1_25partition_config_selectorILNS1_17partition_subalgoE9ExjbEEZZNS1_14partition_implILS5_9ELb0ES3_jN6thrust23THRUST_200600_302600_NS6detail15normal_iteratorINS9_10device_ptrIxEEEENSB_INSC_IjEEEEPNS0_10empty_typeENS0_5tupleIJSE_SH_EEENSJ_IJSG_SI_EEENS0_18inequality_wrapperINS9_8equal_toIxEEEEPmJSH_EEE10hipError_tPvRmT3_T4_T5_T6_T7_T9_mT8_P12ihipStream_tbDpT10_ENKUlT_T0_E_clISt17integral_constantIbLb1EES1A_EEDaS15_S16_EUlS15_E_NS1_11comp_targetILNS1_3genE3ELNS1_11target_archE908ELNS1_3gpuE7ELNS1_3repE0EEENS1_30default_config_static_selectorELNS0_4arch9wavefront6targetE0EEEvT1_,@function
_ZN7rocprim17ROCPRIM_400000_NS6detail17trampoline_kernelINS0_14default_configENS1_25partition_config_selectorILNS1_17partition_subalgoE9ExjbEEZZNS1_14partition_implILS5_9ELb0ES3_jN6thrust23THRUST_200600_302600_NS6detail15normal_iteratorINS9_10device_ptrIxEEEENSB_INSC_IjEEEEPNS0_10empty_typeENS0_5tupleIJSE_SH_EEENSJ_IJSG_SI_EEENS0_18inequality_wrapperINS9_8equal_toIxEEEEPmJSH_EEE10hipError_tPvRmT3_T4_T5_T6_T7_T9_mT8_P12ihipStream_tbDpT10_ENKUlT_T0_E_clISt17integral_constantIbLb1EES1A_EEDaS15_S16_EUlS15_E_NS1_11comp_targetILNS1_3genE3ELNS1_11target_archE908ELNS1_3gpuE7ELNS1_3repE0EEENS1_30default_config_static_selectorELNS0_4arch9wavefront6targetE0EEEvT1_: ; @_ZN7rocprim17ROCPRIM_400000_NS6detail17trampoline_kernelINS0_14default_configENS1_25partition_config_selectorILNS1_17partition_subalgoE9ExjbEEZZNS1_14partition_implILS5_9ELb0ES3_jN6thrust23THRUST_200600_302600_NS6detail15normal_iteratorINS9_10device_ptrIxEEEENSB_INSC_IjEEEEPNS0_10empty_typeENS0_5tupleIJSE_SH_EEENSJ_IJSG_SI_EEENS0_18inequality_wrapperINS9_8equal_toIxEEEEPmJSH_EEE10hipError_tPvRmT3_T4_T5_T6_T7_T9_mT8_P12ihipStream_tbDpT10_ENKUlT_T0_E_clISt17integral_constantIbLb1EES1A_EEDaS15_S16_EUlS15_E_NS1_11comp_targetILNS1_3genE3ELNS1_11target_archE908ELNS1_3gpuE7ELNS1_3repE0EEENS1_30default_config_static_selectorELNS0_4arch9wavefront6targetE0EEEvT1_
; %bb.0:
	.section	.rodata,"a",@progbits
	.p2align	6, 0x0
	.amdhsa_kernel _ZN7rocprim17ROCPRIM_400000_NS6detail17trampoline_kernelINS0_14default_configENS1_25partition_config_selectorILNS1_17partition_subalgoE9ExjbEEZZNS1_14partition_implILS5_9ELb0ES3_jN6thrust23THRUST_200600_302600_NS6detail15normal_iteratorINS9_10device_ptrIxEEEENSB_INSC_IjEEEEPNS0_10empty_typeENS0_5tupleIJSE_SH_EEENSJ_IJSG_SI_EEENS0_18inequality_wrapperINS9_8equal_toIxEEEEPmJSH_EEE10hipError_tPvRmT3_T4_T5_T6_T7_T9_mT8_P12ihipStream_tbDpT10_ENKUlT_T0_E_clISt17integral_constantIbLb1EES1A_EEDaS15_S16_EUlS15_E_NS1_11comp_targetILNS1_3genE3ELNS1_11target_archE908ELNS1_3gpuE7ELNS1_3repE0EEENS1_30default_config_static_selectorELNS0_4arch9wavefront6targetE0EEEvT1_
		.amdhsa_group_segment_fixed_size 0
		.amdhsa_private_segment_fixed_size 0
		.amdhsa_kernarg_size 128
		.amdhsa_user_sgpr_count 15
		.amdhsa_user_sgpr_dispatch_ptr 0
		.amdhsa_user_sgpr_queue_ptr 0
		.amdhsa_user_sgpr_kernarg_segment_ptr 1
		.amdhsa_user_sgpr_dispatch_id 0
		.amdhsa_user_sgpr_private_segment_size 0
		.amdhsa_wavefront_size32 1
		.amdhsa_uses_dynamic_stack 0
		.amdhsa_enable_private_segment 0
		.amdhsa_system_sgpr_workgroup_id_x 1
		.amdhsa_system_sgpr_workgroup_id_y 0
		.amdhsa_system_sgpr_workgroup_id_z 0
		.amdhsa_system_sgpr_workgroup_info 0
		.amdhsa_system_vgpr_workitem_id 0
		.amdhsa_next_free_vgpr 1
		.amdhsa_next_free_sgpr 1
		.amdhsa_reserve_vcc 0
		.amdhsa_float_round_mode_32 0
		.amdhsa_float_round_mode_16_64 0
		.amdhsa_float_denorm_mode_32 3
		.amdhsa_float_denorm_mode_16_64 3
		.amdhsa_dx10_clamp 1
		.amdhsa_ieee_mode 1
		.amdhsa_fp16_overflow 0
		.amdhsa_workgroup_processor_mode 1
		.amdhsa_memory_ordered 1
		.amdhsa_forward_progress 0
		.amdhsa_shared_vgpr_count 0
		.amdhsa_exception_fp_ieee_invalid_op 0
		.amdhsa_exception_fp_denorm_src 0
		.amdhsa_exception_fp_ieee_div_zero 0
		.amdhsa_exception_fp_ieee_overflow 0
		.amdhsa_exception_fp_ieee_underflow 0
		.amdhsa_exception_fp_ieee_inexact 0
		.amdhsa_exception_int_div_zero 0
	.end_amdhsa_kernel
	.section	.text._ZN7rocprim17ROCPRIM_400000_NS6detail17trampoline_kernelINS0_14default_configENS1_25partition_config_selectorILNS1_17partition_subalgoE9ExjbEEZZNS1_14partition_implILS5_9ELb0ES3_jN6thrust23THRUST_200600_302600_NS6detail15normal_iteratorINS9_10device_ptrIxEEEENSB_INSC_IjEEEEPNS0_10empty_typeENS0_5tupleIJSE_SH_EEENSJ_IJSG_SI_EEENS0_18inequality_wrapperINS9_8equal_toIxEEEEPmJSH_EEE10hipError_tPvRmT3_T4_T5_T6_T7_T9_mT8_P12ihipStream_tbDpT10_ENKUlT_T0_E_clISt17integral_constantIbLb1EES1A_EEDaS15_S16_EUlS15_E_NS1_11comp_targetILNS1_3genE3ELNS1_11target_archE908ELNS1_3gpuE7ELNS1_3repE0EEENS1_30default_config_static_selectorELNS0_4arch9wavefront6targetE0EEEvT1_,"axG",@progbits,_ZN7rocprim17ROCPRIM_400000_NS6detail17trampoline_kernelINS0_14default_configENS1_25partition_config_selectorILNS1_17partition_subalgoE9ExjbEEZZNS1_14partition_implILS5_9ELb0ES3_jN6thrust23THRUST_200600_302600_NS6detail15normal_iteratorINS9_10device_ptrIxEEEENSB_INSC_IjEEEEPNS0_10empty_typeENS0_5tupleIJSE_SH_EEENSJ_IJSG_SI_EEENS0_18inequality_wrapperINS9_8equal_toIxEEEEPmJSH_EEE10hipError_tPvRmT3_T4_T5_T6_T7_T9_mT8_P12ihipStream_tbDpT10_ENKUlT_T0_E_clISt17integral_constantIbLb1EES1A_EEDaS15_S16_EUlS15_E_NS1_11comp_targetILNS1_3genE3ELNS1_11target_archE908ELNS1_3gpuE7ELNS1_3repE0EEENS1_30default_config_static_selectorELNS0_4arch9wavefront6targetE0EEEvT1_,comdat
.Lfunc_end608:
	.size	_ZN7rocprim17ROCPRIM_400000_NS6detail17trampoline_kernelINS0_14default_configENS1_25partition_config_selectorILNS1_17partition_subalgoE9ExjbEEZZNS1_14partition_implILS5_9ELb0ES3_jN6thrust23THRUST_200600_302600_NS6detail15normal_iteratorINS9_10device_ptrIxEEEENSB_INSC_IjEEEEPNS0_10empty_typeENS0_5tupleIJSE_SH_EEENSJ_IJSG_SI_EEENS0_18inequality_wrapperINS9_8equal_toIxEEEEPmJSH_EEE10hipError_tPvRmT3_T4_T5_T6_T7_T9_mT8_P12ihipStream_tbDpT10_ENKUlT_T0_E_clISt17integral_constantIbLb1EES1A_EEDaS15_S16_EUlS15_E_NS1_11comp_targetILNS1_3genE3ELNS1_11target_archE908ELNS1_3gpuE7ELNS1_3repE0EEENS1_30default_config_static_selectorELNS0_4arch9wavefront6targetE0EEEvT1_, .Lfunc_end608-_ZN7rocprim17ROCPRIM_400000_NS6detail17trampoline_kernelINS0_14default_configENS1_25partition_config_selectorILNS1_17partition_subalgoE9ExjbEEZZNS1_14partition_implILS5_9ELb0ES3_jN6thrust23THRUST_200600_302600_NS6detail15normal_iteratorINS9_10device_ptrIxEEEENSB_INSC_IjEEEEPNS0_10empty_typeENS0_5tupleIJSE_SH_EEENSJ_IJSG_SI_EEENS0_18inequality_wrapperINS9_8equal_toIxEEEEPmJSH_EEE10hipError_tPvRmT3_T4_T5_T6_T7_T9_mT8_P12ihipStream_tbDpT10_ENKUlT_T0_E_clISt17integral_constantIbLb1EES1A_EEDaS15_S16_EUlS15_E_NS1_11comp_targetILNS1_3genE3ELNS1_11target_archE908ELNS1_3gpuE7ELNS1_3repE0EEENS1_30default_config_static_selectorELNS0_4arch9wavefront6targetE0EEEvT1_
                                        ; -- End function
	.section	.AMDGPU.csdata,"",@progbits
; Kernel info:
; codeLenInByte = 0
; NumSgprs: 0
; NumVgprs: 0
; ScratchSize: 0
; MemoryBound: 0
; FloatMode: 240
; IeeeMode: 1
; LDSByteSize: 0 bytes/workgroup (compile time only)
; SGPRBlocks: 0
; VGPRBlocks: 0
; NumSGPRsForWavesPerEU: 1
; NumVGPRsForWavesPerEU: 1
; Occupancy: 16
; WaveLimiterHint : 0
; COMPUTE_PGM_RSRC2:SCRATCH_EN: 0
; COMPUTE_PGM_RSRC2:USER_SGPR: 15
; COMPUTE_PGM_RSRC2:TRAP_HANDLER: 0
; COMPUTE_PGM_RSRC2:TGID_X_EN: 1
; COMPUTE_PGM_RSRC2:TGID_Y_EN: 0
; COMPUTE_PGM_RSRC2:TGID_Z_EN: 0
; COMPUTE_PGM_RSRC2:TIDIG_COMP_CNT: 0
	.section	.text._ZN7rocprim17ROCPRIM_400000_NS6detail17trampoline_kernelINS0_14default_configENS1_25partition_config_selectorILNS1_17partition_subalgoE9ExjbEEZZNS1_14partition_implILS5_9ELb0ES3_jN6thrust23THRUST_200600_302600_NS6detail15normal_iteratorINS9_10device_ptrIxEEEENSB_INSC_IjEEEEPNS0_10empty_typeENS0_5tupleIJSE_SH_EEENSJ_IJSG_SI_EEENS0_18inequality_wrapperINS9_8equal_toIxEEEEPmJSH_EEE10hipError_tPvRmT3_T4_T5_T6_T7_T9_mT8_P12ihipStream_tbDpT10_ENKUlT_T0_E_clISt17integral_constantIbLb1EES1A_EEDaS15_S16_EUlS15_E_NS1_11comp_targetILNS1_3genE2ELNS1_11target_archE906ELNS1_3gpuE6ELNS1_3repE0EEENS1_30default_config_static_selectorELNS0_4arch9wavefront6targetE0EEEvT1_,"axG",@progbits,_ZN7rocprim17ROCPRIM_400000_NS6detail17trampoline_kernelINS0_14default_configENS1_25partition_config_selectorILNS1_17partition_subalgoE9ExjbEEZZNS1_14partition_implILS5_9ELb0ES3_jN6thrust23THRUST_200600_302600_NS6detail15normal_iteratorINS9_10device_ptrIxEEEENSB_INSC_IjEEEEPNS0_10empty_typeENS0_5tupleIJSE_SH_EEENSJ_IJSG_SI_EEENS0_18inequality_wrapperINS9_8equal_toIxEEEEPmJSH_EEE10hipError_tPvRmT3_T4_T5_T6_T7_T9_mT8_P12ihipStream_tbDpT10_ENKUlT_T0_E_clISt17integral_constantIbLb1EES1A_EEDaS15_S16_EUlS15_E_NS1_11comp_targetILNS1_3genE2ELNS1_11target_archE906ELNS1_3gpuE6ELNS1_3repE0EEENS1_30default_config_static_selectorELNS0_4arch9wavefront6targetE0EEEvT1_,comdat
	.protected	_ZN7rocprim17ROCPRIM_400000_NS6detail17trampoline_kernelINS0_14default_configENS1_25partition_config_selectorILNS1_17partition_subalgoE9ExjbEEZZNS1_14partition_implILS5_9ELb0ES3_jN6thrust23THRUST_200600_302600_NS6detail15normal_iteratorINS9_10device_ptrIxEEEENSB_INSC_IjEEEEPNS0_10empty_typeENS0_5tupleIJSE_SH_EEENSJ_IJSG_SI_EEENS0_18inequality_wrapperINS9_8equal_toIxEEEEPmJSH_EEE10hipError_tPvRmT3_T4_T5_T6_T7_T9_mT8_P12ihipStream_tbDpT10_ENKUlT_T0_E_clISt17integral_constantIbLb1EES1A_EEDaS15_S16_EUlS15_E_NS1_11comp_targetILNS1_3genE2ELNS1_11target_archE906ELNS1_3gpuE6ELNS1_3repE0EEENS1_30default_config_static_selectorELNS0_4arch9wavefront6targetE0EEEvT1_ ; -- Begin function _ZN7rocprim17ROCPRIM_400000_NS6detail17trampoline_kernelINS0_14default_configENS1_25partition_config_selectorILNS1_17partition_subalgoE9ExjbEEZZNS1_14partition_implILS5_9ELb0ES3_jN6thrust23THRUST_200600_302600_NS6detail15normal_iteratorINS9_10device_ptrIxEEEENSB_INSC_IjEEEEPNS0_10empty_typeENS0_5tupleIJSE_SH_EEENSJ_IJSG_SI_EEENS0_18inequality_wrapperINS9_8equal_toIxEEEEPmJSH_EEE10hipError_tPvRmT3_T4_T5_T6_T7_T9_mT8_P12ihipStream_tbDpT10_ENKUlT_T0_E_clISt17integral_constantIbLb1EES1A_EEDaS15_S16_EUlS15_E_NS1_11comp_targetILNS1_3genE2ELNS1_11target_archE906ELNS1_3gpuE6ELNS1_3repE0EEENS1_30default_config_static_selectorELNS0_4arch9wavefront6targetE0EEEvT1_
	.globl	_ZN7rocprim17ROCPRIM_400000_NS6detail17trampoline_kernelINS0_14default_configENS1_25partition_config_selectorILNS1_17partition_subalgoE9ExjbEEZZNS1_14partition_implILS5_9ELb0ES3_jN6thrust23THRUST_200600_302600_NS6detail15normal_iteratorINS9_10device_ptrIxEEEENSB_INSC_IjEEEEPNS0_10empty_typeENS0_5tupleIJSE_SH_EEENSJ_IJSG_SI_EEENS0_18inequality_wrapperINS9_8equal_toIxEEEEPmJSH_EEE10hipError_tPvRmT3_T4_T5_T6_T7_T9_mT8_P12ihipStream_tbDpT10_ENKUlT_T0_E_clISt17integral_constantIbLb1EES1A_EEDaS15_S16_EUlS15_E_NS1_11comp_targetILNS1_3genE2ELNS1_11target_archE906ELNS1_3gpuE6ELNS1_3repE0EEENS1_30default_config_static_selectorELNS0_4arch9wavefront6targetE0EEEvT1_
	.p2align	8
	.type	_ZN7rocprim17ROCPRIM_400000_NS6detail17trampoline_kernelINS0_14default_configENS1_25partition_config_selectorILNS1_17partition_subalgoE9ExjbEEZZNS1_14partition_implILS5_9ELb0ES3_jN6thrust23THRUST_200600_302600_NS6detail15normal_iteratorINS9_10device_ptrIxEEEENSB_INSC_IjEEEEPNS0_10empty_typeENS0_5tupleIJSE_SH_EEENSJ_IJSG_SI_EEENS0_18inequality_wrapperINS9_8equal_toIxEEEEPmJSH_EEE10hipError_tPvRmT3_T4_T5_T6_T7_T9_mT8_P12ihipStream_tbDpT10_ENKUlT_T0_E_clISt17integral_constantIbLb1EES1A_EEDaS15_S16_EUlS15_E_NS1_11comp_targetILNS1_3genE2ELNS1_11target_archE906ELNS1_3gpuE6ELNS1_3repE0EEENS1_30default_config_static_selectorELNS0_4arch9wavefront6targetE0EEEvT1_,@function
_ZN7rocprim17ROCPRIM_400000_NS6detail17trampoline_kernelINS0_14default_configENS1_25partition_config_selectorILNS1_17partition_subalgoE9ExjbEEZZNS1_14partition_implILS5_9ELb0ES3_jN6thrust23THRUST_200600_302600_NS6detail15normal_iteratorINS9_10device_ptrIxEEEENSB_INSC_IjEEEEPNS0_10empty_typeENS0_5tupleIJSE_SH_EEENSJ_IJSG_SI_EEENS0_18inequality_wrapperINS9_8equal_toIxEEEEPmJSH_EEE10hipError_tPvRmT3_T4_T5_T6_T7_T9_mT8_P12ihipStream_tbDpT10_ENKUlT_T0_E_clISt17integral_constantIbLb1EES1A_EEDaS15_S16_EUlS15_E_NS1_11comp_targetILNS1_3genE2ELNS1_11target_archE906ELNS1_3gpuE6ELNS1_3repE0EEENS1_30default_config_static_selectorELNS0_4arch9wavefront6targetE0EEEvT1_: ; @_ZN7rocprim17ROCPRIM_400000_NS6detail17trampoline_kernelINS0_14default_configENS1_25partition_config_selectorILNS1_17partition_subalgoE9ExjbEEZZNS1_14partition_implILS5_9ELb0ES3_jN6thrust23THRUST_200600_302600_NS6detail15normal_iteratorINS9_10device_ptrIxEEEENSB_INSC_IjEEEEPNS0_10empty_typeENS0_5tupleIJSE_SH_EEENSJ_IJSG_SI_EEENS0_18inequality_wrapperINS9_8equal_toIxEEEEPmJSH_EEE10hipError_tPvRmT3_T4_T5_T6_T7_T9_mT8_P12ihipStream_tbDpT10_ENKUlT_T0_E_clISt17integral_constantIbLb1EES1A_EEDaS15_S16_EUlS15_E_NS1_11comp_targetILNS1_3genE2ELNS1_11target_archE906ELNS1_3gpuE6ELNS1_3repE0EEENS1_30default_config_static_selectorELNS0_4arch9wavefront6targetE0EEEvT1_
; %bb.0:
	.section	.rodata,"a",@progbits
	.p2align	6, 0x0
	.amdhsa_kernel _ZN7rocprim17ROCPRIM_400000_NS6detail17trampoline_kernelINS0_14default_configENS1_25partition_config_selectorILNS1_17partition_subalgoE9ExjbEEZZNS1_14partition_implILS5_9ELb0ES3_jN6thrust23THRUST_200600_302600_NS6detail15normal_iteratorINS9_10device_ptrIxEEEENSB_INSC_IjEEEEPNS0_10empty_typeENS0_5tupleIJSE_SH_EEENSJ_IJSG_SI_EEENS0_18inequality_wrapperINS9_8equal_toIxEEEEPmJSH_EEE10hipError_tPvRmT3_T4_T5_T6_T7_T9_mT8_P12ihipStream_tbDpT10_ENKUlT_T0_E_clISt17integral_constantIbLb1EES1A_EEDaS15_S16_EUlS15_E_NS1_11comp_targetILNS1_3genE2ELNS1_11target_archE906ELNS1_3gpuE6ELNS1_3repE0EEENS1_30default_config_static_selectorELNS0_4arch9wavefront6targetE0EEEvT1_
		.amdhsa_group_segment_fixed_size 0
		.amdhsa_private_segment_fixed_size 0
		.amdhsa_kernarg_size 128
		.amdhsa_user_sgpr_count 15
		.amdhsa_user_sgpr_dispatch_ptr 0
		.amdhsa_user_sgpr_queue_ptr 0
		.amdhsa_user_sgpr_kernarg_segment_ptr 1
		.amdhsa_user_sgpr_dispatch_id 0
		.amdhsa_user_sgpr_private_segment_size 0
		.amdhsa_wavefront_size32 1
		.amdhsa_uses_dynamic_stack 0
		.amdhsa_enable_private_segment 0
		.amdhsa_system_sgpr_workgroup_id_x 1
		.amdhsa_system_sgpr_workgroup_id_y 0
		.amdhsa_system_sgpr_workgroup_id_z 0
		.amdhsa_system_sgpr_workgroup_info 0
		.amdhsa_system_vgpr_workitem_id 0
		.amdhsa_next_free_vgpr 1
		.amdhsa_next_free_sgpr 1
		.amdhsa_reserve_vcc 0
		.amdhsa_float_round_mode_32 0
		.amdhsa_float_round_mode_16_64 0
		.amdhsa_float_denorm_mode_32 3
		.amdhsa_float_denorm_mode_16_64 3
		.amdhsa_dx10_clamp 1
		.amdhsa_ieee_mode 1
		.amdhsa_fp16_overflow 0
		.amdhsa_workgroup_processor_mode 1
		.amdhsa_memory_ordered 1
		.amdhsa_forward_progress 0
		.amdhsa_shared_vgpr_count 0
		.amdhsa_exception_fp_ieee_invalid_op 0
		.amdhsa_exception_fp_denorm_src 0
		.amdhsa_exception_fp_ieee_div_zero 0
		.amdhsa_exception_fp_ieee_overflow 0
		.amdhsa_exception_fp_ieee_underflow 0
		.amdhsa_exception_fp_ieee_inexact 0
		.amdhsa_exception_int_div_zero 0
	.end_amdhsa_kernel
	.section	.text._ZN7rocprim17ROCPRIM_400000_NS6detail17trampoline_kernelINS0_14default_configENS1_25partition_config_selectorILNS1_17partition_subalgoE9ExjbEEZZNS1_14partition_implILS5_9ELb0ES3_jN6thrust23THRUST_200600_302600_NS6detail15normal_iteratorINS9_10device_ptrIxEEEENSB_INSC_IjEEEEPNS0_10empty_typeENS0_5tupleIJSE_SH_EEENSJ_IJSG_SI_EEENS0_18inequality_wrapperINS9_8equal_toIxEEEEPmJSH_EEE10hipError_tPvRmT3_T4_T5_T6_T7_T9_mT8_P12ihipStream_tbDpT10_ENKUlT_T0_E_clISt17integral_constantIbLb1EES1A_EEDaS15_S16_EUlS15_E_NS1_11comp_targetILNS1_3genE2ELNS1_11target_archE906ELNS1_3gpuE6ELNS1_3repE0EEENS1_30default_config_static_selectorELNS0_4arch9wavefront6targetE0EEEvT1_,"axG",@progbits,_ZN7rocprim17ROCPRIM_400000_NS6detail17trampoline_kernelINS0_14default_configENS1_25partition_config_selectorILNS1_17partition_subalgoE9ExjbEEZZNS1_14partition_implILS5_9ELb0ES3_jN6thrust23THRUST_200600_302600_NS6detail15normal_iteratorINS9_10device_ptrIxEEEENSB_INSC_IjEEEEPNS0_10empty_typeENS0_5tupleIJSE_SH_EEENSJ_IJSG_SI_EEENS0_18inequality_wrapperINS9_8equal_toIxEEEEPmJSH_EEE10hipError_tPvRmT3_T4_T5_T6_T7_T9_mT8_P12ihipStream_tbDpT10_ENKUlT_T0_E_clISt17integral_constantIbLb1EES1A_EEDaS15_S16_EUlS15_E_NS1_11comp_targetILNS1_3genE2ELNS1_11target_archE906ELNS1_3gpuE6ELNS1_3repE0EEENS1_30default_config_static_selectorELNS0_4arch9wavefront6targetE0EEEvT1_,comdat
.Lfunc_end609:
	.size	_ZN7rocprim17ROCPRIM_400000_NS6detail17trampoline_kernelINS0_14default_configENS1_25partition_config_selectorILNS1_17partition_subalgoE9ExjbEEZZNS1_14partition_implILS5_9ELb0ES3_jN6thrust23THRUST_200600_302600_NS6detail15normal_iteratorINS9_10device_ptrIxEEEENSB_INSC_IjEEEEPNS0_10empty_typeENS0_5tupleIJSE_SH_EEENSJ_IJSG_SI_EEENS0_18inequality_wrapperINS9_8equal_toIxEEEEPmJSH_EEE10hipError_tPvRmT3_T4_T5_T6_T7_T9_mT8_P12ihipStream_tbDpT10_ENKUlT_T0_E_clISt17integral_constantIbLb1EES1A_EEDaS15_S16_EUlS15_E_NS1_11comp_targetILNS1_3genE2ELNS1_11target_archE906ELNS1_3gpuE6ELNS1_3repE0EEENS1_30default_config_static_selectorELNS0_4arch9wavefront6targetE0EEEvT1_, .Lfunc_end609-_ZN7rocprim17ROCPRIM_400000_NS6detail17trampoline_kernelINS0_14default_configENS1_25partition_config_selectorILNS1_17partition_subalgoE9ExjbEEZZNS1_14partition_implILS5_9ELb0ES3_jN6thrust23THRUST_200600_302600_NS6detail15normal_iteratorINS9_10device_ptrIxEEEENSB_INSC_IjEEEEPNS0_10empty_typeENS0_5tupleIJSE_SH_EEENSJ_IJSG_SI_EEENS0_18inequality_wrapperINS9_8equal_toIxEEEEPmJSH_EEE10hipError_tPvRmT3_T4_T5_T6_T7_T9_mT8_P12ihipStream_tbDpT10_ENKUlT_T0_E_clISt17integral_constantIbLb1EES1A_EEDaS15_S16_EUlS15_E_NS1_11comp_targetILNS1_3genE2ELNS1_11target_archE906ELNS1_3gpuE6ELNS1_3repE0EEENS1_30default_config_static_selectorELNS0_4arch9wavefront6targetE0EEEvT1_
                                        ; -- End function
	.section	.AMDGPU.csdata,"",@progbits
; Kernel info:
; codeLenInByte = 0
; NumSgprs: 0
; NumVgprs: 0
; ScratchSize: 0
; MemoryBound: 0
; FloatMode: 240
; IeeeMode: 1
; LDSByteSize: 0 bytes/workgroup (compile time only)
; SGPRBlocks: 0
; VGPRBlocks: 0
; NumSGPRsForWavesPerEU: 1
; NumVGPRsForWavesPerEU: 1
; Occupancy: 16
; WaveLimiterHint : 0
; COMPUTE_PGM_RSRC2:SCRATCH_EN: 0
; COMPUTE_PGM_RSRC2:USER_SGPR: 15
; COMPUTE_PGM_RSRC2:TRAP_HANDLER: 0
; COMPUTE_PGM_RSRC2:TGID_X_EN: 1
; COMPUTE_PGM_RSRC2:TGID_Y_EN: 0
; COMPUTE_PGM_RSRC2:TGID_Z_EN: 0
; COMPUTE_PGM_RSRC2:TIDIG_COMP_CNT: 0
	.section	.text._ZN7rocprim17ROCPRIM_400000_NS6detail17trampoline_kernelINS0_14default_configENS1_25partition_config_selectorILNS1_17partition_subalgoE9ExjbEEZZNS1_14partition_implILS5_9ELb0ES3_jN6thrust23THRUST_200600_302600_NS6detail15normal_iteratorINS9_10device_ptrIxEEEENSB_INSC_IjEEEEPNS0_10empty_typeENS0_5tupleIJSE_SH_EEENSJ_IJSG_SI_EEENS0_18inequality_wrapperINS9_8equal_toIxEEEEPmJSH_EEE10hipError_tPvRmT3_T4_T5_T6_T7_T9_mT8_P12ihipStream_tbDpT10_ENKUlT_T0_E_clISt17integral_constantIbLb1EES1A_EEDaS15_S16_EUlS15_E_NS1_11comp_targetILNS1_3genE10ELNS1_11target_archE1200ELNS1_3gpuE4ELNS1_3repE0EEENS1_30default_config_static_selectorELNS0_4arch9wavefront6targetE0EEEvT1_,"axG",@progbits,_ZN7rocprim17ROCPRIM_400000_NS6detail17trampoline_kernelINS0_14default_configENS1_25partition_config_selectorILNS1_17partition_subalgoE9ExjbEEZZNS1_14partition_implILS5_9ELb0ES3_jN6thrust23THRUST_200600_302600_NS6detail15normal_iteratorINS9_10device_ptrIxEEEENSB_INSC_IjEEEEPNS0_10empty_typeENS0_5tupleIJSE_SH_EEENSJ_IJSG_SI_EEENS0_18inequality_wrapperINS9_8equal_toIxEEEEPmJSH_EEE10hipError_tPvRmT3_T4_T5_T6_T7_T9_mT8_P12ihipStream_tbDpT10_ENKUlT_T0_E_clISt17integral_constantIbLb1EES1A_EEDaS15_S16_EUlS15_E_NS1_11comp_targetILNS1_3genE10ELNS1_11target_archE1200ELNS1_3gpuE4ELNS1_3repE0EEENS1_30default_config_static_selectorELNS0_4arch9wavefront6targetE0EEEvT1_,comdat
	.protected	_ZN7rocprim17ROCPRIM_400000_NS6detail17trampoline_kernelINS0_14default_configENS1_25partition_config_selectorILNS1_17partition_subalgoE9ExjbEEZZNS1_14partition_implILS5_9ELb0ES3_jN6thrust23THRUST_200600_302600_NS6detail15normal_iteratorINS9_10device_ptrIxEEEENSB_INSC_IjEEEEPNS0_10empty_typeENS0_5tupleIJSE_SH_EEENSJ_IJSG_SI_EEENS0_18inequality_wrapperINS9_8equal_toIxEEEEPmJSH_EEE10hipError_tPvRmT3_T4_T5_T6_T7_T9_mT8_P12ihipStream_tbDpT10_ENKUlT_T0_E_clISt17integral_constantIbLb1EES1A_EEDaS15_S16_EUlS15_E_NS1_11comp_targetILNS1_3genE10ELNS1_11target_archE1200ELNS1_3gpuE4ELNS1_3repE0EEENS1_30default_config_static_selectorELNS0_4arch9wavefront6targetE0EEEvT1_ ; -- Begin function _ZN7rocprim17ROCPRIM_400000_NS6detail17trampoline_kernelINS0_14default_configENS1_25partition_config_selectorILNS1_17partition_subalgoE9ExjbEEZZNS1_14partition_implILS5_9ELb0ES3_jN6thrust23THRUST_200600_302600_NS6detail15normal_iteratorINS9_10device_ptrIxEEEENSB_INSC_IjEEEEPNS0_10empty_typeENS0_5tupleIJSE_SH_EEENSJ_IJSG_SI_EEENS0_18inequality_wrapperINS9_8equal_toIxEEEEPmJSH_EEE10hipError_tPvRmT3_T4_T5_T6_T7_T9_mT8_P12ihipStream_tbDpT10_ENKUlT_T0_E_clISt17integral_constantIbLb1EES1A_EEDaS15_S16_EUlS15_E_NS1_11comp_targetILNS1_3genE10ELNS1_11target_archE1200ELNS1_3gpuE4ELNS1_3repE0EEENS1_30default_config_static_selectorELNS0_4arch9wavefront6targetE0EEEvT1_
	.globl	_ZN7rocprim17ROCPRIM_400000_NS6detail17trampoline_kernelINS0_14default_configENS1_25partition_config_selectorILNS1_17partition_subalgoE9ExjbEEZZNS1_14partition_implILS5_9ELb0ES3_jN6thrust23THRUST_200600_302600_NS6detail15normal_iteratorINS9_10device_ptrIxEEEENSB_INSC_IjEEEEPNS0_10empty_typeENS0_5tupleIJSE_SH_EEENSJ_IJSG_SI_EEENS0_18inequality_wrapperINS9_8equal_toIxEEEEPmJSH_EEE10hipError_tPvRmT3_T4_T5_T6_T7_T9_mT8_P12ihipStream_tbDpT10_ENKUlT_T0_E_clISt17integral_constantIbLb1EES1A_EEDaS15_S16_EUlS15_E_NS1_11comp_targetILNS1_3genE10ELNS1_11target_archE1200ELNS1_3gpuE4ELNS1_3repE0EEENS1_30default_config_static_selectorELNS0_4arch9wavefront6targetE0EEEvT1_
	.p2align	8
	.type	_ZN7rocprim17ROCPRIM_400000_NS6detail17trampoline_kernelINS0_14default_configENS1_25partition_config_selectorILNS1_17partition_subalgoE9ExjbEEZZNS1_14partition_implILS5_9ELb0ES3_jN6thrust23THRUST_200600_302600_NS6detail15normal_iteratorINS9_10device_ptrIxEEEENSB_INSC_IjEEEEPNS0_10empty_typeENS0_5tupleIJSE_SH_EEENSJ_IJSG_SI_EEENS0_18inequality_wrapperINS9_8equal_toIxEEEEPmJSH_EEE10hipError_tPvRmT3_T4_T5_T6_T7_T9_mT8_P12ihipStream_tbDpT10_ENKUlT_T0_E_clISt17integral_constantIbLb1EES1A_EEDaS15_S16_EUlS15_E_NS1_11comp_targetILNS1_3genE10ELNS1_11target_archE1200ELNS1_3gpuE4ELNS1_3repE0EEENS1_30default_config_static_selectorELNS0_4arch9wavefront6targetE0EEEvT1_,@function
_ZN7rocprim17ROCPRIM_400000_NS6detail17trampoline_kernelINS0_14default_configENS1_25partition_config_selectorILNS1_17partition_subalgoE9ExjbEEZZNS1_14partition_implILS5_9ELb0ES3_jN6thrust23THRUST_200600_302600_NS6detail15normal_iteratorINS9_10device_ptrIxEEEENSB_INSC_IjEEEEPNS0_10empty_typeENS0_5tupleIJSE_SH_EEENSJ_IJSG_SI_EEENS0_18inequality_wrapperINS9_8equal_toIxEEEEPmJSH_EEE10hipError_tPvRmT3_T4_T5_T6_T7_T9_mT8_P12ihipStream_tbDpT10_ENKUlT_T0_E_clISt17integral_constantIbLb1EES1A_EEDaS15_S16_EUlS15_E_NS1_11comp_targetILNS1_3genE10ELNS1_11target_archE1200ELNS1_3gpuE4ELNS1_3repE0EEENS1_30default_config_static_selectorELNS0_4arch9wavefront6targetE0EEEvT1_: ; @_ZN7rocprim17ROCPRIM_400000_NS6detail17trampoline_kernelINS0_14default_configENS1_25partition_config_selectorILNS1_17partition_subalgoE9ExjbEEZZNS1_14partition_implILS5_9ELb0ES3_jN6thrust23THRUST_200600_302600_NS6detail15normal_iteratorINS9_10device_ptrIxEEEENSB_INSC_IjEEEEPNS0_10empty_typeENS0_5tupleIJSE_SH_EEENSJ_IJSG_SI_EEENS0_18inequality_wrapperINS9_8equal_toIxEEEEPmJSH_EEE10hipError_tPvRmT3_T4_T5_T6_T7_T9_mT8_P12ihipStream_tbDpT10_ENKUlT_T0_E_clISt17integral_constantIbLb1EES1A_EEDaS15_S16_EUlS15_E_NS1_11comp_targetILNS1_3genE10ELNS1_11target_archE1200ELNS1_3gpuE4ELNS1_3repE0EEENS1_30default_config_static_selectorELNS0_4arch9wavefront6targetE0EEEvT1_
; %bb.0:
	.section	.rodata,"a",@progbits
	.p2align	6, 0x0
	.amdhsa_kernel _ZN7rocprim17ROCPRIM_400000_NS6detail17trampoline_kernelINS0_14default_configENS1_25partition_config_selectorILNS1_17partition_subalgoE9ExjbEEZZNS1_14partition_implILS5_9ELb0ES3_jN6thrust23THRUST_200600_302600_NS6detail15normal_iteratorINS9_10device_ptrIxEEEENSB_INSC_IjEEEEPNS0_10empty_typeENS0_5tupleIJSE_SH_EEENSJ_IJSG_SI_EEENS0_18inequality_wrapperINS9_8equal_toIxEEEEPmJSH_EEE10hipError_tPvRmT3_T4_T5_T6_T7_T9_mT8_P12ihipStream_tbDpT10_ENKUlT_T0_E_clISt17integral_constantIbLb1EES1A_EEDaS15_S16_EUlS15_E_NS1_11comp_targetILNS1_3genE10ELNS1_11target_archE1200ELNS1_3gpuE4ELNS1_3repE0EEENS1_30default_config_static_selectorELNS0_4arch9wavefront6targetE0EEEvT1_
		.amdhsa_group_segment_fixed_size 0
		.amdhsa_private_segment_fixed_size 0
		.amdhsa_kernarg_size 128
		.amdhsa_user_sgpr_count 15
		.amdhsa_user_sgpr_dispatch_ptr 0
		.amdhsa_user_sgpr_queue_ptr 0
		.amdhsa_user_sgpr_kernarg_segment_ptr 1
		.amdhsa_user_sgpr_dispatch_id 0
		.amdhsa_user_sgpr_private_segment_size 0
		.amdhsa_wavefront_size32 1
		.amdhsa_uses_dynamic_stack 0
		.amdhsa_enable_private_segment 0
		.amdhsa_system_sgpr_workgroup_id_x 1
		.amdhsa_system_sgpr_workgroup_id_y 0
		.amdhsa_system_sgpr_workgroup_id_z 0
		.amdhsa_system_sgpr_workgroup_info 0
		.amdhsa_system_vgpr_workitem_id 0
		.amdhsa_next_free_vgpr 1
		.amdhsa_next_free_sgpr 1
		.amdhsa_reserve_vcc 0
		.amdhsa_float_round_mode_32 0
		.amdhsa_float_round_mode_16_64 0
		.amdhsa_float_denorm_mode_32 3
		.amdhsa_float_denorm_mode_16_64 3
		.amdhsa_dx10_clamp 1
		.amdhsa_ieee_mode 1
		.amdhsa_fp16_overflow 0
		.amdhsa_workgroup_processor_mode 1
		.amdhsa_memory_ordered 1
		.amdhsa_forward_progress 0
		.amdhsa_shared_vgpr_count 0
		.amdhsa_exception_fp_ieee_invalid_op 0
		.amdhsa_exception_fp_denorm_src 0
		.amdhsa_exception_fp_ieee_div_zero 0
		.amdhsa_exception_fp_ieee_overflow 0
		.amdhsa_exception_fp_ieee_underflow 0
		.amdhsa_exception_fp_ieee_inexact 0
		.amdhsa_exception_int_div_zero 0
	.end_amdhsa_kernel
	.section	.text._ZN7rocprim17ROCPRIM_400000_NS6detail17trampoline_kernelINS0_14default_configENS1_25partition_config_selectorILNS1_17partition_subalgoE9ExjbEEZZNS1_14partition_implILS5_9ELb0ES3_jN6thrust23THRUST_200600_302600_NS6detail15normal_iteratorINS9_10device_ptrIxEEEENSB_INSC_IjEEEEPNS0_10empty_typeENS0_5tupleIJSE_SH_EEENSJ_IJSG_SI_EEENS0_18inequality_wrapperINS9_8equal_toIxEEEEPmJSH_EEE10hipError_tPvRmT3_T4_T5_T6_T7_T9_mT8_P12ihipStream_tbDpT10_ENKUlT_T0_E_clISt17integral_constantIbLb1EES1A_EEDaS15_S16_EUlS15_E_NS1_11comp_targetILNS1_3genE10ELNS1_11target_archE1200ELNS1_3gpuE4ELNS1_3repE0EEENS1_30default_config_static_selectorELNS0_4arch9wavefront6targetE0EEEvT1_,"axG",@progbits,_ZN7rocprim17ROCPRIM_400000_NS6detail17trampoline_kernelINS0_14default_configENS1_25partition_config_selectorILNS1_17partition_subalgoE9ExjbEEZZNS1_14partition_implILS5_9ELb0ES3_jN6thrust23THRUST_200600_302600_NS6detail15normal_iteratorINS9_10device_ptrIxEEEENSB_INSC_IjEEEEPNS0_10empty_typeENS0_5tupleIJSE_SH_EEENSJ_IJSG_SI_EEENS0_18inequality_wrapperINS9_8equal_toIxEEEEPmJSH_EEE10hipError_tPvRmT3_T4_T5_T6_T7_T9_mT8_P12ihipStream_tbDpT10_ENKUlT_T0_E_clISt17integral_constantIbLb1EES1A_EEDaS15_S16_EUlS15_E_NS1_11comp_targetILNS1_3genE10ELNS1_11target_archE1200ELNS1_3gpuE4ELNS1_3repE0EEENS1_30default_config_static_selectorELNS0_4arch9wavefront6targetE0EEEvT1_,comdat
.Lfunc_end610:
	.size	_ZN7rocprim17ROCPRIM_400000_NS6detail17trampoline_kernelINS0_14default_configENS1_25partition_config_selectorILNS1_17partition_subalgoE9ExjbEEZZNS1_14partition_implILS5_9ELb0ES3_jN6thrust23THRUST_200600_302600_NS6detail15normal_iteratorINS9_10device_ptrIxEEEENSB_INSC_IjEEEEPNS0_10empty_typeENS0_5tupleIJSE_SH_EEENSJ_IJSG_SI_EEENS0_18inequality_wrapperINS9_8equal_toIxEEEEPmJSH_EEE10hipError_tPvRmT3_T4_T5_T6_T7_T9_mT8_P12ihipStream_tbDpT10_ENKUlT_T0_E_clISt17integral_constantIbLb1EES1A_EEDaS15_S16_EUlS15_E_NS1_11comp_targetILNS1_3genE10ELNS1_11target_archE1200ELNS1_3gpuE4ELNS1_3repE0EEENS1_30default_config_static_selectorELNS0_4arch9wavefront6targetE0EEEvT1_, .Lfunc_end610-_ZN7rocprim17ROCPRIM_400000_NS6detail17trampoline_kernelINS0_14default_configENS1_25partition_config_selectorILNS1_17partition_subalgoE9ExjbEEZZNS1_14partition_implILS5_9ELb0ES3_jN6thrust23THRUST_200600_302600_NS6detail15normal_iteratorINS9_10device_ptrIxEEEENSB_INSC_IjEEEEPNS0_10empty_typeENS0_5tupleIJSE_SH_EEENSJ_IJSG_SI_EEENS0_18inequality_wrapperINS9_8equal_toIxEEEEPmJSH_EEE10hipError_tPvRmT3_T4_T5_T6_T7_T9_mT8_P12ihipStream_tbDpT10_ENKUlT_T0_E_clISt17integral_constantIbLb1EES1A_EEDaS15_S16_EUlS15_E_NS1_11comp_targetILNS1_3genE10ELNS1_11target_archE1200ELNS1_3gpuE4ELNS1_3repE0EEENS1_30default_config_static_selectorELNS0_4arch9wavefront6targetE0EEEvT1_
                                        ; -- End function
	.section	.AMDGPU.csdata,"",@progbits
; Kernel info:
; codeLenInByte = 0
; NumSgprs: 0
; NumVgprs: 0
; ScratchSize: 0
; MemoryBound: 0
; FloatMode: 240
; IeeeMode: 1
; LDSByteSize: 0 bytes/workgroup (compile time only)
; SGPRBlocks: 0
; VGPRBlocks: 0
; NumSGPRsForWavesPerEU: 1
; NumVGPRsForWavesPerEU: 1
; Occupancy: 15
; WaveLimiterHint : 0
; COMPUTE_PGM_RSRC2:SCRATCH_EN: 0
; COMPUTE_PGM_RSRC2:USER_SGPR: 15
; COMPUTE_PGM_RSRC2:TRAP_HANDLER: 0
; COMPUTE_PGM_RSRC2:TGID_X_EN: 1
; COMPUTE_PGM_RSRC2:TGID_Y_EN: 0
; COMPUTE_PGM_RSRC2:TGID_Z_EN: 0
; COMPUTE_PGM_RSRC2:TIDIG_COMP_CNT: 0
	.section	.text._ZN7rocprim17ROCPRIM_400000_NS6detail17trampoline_kernelINS0_14default_configENS1_25partition_config_selectorILNS1_17partition_subalgoE9ExjbEEZZNS1_14partition_implILS5_9ELb0ES3_jN6thrust23THRUST_200600_302600_NS6detail15normal_iteratorINS9_10device_ptrIxEEEENSB_INSC_IjEEEEPNS0_10empty_typeENS0_5tupleIJSE_SH_EEENSJ_IJSG_SI_EEENS0_18inequality_wrapperINS9_8equal_toIxEEEEPmJSH_EEE10hipError_tPvRmT3_T4_T5_T6_T7_T9_mT8_P12ihipStream_tbDpT10_ENKUlT_T0_E_clISt17integral_constantIbLb1EES1A_EEDaS15_S16_EUlS15_E_NS1_11comp_targetILNS1_3genE9ELNS1_11target_archE1100ELNS1_3gpuE3ELNS1_3repE0EEENS1_30default_config_static_selectorELNS0_4arch9wavefront6targetE0EEEvT1_,"axG",@progbits,_ZN7rocprim17ROCPRIM_400000_NS6detail17trampoline_kernelINS0_14default_configENS1_25partition_config_selectorILNS1_17partition_subalgoE9ExjbEEZZNS1_14partition_implILS5_9ELb0ES3_jN6thrust23THRUST_200600_302600_NS6detail15normal_iteratorINS9_10device_ptrIxEEEENSB_INSC_IjEEEEPNS0_10empty_typeENS0_5tupleIJSE_SH_EEENSJ_IJSG_SI_EEENS0_18inequality_wrapperINS9_8equal_toIxEEEEPmJSH_EEE10hipError_tPvRmT3_T4_T5_T6_T7_T9_mT8_P12ihipStream_tbDpT10_ENKUlT_T0_E_clISt17integral_constantIbLb1EES1A_EEDaS15_S16_EUlS15_E_NS1_11comp_targetILNS1_3genE9ELNS1_11target_archE1100ELNS1_3gpuE3ELNS1_3repE0EEENS1_30default_config_static_selectorELNS0_4arch9wavefront6targetE0EEEvT1_,comdat
	.protected	_ZN7rocprim17ROCPRIM_400000_NS6detail17trampoline_kernelINS0_14default_configENS1_25partition_config_selectorILNS1_17partition_subalgoE9ExjbEEZZNS1_14partition_implILS5_9ELb0ES3_jN6thrust23THRUST_200600_302600_NS6detail15normal_iteratorINS9_10device_ptrIxEEEENSB_INSC_IjEEEEPNS0_10empty_typeENS0_5tupleIJSE_SH_EEENSJ_IJSG_SI_EEENS0_18inequality_wrapperINS9_8equal_toIxEEEEPmJSH_EEE10hipError_tPvRmT3_T4_T5_T6_T7_T9_mT8_P12ihipStream_tbDpT10_ENKUlT_T0_E_clISt17integral_constantIbLb1EES1A_EEDaS15_S16_EUlS15_E_NS1_11comp_targetILNS1_3genE9ELNS1_11target_archE1100ELNS1_3gpuE3ELNS1_3repE0EEENS1_30default_config_static_selectorELNS0_4arch9wavefront6targetE0EEEvT1_ ; -- Begin function _ZN7rocprim17ROCPRIM_400000_NS6detail17trampoline_kernelINS0_14default_configENS1_25partition_config_selectorILNS1_17partition_subalgoE9ExjbEEZZNS1_14partition_implILS5_9ELb0ES3_jN6thrust23THRUST_200600_302600_NS6detail15normal_iteratorINS9_10device_ptrIxEEEENSB_INSC_IjEEEEPNS0_10empty_typeENS0_5tupleIJSE_SH_EEENSJ_IJSG_SI_EEENS0_18inequality_wrapperINS9_8equal_toIxEEEEPmJSH_EEE10hipError_tPvRmT3_T4_T5_T6_T7_T9_mT8_P12ihipStream_tbDpT10_ENKUlT_T0_E_clISt17integral_constantIbLb1EES1A_EEDaS15_S16_EUlS15_E_NS1_11comp_targetILNS1_3genE9ELNS1_11target_archE1100ELNS1_3gpuE3ELNS1_3repE0EEENS1_30default_config_static_selectorELNS0_4arch9wavefront6targetE0EEEvT1_
	.globl	_ZN7rocprim17ROCPRIM_400000_NS6detail17trampoline_kernelINS0_14default_configENS1_25partition_config_selectorILNS1_17partition_subalgoE9ExjbEEZZNS1_14partition_implILS5_9ELb0ES3_jN6thrust23THRUST_200600_302600_NS6detail15normal_iteratorINS9_10device_ptrIxEEEENSB_INSC_IjEEEEPNS0_10empty_typeENS0_5tupleIJSE_SH_EEENSJ_IJSG_SI_EEENS0_18inequality_wrapperINS9_8equal_toIxEEEEPmJSH_EEE10hipError_tPvRmT3_T4_T5_T6_T7_T9_mT8_P12ihipStream_tbDpT10_ENKUlT_T0_E_clISt17integral_constantIbLb1EES1A_EEDaS15_S16_EUlS15_E_NS1_11comp_targetILNS1_3genE9ELNS1_11target_archE1100ELNS1_3gpuE3ELNS1_3repE0EEENS1_30default_config_static_selectorELNS0_4arch9wavefront6targetE0EEEvT1_
	.p2align	8
	.type	_ZN7rocprim17ROCPRIM_400000_NS6detail17trampoline_kernelINS0_14default_configENS1_25partition_config_selectorILNS1_17partition_subalgoE9ExjbEEZZNS1_14partition_implILS5_9ELb0ES3_jN6thrust23THRUST_200600_302600_NS6detail15normal_iteratorINS9_10device_ptrIxEEEENSB_INSC_IjEEEEPNS0_10empty_typeENS0_5tupleIJSE_SH_EEENSJ_IJSG_SI_EEENS0_18inequality_wrapperINS9_8equal_toIxEEEEPmJSH_EEE10hipError_tPvRmT3_T4_T5_T6_T7_T9_mT8_P12ihipStream_tbDpT10_ENKUlT_T0_E_clISt17integral_constantIbLb1EES1A_EEDaS15_S16_EUlS15_E_NS1_11comp_targetILNS1_3genE9ELNS1_11target_archE1100ELNS1_3gpuE3ELNS1_3repE0EEENS1_30default_config_static_selectorELNS0_4arch9wavefront6targetE0EEEvT1_,@function
_ZN7rocprim17ROCPRIM_400000_NS6detail17trampoline_kernelINS0_14default_configENS1_25partition_config_selectorILNS1_17partition_subalgoE9ExjbEEZZNS1_14partition_implILS5_9ELb0ES3_jN6thrust23THRUST_200600_302600_NS6detail15normal_iteratorINS9_10device_ptrIxEEEENSB_INSC_IjEEEEPNS0_10empty_typeENS0_5tupleIJSE_SH_EEENSJ_IJSG_SI_EEENS0_18inequality_wrapperINS9_8equal_toIxEEEEPmJSH_EEE10hipError_tPvRmT3_T4_T5_T6_T7_T9_mT8_P12ihipStream_tbDpT10_ENKUlT_T0_E_clISt17integral_constantIbLb1EES1A_EEDaS15_S16_EUlS15_E_NS1_11comp_targetILNS1_3genE9ELNS1_11target_archE1100ELNS1_3gpuE3ELNS1_3repE0EEENS1_30default_config_static_selectorELNS0_4arch9wavefront6targetE0EEEvT1_: ; @_ZN7rocprim17ROCPRIM_400000_NS6detail17trampoline_kernelINS0_14default_configENS1_25partition_config_selectorILNS1_17partition_subalgoE9ExjbEEZZNS1_14partition_implILS5_9ELb0ES3_jN6thrust23THRUST_200600_302600_NS6detail15normal_iteratorINS9_10device_ptrIxEEEENSB_INSC_IjEEEEPNS0_10empty_typeENS0_5tupleIJSE_SH_EEENSJ_IJSG_SI_EEENS0_18inequality_wrapperINS9_8equal_toIxEEEEPmJSH_EEE10hipError_tPvRmT3_T4_T5_T6_T7_T9_mT8_P12ihipStream_tbDpT10_ENKUlT_T0_E_clISt17integral_constantIbLb1EES1A_EEDaS15_S16_EUlS15_E_NS1_11comp_targetILNS1_3genE9ELNS1_11target_archE1100ELNS1_3gpuE3ELNS1_3repE0EEENS1_30default_config_static_selectorELNS0_4arch9wavefront6targetE0EEEvT1_
; %bb.0:
	s_clause 0x4
	s_load_b128 s[4:7], s[0:1], 0x8
	s_load_b64 s[8:9], s[0:1], 0x18
	s_load_b128 s[12:15], s[0:1], 0x40
	s_load_b64 s[10:11], s[0:1], 0x50
	s_load_b64 s[20:21], s[0:1], 0x60
	v_cmp_ne_u32_e64 s3, 0, v0
	v_cmp_eq_u32_e64 s2, 0, v0
	s_delay_alu instid0(VALU_DEP_1)
	s_and_saveexec_b32 s16, s2
	s_cbranch_execz .LBB611_4
; %bb.1:
	s_mov_b32 s18, exec_lo
	s_mov_b32 s17, exec_lo
	v_mbcnt_lo_u32_b32 v1, s18, 0
                                        ; implicit-def: $vgpr2
	s_delay_alu instid0(VALU_DEP_1)
	v_cmpx_eq_u32_e32 0, v1
	s_cbranch_execz .LBB611_3
; %bb.2:
	s_load_b64 s[22:23], s[0:1], 0x70
	s_bcnt1_i32_b32 s18, s18
	s_delay_alu instid0(SALU_CYCLE_1)
	v_dual_mov_b32 v2, 0 :: v_dual_mov_b32 v3, s18
	s_waitcnt lgkmcnt(0)
	global_atomic_add_u32 v2, v2, v3, s[22:23] glc
.LBB611_3:
	s_or_b32 exec_lo, exec_lo, s17
	s_waitcnt vmcnt(0)
	v_readfirstlane_b32 s17, v2
	s_delay_alu instid0(VALU_DEP_1)
	v_dual_mov_b32 v2, 0 :: v_dual_add_nc_u32 v1, s17, v1
	ds_store_b32 v2, v1
.LBB611_4:
	s_or_b32 exec_lo, exec_lo, s16
	v_mov_b32_e32 v1, 0
	s_clause 0x1
	s_load_b128 s[16:19], s[0:1], 0x28
	s_load_b32 s0, s[0:1], 0x68
	s_waitcnt lgkmcnt(0)
	s_barrier
	buffer_gl0_inv
	ds_load_b32 v3, v1
	s_waitcnt lgkmcnt(0)
	s_barrier
	buffer_gl0_inv
	global_load_b64 v[1:2], v1, s[14:15]
	s_lshl_b64 s[22:23], s[6:7], 3
	s_mov_b32 s15, 0
	s_add_u32 s4, s4, s22
	s_addc_u32 s5, s5, s23
	v_lshlrev_b32_e32 v47, 3, v0
	v_lshrrev_b32_e32 v24, 2, v0
	v_or_b32_e32 v23, 0x200, v0
	v_or_b32_e32 v21, 0x400, v0
	;; [unrolled: 1-line block ×5, first 2 shown]
	s_add_i32 s22, s0, -1
	s_lshl_b32 s0, s0, 12
	s_lshl_b32 s1, s22, 12
	v_or_b32_e32 v17, 0xc00, v0
	v_readfirstlane_b32 s24, v3
	s_add_i32 s1, s6, s1
	v_or_b32_e32 v19, 0xe00, v0
	s_sub_i32 s25, s10, s1
	s_delay_alu instid0(VALU_DEP_2)
	s_lshl_b32 s14, s24, 12
	s_add_u32 s0, s6, s0
	s_addc_u32 s1, s7, 0
	s_cmp_eq_u32 s24, s22
	v_cmp_ge_u64_e64 s0, s[0:1], s[10:11]
	s_cselect_b32 s22, -1, 0
	s_delay_alu instid0(VALU_DEP_1) | instid1(SALU_CYCLE_1)
	s_and_b32 s26, s0, s22
	s_lshl_b64 s[0:1], s[14:15], 3
	s_xor_b32 s23, s26, -1
	s_add_u32 s4, s4, s0
	s_addc_u32 s1, s5, s1
	s_and_b32 vcc_lo, exec_lo, s23
	s_mov_b32 s5, -1
	s_waitcnt vmcnt(0)
	v_readfirstlane_b32 s10, v1
	v_readfirstlane_b32 s11, v2
	s_cbranch_vccz .LBB611_6
; %bb.5:
	v_add_co_u32 v1, s0, s4, v47
	s_delay_alu instid0(VALU_DEP_1) | instskip(SKIP_1) | instid1(VALU_DEP_3)
	v_add_co_ci_u32_e64 v2, null, s1, 0, s0
	v_lshrrev_b32_e32 v26, 2, v23
	v_add_co_u32 v3, vcc_lo, 0x1000, v1
	s_delay_alu instid0(VALU_DEP_3)
	v_add_co_ci_u32_e32 v4, vcc_lo, 0, v2, vcc_lo
	v_add_co_u32 v5, vcc_lo, 0x2000, v1
	v_add_co_ci_u32_e32 v6, vcc_lo, 0, v2, vcc_lo
	v_add_co_u32 v7, vcc_lo, 0x3000, v1
	;; [unrolled: 2-line block ×6, first 2 shown]
	v_add_co_ci_u32_e32 v16, vcc_lo, 0, v2, vcc_lo
	s_clause 0x7
	flat_load_b64 v[1:2], v[1:2]
	flat_load_b64 v[3:4], v[3:4]
	;; [unrolled: 1-line block ×8, first 2 shown]
	v_lshrrev_b32_e32 v27, 2, v21
	v_lshrrev_b32_e32 v28, 2, v22
	;; [unrolled: 1-line block ×3, first 2 shown]
	v_and_b32_e32 v25, 0x78, v24
	v_lshrrev_b32_e32 v30, 2, v18
	v_lshrrev_b32_e32 v31, 2, v17
	;; [unrolled: 1-line block ×3, first 2 shown]
	v_and_b32_e32 v26, 0xf8, v26
	v_and_b32_e32 v27, 0x178, v27
	;; [unrolled: 1-line block ×4, first 2 shown]
	v_add_nc_u32_e32 v25, v25, v47
	v_and_b32_e32 v30, 0x2f8, v30
	v_and_b32_e32 v31, 0x378, v31
	;; [unrolled: 1-line block ×3, first 2 shown]
	v_add_nc_u32_e32 v26, v26, v47
	v_add_nc_u32_e32 v27, v27, v47
	;; [unrolled: 1-line block ×4, first 2 shown]
	s_mov_b32 s5, s15
	v_add_nc_u32_e32 v30, v30, v47
	v_add_nc_u32_e32 v31, v31, v47
	v_add_nc_u32_e32 v32, v32, v47
	s_waitcnt vmcnt(7) lgkmcnt(7)
	ds_store_b64 v25, v[1:2]
	s_waitcnt vmcnt(6) lgkmcnt(7)
	ds_store_b64 v26, v[3:4] offset:4096
	s_waitcnt vmcnt(5) lgkmcnt(7)
	ds_store_b64 v27, v[5:6] offset:8192
	;; [unrolled: 2-line block ×7, first 2 shown]
	s_waitcnt lgkmcnt(0)
	s_barrier
.LBB611_6:
	v_cmp_gt_u32_e64 s0, s25, v0
	s_and_not1_b32 vcc_lo, exec_lo, s5
	s_cbranch_vccnz .LBB611_24
; %bb.7:
                                        ; implicit-def: $vgpr1_vgpr2_vgpr3_vgpr4_vgpr5_vgpr6_vgpr7_vgpr8_vgpr9_vgpr10_vgpr11_vgpr12_vgpr13_vgpr14_vgpr15_vgpr16
	s_delay_alu instid0(VALU_DEP_1)
	s_and_saveexec_b32 s5, s0
	s_cbranch_execz .LBB611_15
; %bb.8:
	v_add_co_u32 v1, s0, s4, v47
	s_delay_alu instid0(VALU_DEP_1) | instskip(SKIP_2) | instid1(SALU_CYCLE_1)
	v_add_co_ci_u32_e64 v2, null, s1, 0, s0
	flat_load_b64 v[1:2], v[1:2]
	s_or_b32 exec_lo, exec_lo, s5
	s_mov_b32 s0, exec_lo
	v_cmpx_gt_u32_e64 s25, v23
	s_cbranch_execnz .LBB611_16
.LBB611_9:
	s_or_b32 exec_lo, exec_lo, s0
	s_delay_alu instid0(SALU_CYCLE_1)
	s_mov_b32 s0, exec_lo
	v_cmpx_gt_u32_e64 s25, v21
	s_cbranch_execz .LBB611_17
.LBB611_10:
	v_lshlrev_b32_e32 v5, 3, v21
	s_delay_alu instid0(VALU_DEP_1) | instskip(NEXT) | instid1(VALU_DEP_1)
	v_add_co_u32 v5, s5, s4, v5
	v_add_co_ci_u32_e64 v6, null, s1, 0, s5
	flat_load_b64 v[5:6], v[5:6]
	s_or_b32 exec_lo, exec_lo, s0
	s_delay_alu instid0(SALU_CYCLE_1)
	s_mov_b32 s0, exec_lo
	v_cmpx_gt_u32_e64 s25, v22
	s_cbranch_execnz .LBB611_18
.LBB611_11:
	s_or_b32 exec_lo, exec_lo, s0
	s_delay_alu instid0(SALU_CYCLE_1)
	s_mov_b32 s0, exec_lo
	v_cmpx_gt_u32_e64 s25, v20
	s_cbranch_execz .LBB611_19
.LBB611_12:
	v_lshlrev_b32_e32 v9, 3, v20
	s_delay_alu instid0(VALU_DEP_1) | instskip(NEXT) | instid1(VALU_DEP_1)
	v_add_co_u32 v9, s5, s4, v9
	v_add_co_ci_u32_e64 v10, null, s1, 0, s5
	flat_load_b64 v[9:10], v[9:10]
	s_or_b32 exec_lo, exec_lo, s0
	s_delay_alu instid0(SALU_CYCLE_1)
	s_mov_b32 s0, exec_lo
	v_cmpx_gt_u32_e64 s25, v18
	s_cbranch_execnz .LBB611_20
.LBB611_13:
	s_or_b32 exec_lo, exec_lo, s0
	s_delay_alu instid0(SALU_CYCLE_1)
	s_mov_b32 s0, exec_lo
	v_cmpx_gt_u32_e64 s25, v17
	s_cbranch_execz .LBB611_21
.LBB611_14:
	v_lshlrev_b32_e32 v13, 3, v17
	s_delay_alu instid0(VALU_DEP_1) | instskip(NEXT) | instid1(VALU_DEP_1)
	v_add_co_u32 v13, s5, s4, v13
	v_add_co_ci_u32_e64 v14, null, s1, 0, s5
	flat_load_b64 v[13:14], v[13:14]
	s_or_b32 exec_lo, exec_lo, s0
	s_delay_alu instid0(SALU_CYCLE_1)
	s_mov_b32 s0, exec_lo
	v_cmpx_gt_u32_e64 s25, v19
	s_cbranch_execnz .LBB611_22
	s_branch .LBB611_23
.LBB611_15:
	s_or_b32 exec_lo, exec_lo, s5
	s_delay_alu instid0(SALU_CYCLE_1)
	s_mov_b32 s0, exec_lo
	v_cmpx_gt_u32_e64 s25, v23
	s_cbranch_execz .LBB611_9
.LBB611_16:
	v_lshlrev_b32_e32 v3, 3, v23
	s_delay_alu instid0(VALU_DEP_1) | instskip(NEXT) | instid1(VALU_DEP_1)
	v_add_co_u32 v3, s5, s4, v3
	v_add_co_ci_u32_e64 v4, null, s1, 0, s5
	flat_load_b64 v[3:4], v[3:4]
	s_or_b32 exec_lo, exec_lo, s0
	s_delay_alu instid0(SALU_CYCLE_1)
	s_mov_b32 s0, exec_lo
	v_cmpx_gt_u32_e64 s25, v21
	s_cbranch_execnz .LBB611_10
.LBB611_17:
	s_or_b32 exec_lo, exec_lo, s0
	s_delay_alu instid0(SALU_CYCLE_1)
	s_mov_b32 s0, exec_lo
	v_cmpx_gt_u32_e64 s25, v22
	s_cbranch_execz .LBB611_11
.LBB611_18:
	v_lshlrev_b32_e32 v7, 3, v22
	s_delay_alu instid0(VALU_DEP_1) | instskip(NEXT) | instid1(VALU_DEP_1)
	v_add_co_u32 v7, s5, s4, v7
	v_add_co_ci_u32_e64 v8, null, s1, 0, s5
	flat_load_b64 v[7:8], v[7:8]
	s_or_b32 exec_lo, exec_lo, s0
	s_delay_alu instid0(SALU_CYCLE_1)
	s_mov_b32 s0, exec_lo
	v_cmpx_gt_u32_e64 s25, v20
	s_cbranch_execnz .LBB611_12
.LBB611_19:
	s_or_b32 exec_lo, exec_lo, s0
	s_delay_alu instid0(SALU_CYCLE_1)
	s_mov_b32 s0, exec_lo
	v_cmpx_gt_u32_e64 s25, v18
	s_cbranch_execz .LBB611_13
.LBB611_20:
	v_lshlrev_b32_e32 v11, 3, v18
	s_delay_alu instid0(VALU_DEP_1) | instskip(NEXT) | instid1(VALU_DEP_1)
	v_add_co_u32 v11, s5, s4, v11
	v_add_co_ci_u32_e64 v12, null, s1, 0, s5
	flat_load_b64 v[11:12], v[11:12]
	s_or_b32 exec_lo, exec_lo, s0
	s_delay_alu instid0(SALU_CYCLE_1)
	s_mov_b32 s0, exec_lo
	v_cmpx_gt_u32_e64 s25, v17
	s_cbranch_execnz .LBB611_14
.LBB611_21:
	s_or_b32 exec_lo, exec_lo, s0
	s_delay_alu instid0(SALU_CYCLE_1)
	s_mov_b32 s0, exec_lo
	v_cmpx_gt_u32_e64 s25, v19
	s_cbranch_execz .LBB611_23
.LBB611_22:
	v_lshlrev_b32_e32 v15, 3, v19
	s_delay_alu instid0(VALU_DEP_1) | instskip(NEXT) | instid1(VALU_DEP_1)
	v_add_co_u32 v15, s5, s4, v15
	v_add_co_ci_u32_e64 v16, null, s1, 0, s5
	flat_load_b64 v[15:16], v[15:16]
.LBB611_23:
	s_or_b32 exec_lo, exec_lo, s0
	v_lshrrev_b32_e32 v25, 2, v23
	v_lshrrev_b32_e32 v26, 2, v21
	;; [unrolled: 1-line block ×4, first 2 shown]
	v_and_b32_e32 v27, 0x78, v24
	v_lshrrev_b32_e32 v30, 2, v18
	v_lshrrev_b32_e32 v31, 2, v17
	;; [unrolled: 1-line block ×3, first 2 shown]
	v_and_b32_e32 v25, 0xf8, v25
	v_and_b32_e32 v26, 0x1f8, v26
	;; [unrolled: 1-line block ×4, first 2 shown]
	v_add_nc_u32_e32 v27, v27, v47
	v_and_b32_e32 v30, 0x3f8, v30
	v_and_b32_e32 v31, 0x3f8, v31
	;; [unrolled: 1-line block ×3, first 2 shown]
	v_add_nc_u32_e32 v25, v25, v47
	v_add_nc_u32_e32 v26, v26, v47
	v_add_nc_u32_e32 v28, v28, v47
	v_add_nc_u32_e32 v29, v29, v47
	v_add_nc_u32_e32 v30, v30, v47
	v_add_nc_u32_e32 v31, v31, v47
	v_add_nc_u32_e32 v32, v32, v47
	s_waitcnt vmcnt(0) lgkmcnt(0)
	ds_store_b64 v27, v[1:2]
	ds_store_b64 v25, v[3:4] offset:4096
	ds_store_b64 v26, v[5:6] offset:8192
	;; [unrolled: 1-line block ×7, first 2 shown]
	s_waitcnt lgkmcnt(0)
	s_barrier
.LBB611_24:
	v_add_nc_u32_e32 v24, v24, v47
	buffer_gl0_inv
	s_lshl_b64 s[28:29], s[6:7], 2
	v_lshrrev_b32_e32 v26, 3, v0
	s_add_u32 s0, s8, s28
	v_lshlrev_b32_e32 v25, 3, v24
	s_addc_u32 s5, s9, s29
	s_lshl_b64 s[8:9], s[14:15], 2
	ds_load_2addr_b64 v[13:16], v25 offset1:1
	ds_load_2addr_b64 v[9:12], v25 offset0:2 offset1:3
	ds_load_2addr_b64 v[5:8], v25 offset0:4 offset1:5
	;; [unrolled: 1-line block ×3, first 2 shown]
	s_add_u32 s0, s0, s8
	s_addc_u32 s5, s5, s9
	s_and_b32 vcc_lo, exec_lo, s23
	s_mov_b32 s8, -1
	s_waitcnt lgkmcnt(0)
	s_barrier
	buffer_gl0_inv
	s_cbranch_vccz .LBB611_26
; %bb.25:
	v_lshlrev_b32_e32 v35, 2, v0
	v_lshrrev_b32_e32 v37, 3, v23
	v_lshrrev_b32_e32 v38, 3, v21
	;; [unrolled: 1-line block ×4, first 2 shown]
	v_add_co_u32 v27, s8, s0, v35
	s_delay_alu instid0(VALU_DEP_1) | instskip(SKIP_1) | instid1(VALU_DEP_3)
	v_add_co_ci_u32_e64 v28, null, s5, 0, s8
	v_lshrrev_b32_e32 v41, 3, v18
	v_add_co_u32 v29, vcc_lo, 0x1000, v27
	s_delay_alu instid0(VALU_DEP_3)
	v_add_co_ci_u32_e32 v30, vcc_lo, 0, v28, vcc_lo
	v_add_co_u32 v31, vcc_lo, 0x2000, v27
	v_add_co_ci_u32_e32 v32, vcc_lo, 0, v28, vcc_lo
	v_add_co_u32 v33, vcc_lo, 0x3000, v27
	v_add_co_ci_u32_e32 v34, vcc_lo, 0, v28, vcc_lo
	s_clause 0x7
	flat_load_b32 v36, v[27:28]
	flat_load_b32 v27, v[27:28] offset:2048
	flat_load_b32 v28, v[29:30]
	flat_load_b32 v29, v[29:30] offset:2048
	;; [unrolled: 2-line block ×4, first 2 shown]
	v_and_b32_e32 v34, 60, v26
	v_lshrrev_b32_e32 v42, 3, v17
	v_lshrrev_b32_e32 v43, 3, v19
	v_and_b32_e32 v37, 0x7c, v37
	v_and_b32_e32 v38, 0xbc, v38
	;; [unrolled: 1-line block ×4, first 2 shown]
	v_add_nc_u32_e32 v34, v34, v35
	v_and_b32_e32 v41, 0x17c, v41
	v_and_b32_e32 v42, 0x1bc, v42
	;; [unrolled: 1-line block ×3, first 2 shown]
	v_add_nc_u32_e32 v37, v37, v35
	v_add_nc_u32_e32 v38, v38, v35
	;; [unrolled: 1-line block ×4, first 2 shown]
	s_mov_b32 s8, 0
	v_add_nc_u32_e32 v41, v41, v35
	v_add_nc_u32_e32 v42, v42, v35
	;; [unrolled: 1-line block ×3, first 2 shown]
	s_waitcnt vmcnt(7) lgkmcnt(7)
	ds_store_b32 v34, v36
	s_waitcnt vmcnt(6) lgkmcnt(7)
	ds_store_b32 v37, v27 offset:2048
	s_waitcnt vmcnt(5) lgkmcnt(7)
	ds_store_b32 v38, v28 offset:4096
	;; [unrolled: 2-line block ×7, first 2 shown]
	s_waitcnt lgkmcnt(0)
	s_barrier
.LBB611_26:
	s_and_not1_b32 vcc_lo, exec_lo, s8
	s_cbranch_vccnz .LBB611_44
; %bb.27:
	s_mov_b32 s8, exec_lo
                                        ; implicit-def: $vgpr27
	v_cmpx_gt_u32_e64 s25, v0
	s_cbranch_execz .LBB611_29
; %bb.28:
	v_lshlrev_b32_e32 v27, 2, v0
	s_delay_alu instid0(VALU_DEP_1) | instskip(NEXT) | instid1(VALU_DEP_1)
	v_add_co_u32 v27, s9, s0, v27
	v_add_co_ci_u32_e64 v28, null, s5, 0, s9
	flat_load_b32 v27, v[27:28]
.LBB611_29:
	s_or_b32 exec_lo, exec_lo, s8
	s_delay_alu instid0(SALU_CYCLE_1)
	s_mov_b32 s8, exec_lo
                                        ; implicit-def: $vgpr28
	v_cmpx_gt_u32_e64 s25, v23
	s_cbranch_execz .LBB611_31
; %bb.30:
	v_lshlrev_b32_e32 v28, 2, v0
	s_delay_alu instid0(VALU_DEP_1) | instskip(NEXT) | instid1(VALU_DEP_1)
	v_add_co_u32 v28, s9, s0, v28
	v_add_co_ci_u32_e64 v29, null, s5, 0, s9
	flat_load_b32 v28, v[28:29] offset:2048
.LBB611_31:
	s_or_b32 exec_lo, exec_lo, s8
	s_delay_alu instid0(SALU_CYCLE_1)
	s_mov_b32 s8, exec_lo
                                        ; implicit-def: $vgpr29
	v_cmpx_gt_u32_e64 s25, v21
	s_cbranch_execz .LBB611_33
; %bb.32:
	v_lshlrev_b32_e32 v29, 2, v21
	s_delay_alu instid0(VALU_DEP_1) | instskip(NEXT) | instid1(VALU_DEP_1)
	v_add_co_u32 v29, s9, s0, v29
	v_add_co_ci_u32_e64 v30, null, s5, 0, s9
	flat_load_b32 v29, v[29:30]
.LBB611_33:
	s_or_b32 exec_lo, exec_lo, s8
	s_delay_alu instid0(SALU_CYCLE_1)
	s_mov_b32 s8, exec_lo
                                        ; implicit-def: $vgpr30
	v_cmpx_gt_u32_e64 s25, v22
	s_cbranch_execz .LBB611_35
; %bb.34:
	v_lshlrev_b32_e32 v30, 2, v22
	s_delay_alu instid0(VALU_DEP_1) | instskip(NEXT) | instid1(VALU_DEP_1)
	v_add_co_u32 v30, s9, s0, v30
	v_add_co_ci_u32_e64 v31, null, s5, 0, s9
	flat_load_b32 v30, v[30:31]
.LBB611_35:
	s_or_b32 exec_lo, exec_lo, s8
	s_delay_alu instid0(SALU_CYCLE_1)
	s_mov_b32 s8, exec_lo
                                        ; implicit-def: $vgpr31
	v_cmpx_gt_u32_e64 s25, v20
	s_cbranch_execz .LBB611_37
; %bb.36:
	v_lshlrev_b32_e32 v31, 2, v20
	s_delay_alu instid0(VALU_DEP_1) | instskip(NEXT) | instid1(VALU_DEP_1)
	v_add_co_u32 v31, s9, s0, v31
	v_add_co_ci_u32_e64 v32, null, s5, 0, s9
	flat_load_b32 v31, v[31:32]
.LBB611_37:
	s_or_b32 exec_lo, exec_lo, s8
	s_delay_alu instid0(SALU_CYCLE_1)
	s_mov_b32 s8, exec_lo
                                        ; implicit-def: $vgpr32
	v_cmpx_gt_u32_e64 s25, v18
	s_cbranch_execz .LBB611_39
; %bb.38:
	v_lshlrev_b32_e32 v32, 2, v18
	s_delay_alu instid0(VALU_DEP_1) | instskip(NEXT) | instid1(VALU_DEP_1)
	v_add_co_u32 v32, s9, s0, v32
	v_add_co_ci_u32_e64 v33, null, s5, 0, s9
	flat_load_b32 v32, v[32:33]
.LBB611_39:
	s_or_b32 exec_lo, exec_lo, s8
	s_delay_alu instid0(SALU_CYCLE_1)
	s_mov_b32 s8, exec_lo
                                        ; implicit-def: $vgpr33
	v_cmpx_gt_u32_e64 s25, v17
	s_cbranch_execz .LBB611_41
; %bb.40:
	v_lshlrev_b32_e32 v33, 2, v17
	s_delay_alu instid0(VALU_DEP_1) | instskip(NEXT) | instid1(VALU_DEP_1)
	v_add_co_u32 v33, s9, s0, v33
	v_add_co_ci_u32_e64 v34, null, s5, 0, s9
	flat_load_b32 v33, v[33:34]
.LBB611_41:
	s_or_b32 exec_lo, exec_lo, s8
	s_delay_alu instid0(SALU_CYCLE_1)
	s_mov_b32 s8, exec_lo
                                        ; implicit-def: $vgpr34
	v_cmpx_gt_u32_e64 s25, v19
	s_cbranch_execz .LBB611_43
; %bb.42:
	v_lshlrev_b32_e32 v34, 2, v19
	s_delay_alu instid0(VALU_DEP_1) | instskip(NEXT) | instid1(VALU_DEP_1)
	v_add_co_u32 v34, s0, s0, v34
	v_add_co_ci_u32_e64 v35, null, s5, 0, s0
	flat_load_b32 v34, v[34:35]
.LBB611_43:
	s_or_b32 exec_lo, exec_lo, s8
	v_lshrrev_b32_e32 v23, 3, v23
	v_lshrrev_b32_e32 v21, 3, v21
	v_lshrrev_b32_e32 v22, 3, v22
	v_lshrrev_b32_e32 v20, 3, v20
	v_and_b32_e32 v26, 60, v26
	v_lshlrev_b32_e32 v35, 2, v0
	v_lshrrev_b32_e32 v18, 3, v18
	v_lshrrev_b32_e32 v17, 3, v17
	;; [unrolled: 1-line block ×3, first 2 shown]
	v_and_b32_e32 v23, 0x7c, v23
	v_and_b32_e32 v21, 0xfc, v21
	;; [unrolled: 1-line block ×4, first 2 shown]
	v_add_nc_u32_e32 v26, v26, v35
	v_and_b32_e32 v18, 0x1fc, v18
	v_and_b32_e32 v17, 0x1fc, v17
	;; [unrolled: 1-line block ×3, first 2 shown]
	v_add_nc_u32_e32 v23, v23, v35
	v_add_nc_u32_e32 v21, v21, v35
	;; [unrolled: 1-line block ×7, first 2 shown]
	s_waitcnt vmcnt(0) lgkmcnt(0)
	ds_store_b32 v26, v27
	ds_store_b32 v23, v28 offset:2048
	ds_store_b32 v21, v29 offset:4096
	;; [unrolled: 1-line block ×7, first 2 shown]
	s_waitcnt lgkmcnt(0)
	s_barrier
.LBB611_44:
	v_lshlrev_b32_e32 v17, 2, v24
	buffer_gl0_inv
	s_cmp_lg_u32 s24, 0
	s_mov_b32 s14, 0
	s_cselect_b32 s9, -1, 0
	v_sub_nc_u32_e32 v17, v25, v17
	s_cmp_lg_u64 s[6:7], 0
	ds_load_2addr_b32 v[23:24], v17 offset1:1
	ds_load_2addr_b32 v[21:22], v17 offset0:2 offset1:3
	ds_load_2addr_b32 v[19:20], v17 offset0:4 offset1:5
	;; [unrolled: 1-line block ×3, first 2 shown]
	s_cselect_b32 s0, -1, 0
	s_waitcnt lgkmcnt(0)
	s_or_b32 s0, s0, s9
	s_barrier
	s_and_b32 vcc_lo, exec_lo, s0
	buffer_gl0_inv
	s_cbranch_vccz .LBB611_49
; %bb.45:
	v_add_co_u32 v25, s0, -8, s4
	s_delay_alu instid0(VALU_DEP_1)
	v_add_co_ci_u32_e64 v26, null, -1, s1, s0
	s_mov_b32 s1, -1
	s_and_b32 vcc_lo, exec_lo, s23
	flat_load_b64 v[27:28], v[25:26]
	ds_store_b64 v47, v[3:4]
	s_cbranch_vccz .LBB611_50
; %bb.46:
	s_waitcnt vmcnt(0) lgkmcnt(1)
	v_dual_mov_b32 v25, v27 :: v_dual_mov_b32 v26, v28
	s_waitcnt lgkmcnt(0)
	s_barrier
	buffer_gl0_inv
	s_and_saveexec_b32 s0, s3
	s_cbranch_execz .LBB611_48
; %bb.47:
	v_add_nc_u32_e32 v25, -8, v47
	ds_load_b64 v[25:26], v25
.LBB611_48:
	s_or_b32 exec_lo, exec_lo, s0
	v_cmp_ne_u64_e32 vcc_lo, v[1:2], v[3:4]
	s_waitcnt lgkmcnt(0)
	v_cmp_ne_u64_e64 s0, v[25:26], v[13:14]
	v_cndmask_b32_e64 v29, 0, 1, vcc_lo
	v_cmp_ne_u64_e32 vcc_lo, v[7:8], v[1:2]
	s_delay_alu instid0(VALU_DEP_2) | instskip(SKIP_2) | instid1(VALU_DEP_2)
	v_lshlrev_b16 v29, 8, v29
	v_cndmask_b32_e64 v30, 0, 1, vcc_lo
	v_cmp_ne_u64_e32 vcc_lo, v[5:6], v[7:8]
	v_or_b32_e32 v29, v30, v29
	v_cndmask_b32_e64 v31, 0, 1, vcc_lo
	v_cmp_ne_u64_e32 vcc_lo, v[9:10], v[11:12]
	s_delay_alu instid0(VALU_DEP_3) | instskip(NEXT) | instid1(VALU_DEP_3)
	v_lshlrev_b32_e32 v29, 16, v29
	v_lshlrev_b16 v31, 8, v31
	v_cndmask_b32_e64 v32, 0, 1, vcc_lo
	v_cmp_ne_u64_e32 vcc_lo, v[11:12], v[5:6]
	s_delay_alu instid0(VALU_DEP_2) | instskip(SKIP_2) | instid1(VALU_DEP_2)
	v_lshlrev_b16 v32, 8, v32
	v_cndmask_b32_e64 v33, 0, 1, vcc_lo
	v_cmp_ne_u64_e32 vcc_lo, v[15:16], v[9:10]
	v_or_b32_e32 v31, v33, v31
	v_cndmask_b32_e64 v34, 0, 1, vcc_lo
	v_cmp_ne_u64_e32 vcc_lo, v[13:14], v[15:16]
	s_delay_alu instid0(VALU_DEP_3) | instskip(NEXT) | instid1(VALU_DEP_3)
	v_and_b32_e32 v31, 0xffff, v31
	v_or_b32_e32 v32, v34, v32
	v_cndmask_b32_e64 v35, 0, 1, vcc_lo
	s_delay_alu instid0(VALU_DEP_3) | instskip(NEXT) | instid1(VALU_DEP_3)
	v_or_b32_e32 v26, v31, v29
	v_lshlrev_b32_e32 v30, 16, v32
	s_delay_alu instid0(VALU_DEP_3) | instskip(NEXT) | instid1(VALU_DEP_1)
	v_lshlrev_b16 v34, 8, v35
	v_and_b32_e32 v32, 0xffff, v34
	s_delay_alu instid0(VALU_DEP_1)
	v_or_b32_e32 v25, v32, v30
	s_branch .LBB611_54
.LBB611_49:
                                        ; implicit-def: $sgpr0
                                        ; implicit-def: $vgpr26
	s_branch .LBB611_55
.LBB611_50:
                                        ; implicit-def: $sgpr0
                                        ; implicit-def: $vgpr26
	s_and_b32 vcc_lo, exec_lo, s1
	s_cbranch_vccz .LBB611_54
; %bb.51:
	s_waitcnt vmcnt(0) lgkmcnt(0)
	s_barrier
	buffer_gl0_inv
	s_and_saveexec_b32 s0, s3
	s_cbranch_execz .LBB611_53
; %bb.52:
	v_add_nc_u32_e32 v25, -8, v47
	ds_load_b64 v[27:28], v25
.LBB611_53:
	s_or_b32 exec_lo, exec_lo, s0
	v_or_b32_e32 v25, 7, v47
	v_or_b32_e32 v26, 6, v47
	v_cmp_ne_u64_e32 vcc_lo, v[1:2], v[3:4]
	v_or_b32_e32 v29, 5, v47
	v_cmp_ne_u64_e64 s1, v[7:8], v[1:2]
	v_cmp_gt_u32_e64 s0, s25, v25
	v_cmp_gt_u32_e64 s4, s25, v26
	v_cmp_ne_u64_e64 s5, v[5:6], v[7:8]
	v_cmp_gt_u32_e64 s6, s25, v29
	v_or_b32_e32 v29, 3, v47
	s_and_b32 s0, s0, vcc_lo
	v_or_b32_e32 v30, 4, v47
	v_cndmask_b32_e64 v25, 0, 1, s0
	s_and_b32 s0, s4, s1
	v_cmp_ne_u64_e32 vcc_lo, v[9:10], v[11:12]
	v_cndmask_b32_e64 v26, 0, 1, s0
	s_and_b32 s0, s6, s5
	v_cmp_gt_u32_e64 s1, s25, v30
	v_cndmask_b32_e64 v31, 0, 1, s0
	v_cmp_gt_u32_e64 s0, s25, v29
	v_or_b32_e32 v29, 2, v47
	v_or_b32_e32 v30, 1, v47
	v_cmp_ne_u64_e64 s4, v[11:12], v[5:6]
	v_cmp_ne_u64_e64 s6, v[13:14], v[15:16]
	s_and_b32 s0, s0, vcc_lo
	v_cmp_ne_u64_e32 vcc_lo, v[15:16], v[9:10]
	v_cndmask_b32_e64 v32, 0, 1, s0
	v_cmp_gt_u32_e64 s0, s25, v29
	v_cmp_gt_u32_e64 s5, s25, v30
	s_and_b32 s1, s1, s4
	v_lshlrev_b16 v31, 8, v31
	v_cndmask_b32_e64 v29, 0, 1, s1
	s_and_b32 s0, s0, vcc_lo
	v_lshlrev_b16 v32, 8, v32
	v_cndmask_b32_e64 v30, 0, 1, s0
	s_and_b32 s0, s5, s6
	v_lshlrev_b16 v25, 8, v25
	v_cndmask_b32_e64 v33, 0, 1, s0
	v_or_b32_e32 v29, v29, v31
	v_or_b32_e32 v30, v30, v32
	s_waitcnt lgkmcnt(0)
	v_cmp_ne_u64_e32 vcc_lo, v[27:28], v[13:14]
	v_or_b32_e32 v25, v26, v25
	v_lshlrev_b16 v32, 8, v33
	v_and_b32_e32 v29, 0xffff, v29
	v_lshlrev_b32_e32 v26, 16, v30
	v_cmp_gt_u32_e64 s0, s25, v47
	v_lshlrev_b32_e32 v31, 16, v25
	v_and_b32_e32 v30, 0xffff, v32
	s_delay_alu instid0(VALU_DEP_3) | instskip(NEXT) | instid1(VALU_DEP_1)
	s_and_b32 s0, s0, vcc_lo
	v_or_b32_e32 v25, v30, v26
	s_delay_alu instid0(VALU_DEP_3)
	v_or_b32_e32 v26, v29, v31
.LBB611_54:
	s_mov_b32 s14, -1
	s_cbranch_execnz .LBB611_63
.LBB611_55:
	v_cmp_ne_u64_e64 s1, v[1:2], v[3:4]
	v_cmp_ne_u64_e64 s4, v[7:8], v[1:2]
	;; [unrolled: 1-line block ×7, first 2 shown]
	s_and_b32 vcc_lo, exec_lo, s23
	ds_store_b64 v47, v[3:4]
	s_cbranch_vccz .LBB611_59
; %bb.56:
	v_cndmask_b32_e64 v25, 0, 1, s1
	s_waitcnt vmcnt(0) lgkmcnt(2)
	v_cndmask_b32_e64 v27, 0, 1, s5
	v_cndmask_b32_e64 v29, 0, 1, s7
	;; [unrolled: 1-line block ×6, first 2 shown]
	v_lshlrev_b16 v27, 8, v27
	v_lshlrev_b16 v25, 8, v25
	;; [unrolled: 1-line block ×4, first 2 shown]
	s_waitcnt lgkmcnt(0)
	v_or_b32_e32 v27, v28, v27
	v_or_b32_e32 v25, v26, v25
	;; [unrolled: 1-line block ×4, first 2 shown]
	s_barrier
	v_and_b32_e32 v27, 0xffff, v27
	v_lshlrev_b32_e32 v25, 16, v25
	v_lshlrev_b32_e32 v29, 16, v26
	v_and_b32_e32 v28, 0xffff, v28
	buffer_gl0_inv
                                        ; implicit-def: $sgpr0
	v_or_b32_e32 v26, v27, v25
	v_or_b32_e32 v25, v28, v29
	s_and_saveexec_b32 s1, s3
	s_delay_alu instid0(SALU_CYCLE_1)
	s_xor_b32 s1, exec_lo, s1
	s_cbranch_execz .LBB611_58
; %bb.57:
	v_add_nc_u32_e32 v27, -8, v47
	s_or_b32 s14, s14, exec_lo
	ds_load_b64 v[27:28], v27
	s_waitcnt lgkmcnt(0)
	v_cmp_ne_u64_e32 vcc_lo, v[27:28], v[13:14]
	s_and_b32 s0, vcc_lo, exec_lo
.LBB611_58:
	s_or_b32 exec_lo, exec_lo, s1
	s_branch .LBB611_63
.LBB611_59:
                                        ; implicit-def: $sgpr0
                                        ; implicit-def: $vgpr26
	s_cbranch_execz .LBB611_63
; %bb.60:
	v_or_b32_e32 v25, 7, v47
	v_or_b32_e32 v26, 6, v47
	v_cmp_ne_u64_e32 vcc_lo, v[1:2], v[3:4]
	v_cmp_ne_u64_e64 s0, v[7:8], v[1:2]
	s_waitcnt vmcnt(0) lgkmcnt(2)
	v_or_b32_e32 v27, 4, v47
	v_cmp_gt_u32_e64 s1, s25, v25
	v_or_b32_e32 v25, 5, v47
	v_cmp_gt_u32_e64 s5, s25, v26
	v_cmp_ne_u64_e64 s4, v[5:6], v[7:8]
	v_cmp_ne_u64_e64 s6, v[11:12], v[5:6]
	s_and_b32 s1, s1, vcc_lo
	v_cmp_gt_u32_e32 vcc_lo, s25, v25
	v_cndmask_b32_e64 v26, 0, 1, s1
	v_cmp_gt_u32_e64 s1, s25, v27
	s_and_b32 s0, s5, s0
	v_or_b32_e32 v28, 3, v47
	v_cndmask_b32_e64 v25, 0, 1, s0
	s_and_b32 s0, vcc_lo, s4
	v_or_b32_e32 v30, 1, v47
	v_cndmask_b32_e64 v27, 0, 1, s0
	s_and_b32 s0, s1, s6
	v_cmp_ne_u64_e32 vcc_lo, v[9:10], v[11:12]
	v_cndmask_b32_e64 v29, 0, 1, s0
	v_cmp_gt_u32_e64 s0, s25, v28
	v_cmp_ne_u64_e64 s1, v[13:14], v[15:16]
	v_or_b32_e32 v31, 2, v47
	v_cmp_gt_u32_e64 s4, s25, v30
	v_cmp_ne_u64_e64 s5, v[15:16], v[9:10]
	s_and_b32 s0, s0, vcc_lo
	v_lshlrev_b16 v27, 8, v27
	v_cmp_gt_u32_e64 s6, s25, v31
	v_cndmask_b32_e64 v28, 0, 1, s0
	s_and_b32 s0, s4, s1
	v_lshlrev_b16 v26, 8, v26
	v_cndmask_b32_e64 v30, 0, 1, s0
	s_and_b32 s0, s6, s5
	v_lshlrev_b16 v28, 8, v28
	v_cndmask_b32_e64 v31, 0, 1, s0
	v_or_b32_e32 v27, v29, v27
	v_lshlrev_b16 v30, 8, v30
	v_or_b32_e32 v25, v25, v26
	s_waitcnt lgkmcnt(0)
	v_or_b32_e32 v26, v31, v28
	v_and_b32_e32 v27, 0xffff, v27
	v_or_b32_e32 v28, 1, v30
	v_lshlrev_b32_e32 v25, 16, v25
	s_barrier
	v_lshlrev_b32_e32 v29, 16, v26
	buffer_gl0_inv
	v_and_b32_e32 v28, 0xffff, v28
	v_or_b32_e32 v26, v27, v25
                                        ; implicit-def: $sgpr0
	s_delay_alu instid0(VALU_DEP_2)
	v_or_b32_e32 v25, v28, v29
	s_and_saveexec_b32 s1, s3
	s_cbranch_execz .LBB611_62
; %bb.61:
	v_add_nc_u32_e32 v27, -8, v47
	v_cmp_gt_u32_e64 s0, s25, v47
	s_or_b32 s14, s14, exec_lo
	ds_load_b64 v[27:28], v27
	s_waitcnt lgkmcnt(0)
	v_cmp_ne_u64_e32 vcc_lo, v[27:28], v[13:14]
	s_and_b32 s0, s0, vcc_lo
	s_delay_alu instid0(SALU_CYCLE_1)
	s_and_b32 s0, s0, exec_lo
.LBB611_62:
	s_or_b32 exec_lo, exec_lo, s1
.LBB611_63:
	s_and_saveexec_b32 s1, s14
	s_cbranch_execz .LBB611_65
; %bb.64:
	s_waitcnt vmcnt(0) lgkmcnt(1)
	v_and_b32_e32 v27, 0xffffff00, v25
	v_cndmask_b32_e64 v28, 0, 1, s0
	s_delay_alu instid0(VALU_DEP_1) | instskip(NEXT) | instid1(VALU_DEP_1)
	v_or_b32_e32 v27, v28, v27
	v_and_b32_e32 v27, 0xffff, v27
	s_delay_alu instid0(VALU_DEP_1)
	v_and_or_b32 v25, 0xffff0000, v25, v27
.LBB611_65:
	s_or_b32 exec_lo, exec_lo, s1
	s_delay_alu instid0(SALU_CYCLE_1)
	s_and_not1_b32 vcc_lo, exec_lo, s26
	s_cbranch_vccnz .LBB611_67
; %bb.66:
	v_cmp_gt_u32_e32 vcc_lo, s25, v47
	s_waitcnt vmcnt(0) lgkmcnt(1)
	v_or_b32_e32 v28, 1, v47
	v_and_b32_e32 v29, 0xffffff00, v26
	v_or_b32_e32 v30, 2, v47
	v_cndmask_b32_e32 v27, 0, v25, vcc_lo
	s_delay_alu instid0(VALU_DEP_4) | instskip(SKIP_1) | instid1(VALU_DEP_4)
	v_cmp_gt_u32_e32 vcc_lo, s25, v28
	v_or_b32_e32 v28, 4, v47
	v_cmp_gt_u32_e64 s0, s25, v30
	v_or_b32_e32 v30, 3, v47
	v_and_b32_e32 v27, 0xff, v27
	s_delay_alu instid0(VALU_DEP_2) | instskip(NEXT) | instid1(VALU_DEP_2)
	v_cmp_gt_u32_e64 s1, s25, v30
	v_cndmask_b32_e32 v27, v27, v25, vcc_lo
	v_cmp_gt_u32_e32 vcc_lo, s25, v28
	v_cndmask_b32_e32 v28, v29, v26, vcc_lo
	v_or_b32_e32 v29, 5, v47
	s_delay_alu instid0(VALU_DEP_2) | instskip(SKIP_1) | instid1(VALU_DEP_1)
	v_and_b32_e32 v28, 0xffff00ff, v28
	v_and_b32_e32 v27, 0xffff, v27
	v_cndmask_b32_e64 v27, v27, v25, s0
	s_delay_alu instid0(VALU_DEP_4) | instskip(SKIP_1) | instid1(VALU_DEP_3)
	v_cmp_gt_u32_e64 s0, s25, v29
	v_or_b32_e32 v29, 6, v47
	v_and_b32_e32 v27, 0xffffff, v27
	s_delay_alu instid0(VALU_DEP_3) | instskip(NEXT) | instid1(VALU_DEP_2)
	v_cndmask_b32_e64 v28, v28, v26, s0
	v_cndmask_b32_e64 v27, v27, v25, s1
	s_delay_alu instid0(VALU_DEP_1) | instskip(SKIP_2) | instid1(VALU_DEP_3)
	v_dual_cndmask_b32 v27, v27, v25 :: v_dual_and_b32 v28, 0xff00ffff, v28
	v_cmp_gt_u32_e32 vcc_lo, s25, v29
	v_or_b32_e32 v29, 7, v47
	v_cndmask_b32_e64 v27, v27, v25, s0
	s_delay_alu instid0(VALU_DEP_1) | instskip(NEXT) | instid1(VALU_DEP_1)
	v_dual_cndmask_b32 v28, v28, v26 :: v_dual_cndmask_b32 v27, v27, v25
	v_and_b32_e32 v28, 0xffffff, v28
	s_delay_alu instid0(VALU_DEP_4) | instskip(NEXT) | instid1(VALU_DEP_2)
	v_cmp_gt_u32_e32 vcc_lo, s25, v29
	v_dual_cndmask_b32 v26, v28, v26 :: v_dual_cndmask_b32 v25, v27, v25
.LBB611_67:
	s_delay_alu instid0(VALU_DEP_1) | instskip(SKIP_1) | instid1(VALU_DEP_2)
	v_and_b32_e32 v36, 0xff, v25
	s_waitcnt vmcnt(0) lgkmcnt(1)
	v_alignbit_b32 v27, v26, v25, 24
	v_bfe_u32 v38, v25, 8, 8
	v_bfe_u32 v40, v25, 16, 8
	v_and_b32_e32 v44, 0xff, v26
	v_bfe_u32 v46, v26, 8, 8
	v_and_b32_e32 v42, 0xff, v27
	v_add_nc_u32_e32 v27, v38, v36
	v_mbcnt_lo_u32_b32 v50, -1, 0
	v_bfe_u32 v49, v26, 16, 8
	v_lshrrev_b32_e32 v48, 24, v26
	v_lshrrev_b32_e32 v51, 5, v0
	v_add3_u32 v27, v27, v40, v42
	v_and_b32_e32 v28, 15, v50
	v_and_b32_e32 v29, 16, v50
	s_and_b32 vcc_lo, exec_lo, s9
	s_mov_b32 s7, -1
	v_add3_u32 v27, v27, v44, v46
	v_cmp_eq_u32_e64 s3, 0, v28
	v_cmp_lt_u32_e64 s0, 1, v28
	v_cmp_lt_u32_e64 s4, 3, v28
	;; [unrolled: 1-line block ×3, first 2 shown]
	v_add3_u32 v52, v27, v49, v48
	v_or_b32_e32 v27, 31, v0
	v_cmp_eq_u32_e64 s6, 0, v29
	s_waitcnt lgkmcnt(0)
	s_barrier
	buffer_gl0_inv
	v_cmp_eq_u32_e64 s5, v27, v0
	s_cbranch_vccz .LBB611_98
; %bb.68:
	v_mov_b32_dpp v27, v52 row_shr:1 row_mask:0xf bank_mask:0xf
	s_delay_alu instid0(VALU_DEP_1) | instskip(NEXT) | instid1(VALU_DEP_1)
	v_cndmask_b32_e64 v27, v27, 0, s3
	v_add_nc_u32_e32 v27, v27, v52
	s_delay_alu instid0(VALU_DEP_1) | instskip(NEXT) | instid1(VALU_DEP_1)
	v_mov_b32_dpp v28, v27 row_shr:2 row_mask:0xf bank_mask:0xf
	v_cndmask_b32_e64 v28, 0, v28, s0
	s_delay_alu instid0(VALU_DEP_1) | instskip(NEXT) | instid1(VALU_DEP_1)
	v_add_nc_u32_e32 v27, v27, v28
	v_mov_b32_dpp v28, v27 row_shr:4 row_mask:0xf bank_mask:0xf
	s_delay_alu instid0(VALU_DEP_1) | instskip(NEXT) | instid1(VALU_DEP_1)
	v_cndmask_b32_e64 v28, 0, v28, s4
	v_add_nc_u32_e32 v27, v27, v28
	s_delay_alu instid0(VALU_DEP_1) | instskip(NEXT) | instid1(VALU_DEP_1)
	v_mov_b32_dpp v28, v27 row_shr:8 row_mask:0xf bank_mask:0xf
	v_cndmask_b32_e64 v28, 0, v28, s1
	s_delay_alu instid0(VALU_DEP_1) | instskip(SKIP_3) | instid1(VALU_DEP_1)
	v_add_nc_u32_e32 v27, v27, v28
	ds_swizzle_b32 v28, v27 offset:swizzle(BROADCAST,32,15)
	s_waitcnt lgkmcnt(0)
	v_cndmask_b32_e64 v28, v28, 0, s6
	v_add_nc_u32_e32 v27, v27, v28
	s_and_saveexec_b32 s7, s5
	s_cbranch_execz .LBB611_70
; %bb.69:
	v_lshlrev_b32_e32 v28, 2, v51
	ds_store_b32 v28, v27
.LBB611_70:
	s_or_b32 exec_lo, exec_lo, s7
	s_delay_alu instid0(SALU_CYCLE_1)
	s_mov_b32 s7, exec_lo
	s_waitcnt lgkmcnt(0)
	s_barrier
	buffer_gl0_inv
	v_cmpx_gt_u32_e32 16, v0
	s_cbranch_execz .LBB611_72
; %bb.71:
	v_lshlrev_b32_e32 v28, 2, v0
	ds_load_b32 v29, v28
	s_waitcnt lgkmcnt(0)
	v_mov_b32_dpp v30, v29 row_shr:1 row_mask:0xf bank_mask:0xf
	s_delay_alu instid0(VALU_DEP_1) | instskip(NEXT) | instid1(VALU_DEP_1)
	v_cndmask_b32_e64 v30, v30, 0, s3
	v_add_nc_u32_e32 v29, v30, v29
	s_delay_alu instid0(VALU_DEP_1) | instskip(NEXT) | instid1(VALU_DEP_1)
	v_mov_b32_dpp v30, v29 row_shr:2 row_mask:0xf bank_mask:0xf
	v_cndmask_b32_e64 v30, 0, v30, s0
	s_delay_alu instid0(VALU_DEP_1) | instskip(NEXT) | instid1(VALU_DEP_1)
	v_add_nc_u32_e32 v29, v29, v30
	v_mov_b32_dpp v30, v29 row_shr:4 row_mask:0xf bank_mask:0xf
	s_delay_alu instid0(VALU_DEP_1) | instskip(NEXT) | instid1(VALU_DEP_1)
	v_cndmask_b32_e64 v30, 0, v30, s4
	v_add_nc_u32_e32 v29, v29, v30
	s_delay_alu instid0(VALU_DEP_1) | instskip(NEXT) | instid1(VALU_DEP_1)
	v_mov_b32_dpp v30, v29 row_shr:8 row_mask:0xf bank_mask:0xf
	v_cndmask_b32_e64 v30, 0, v30, s1
	s_delay_alu instid0(VALU_DEP_1)
	v_add_nc_u32_e32 v29, v29, v30
	ds_store_b32 v28, v29
.LBB611_72:
	s_or_b32 exec_lo, exec_lo, s7
	v_cmp_gt_u32_e32 vcc_lo, 32, v0
	s_mov_b32 s8, exec_lo
	s_waitcnt lgkmcnt(0)
	s_barrier
	buffer_gl0_inv
                                        ; implicit-def: $vgpr35
	v_cmpx_lt_u32_e32 31, v0
	s_cbranch_execz .LBB611_74
; %bb.73:
	v_lshl_add_u32 v28, v51, 2, -4
	ds_load_b32 v35, v28
	s_waitcnt lgkmcnt(0)
	v_add_nc_u32_e32 v27, v35, v27
.LBB611_74:
	s_or_b32 exec_lo, exec_lo, s8
	v_add_nc_u32_e32 v28, -1, v50
	s_delay_alu instid0(VALU_DEP_1) | instskip(NEXT) | instid1(VALU_DEP_1)
	v_cmp_gt_i32_e64 s7, 0, v28
	v_cndmask_b32_e64 v28, v28, v50, s7
	v_cmp_eq_u32_e64 s7, 0, v50
	s_delay_alu instid0(VALU_DEP_2)
	v_lshlrev_b32_e32 v28, 2, v28
	ds_bpermute_b32 v37, v28, v27
	s_and_saveexec_b32 s8, vcc_lo
	s_cbranch_execz .LBB611_97
; %bb.75:
	v_mov_b32_e32 v31, 0
	ds_load_b32 v27, v31 offset:60
	s_and_saveexec_b32 s9, s7
	s_cbranch_execz .LBB611_77
; %bb.76:
	s_add_i32 s14, s24, 32
	v_mov_b32_e32 v28, 1
	s_lshl_b64 s[14:15], s[14:15], 3
	s_delay_alu instid0(SALU_CYCLE_1)
	s_add_u32 s14, s20, s14
	s_addc_u32 s15, s21, s15
	s_waitcnt lgkmcnt(0)
	global_store_b64 v31, v[27:28], s[14:15]
.LBB611_77:
	s_or_b32 exec_lo, exec_lo, s9
	v_xad_u32 v29, v50, -1, s24
	s_mov_b32 s14, 0
	s_mov_b32 s9, exec_lo
	s_delay_alu instid0(VALU_DEP_1) | instskip(NEXT) | instid1(VALU_DEP_1)
	v_add_nc_u32_e32 v30, 32, v29
	v_lshlrev_b64 v[30:31], 3, v[30:31]
	s_delay_alu instid0(VALU_DEP_1) | instskip(NEXT) | instid1(VALU_DEP_2)
	v_add_co_u32 v33, vcc_lo, s20, v30
	v_add_co_ci_u32_e32 v34, vcc_lo, s21, v31, vcc_lo
	global_load_b64 v[31:32], v[33:34], off glc
	s_waitcnt vmcnt(0)
	v_and_b32_e32 v28, 0xff, v32
	s_delay_alu instid0(VALU_DEP_1)
	v_cmpx_eq_u16_e32 0, v28
	s_cbranch_execz .LBB611_83
; %bb.78:
	s_mov_b32 s15, 1
	.p2align	6
.LBB611_79:                             ; =>This Loop Header: Depth=1
                                        ;     Child Loop BB611_80 Depth 2
	s_delay_alu instid0(SALU_CYCLE_1)
	s_max_u32 s25, s15, 1
.LBB611_80:                             ;   Parent Loop BB611_79 Depth=1
                                        ; =>  This Inner Loop Header: Depth=2
	s_delay_alu instid0(SALU_CYCLE_1)
	s_add_i32 s25, s25, -1
	s_sleep 1
	s_cmp_eq_u32 s25, 0
	s_cbranch_scc0 .LBB611_80
; %bb.81:                               ;   in Loop: Header=BB611_79 Depth=1
	global_load_b64 v[31:32], v[33:34], off glc
	s_cmp_lt_u32 s15, 32
	s_cselect_b32 s25, -1, 0
	s_delay_alu instid0(SALU_CYCLE_1) | instskip(SKIP_3) | instid1(VALU_DEP_1)
	s_cmp_lg_u32 s25, 0
	s_addc_u32 s15, s15, 0
	s_waitcnt vmcnt(0)
	v_and_b32_e32 v28, 0xff, v32
	v_cmp_ne_u16_e32 vcc_lo, 0, v28
	s_or_b32 s14, vcc_lo, s14
	s_delay_alu instid0(SALU_CYCLE_1)
	s_and_not1_b32 exec_lo, exec_lo, s14
	s_cbranch_execnz .LBB611_79
; %bb.82:
	s_or_b32 exec_lo, exec_lo, s14
.LBB611_83:
	s_delay_alu instid0(SALU_CYCLE_1)
	s_or_b32 exec_lo, exec_lo, s9
	v_cmp_ne_u32_e32 vcc_lo, 31, v50
	v_lshlrev_b32_e64 v41, v50, -1
	v_add_nc_u32_e32 v45, 2, v50
	v_add_nc_u32_e32 v58, 16, v50
	v_add_co_ci_u32_e32 v28, vcc_lo, 0, v50, vcc_lo
	s_delay_alu instid0(VALU_DEP_1)
	v_lshlrev_b32_e32 v39, 2, v28
	v_and_b32_e32 v28, 0xff, v32
	ds_bpermute_b32 v30, v39, v31
	v_cmp_eq_u16_e32 vcc_lo, 2, v28
	v_and_or_b32 v28, vcc_lo, v41, 0x80000000
	v_cmp_gt_u32_e32 vcc_lo, 30, v50
	s_delay_alu instid0(VALU_DEP_2) | instskip(SKIP_1) | instid1(VALU_DEP_2)
	v_ctz_i32_b32_e32 v28, v28
	v_cndmask_b32_e64 v33, 0, 1, vcc_lo
	v_cmp_lt_u32_e32 vcc_lo, v50, v28
	s_waitcnt lgkmcnt(0)
	s_delay_alu instid0(VALU_DEP_2) | instskip(NEXT) | instid1(VALU_DEP_1)
	v_dual_cndmask_b32 v30, 0, v30 :: v_dual_lshlrev_b32 v33, 1, v33
	v_add_lshl_u32 v43, v33, v50, 2
	v_cmp_gt_u32_e32 vcc_lo, 28, v50
	s_delay_alu instid0(VALU_DEP_3) | instskip(SKIP_4) | instid1(VALU_DEP_1)
	v_add_nc_u32_e32 v30, v30, v31
	v_cndmask_b32_e64 v33, 0, 1, vcc_lo
	v_cmp_le_u32_e32 vcc_lo, v45, v28
	ds_bpermute_b32 v31, v43, v30
	v_lshlrev_b32_e32 v33, 2, v33
	v_add_lshl_u32 v53, v33, v50, 2
	s_waitcnt lgkmcnt(0)
	v_cndmask_b32_e32 v31, 0, v31, vcc_lo
	v_cmp_gt_u32_e32 vcc_lo, 24, v50
	s_delay_alu instid0(VALU_DEP_2) | instskip(SKIP_4) | instid1(VALU_DEP_2)
	v_add_nc_u32_e32 v30, v30, v31
	v_cndmask_b32_e64 v33, 0, 1, vcc_lo
	ds_bpermute_b32 v31, v53, v30
	v_add_nc_u32_e32 v54, 4, v50
	v_lshlrev_b32_e32 v33, 3, v33
	v_cmp_le_u32_e32 vcc_lo, v54, v28
	s_delay_alu instid0(VALU_DEP_2) | instskip(SKIP_3) | instid1(VALU_DEP_2)
	v_add_lshl_u32 v55, v33, v50, 2
	s_waitcnt lgkmcnt(0)
	v_cndmask_b32_e32 v31, 0, v31, vcc_lo
	v_cmp_gt_u32_e32 vcc_lo, 16, v50
	v_add_nc_u32_e32 v30, v30, v31
	v_cndmask_b32_e64 v33, 0, 1, vcc_lo
	ds_bpermute_b32 v31, v55, v30
	v_add_nc_u32_e32 v56, 8, v50
	v_lshlrev_b32_e32 v33, 4, v33
	s_delay_alu instid0(VALU_DEP_2) | instskip(NEXT) | instid1(VALU_DEP_2)
	v_cmp_le_u32_e32 vcc_lo, v56, v28
	v_add_lshl_u32 v57, v33, v50, 2
	s_waitcnt lgkmcnt(0)
	v_cndmask_b32_e32 v31, 0, v31, vcc_lo
	v_cmp_le_u32_e32 vcc_lo, v58, v28
	s_delay_alu instid0(VALU_DEP_2) | instskip(SKIP_3) | instid1(VALU_DEP_1)
	v_add_nc_u32_e32 v30, v30, v31
	ds_bpermute_b32 v31, v57, v30
	s_waitcnt lgkmcnt(0)
	v_cndmask_b32_e32 v28, 0, v31, vcc_lo
	v_dual_mov_b32 v30, 0 :: v_dual_add_nc_u32 v31, v30, v28
	s_branch .LBB611_85
.LBB611_84:                             ;   in Loop: Header=BB611_85 Depth=1
	s_or_b32 exec_lo, exec_lo, s9
	ds_bpermute_b32 v34, v39, v31
	v_and_b32_e32 v33, 0xff, v32
	v_subrev_nc_u32_e32 v29, 32, v29
	s_delay_alu instid0(VALU_DEP_2) | instskip(SKIP_1) | instid1(VALU_DEP_1)
	v_cmp_eq_u16_e32 vcc_lo, 2, v33
	v_and_or_b32 v33, vcc_lo, v41, 0x80000000
	v_ctz_i32_b32_e32 v33, v33
	s_delay_alu instid0(VALU_DEP_1) | instskip(SKIP_3) | instid1(VALU_DEP_2)
	v_cmp_lt_u32_e32 vcc_lo, v50, v33
	s_waitcnt lgkmcnt(0)
	v_cndmask_b32_e32 v34, 0, v34, vcc_lo
	v_cmp_le_u32_e32 vcc_lo, v45, v33
	v_add_nc_u32_e32 v31, v34, v31
	ds_bpermute_b32 v34, v43, v31
	s_waitcnt lgkmcnt(0)
	v_cndmask_b32_e32 v34, 0, v34, vcc_lo
	v_cmp_le_u32_e32 vcc_lo, v54, v33
	s_delay_alu instid0(VALU_DEP_2) | instskip(SKIP_4) | instid1(VALU_DEP_2)
	v_add_nc_u32_e32 v31, v31, v34
	ds_bpermute_b32 v34, v53, v31
	s_waitcnt lgkmcnt(0)
	v_cndmask_b32_e32 v34, 0, v34, vcc_lo
	v_cmp_le_u32_e32 vcc_lo, v56, v33
	v_add_nc_u32_e32 v31, v31, v34
	ds_bpermute_b32 v34, v55, v31
	s_waitcnt lgkmcnt(0)
	v_cndmask_b32_e32 v34, 0, v34, vcc_lo
	v_cmp_le_u32_e32 vcc_lo, v58, v33
	s_delay_alu instid0(VALU_DEP_2) | instskip(SKIP_3) | instid1(VALU_DEP_1)
	v_add_nc_u32_e32 v31, v31, v34
	ds_bpermute_b32 v34, v57, v31
	s_waitcnt lgkmcnt(0)
	v_cndmask_b32_e32 v33, 0, v34, vcc_lo
	v_add3_u32 v31, v33, v28, v31
.LBB611_85:                             ; =>This Loop Header: Depth=1
                                        ;     Child Loop BB611_88 Depth 2
                                        ;       Child Loop BB611_89 Depth 3
	v_and_b32_e32 v28, 0xff, v32
	s_delay_alu instid0(VALU_DEP_1) | instskip(SKIP_2) | instid1(VALU_DEP_1)
	v_cmp_ne_u16_e32 vcc_lo, 2, v28
	v_cndmask_b32_e64 v28, 0, 1, vcc_lo
	;;#ASMSTART
	;;#ASMEND
	v_cmp_ne_u32_e32 vcc_lo, 0, v28
	v_mov_b32_e32 v28, v31
	s_cmp_lg_u32 vcc_lo, exec_lo
	s_cbranch_scc1 .LBB611_92
; %bb.86:                               ;   in Loop: Header=BB611_85 Depth=1
	v_lshlrev_b64 v[31:32], 3, v[29:30]
	s_mov_b32 s9, exec_lo
	s_delay_alu instid0(VALU_DEP_1) | instskip(NEXT) | instid1(VALU_DEP_2)
	v_add_co_u32 v33, vcc_lo, s20, v31
	v_add_co_ci_u32_e32 v34, vcc_lo, s21, v32, vcc_lo
	global_load_b64 v[31:32], v[33:34], off glc
	s_waitcnt vmcnt(0)
	v_and_b32_e32 v59, 0xff, v32
	s_delay_alu instid0(VALU_DEP_1)
	v_cmpx_eq_u16_e32 0, v59
	s_cbranch_execz .LBB611_84
; %bb.87:                               ;   in Loop: Header=BB611_85 Depth=1
	s_mov_b32 s15, 1
	s_mov_b32 s14, 0
	.p2align	6
.LBB611_88:                             ;   Parent Loop BB611_85 Depth=1
                                        ; =>  This Loop Header: Depth=2
                                        ;       Child Loop BB611_89 Depth 3
	s_max_u32 s25, s15, 1
.LBB611_89:                             ;   Parent Loop BB611_85 Depth=1
                                        ;     Parent Loop BB611_88 Depth=2
                                        ; =>    This Inner Loop Header: Depth=3
	s_delay_alu instid0(SALU_CYCLE_1)
	s_add_i32 s25, s25, -1
	s_sleep 1
	s_cmp_eq_u32 s25, 0
	s_cbranch_scc0 .LBB611_89
; %bb.90:                               ;   in Loop: Header=BB611_88 Depth=2
	global_load_b64 v[31:32], v[33:34], off glc
	s_cmp_lt_u32 s15, 32
	s_cselect_b32 s25, -1, 0
	s_delay_alu instid0(SALU_CYCLE_1) | instskip(SKIP_3) | instid1(VALU_DEP_1)
	s_cmp_lg_u32 s25, 0
	s_addc_u32 s15, s15, 0
	s_waitcnt vmcnt(0)
	v_and_b32_e32 v59, 0xff, v32
	v_cmp_ne_u16_e32 vcc_lo, 0, v59
	s_or_b32 s14, vcc_lo, s14
	s_delay_alu instid0(SALU_CYCLE_1)
	s_and_not1_b32 exec_lo, exec_lo, s14
	s_cbranch_execnz .LBB611_88
; %bb.91:                               ;   in Loop: Header=BB611_85 Depth=1
	s_or_b32 exec_lo, exec_lo, s14
	s_branch .LBB611_84
.LBB611_92:                             ;   in Loop: Header=BB611_85 Depth=1
                                        ; implicit-def: $vgpr31
                                        ; implicit-def: $vgpr32
	s_cbranch_execz .LBB611_85
; %bb.93:
	s_and_saveexec_b32 s9, s7
	s_cbranch_execz .LBB611_95
; %bb.94:
	s_add_i32 s14, s24, 32
	s_mov_b32 s15, 0
	v_dual_mov_b32 v30, 2 :: v_dual_add_nc_u32 v29, v28, v27
	s_lshl_b64 s[14:15], s[14:15], 3
	v_mov_b32_e32 v31, 0
	s_add_u32 s14, s20, s14
	s_addc_u32 s15, s21, s15
	global_store_b64 v31, v[29:30], s[14:15]
	ds_store_b64 v31, v[27:28] offset:33792
.LBB611_95:
	s_or_b32 exec_lo, exec_lo, s9
	s_delay_alu instid0(SALU_CYCLE_1)
	s_and_b32 exec_lo, exec_lo, s2
	s_cbranch_execz .LBB611_97
; %bb.96:
	v_mov_b32_e32 v27, 0
	ds_store_b32 v27, v28 offset:60
.LBB611_97:
	s_or_b32 exec_lo, exec_lo, s8
	v_mov_b32_e32 v27, 0
	s_waitcnt lgkmcnt(0)
	s_waitcnt_vscnt null, 0x0
	s_barrier
	buffer_gl0_inv
	v_cndmask_b32_e64 v29, v37, v35, s7
	ds_load_b32 v28, v27 offset:60
	s_waitcnt lgkmcnt(0)
	s_barrier
	buffer_gl0_inv
	v_cndmask_b32_e64 v29, v29, 0, s2
	s_delay_alu instid0(VALU_DEP_1) | instskip(SKIP_2) | instid1(VALU_DEP_1)
	v_add_nc_u32_e32 v45, v28, v29
	ds_load_b64 v[27:28], v27 offset:33792
	v_add_nc_u32_e32 v43, v45, v36
	v_add_nc_u32_e32 v41, v43, v38
	s_delay_alu instid0(VALU_DEP_1) | instskip(NEXT) | instid1(VALU_DEP_1)
	v_add_nc_u32_e32 v39, v41, v40
	v_add_nc_u32_e32 v37, v39, v42
	s_waitcnt lgkmcnt(0)
	v_readfirstlane_b32 s8, v28
	s_delay_alu instid0(VALU_DEP_2) | instskip(NEXT) | instid1(VALU_DEP_1)
	v_add_nc_u32_e32 v35, v37, v44
	v_add_nc_u32_e32 v33, v35, v46
	s_delay_alu instid0(VALU_DEP_1)
	v_add_nc_u32_e32 v31, v33, v49
	v_lshrrev_b64 v[29:30], 24, v[25:26]
	s_branch .LBB611_108
.LBB611_98:
                                        ; implicit-def: $vgpr31
                                        ; implicit-def: $vgpr33
                                        ; implicit-def: $vgpr35
                                        ; implicit-def: $vgpr37
                                        ; implicit-def: $vgpr39
                                        ; implicit-def: $vgpr41
                                        ; implicit-def: $vgpr43
                                        ; implicit-def: $vgpr45
                                        ; implicit-def: $sgpr8
                                        ; implicit-def: $vgpr27
	v_lshrrev_b64 v[29:30], 24, v[25:26]
	s_and_b32 vcc_lo, exec_lo, s7
	s_cbranch_vccz .LBB611_108
; %bb.99:
	v_mov_b32_dpp v27, v52 row_shr:1 row_mask:0xf bank_mask:0xf
	s_delay_alu instid0(VALU_DEP_1) | instskip(NEXT) | instid1(VALU_DEP_1)
	v_cndmask_b32_e64 v27, v27, 0, s3
	v_add_nc_u32_e32 v27, v27, v52
	s_delay_alu instid0(VALU_DEP_1) | instskip(NEXT) | instid1(VALU_DEP_1)
	v_mov_b32_dpp v28, v27 row_shr:2 row_mask:0xf bank_mask:0xf
	v_cndmask_b32_e64 v28, 0, v28, s0
	s_delay_alu instid0(VALU_DEP_1) | instskip(NEXT) | instid1(VALU_DEP_1)
	v_add_nc_u32_e32 v27, v27, v28
	v_mov_b32_dpp v28, v27 row_shr:4 row_mask:0xf bank_mask:0xf
	s_delay_alu instid0(VALU_DEP_1) | instskip(NEXT) | instid1(VALU_DEP_1)
	v_cndmask_b32_e64 v28, 0, v28, s4
	v_add_nc_u32_e32 v27, v27, v28
	s_delay_alu instid0(VALU_DEP_1) | instskip(NEXT) | instid1(VALU_DEP_1)
	v_mov_b32_dpp v28, v27 row_shr:8 row_mask:0xf bank_mask:0xf
	v_cndmask_b32_e64 v28, 0, v28, s1
	s_delay_alu instid0(VALU_DEP_1) | instskip(SKIP_3) | instid1(VALU_DEP_1)
	v_add_nc_u32_e32 v27, v27, v28
	ds_swizzle_b32 v28, v27 offset:swizzle(BROADCAST,32,15)
	s_waitcnt lgkmcnt(0)
	v_cndmask_b32_e64 v28, v28, 0, s6
	v_add_nc_u32_e32 v27, v27, v28
	s_and_saveexec_b32 s6, s5
	s_cbranch_execz .LBB611_101
; %bb.100:
	v_lshlrev_b32_e32 v28, 2, v51
	ds_store_b32 v28, v27
.LBB611_101:
	s_or_b32 exec_lo, exec_lo, s6
	s_delay_alu instid0(SALU_CYCLE_1)
	s_mov_b32 s5, exec_lo
	s_waitcnt lgkmcnt(0)
	s_barrier
	buffer_gl0_inv
	v_cmpx_gt_u32_e32 16, v0
	s_cbranch_execz .LBB611_103
; %bb.102:
	v_lshlrev_b32_e32 v28, 2, v0
	ds_load_b32 v30, v28
	s_waitcnt lgkmcnt(0)
	v_mov_b32_dpp v31, v30 row_shr:1 row_mask:0xf bank_mask:0xf
	s_delay_alu instid0(VALU_DEP_1) | instskip(NEXT) | instid1(VALU_DEP_1)
	v_cndmask_b32_e64 v31, v31, 0, s3
	v_add_nc_u32_e32 v30, v31, v30
	s_delay_alu instid0(VALU_DEP_1) | instskip(NEXT) | instid1(VALU_DEP_1)
	v_mov_b32_dpp v31, v30 row_shr:2 row_mask:0xf bank_mask:0xf
	v_cndmask_b32_e64 v31, 0, v31, s0
	s_delay_alu instid0(VALU_DEP_1) | instskip(NEXT) | instid1(VALU_DEP_1)
	v_add_nc_u32_e32 v30, v30, v31
	v_mov_b32_dpp v31, v30 row_shr:4 row_mask:0xf bank_mask:0xf
	s_delay_alu instid0(VALU_DEP_1) | instskip(NEXT) | instid1(VALU_DEP_1)
	v_cndmask_b32_e64 v31, 0, v31, s4
	v_add_nc_u32_e32 v30, v30, v31
	s_delay_alu instid0(VALU_DEP_1) | instskip(NEXT) | instid1(VALU_DEP_1)
	v_mov_b32_dpp v31, v30 row_shr:8 row_mask:0xf bank_mask:0xf
	v_cndmask_b32_e64 v31, 0, v31, s1
	s_delay_alu instid0(VALU_DEP_1)
	v_add_nc_u32_e32 v30, v30, v31
	ds_store_b32 v28, v30
.LBB611_103:
	s_or_b32 exec_lo, exec_lo, s5
	v_mov_b32_e32 v28, 0
	v_mov_b32_e32 v30, 0
	s_mov_b32 s0, exec_lo
	s_waitcnt lgkmcnt(0)
	s_barrier
	buffer_gl0_inv
	v_cmpx_lt_u32_e32 31, v0
	s_cbranch_execz .LBB611_105
; %bb.104:
	v_lshl_add_u32 v30, v51, 2, -4
	ds_load_b32 v30, v30
.LBB611_105:
	s_or_b32 exec_lo, exec_lo, s0
	v_add_nc_u32_e32 v31, -1, v50
	s_waitcnt lgkmcnt(0)
	v_add_nc_u32_e32 v27, v30, v27
	s_mov_b32 s8, 0
	s_delay_alu instid0(VALU_DEP_2) | instskip(SKIP_1) | instid1(VALU_DEP_1)
	v_cmp_gt_i32_e32 vcc_lo, 0, v31
	v_cndmask_b32_e32 v31, v31, v50, vcc_lo
	v_lshlrev_b32_e32 v31, 2, v31
	ds_bpermute_b32 v31, v31, v27
	ds_load_b32 v27, v28 offset:60
	s_and_saveexec_b32 s0, s2
	s_cbranch_execz .LBB611_107
; %bb.106:
	v_mov_b32_e32 v32, 0
	v_mov_b32_e32 v28, 2
	s_waitcnt lgkmcnt(0)
	global_store_b64 v32, v[27:28], s[20:21] offset:256
.LBB611_107:
	s_or_b32 exec_lo, exec_lo, s0
	v_cmp_eq_u32_e32 vcc_lo, 0, v50
	s_waitcnt lgkmcnt(0)
	s_waitcnt_vscnt null, 0x0
	s_barrier
	buffer_gl0_inv
	v_cndmask_b32_e32 v28, v31, v30, vcc_lo
	s_delay_alu instid0(VALU_DEP_1) | instskip(NEXT) | instid1(VALU_DEP_1)
	v_cndmask_b32_e64 v45, v28, 0, s2
	v_add_nc_u32_e32 v43, v45, v36
	s_delay_alu instid0(VALU_DEP_1) | instskip(NEXT) | instid1(VALU_DEP_1)
	v_add_nc_u32_e32 v41, v43, v38
	v_add_nc_u32_e32 v39, v41, v40
	s_delay_alu instid0(VALU_DEP_1) | instskip(NEXT) | instid1(VALU_DEP_1)
	v_add_nc_u32_e32 v37, v39, v42
	;; [unrolled: 3-line block ×3, first 2 shown]
	v_add_nc_u32_e32 v31, v33, v49
.LBB611_108:
	v_add_nc_u32_e32 v51, s8, v27
	v_cmp_gt_u32_e64 s0, 0x201, v27
	v_lshrrev_b32_e32 v50, 8, v25
	v_lshrrev_b32_e32 v49, 16, v25
	;; [unrolled: 1-line block ×4, first 2 shown]
	v_cmp_lt_u32_e64 s1, v45, v51
	s_and_b32 vcc_lo, exec_lo, s0
	s_mov_b32 s3, -1
	s_cbranch_vccz .LBB611_134
; %bb.109:
	s_lshl_b64 s[4:5], s[10:11], 3
	s_delay_alu instid0(SALU_CYCLE_1) | instskip(SKIP_2) | instid1(SALU_CYCLE_1)
	s_add_u32 s3, s16, s4
	s_addc_u32 s4, s17, s5
	s_or_b32 s5, s23, s1
	s_and_saveexec_b32 s1, s5
	s_cbranch_execz .LBB611_112
; %bb.110:
	v_and_b32_e32 v32, 1, v25
	s_delay_alu instid0(VALU_DEP_1)
	v_cmp_eq_u32_e32 vcc_lo, 1, v32
	s_and_b32 exec_lo, exec_lo, vcc_lo
	s_cbranch_execz .LBB611_112
; %bb.111:
	v_mov_b32_e32 v46, 0
	s_delay_alu instid0(VALU_DEP_1) | instskip(NEXT) | instid1(VALU_DEP_1)
	v_lshlrev_b64 v[52:53], 3, v[45:46]
	v_add_co_u32 v52, vcc_lo, s3, v52
	s_delay_alu instid0(VALU_DEP_2)
	v_add_co_ci_u32_e32 v53, vcc_lo, s4, v53, vcc_lo
	global_store_b64 v[52:53], v[13:14], off
.LBB611_112:
	s_or_b32 exec_lo, exec_lo, s1
	v_cmp_lt_u32_e32 vcc_lo, v43, v51
	s_or_b32 s5, s23, vcc_lo
	s_delay_alu instid0(SALU_CYCLE_1)
	s_and_saveexec_b32 s1, s5
	s_cbranch_execz .LBB611_115
; %bb.113:
	v_and_b32_e32 v32, 1, v50
	s_delay_alu instid0(VALU_DEP_1)
	v_cmp_eq_u32_e32 vcc_lo, 1, v32
	s_and_b32 exec_lo, exec_lo, vcc_lo
	s_cbranch_execz .LBB611_115
; %bb.114:
	v_mov_b32_e32 v44, 0
	s_delay_alu instid0(VALU_DEP_1) | instskip(NEXT) | instid1(VALU_DEP_1)
	v_lshlrev_b64 v[52:53], 3, v[43:44]
	v_add_co_u32 v52, vcc_lo, s3, v52
	s_delay_alu instid0(VALU_DEP_2)
	v_add_co_ci_u32_e32 v53, vcc_lo, s4, v53, vcc_lo
	global_store_b64 v[52:53], v[15:16], off
.LBB611_115:
	s_or_b32 exec_lo, exec_lo, s1
	v_cmp_lt_u32_e32 vcc_lo, v41, v51
	s_or_b32 s5, s23, vcc_lo
	s_delay_alu instid0(SALU_CYCLE_1)
	;; [unrolled: 21-line block ×7, first 2 shown]
	s_and_saveexec_b32 s1, s5
	s_cbranch_execz .LBB611_133
; %bb.131:
	v_and_b32_e32 v32, 1, v48
	s_delay_alu instid0(VALU_DEP_1)
	v_cmp_eq_u32_e32 vcc_lo, 1, v32
	s_and_b32 exec_lo, exec_lo, vcc_lo
	s_cbranch_execz .LBB611_133
; %bb.132:
	v_mov_b32_e32 v32, 0
	s_delay_alu instid0(VALU_DEP_1) | instskip(NEXT) | instid1(VALU_DEP_1)
	v_lshlrev_b64 v[52:53], 3, v[31:32]
	v_add_co_u32 v52, vcc_lo, s3, v52
	s_delay_alu instid0(VALU_DEP_2)
	v_add_co_ci_u32_e32 v53, vcc_lo, s4, v53, vcc_lo
	global_store_b64 v[52:53], v[3:4], off
.LBB611_133:
	s_or_b32 exec_lo, exec_lo, s1
	s_mov_b32 s3, 0
.LBB611_134:
	v_and_b32_e32 v25, 1, v25
	s_and_b32 vcc_lo, exec_lo, s3
	s_delay_alu instid0(VALU_DEP_1)
	v_cmp_eq_u32_e64 s1, 1, v25
	s_cbranch_vccz .LBB611_155
; %bb.135:
	s_delay_alu instid0(VALU_DEP_1)
	s_and_saveexec_b32 s3, s1
	s_cbranch_execz .LBB611_137
; %bb.136:
	v_subrev_nc_u32_e32 v32, s8, v45
	s_delay_alu instid0(VALU_DEP_1)
	v_lshlrev_b32_e32 v32, 3, v32
	ds_store_b64 v32, v[13:14]
.LBB611_137:
	s_or_b32 exec_lo, exec_lo, s3
	v_and_b32_e32 v13, 1, v50
	s_mov_b32 s1, exec_lo
	s_delay_alu instid0(VALU_DEP_1)
	v_cmpx_eq_u32_e32 1, v13
	s_cbranch_execz .LBB611_139
; %bb.138:
	v_subrev_nc_u32_e32 v13, s8, v43
	s_delay_alu instid0(VALU_DEP_1)
	v_lshlrev_b32_e32 v13, 3, v13
	ds_store_b64 v13, v[15:16]
.LBB611_139:
	s_or_b32 exec_lo, exec_lo, s1
	v_and_b32_e32 v13, 1, v49
	s_mov_b32 s1, exec_lo
	s_delay_alu instid0(VALU_DEP_1)
	v_cmpx_eq_u32_e32 1, v13
	;; [unrolled: 12-line block ×7, first 2 shown]
	s_cbranch_execz .LBB611_151
; %bb.150:
	v_subrev_nc_u32_e32 v1, s8, v31
	s_delay_alu instid0(VALU_DEP_1)
	v_lshlrev_b32_e32 v1, 3, v1
	ds_store_b64 v1, v[3:4]
.LBB611_151:
	s_or_b32 exec_lo, exec_lo, s1
	s_delay_alu instid0(SALU_CYCLE_1)
	s_mov_b32 s3, exec_lo
	s_waitcnt lgkmcnt(0)
	s_waitcnt_vscnt null, 0x0
	s_barrier
	buffer_gl0_inv
	v_cmpx_lt_u32_e64 v0, v27
	s_cbranch_execz .LBB611_154
; %bb.152:
	s_mov_b32 s9, 0
	s_lshl_b64 s[4:5], s[10:11], 3
	s_lshl_b64 s[6:7], s[8:9], 3
	v_mov_b32_e32 v3, v0
	s_add_u32 s1, s4, s6
	s_addc_u32 s4, s5, s7
	s_add_u32 s1, s16, s1
	s_addc_u32 s4, s17, s4
	v_add_co_u32 v1, s1, s1, v47
	s_delay_alu instid0(VALU_DEP_1)
	v_add_co_ci_u32_e64 v2, null, s4, 0, s1
	.p2align	6
.LBB611_153:                            ; =>This Inner Loop Header: Depth=1
	ds_load_b64 v[4:5], v47
	v_add_nc_u32_e32 v3, 0x200, v3
	v_add_nc_u32_e32 v47, 0x1000, v47
	s_delay_alu instid0(VALU_DEP_2) | instskip(SKIP_4) | instid1(VALU_DEP_1)
	v_cmp_ge_u32_e32 vcc_lo, v3, v27
	s_or_b32 s9, vcc_lo, s9
	s_waitcnt lgkmcnt(0)
	global_store_b64 v[1:2], v[4:5], off
	v_add_co_u32 v1, s1, 0x1000, v1
	v_add_co_ci_u32_e64 v2, s1, 0, v2, s1
	s_and_not1_b32 exec_lo, exec_lo, s9
	s_cbranch_execnz .LBB611_153
.LBB611_154:
	s_or_b32 exec_lo, exec_lo, s3
.LBB611_155:
	s_delay_alu instid0(SALU_CYCLE_1)
	s_and_b32 vcc_lo, exec_lo, s0
	s_mov_b32 s0, -1
	s_waitcnt_vscnt null, 0x0
	s_barrier
	buffer_gl0_inv
	s_cbranch_vccz .LBB611_183
; %bb.156:
	v_cmp_lt_u32_e32 vcc_lo, v45, v51
	s_lshl_b64 s[0:1], s[10:11], 2
	s_delay_alu instid0(SALU_CYCLE_1) | instskip(SKIP_2) | instid1(SALU_CYCLE_1)
	s_add_u32 s0, s18, s0
	s_addc_u32 s1, s19, s1
	s_or_b32 s4, s23, vcc_lo
	s_and_saveexec_b32 s3, s4
	s_cbranch_execz .LBB611_159
; %bb.157:
	v_cmp_eq_u32_e32 vcc_lo, 1, v25
	s_and_b32 exec_lo, exec_lo, vcc_lo
	s_cbranch_execz .LBB611_159
; %bb.158:
	v_mov_b32_e32 v46, 0
	s_delay_alu instid0(VALU_DEP_1) | instskip(NEXT) | instid1(VALU_DEP_1)
	v_lshlrev_b64 v[1:2], 2, v[45:46]
	v_add_co_u32 v1, vcc_lo, s0, v1
	s_delay_alu instid0(VALU_DEP_2)
	v_add_co_ci_u32_e32 v2, vcc_lo, s1, v2, vcc_lo
	global_store_b32 v[1:2], v23, off
.LBB611_159:
	s_or_b32 exec_lo, exec_lo, s3
	v_cmp_lt_u32_e32 vcc_lo, v43, v51
	s_or_b32 s4, s23, vcc_lo
	s_delay_alu instid0(SALU_CYCLE_1)
	s_and_saveexec_b32 s3, s4
	s_cbranch_execz .LBB611_162
; %bb.160:
	v_and_b32_e32 v1, 1, v50
	s_delay_alu instid0(VALU_DEP_1)
	v_cmp_eq_u32_e32 vcc_lo, 1, v1
	s_and_b32 exec_lo, exec_lo, vcc_lo
	s_cbranch_execz .LBB611_162
; %bb.161:
	v_mov_b32_e32 v44, 0
	s_delay_alu instid0(VALU_DEP_1) | instskip(NEXT) | instid1(VALU_DEP_1)
	v_lshlrev_b64 v[1:2], 2, v[43:44]
	v_add_co_u32 v1, vcc_lo, s0, v1
	s_delay_alu instid0(VALU_DEP_2)
	v_add_co_ci_u32_e32 v2, vcc_lo, s1, v2, vcc_lo
	global_store_b32 v[1:2], v24, off
.LBB611_162:
	s_or_b32 exec_lo, exec_lo, s3
	v_cmp_lt_u32_e32 vcc_lo, v41, v51
	s_or_b32 s4, s23, vcc_lo
	s_delay_alu instid0(SALU_CYCLE_1)
	s_and_saveexec_b32 s3, s4
	s_cbranch_execz .LBB611_165
; %bb.163:
	v_and_b32_e32 v1, 1, v49
	s_delay_alu instid0(VALU_DEP_1)
	v_cmp_eq_u32_e32 vcc_lo, 1, v1
	s_and_b32 exec_lo, exec_lo, vcc_lo
	s_cbranch_execz .LBB611_165
; %bb.164:
	v_mov_b32_e32 v42, 0
	s_delay_alu instid0(VALU_DEP_1) | instskip(NEXT) | instid1(VALU_DEP_1)
	v_lshlrev_b64 v[1:2], 2, v[41:42]
	v_add_co_u32 v1, vcc_lo, s0, v1
	s_delay_alu instid0(VALU_DEP_2)
	v_add_co_ci_u32_e32 v2, vcc_lo, s1, v2, vcc_lo
	global_store_b32 v[1:2], v21, off
.LBB611_165:
	;; [unrolled: 21-line block ×7, first 2 shown]
	s_or_b32 exec_lo, exec_lo, s3
.LBB611_181:
	s_and_b32 s0, s2, s22
	s_delay_alu instid0(SALU_CYCLE_1)
	s_and_saveexec_b32 s1, s0
	s_cbranch_execz .LBB611_204
.LBB611_182:
	v_add_co_u32 v0, s0, s10, v27
	s_delay_alu instid0(VALU_DEP_1) | instskip(SKIP_1) | instid1(VALU_DEP_3)
	v_add_co_ci_u32_e64 v1, null, s11, 0, s0
	v_mov_b32_e32 v2, 0
	v_add_co_u32 v0, vcc_lo, v0, s8
	s_delay_alu instid0(VALU_DEP_3)
	v_add_co_ci_u32_e32 v1, vcc_lo, 0, v1, vcc_lo
	global_store_b64 v2, v[0:1], s[12:13]
	s_nop 0
	s_sendmsg sendmsg(MSG_DEALLOC_VGPRS)
	s_endpgm
.LBB611_183:
	s_and_b32 vcc_lo, exec_lo, s0
	s_cbranch_vccz .LBB611_181
; %bb.184:
	s_mov_b32 s0, exec_lo
	v_cmpx_eq_u32_e32 1, v25
	s_cbranch_execz .LBB611_186
; %bb.185:
	v_subrev_nc_u32_e32 v1, s8, v45
	s_delay_alu instid0(VALU_DEP_1)
	v_lshlrev_b32_e32 v1, 2, v1
	ds_store_b32 v1, v23
.LBB611_186:
	s_or_b32 exec_lo, exec_lo, s0
	v_and_b32_e32 v1, 1, v50
	s_mov_b32 s0, exec_lo
	s_delay_alu instid0(VALU_DEP_1)
	v_cmpx_eq_u32_e32 1, v1
	s_cbranch_execz .LBB611_188
; %bb.187:
	v_subrev_nc_u32_e32 v1, s8, v43
	s_delay_alu instid0(VALU_DEP_1)
	v_lshlrev_b32_e32 v1, 2, v1
	ds_store_b32 v1, v24
.LBB611_188:
	s_or_b32 exec_lo, exec_lo, s0
	v_and_b32_e32 v1, 1, v49
	s_mov_b32 s0, exec_lo
	s_delay_alu instid0(VALU_DEP_1)
	;; [unrolled: 12-line block ×7, first 2 shown]
	v_cmpx_eq_u32_e32 1, v1
	s_cbranch_execz .LBB611_200
; %bb.199:
	v_subrev_nc_u32_e32 v1, s8, v31
	s_delay_alu instid0(VALU_DEP_1)
	v_lshlrev_b32_e32 v1, 2, v1
	ds_store_b32 v1, v18
.LBB611_200:
	s_or_b32 exec_lo, exec_lo, s0
	s_delay_alu instid0(SALU_CYCLE_1)
	s_mov_b32 s1, exec_lo
	s_waitcnt lgkmcnt(0)
	s_waitcnt_vscnt null, 0x0
	s_barrier
	buffer_gl0_inv
	v_cmpx_lt_u32_e64 v0, v27
	s_cbranch_execz .LBB611_203
; %bb.201:
	s_mov_b32 s9, 0
	s_lshl_b64 s[4:5], s[10:11], 2
	s_lshl_b64 s[6:7], s[8:9], 2
	v_lshlrev_b32_e32 v3, 2, v0
	s_add_u32 s0, s4, s6
	s_addc_u32 s3, s5, s7
	s_add_u32 s0, s18, s0
	s_addc_u32 s3, s19, s3
	v_add_co_u32 v1, s0, s0, v3
	s_delay_alu instid0(VALU_DEP_1)
	v_add_co_ci_u32_e64 v2, null, s3, 0, s0
	.p2align	6
.LBB611_202:                            ; =>This Inner Loop Header: Depth=1
	ds_load_b32 v4, v3
	v_add_nc_u32_e32 v0, 0x200, v0
	v_add_nc_u32_e32 v3, 0x800, v3
	s_delay_alu instid0(VALU_DEP_2) | instskip(SKIP_4) | instid1(VALU_DEP_1)
	v_cmp_ge_u32_e32 vcc_lo, v0, v27
	s_or_b32 s9, vcc_lo, s9
	s_waitcnt lgkmcnt(0)
	global_store_b32 v[1:2], v4, off
	v_add_co_u32 v1, s0, 0x800, v1
	v_add_co_ci_u32_e64 v2, s0, 0, v2, s0
	s_and_not1_b32 exec_lo, exec_lo, s9
	s_cbranch_execnz .LBB611_202
.LBB611_203:
	s_or_b32 exec_lo, exec_lo, s1
	s_and_b32 s0, s2, s22
	s_delay_alu instid0(SALU_CYCLE_1)
	s_and_saveexec_b32 s1, s0
	s_cbranch_execnz .LBB611_182
.LBB611_204:
	s_nop 0
	s_sendmsg sendmsg(MSG_DEALLOC_VGPRS)
	s_endpgm
	.section	.rodata,"a",@progbits
	.p2align	6, 0x0
	.amdhsa_kernel _ZN7rocprim17ROCPRIM_400000_NS6detail17trampoline_kernelINS0_14default_configENS1_25partition_config_selectorILNS1_17partition_subalgoE9ExjbEEZZNS1_14partition_implILS5_9ELb0ES3_jN6thrust23THRUST_200600_302600_NS6detail15normal_iteratorINS9_10device_ptrIxEEEENSB_INSC_IjEEEEPNS0_10empty_typeENS0_5tupleIJSE_SH_EEENSJ_IJSG_SI_EEENS0_18inequality_wrapperINS9_8equal_toIxEEEEPmJSH_EEE10hipError_tPvRmT3_T4_T5_T6_T7_T9_mT8_P12ihipStream_tbDpT10_ENKUlT_T0_E_clISt17integral_constantIbLb1EES1A_EEDaS15_S16_EUlS15_E_NS1_11comp_targetILNS1_3genE9ELNS1_11target_archE1100ELNS1_3gpuE3ELNS1_3repE0EEENS1_30default_config_static_selectorELNS0_4arch9wavefront6targetE0EEEvT1_
		.amdhsa_group_segment_fixed_size 33800
		.amdhsa_private_segment_fixed_size 0
		.amdhsa_kernarg_size 128
		.amdhsa_user_sgpr_count 15
		.amdhsa_user_sgpr_dispatch_ptr 0
		.amdhsa_user_sgpr_queue_ptr 0
		.amdhsa_user_sgpr_kernarg_segment_ptr 1
		.amdhsa_user_sgpr_dispatch_id 0
		.amdhsa_user_sgpr_private_segment_size 0
		.amdhsa_wavefront_size32 1
		.amdhsa_uses_dynamic_stack 0
		.amdhsa_enable_private_segment 0
		.amdhsa_system_sgpr_workgroup_id_x 1
		.amdhsa_system_sgpr_workgroup_id_y 0
		.amdhsa_system_sgpr_workgroup_id_z 0
		.amdhsa_system_sgpr_workgroup_info 0
		.amdhsa_system_vgpr_workitem_id 0
		.amdhsa_next_free_vgpr 60
		.amdhsa_next_free_sgpr 30
		.amdhsa_reserve_vcc 1
		.amdhsa_float_round_mode_32 0
		.amdhsa_float_round_mode_16_64 0
		.amdhsa_float_denorm_mode_32 3
		.amdhsa_float_denorm_mode_16_64 3
		.amdhsa_dx10_clamp 1
		.amdhsa_ieee_mode 1
		.amdhsa_fp16_overflow 0
		.amdhsa_workgroup_processor_mode 1
		.amdhsa_memory_ordered 1
		.amdhsa_forward_progress 0
		.amdhsa_shared_vgpr_count 0
		.amdhsa_exception_fp_ieee_invalid_op 0
		.amdhsa_exception_fp_denorm_src 0
		.amdhsa_exception_fp_ieee_div_zero 0
		.amdhsa_exception_fp_ieee_overflow 0
		.amdhsa_exception_fp_ieee_underflow 0
		.amdhsa_exception_fp_ieee_inexact 0
		.amdhsa_exception_int_div_zero 0
	.end_amdhsa_kernel
	.section	.text._ZN7rocprim17ROCPRIM_400000_NS6detail17trampoline_kernelINS0_14default_configENS1_25partition_config_selectorILNS1_17partition_subalgoE9ExjbEEZZNS1_14partition_implILS5_9ELb0ES3_jN6thrust23THRUST_200600_302600_NS6detail15normal_iteratorINS9_10device_ptrIxEEEENSB_INSC_IjEEEEPNS0_10empty_typeENS0_5tupleIJSE_SH_EEENSJ_IJSG_SI_EEENS0_18inequality_wrapperINS9_8equal_toIxEEEEPmJSH_EEE10hipError_tPvRmT3_T4_T5_T6_T7_T9_mT8_P12ihipStream_tbDpT10_ENKUlT_T0_E_clISt17integral_constantIbLb1EES1A_EEDaS15_S16_EUlS15_E_NS1_11comp_targetILNS1_3genE9ELNS1_11target_archE1100ELNS1_3gpuE3ELNS1_3repE0EEENS1_30default_config_static_selectorELNS0_4arch9wavefront6targetE0EEEvT1_,"axG",@progbits,_ZN7rocprim17ROCPRIM_400000_NS6detail17trampoline_kernelINS0_14default_configENS1_25partition_config_selectorILNS1_17partition_subalgoE9ExjbEEZZNS1_14partition_implILS5_9ELb0ES3_jN6thrust23THRUST_200600_302600_NS6detail15normal_iteratorINS9_10device_ptrIxEEEENSB_INSC_IjEEEEPNS0_10empty_typeENS0_5tupleIJSE_SH_EEENSJ_IJSG_SI_EEENS0_18inequality_wrapperINS9_8equal_toIxEEEEPmJSH_EEE10hipError_tPvRmT3_T4_T5_T6_T7_T9_mT8_P12ihipStream_tbDpT10_ENKUlT_T0_E_clISt17integral_constantIbLb1EES1A_EEDaS15_S16_EUlS15_E_NS1_11comp_targetILNS1_3genE9ELNS1_11target_archE1100ELNS1_3gpuE3ELNS1_3repE0EEENS1_30default_config_static_selectorELNS0_4arch9wavefront6targetE0EEEvT1_,comdat
.Lfunc_end611:
	.size	_ZN7rocprim17ROCPRIM_400000_NS6detail17trampoline_kernelINS0_14default_configENS1_25partition_config_selectorILNS1_17partition_subalgoE9ExjbEEZZNS1_14partition_implILS5_9ELb0ES3_jN6thrust23THRUST_200600_302600_NS6detail15normal_iteratorINS9_10device_ptrIxEEEENSB_INSC_IjEEEEPNS0_10empty_typeENS0_5tupleIJSE_SH_EEENSJ_IJSG_SI_EEENS0_18inequality_wrapperINS9_8equal_toIxEEEEPmJSH_EEE10hipError_tPvRmT3_T4_T5_T6_T7_T9_mT8_P12ihipStream_tbDpT10_ENKUlT_T0_E_clISt17integral_constantIbLb1EES1A_EEDaS15_S16_EUlS15_E_NS1_11comp_targetILNS1_3genE9ELNS1_11target_archE1100ELNS1_3gpuE3ELNS1_3repE0EEENS1_30default_config_static_selectorELNS0_4arch9wavefront6targetE0EEEvT1_, .Lfunc_end611-_ZN7rocprim17ROCPRIM_400000_NS6detail17trampoline_kernelINS0_14default_configENS1_25partition_config_selectorILNS1_17partition_subalgoE9ExjbEEZZNS1_14partition_implILS5_9ELb0ES3_jN6thrust23THRUST_200600_302600_NS6detail15normal_iteratorINS9_10device_ptrIxEEEENSB_INSC_IjEEEEPNS0_10empty_typeENS0_5tupleIJSE_SH_EEENSJ_IJSG_SI_EEENS0_18inequality_wrapperINS9_8equal_toIxEEEEPmJSH_EEE10hipError_tPvRmT3_T4_T5_T6_T7_T9_mT8_P12ihipStream_tbDpT10_ENKUlT_T0_E_clISt17integral_constantIbLb1EES1A_EEDaS15_S16_EUlS15_E_NS1_11comp_targetILNS1_3genE9ELNS1_11target_archE1100ELNS1_3gpuE3ELNS1_3repE0EEENS1_30default_config_static_selectorELNS0_4arch9wavefront6targetE0EEEvT1_
                                        ; -- End function
	.section	.AMDGPU.csdata,"",@progbits
; Kernel info:
; codeLenInByte = 9516
; NumSgprs: 32
; NumVgprs: 60
; ScratchSize: 0
; MemoryBound: 0
; FloatMode: 240
; IeeeMode: 1
; LDSByteSize: 33800 bytes/workgroup (compile time only)
; SGPRBlocks: 3
; VGPRBlocks: 7
; NumSGPRsForWavesPerEU: 32
; NumVGPRsForWavesPerEU: 60
; Occupancy: 12
; WaveLimiterHint : 1
; COMPUTE_PGM_RSRC2:SCRATCH_EN: 0
; COMPUTE_PGM_RSRC2:USER_SGPR: 15
; COMPUTE_PGM_RSRC2:TRAP_HANDLER: 0
; COMPUTE_PGM_RSRC2:TGID_X_EN: 1
; COMPUTE_PGM_RSRC2:TGID_Y_EN: 0
; COMPUTE_PGM_RSRC2:TGID_Z_EN: 0
; COMPUTE_PGM_RSRC2:TIDIG_COMP_CNT: 0
	.section	.text._ZN7rocprim17ROCPRIM_400000_NS6detail17trampoline_kernelINS0_14default_configENS1_25partition_config_selectorILNS1_17partition_subalgoE9ExjbEEZZNS1_14partition_implILS5_9ELb0ES3_jN6thrust23THRUST_200600_302600_NS6detail15normal_iteratorINS9_10device_ptrIxEEEENSB_INSC_IjEEEEPNS0_10empty_typeENS0_5tupleIJSE_SH_EEENSJ_IJSG_SI_EEENS0_18inequality_wrapperINS9_8equal_toIxEEEEPmJSH_EEE10hipError_tPvRmT3_T4_T5_T6_T7_T9_mT8_P12ihipStream_tbDpT10_ENKUlT_T0_E_clISt17integral_constantIbLb1EES1A_EEDaS15_S16_EUlS15_E_NS1_11comp_targetILNS1_3genE8ELNS1_11target_archE1030ELNS1_3gpuE2ELNS1_3repE0EEENS1_30default_config_static_selectorELNS0_4arch9wavefront6targetE0EEEvT1_,"axG",@progbits,_ZN7rocprim17ROCPRIM_400000_NS6detail17trampoline_kernelINS0_14default_configENS1_25partition_config_selectorILNS1_17partition_subalgoE9ExjbEEZZNS1_14partition_implILS5_9ELb0ES3_jN6thrust23THRUST_200600_302600_NS6detail15normal_iteratorINS9_10device_ptrIxEEEENSB_INSC_IjEEEEPNS0_10empty_typeENS0_5tupleIJSE_SH_EEENSJ_IJSG_SI_EEENS0_18inequality_wrapperINS9_8equal_toIxEEEEPmJSH_EEE10hipError_tPvRmT3_T4_T5_T6_T7_T9_mT8_P12ihipStream_tbDpT10_ENKUlT_T0_E_clISt17integral_constantIbLb1EES1A_EEDaS15_S16_EUlS15_E_NS1_11comp_targetILNS1_3genE8ELNS1_11target_archE1030ELNS1_3gpuE2ELNS1_3repE0EEENS1_30default_config_static_selectorELNS0_4arch9wavefront6targetE0EEEvT1_,comdat
	.protected	_ZN7rocprim17ROCPRIM_400000_NS6detail17trampoline_kernelINS0_14default_configENS1_25partition_config_selectorILNS1_17partition_subalgoE9ExjbEEZZNS1_14partition_implILS5_9ELb0ES3_jN6thrust23THRUST_200600_302600_NS6detail15normal_iteratorINS9_10device_ptrIxEEEENSB_INSC_IjEEEEPNS0_10empty_typeENS0_5tupleIJSE_SH_EEENSJ_IJSG_SI_EEENS0_18inequality_wrapperINS9_8equal_toIxEEEEPmJSH_EEE10hipError_tPvRmT3_T4_T5_T6_T7_T9_mT8_P12ihipStream_tbDpT10_ENKUlT_T0_E_clISt17integral_constantIbLb1EES1A_EEDaS15_S16_EUlS15_E_NS1_11comp_targetILNS1_3genE8ELNS1_11target_archE1030ELNS1_3gpuE2ELNS1_3repE0EEENS1_30default_config_static_selectorELNS0_4arch9wavefront6targetE0EEEvT1_ ; -- Begin function _ZN7rocprim17ROCPRIM_400000_NS6detail17trampoline_kernelINS0_14default_configENS1_25partition_config_selectorILNS1_17partition_subalgoE9ExjbEEZZNS1_14partition_implILS5_9ELb0ES3_jN6thrust23THRUST_200600_302600_NS6detail15normal_iteratorINS9_10device_ptrIxEEEENSB_INSC_IjEEEEPNS0_10empty_typeENS0_5tupleIJSE_SH_EEENSJ_IJSG_SI_EEENS0_18inequality_wrapperINS9_8equal_toIxEEEEPmJSH_EEE10hipError_tPvRmT3_T4_T5_T6_T7_T9_mT8_P12ihipStream_tbDpT10_ENKUlT_T0_E_clISt17integral_constantIbLb1EES1A_EEDaS15_S16_EUlS15_E_NS1_11comp_targetILNS1_3genE8ELNS1_11target_archE1030ELNS1_3gpuE2ELNS1_3repE0EEENS1_30default_config_static_selectorELNS0_4arch9wavefront6targetE0EEEvT1_
	.globl	_ZN7rocprim17ROCPRIM_400000_NS6detail17trampoline_kernelINS0_14default_configENS1_25partition_config_selectorILNS1_17partition_subalgoE9ExjbEEZZNS1_14partition_implILS5_9ELb0ES3_jN6thrust23THRUST_200600_302600_NS6detail15normal_iteratorINS9_10device_ptrIxEEEENSB_INSC_IjEEEEPNS0_10empty_typeENS0_5tupleIJSE_SH_EEENSJ_IJSG_SI_EEENS0_18inequality_wrapperINS9_8equal_toIxEEEEPmJSH_EEE10hipError_tPvRmT3_T4_T5_T6_T7_T9_mT8_P12ihipStream_tbDpT10_ENKUlT_T0_E_clISt17integral_constantIbLb1EES1A_EEDaS15_S16_EUlS15_E_NS1_11comp_targetILNS1_3genE8ELNS1_11target_archE1030ELNS1_3gpuE2ELNS1_3repE0EEENS1_30default_config_static_selectorELNS0_4arch9wavefront6targetE0EEEvT1_
	.p2align	8
	.type	_ZN7rocprim17ROCPRIM_400000_NS6detail17trampoline_kernelINS0_14default_configENS1_25partition_config_selectorILNS1_17partition_subalgoE9ExjbEEZZNS1_14partition_implILS5_9ELb0ES3_jN6thrust23THRUST_200600_302600_NS6detail15normal_iteratorINS9_10device_ptrIxEEEENSB_INSC_IjEEEEPNS0_10empty_typeENS0_5tupleIJSE_SH_EEENSJ_IJSG_SI_EEENS0_18inequality_wrapperINS9_8equal_toIxEEEEPmJSH_EEE10hipError_tPvRmT3_T4_T5_T6_T7_T9_mT8_P12ihipStream_tbDpT10_ENKUlT_T0_E_clISt17integral_constantIbLb1EES1A_EEDaS15_S16_EUlS15_E_NS1_11comp_targetILNS1_3genE8ELNS1_11target_archE1030ELNS1_3gpuE2ELNS1_3repE0EEENS1_30default_config_static_selectorELNS0_4arch9wavefront6targetE0EEEvT1_,@function
_ZN7rocprim17ROCPRIM_400000_NS6detail17trampoline_kernelINS0_14default_configENS1_25partition_config_selectorILNS1_17partition_subalgoE9ExjbEEZZNS1_14partition_implILS5_9ELb0ES3_jN6thrust23THRUST_200600_302600_NS6detail15normal_iteratorINS9_10device_ptrIxEEEENSB_INSC_IjEEEEPNS0_10empty_typeENS0_5tupleIJSE_SH_EEENSJ_IJSG_SI_EEENS0_18inequality_wrapperINS9_8equal_toIxEEEEPmJSH_EEE10hipError_tPvRmT3_T4_T5_T6_T7_T9_mT8_P12ihipStream_tbDpT10_ENKUlT_T0_E_clISt17integral_constantIbLb1EES1A_EEDaS15_S16_EUlS15_E_NS1_11comp_targetILNS1_3genE8ELNS1_11target_archE1030ELNS1_3gpuE2ELNS1_3repE0EEENS1_30default_config_static_selectorELNS0_4arch9wavefront6targetE0EEEvT1_: ; @_ZN7rocprim17ROCPRIM_400000_NS6detail17trampoline_kernelINS0_14default_configENS1_25partition_config_selectorILNS1_17partition_subalgoE9ExjbEEZZNS1_14partition_implILS5_9ELb0ES3_jN6thrust23THRUST_200600_302600_NS6detail15normal_iteratorINS9_10device_ptrIxEEEENSB_INSC_IjEEEEPNS0_10empty_typeENS0_5tupleIJSE_SH_EEENSJ_IJSG_SI_EEENS0_18inequality_wrapperINS9_8equal_toIxEEEEPmJSH_EEE10hipError_tPvRmT3_T4_T5_T6_T7_T9_mT8_P12ihipStream_tbDpT10_ENKUlT_T0_E_clISt17integral_constantIbLb1EES1A_EEDaS15_S16_EUlS15_E_NS1_11comp_targetILNS1_3genE8ELNS1_11target_archE1030ELNS1_3gpuE2ELNS1_3repE0EEENS1_30default_config_static_selectorELNS0_4arch9wavefront6targetE0EEEvT1_
; %bb.0:
	.section	.rodata,"a",@progbits
	.p2align	6, 0x0
	.amdhsa_kernel _ZN7rocprim17ROCPRIM_400000_NS6detail17trampoline_kernelINS0_14default_configENS1_25partition_config_selectorILNS1_17partition_subalgoE9ExjbEEZZNS1_14partition_implILS5_9ELb0ES3_jN6thrust23THRUST_200600_302600_NS6detail15normal_iteratorINS9_10device_ptrIxEEEENSB_INSC_IjEEEEPNS0_10empty_typeENS0_5tupleIJSE_SH_EEENSJ_IJSG_SI_EEENS0_18inequality_wrapperINS9_8equal_toIxEEEEPmJSH_EEE10hipError_tPvRmT3_T4_T5_T6_T7_T9_mT8_P12ihipStream_tbDpT10_ENKUlT_T0_E_clISt17integral_constantIbLb1EES1A_EEDaS15_S16_EUlS15_E_NS1_11comp_targetILNS1_3genE8ELNS1_11target_archE1030ELNS1_3gpuE2ELNS1_3repE0EEENS1_30default_config_static_selectorELNS0_4arch9wavefront6targetE0EEEvT1_
		.amdhsa_group_segment_fixed_size 0
		.amdhsa_private_segment_fixed_size 0
		.amdhsa_kernarg_size 128
		.amdhsa_user_sgpr_count 15
		.amdhsa_user_sgpr_dispatch_ptr 0
		.amdhsa_user_sgpr_queue_ptr 0
		.amdhsa_user_sgpr_kernarg_segment_ptr 1
		.amdhsa_user_sgpr_dispatch_id 0
		.amdhsa_user_sgpr_private_segment_size 0
		.amdhsa_wavefront_size32 1
		.amdhsa_uses_dynamic_stack 0
		.amdhsa_enable_private_segment 0
		.amdhsa_system_sgpr_workgroup_id_x 1
		.amdhsa_system_sgpr_workgroup_id_y 0
		.amdhsa_system_sgpr_workgroup_id_z 0
		.amdhsa_system_sgpr_workgroup_info 0
		.amdhsa_system_vgpr_workitem_id 0
		.amdhsa_next_free_vgpr 1
		.amdhsa_next_free_sgpr 1
		.amdhsa_reserve_vcc 0
		.amdhsa_float_round_mode_32 0
		.amdhsa_float_round_mode_16_64 0
		.amdhsa_float_denorm_mode_32 3
		.amdhsa_float_denorm_mode_16_64 3
		.amdhsa_dx10_clamp 1
		.amdhsa_ieee_mode 1
		.amdhsa_fp16_overflow 0
		.amdhsa_workgroup_processor_mode 1
		.amdhsa_memory_ordered 1
		.amdhsa_forward_progress 0
		.amdhsa_shared_vgpr_count 0
		.amdhsa_exception_fp_ieee_invalid_op 0
		.amdhsa_exception_fp_denorm_src 0
		.amdhsa_exception_fp_ieee_div_zero 0
		.amdhsa_exception_fp_ieee_overflow 0
		.amdhsa_exception_fp_ieee_underflow 0
		.amdhsa_exception_fp_ieee_inexact 0
		.amdhsa_exception_int_div_zero 0
	.end_amdhsa_kernel
	.section	.text._ZN7rocprim17ROCPRIM_400000_NS6detail17trampoline_kernelINS0_14default_configENS1_25partition_config_selectorILNS1_17partition_subalgoE9ExjbEEZZNS1_14partition_implILS5_9ELb0ES3_jN6thrust23THRUST_200600_302600_NS6detail15normal_iteratorINS9_10device_ptrIxEEEENSB_INSC_IjEEEEPNS0_10empty_typeENS0_5tupleIJSE_SH_EEENSJ_IJSG_SI_EEENS0_18inequality_wrapperINS9_8equal_toIxEEEEPmJSH_EEE10hipError_tPvRmT3_T4_T5_T6_T7_T9_mT8_P12ihipStream_tbDpT10_ENKUlT_T0_E_clISt17integral_constantIbLb1EES1A_EEDaS15_S16_EUlS15_E_NS1_11comp_targetILNS1_3genE8ELNS1_11target_archE1030ELNS1_3gpuE2ELNS1_3repE0EEENS1_30default_config_static_selectorELNS0_4arch9wavefront6targetE0EEEvT1_,"axG",@progbits,_ZN7rocprim17ROCPRIM_400000_NS6detail17trampoline_kernelINS0_14default_configENS1_25partition_config_selectorILNS1_17partition_subalgoE9ExjbEEZZNS1_14partition_implILS5_9ELb0ES3_jN6thrust23THRUST_200600_302600_NS6detail15normal_iteratorINS9_10device_ptrIxEEEENSB_INSC_IjEEEEPNS0_10empty_typeENS0_5tupleIJSE_SH_EEENSJ_IJSG_SI_EEENS0_18inequality_wrapperINS9_8equal_toIxEEEEPmJSH_EEE10hipError_tPvRmT3_T4_T5_T6_T7_T9_mT8_P12ihipStream_tbDpT10_ENKUlT_T0_E_clISt17integral_constantIbLb1EES1A_EEDaS15_S16_EUlS15_E_NS1_11comp_targetILNS1_3genE8ELNS1_11target_archE1030ELNS1_3gpuE2ELNS1_3repE0EEENS1_30default_config_static_selectorELNS0_4arch9wavefront6targetE0EEEvT1_,comdat
.Lfunc_end612:
	.size	_ZN7rocprim17ROCPRIM_400000_NS6detail17trampoline_kernelINS0_14default_configENS1_25partition_config_selectorILNS1_17partition_subalgoE9ExjbEEZZNS1_14partition_implILS5_9ELb0ES3_jN6thrust23THRUST_200600_302600_NS6detail15normal_iteratorINS9_10device_ptrIxEEEENSB_INSC_IjEEEEPNS0_10empty_typeENS0_5tupleIJSE_SH_EEENSJ_IJSG_SI_EEENS0_18inequality_wrapperINS9_8equal_toIxEEEEPmJSH_EEE10hipError_tPvRmT3_T4_T5_T6_T7_T9_mT8_P12ihipStream_tbDpT10_ENKUlT_T0_E_clISt17integral_constantIbLb1EES1A_EEDaS15_S16_EUlS15_E_NS1_11comp_targetILNS1_3genE8ELNS1_11target_archE1030ELNS1_3gpuE2ELNS1_3repE0EEENS1_30default_config_static_selectorELNS0_4arch9wavefront6targetE0EEEvT1_, .Lfunc_end612-_ZN7rocprim17ROCPRIM_400000_NS6detail17trampoline_kernelINS0_14default_configENS1_25partition_config_selectorILNS1_17partition_subalgoE9ExjbEEZZNS1_14partition_implILS5_9ELb0ES3_jN6thrust23THRUST_200600_302600_NS6detail15normal_iteratorINS9_10device_ptrIxEEEENSB_INSC_IjEEEEPNS0_10empty_typeENS0_5tupleIJSE_SH_EEENSJ_IJSG_SI_EEENS0_18inequality_wrapperINS9_8equal_toIxEEEEPmJSH_EEE10hipError_tPvRmT3_T4_T5_T6_T7_T9_mT8_P12ihipStream_tbDpT10_ENKUlT_T0_E_clISt17integral_constantIbLb1EES1A_EEDaS15_S16_EUlS15_E_NS1_11comp_targetILNS1_3genE8ELNS1_11target_archE1030ELNS1_3gpuE2ELNS1_3repE0EEENS1_30default_config_static_selectorELNS0_4arch9wavefront6targetE0EEEvT1_
                                        ; -- End function
	.section	.AMDGPU.csdata,"",@progbits
; Kernel info:
; codeLenInByte = 0
; NumSgprs: 0
; NumVgprs: 0
; ScratchSize: 0
; MemoryBound: 0
; FloatMode: 240
; IeeeMode: 1
; LDSByteSize: 0 bytes/workgroup (compile time only)
; SGPRBlocks: 0
; VGPRBlocks: 0
; NumSGPRsForWavesPerEU: 1
; NumVGPRsForWavesPerEU: 1
; Occupancy: 16
; WaveLimiterHint : 0
; COMPUTE_PGM_RSRC2:SCRATCH_EN: 0
; COMPUTE_PGM_RSRC2:USER_SGPR: 15
; COMPUTE_PGM_RSRC2:TRAP_HANDLER: 0
; COMPUTE_PGM_RSRC2:TGID_X_EN: 1
; COMPUTE_PGM_RSRC2:TGID_Y_EN: 0
; COMPUTE_PGM_RSRC2:TGID_Z_EN: 0
; COMPUTE_PGM_RSRC2:TIDIG_COMP_CNT: 0
	.section	.text._ZN7rocprim17ROCPRIM_400000_NS6detail17trampoline_kernelINS0_14default_configENS1_25partition_config_selectorILNS1_17partition_subalgoE9ExjbEEZZNS1_14partition_implILS5_9ELb0ES3_jN6thrust23THRUST_200600_302600_NS6detail15normal_iteratorINS9_10device_ptrIxEEEENSB_INSC_IjEEEEPNS0_10empty_typeENS0_5tupleIJSE_SH_EEENSJ_IJSG_SI_EEENS0_18inequality_wrapperINS9_8equal_toIxEEEEPmJSH_EEE10hipError_tPvRmT3_T4_T5_T6_T7_T9_mT8_P12ihipStream_tbDpT10_ENKUlT_T0_E_clISt17integral_constantIbLb1EES19_IbLb0EEEEDaS15_S16_EUlS15_E_NS1_11comp_targetILNS1_3genE0ELNS1_11target_archE4294967295ELNS1_3gpuE0ELNS1_3repE0EEENS1_30default_config_static_selectorELNS0_4arch9wavefront6targetE0EEEvT1_,"axG",@progbits,_ZN7rocprim17ROCPRIM_400000_NS6detail17trampoline_kernelINS0_14default_configENS1_25partition_config_selectorILNS1_17partition_subalgoE9ExjbEEZZNS1_14partition_implILS5_9ELb0ES3_jN6thrust23THRUST_200600_302600_NS6detail15normal_iteratorINS9_10device_ptrIxEEEENSB_INSC_IjEEEEPNS0_10empty_typeENS0_5tupleIJSE_SH_EEENSJ_IJSG_SI_EEENS0_18inequality_wrapperINS9_8equal_toIxEEEEPmJSH_EEE10hipError_tPvRmT3_T4_T5_T6_T7_T9_mT8_P12ihipStream_tbDpT10_ENKUlT_T0_E_clISt17integral_constantIbLb1EES19_IbLb0EEEEDaS15_S16_EUlS15_E_NS1_11comp_targetILNS1_3genE0ELNS1_11target_archE4294967295ELNS1_3gpuE0ELNS1_3repE0EEENS1_30default_config_static_selectorELNS0_4arch9wavefront6targetE0EEEvT1_,comdat
	.protected	_ZN7rocprim17ROCPRIM_400000_NS6detail17trampoline_kernelINS0_14default_configENS1_25partition_config_selectorILNS1_17partition_subalgoE9ExjbEEZZNS1_14partition_implILS5_9ELb0ES3_jN6thrust23THRUST_200600_302600_NS6detail15normal_iteratorINS9_10device_ptrIxEEEENSB_INSC_IjEEEEPNS0_10empty_typeENS0_5tupleIJSE_SH_EEENSJ_IJSG_SI_EEENS0_18inequality_wrapperINS9_8equal_toIxEEEEPmJSH_EEE10hipError_tPvRmT3_T4_T5_T6_T7_T9_mT8_P12ihipStream_tbDpT10_ENKUlT_T0_E_clISt17integral_constantIbLb1EES19_IbLb0EEEEDaS15_S16_EUlS15_E_NS1_11comp_targetILNS1_3genE0ELNS1_11target_archE4294967295ELNS1_3gpuE0ELNS1_3repE0EEENS1_30default_config_static_selectorELNS0_4arch9wavefront6targetE0EEEvT1_ ; -- Begin function _ZN7rocprim17ROCPRIM_400000_NS6detail17trampoline_kernelINS0_14default_configENS1_25partition_config_selectorILNS1_17partition_subalgoE9ExjbEEZZNS1_14partition_implILS5_9ELb0ES3_jN6thrust23THRUST_200600_302600_NS6detail15normal_iteratorINS9_10device_ptrIxEEEENSB_INSC_IjEEEEPNS0_10empty_typeENS0_5tupleIJSE_SH_EEENSJ_IJSG_SI_EEENS0_18inequality_wrapperINS9_8equal_toIxEEEEPmJSH_EEE10hipError_tPvRmT3_T4_T5_T6_T7_T9_mT8_P12ihipStream_tbDpT10_ENKUlT_T0_E_clISt17integral_constantIbLb1EES19_IbLb0EEEEDaS15_S16_EUlS15_E_NS1_11comp_targetILNS1_3genE0ELNS1_11target_archE4294967295ELNS1_3gpuE0ELNS1_3repE0EEENS1_30default_config_static_selectorELNS0_4arch9wavefront6targetE0EEEvT1_
	.globl	_ZN7rocprim17ROCPRIM_400000_NS6detail17trampoline_kernelINS0_14default_configENS1_25partition_config_selectorILNS1_17partition_subalgoE9ExjbEEZZNS1_14partition_implILS5_9ELb0ES3_jN6thrust23THRUST_200600_302600_NS6detail15normal_iteratorINS9_10device_ptrIxEEEENSB_INSC_IjEEEEPNS0_10empty_typeENS0_5tupleIJSE_SH_EEENSJ_IJSG_SI_EEENS0_18inequality_wrapperINS9_8equal_toIxEEEEPmJSH_EEE10hipError_tPvRmT3_T4_T5_T6_T7_T9_mT8_P12ihipStream_tbDpT10_ENKUlT_T0_E_clISt17integral_constantIbLb1EES19_IbLb0EEEEDaS15_S16_EUlS15_E_NS1_11comp_targetILNS1_3genE0ELNS1_11target_archE4294967295ELNS1_3gpuE0ELNS1_3repE0EEENS1_30default_config_static_selectorELNS0_4arch9wavefront6targetE0EEEvT1_
	.p2align	8
	.type	_ZN7rocprim17ROCPRIM_400000_NS6detail17trampoline_kernelINS0_14default_configENS1_25partition_config_selectorILNS1_17partition_subalgoE9ExjbEEZZNS1_14partition_implILS5_9ELb0ES3_jN6thrust23THRUST_200600_302600_NS6detail15normal_iteratorINS9_10device_ptrIxEEEENSB_INSC_IjEEEEPNS0_10empty_typeENS0_5tupleIJSE_SH_EEENSJ_IJSG_SI_EEENS0_18inequality_wrapperINS9_8equal_toIxEEEEPmJSH_EEE10hipError_tPvRmT3_T4_T5_T6_T7_T9_mT8_P12ihipStream_tbDpT10_ENKUlT_T0_E_clISt17integral_constantIbLb1EES19_IbLb0EEEEDaS15_S16_EUlS15_E_NS1_11comp_targetILNS1_3genE0ELNS1_11target_archE4294967295ELNS1_3gpuE0ELNS1_3repE0EEENS1_30default_config_static_selectorELNS0_4arch9wavefront6targetE0EEEvT1_,@function
_ZN7rocprim17ROCPRIM_400000_NS6detail17trampoline_kernelINS0_14default_configENS1_25partition_config_selectorILNS1_17partition_subalgoE9ExjbEEZZNS1_14partition_implILS5_9ELb0ES3_jN6thrust23THRUST_200600_302600_NS6detail15normal_iteratorINS9_10device_ptrIxEEEENSB_INSC_IjEEEEPNS0_10empty_typeENS0_5tupleIJSE_SH_EEENSJ_IJSG_SI_EEENS0_18inequality_wrapperINS9_8equal_toIxEEEEPmJSH_EEE10hipError_tPvRmT3_T4_T5_T6_T7_T9_mT8_P12ihipStream_tbDpT10_ENKUlT_T0_E_clISt17integral_constantIbLb1EES19_IbLb0EEEEDaS15_S16_EUlS15_E_NS1_11comp_targetILNS1_3genE0ELNS1_11target_archE4294967295ELNS1_3gpuE0ELNS1_3repE0EEENS1_30default_config_static_selectorELNS0_4arch9wavefront6targetE0EEEvT1_: ; @_ZN7rocprim17ROCPRIM_400000_NS6detail17trampoline_kernelINS0_14default_configENS1_25partition_config_selectorILNS1_17partition_subalgoE9ExjbEEZZNS1_14partition_implILS5_9ELb0ES3_jN6thrust23THRUST_200600_302600_NS6detail15normal_iteratorINS9_10device_ptrIxEEEENSB_INSC_IjEEEEPNS0_10empty_typeENS0_5tupleIJSE_SH_EEENSJ_IJSG_SI_EEENS0_18inequality_wrapperINS9_8equal_toIxEEEEPmJSH_EEE10hipError_tPvRmT3_T4_T5_T6_T7_T9_mT8_P12ihipStream_tbDpT10_ENKUlT_T0_E_clISt17integral_constantIbLb1EES19_IbLb0EEEEDaS15_S16_EUlS15_E_NS1_11comp_targetILNS1_3genE0ELNS1_11target_archE4294967295ELNS1_3gpuE0ELNS1_3repE0EEENS1_30default_config_static_selectorELNS0_4arch9wavefront6targetE0EEEvT1_
; %bb.0:
	.section	.rodata,"a",@progbits
	.p2align	6, 0x0
	.amdhsa_kernel _ZN7rocprim17ROCPRIM_400000_NS6detail17trampoline_kernelINS0_14default_configENS1_25partition_config_selectorILNS1_17partition_subalgoE9ExjbEEZZNS1_14partition_implILS5_9ELb0ES3_jN6thrust23THRUST_200600_302600_NS6detail15normal_iteratorINS9_10device_ptrIxEEEENSB_INSC_IjEEEEPNS0_10empty_typeENS0_5tupleIJSE_SH_EEENSJ_IJSG_SI_EEENS0_18inequality_wrapperINS9_8equal_toIxEEEEPmJSH_EEE10hipError_tPvRmT3_T4_T5_T6_T7_T9_mT8_P12ihipStream_tbDpT10_ENKUlT_T0_E_clISt17integral_constantIbLb1EES19_IbLb0EEEEDaS15_S16_EUlS15_E_NS1_11comp_targetILNS1_3genE0ELNS1_11target_archE4294967295ELNS1_3gpuE0ELNS1_3repE0EEENS1_30default_config_static_selectorELNS0_4arch9wavefront6targetE0EEEvT1_
		.amdhsa_group_segment_fixed_size 0
		.amdhsa_private_segment_fixed_size 0
		.amdhsa_kernarg_size 112
		.amdhsa_user_sgpr_count 15
		.amdhsa_user_sgpr_dispatch_ptr 0
		.amdhsa_user_sgpr_queue_ptr 0
		.amdhsa_user_sgpr_kernarg_segment_ptr 1
		.amdhsa_user_sgpr_dispatch_id 0
		.amdhsa_user_sgpr_private_segment_size 0
		.amdhsa_wavefront_size32 1
		.amdhsa_uses_dynamic_stack 0
		.amdhsa_enable_private_segment 0
		.amdhsa_system_sgpr_workgroup_id_x 1
		.amdhsa_system_sgpr_workgroup_id_y 0
		.amdhsa_system_sgpr_workgroup_id_z 0
		.amdhsa_system_sgpr_workgroup_info 0
		.amdhsa_system_vgpr_workitem_id 0
		.amdhsa_next_free_vgpr 1
		.amdhsa_next_free_sgpr 1
		.amdhsa_reserve_vcc 0
		.amdhsa_float_round_mode_32 0
		.amdhsa_float_round_mode_16_64 0
		.amdhsa_float_denorm_mode_32 3
		.amdhsa_float_denorm_mode_16_64 3
		.amdhsa_dx10_clamp 1
		.amdhsa_ieee_mode 1
		.amdhsa_fp16_overflow 0
		.amdhsa_workgroup_processor_mode 1
		.amdhsa_memory_ordered 1
		.amdhsa_forward_progress 0
		.amdhsa_shared_vgpr_count 0
		.amdhsa_exception_fp_ieee_invalid_op 0
		.amdhsa_exception_fp_denorm_src 0
		.amdhsa_exception_fp_ieee_div_zero 0
		.amdhsa_exception_fp_ieee_overflow 0
		.amdhsa_exception_fp_ieee_underflow 0
		.amdhsa_exception_fp_ieee_inexact 0
		.amdhsa_exception_int_div_zero 0
	.end_amdhsa_kernel
	.section	.text._ZN7rocprim17ROCPRIM_400000_NS6detail17trampoline_kernelINS0_14default_configENS1_25partition_config_selectorILNS1_17partition_subalgoE9ExjbEEZZNS1_14partition_implILS5_9ELb0ES3_jN6thrust23THRUST_200600_302600_NS6detail15normal_iteratorINS9_10device_ptrIxEEEENSB_INSC_IjEEEEPNS0_10empty_typeENS0_5tupleIJSE_SH_EEENSJ_IJSG_SI_EEENS0_18inequality_wrapperINS9_8equal_toIxEEEEPmJSH_EEE10hipError_tPvRmT3_T4_T5_T6_T7_T9_mT8_P12ihipStream_tbDpT10_ENKUlT_T0_E_clISt17integral_constantIbLb1EES19_IbLb0EEEEDaS15_S16_EUlS15_E_NS1_11comp_targetILNS1_3genE0ELNS1_11target_archE4294967295ELNS1_3gpuE0ELNS1_3repE0EEENS1_30default_config_static_selectorELNS0_4arch9wavefront6targetE0EEEvT1_,"axG",@progbits,_ZN7rocprim17ROCPRIM_400000_NS6detail17trampoline_kernelINS0_14default_configENS1_25partition_config_selectorILNS1_17partition_subalgoE9ExjbEEZZNS1_14partition_implILS5_9ELb0ES3_jN6thrust23THRUST_200600_302600_NS6detail15normal_iteratorINS9_10device_ptrIxEEEENSB_INSC_IjEEEEPNS0_10empty_typeENS0_5tupleIJSE_SH_EEENSJ_IJSG_SI_EEENS0_18inequality_wrapperINS9_8equal_toIxEEEEPmJSH_EEE10hipError_tPvRmT3_T4_T5_T6_T7_T9_mT8_P12ihipStream_tbDpT10_ENKUlT_T0_E_clISt17integral_constantIbLb1EES19_IbLb0EEEEDaS15_S16_EUlS15_E_NS1_11comp_targetILNS1_3genE0ELNS1_11target_archE4294967295ELNS1_3gpuE0ELNS1_3repE0EEENS1_30default_config_static_selectorELNS0_4arch9wavefront6targetE0EEEvT1_,comdat
.Lfunc_end613:
	.size	_ZN7rocprim17ROCPRIM_400000_NS6detail17trampoline_kernelINS0_14default_configENS1_25partition_config_selectorILNS1_17partition_subalgoE9ExjbEEZZNS1_14partition_implILS5_9ELb0ES3_jN6thrust23THRUST_200600_302600_NS6detail15normal_iteratorINS9_10device_ptrIxEEEENSB_INSC_IjEEEEPNS0_10empty_typeENS0_5tupleIJSE_SH_EEENSJ_IJSG_SI_EEENS0_18inequality_wrapperINS9_8equal_toIxEEEEPmJSH_EEE10hipError_tPvRmT3_T4_T5_T6_T7_T9_mT8_P12ihipStream_tbDpT10_ENKUlT_T0_E_clISt17integral_constantIbLb1EES19_IbLb0EEEEDaS15_S16_EUlS15_E_NS1_11comp_targetILNS1_3genE0ELNS1_11target_archE4294967295ELNS1_3gpuE0ELNS1_3repE0EEENS1_30default_config_static_selectorELNS0_4arch9wavefront6targetE0EEEvT1_, .Lfunc_end613-_ZN7rocprim17ROCPRIM_400000_NS6detail17trampoline_kernelINS0_14default_configENS1_25partition_config_selectorILNS1_17partition_subalgoE9ExjbEEZZNS1_14partition_implILS5_9ELb0ES3_jN6thrust23THRUST_200600_302600_NS6detail15normal_iteratorINS9_10device_ptrIxEEEENSB_INSC_IjEEEEPNS0_10empty_typeENS0_5tupleIJSE_SH_EEENSJ_IJSG_SI_EEENS0_18inequality_wrapperINS9_8equal_toIxEEEEPmJSH_EEE10hipError_tPvRmT3_T4_T5_T6_T7_T9_mT8_P12ihipStream_tbDpT10_ENKUlT_T0_E_clISt17integral_constantIbLb1EES19_IbLb0EEEEDaS15_S16_EUlS15_E_NS1_11comp_targetILNS1_3genE0ELNS1_11target_archE4294967295ELNS1_3gpuE0ELNS1_3repE0EEENS1_30default_config_static_selectorELNS0_4arch9wavefront6targetE0EEEvT1_
                                        ; -- End function
	.section	.AMDGPU.csdata,"",@progbits
; Kernel info:
; codeLenInByte = 0
; NumSgprs: 0
; NumVgprs: 0
; ScratchSize: 0
; MemoryBound: 0
; FloatMode: 240
; IeeeMode: 1
; LDSByteSize: 0 bytes/workgroup (compile time only)
; SGPRBlocks: 0
; VGPRBlocks: 0
; NumSGPRsForWavesPerEU: 1
; NumVGPRsForWavesPerEU: 1
; Occupancy: 16
; WaveLimiterHint : 0
; COMPUTE_PGM_RSRC2:SCRATCH_EN: 0
; COMPUTE_PGM_RSRC2:USER_SGPR: 15
; COMPUTE_PGM_RSRC2:TRAP_HANDLER: 0
; COMPUTE_PGM_RSRC2:TGID_X_EN: 1
; COMPUTE_PGM_RSRC2:TGID_Y_EN: 0
; COMPUTE_PGM_RSRC2:TGID_Z_EN: 0
; COMPUTE_PGM_RSRC2:TIDIG_COMP_CNT: 0
	.section	.text._ZN7rocprim17ROCPRIM_400000_NS6detail17trampoline_kernelINS0_14default_configENS1_25partition_config_selectorILNS1_17partition_subalgoE9ExjbEEZZNS1_14partition_implILS5_9ELb0ES3_jN6thrust23THRUST_200600_302600_NS6detail15normal_iteratorINS9_10device_ptrIxEEEENSB_INSC_IjEEEEPNS0_10empty_typeENS0_5tupleIJSE_SH_EEENSJ_IJSG_SI_EEENS0_18inequality_wrapperINS9_8equal_toIxEEEEPmJSH_EEE10hipError_tPvRmT3_T4_T5_T6_T7_T9_mT8_P12ihipStream_tbDpT10_ENKUlT_T0_E_clISt17integral_constantIbLb1EES19_IbLb0EEEEDaS15_S16_EUlS15_E_NS1_11comp_targetILNS1_3genE5ELNS1_11target_archE942ELNS1_3gpuE9ELNS1_3repE0EEENS1_30default_config_static_selectorELNS0_4arch9wavefront6targetE0EEEvT1_,"axG",@progbits,_ZN7rocprim17ROCPRIM_400000_NS6detail17trampoline_kernelINS0_14default_configENS1_25partition_config_selectorILNS1_17partition_subalgoE9ExjbEEZZNS1_14partition_implILS5_9ELb0ES3_jN6thrust23THRUST_200600_302600_NS6detail15normal_iteratorINS9_10device_ptrIxEEEENSB_INSC_IjEEEEPNS0_10empty_typeENS0_5tupleIJSE_SH_EEENSJ_IJSG_SI_EEENS0_18inequality_wrapperINS9_8equal_toIxEEEEPmJSH_EEE10hipError_tPvRmT3_T4_T5_T6_T7_T9_mT8_P12ihipStream_tbDpT10_ENKUlT_T0_E_clISt17integral_constantIbLb1EES19_IbLb0EEEEDaS15_S16_EUlS15_E_NS1_11comp_targetILNS1_3genE5ELNS1_11target_archE942ELNS1_3gpuE9ELNS1_3repE0EEENS1_30default_config_static_selectorELNS0_4arch9wavefront6targetE0EEEvT1_,comdat
	.protected	_ZN7rocprim17ROCPRIM_400000_NS6detail17trampoline_kernelINS0_14default_configENS1_25partition_config_selectorILNS1_17partition_subalgoE9ExjbEEZZNS1_14partition_implILS5_9ELb0ES3_jN6thrust23THRUST_200600_302600_NS6detail15normal_iteratorINS9_10device_ptrIxEEEENSB_INSC_IjEEEEPNS0_10empty_typeENS0_5tupleIJSE_SH_EEENSJ_IJSG_SI_EEENS0_18inequality_wrapperINS9_8equal_toIxEEEEPmJSH_EEE10hipError_tPvRmT3_T4_T5_T6_T7_T9_mT8_P12ihipStream_tbDpT10_ENKUlT_T0_E_clISt17integral_constantIbLb1EES19_IbLb0EEEEDaS15_S16_EUlS15_E_NS1_11comp_targetILNS1_3genE5ELNS1_11target_archE942ELNS1_3gpuE9ELNS1_3repE0EEENS1_30default_config_static_selectorELNS0_4arch9wavefront6targetE0EEEvT1_ ; -- Begin function _ZN7rocprim17ROCPRIM_400000_NS6detail17trampoline_kernelINS0_14default_configENS1_25partition_config_selectorILNS1_17partition_subalgoE9ExjbEEZZNS1_14partition_implILS5_9ELb0ES3_jN6thrust23THRUST_200600_302600_NS6detail15normal_iteratorINS9_10device_ptrIxEEEENSB_INSC_IjEEEEPNS0_10empty_typeENS0_5tupleIJSE_SH_EEENSJ_IJSG_SI_EEENS0_18inequality_wrapperINS9_8equal_toIxEEEEPmJSH_EEE10hipError_tPvRmT3_T4_T5_T6_T7_T9_mT8_P12ihipStream_tbDpT10_ENKUlT_T0_E_clISt17integral_constantIbLb1EES19_IbLb0EEEEDaS15_S16_EUlS15_E_NS1_11comp_targetILNS1_3genE5ELNS1_11target_archE942ELNS1_3gpuE9ELNS1_3repE0EEENS1_30default_config_static_selectorELNS0_4arch9wavefront6targetE0EEEvT1_
	.globl	_ZN7rocprim17ROCPRIM_400000_NS6detail17trampoline_kernelINS0_14default_configENS1_25partition_config_selectorILNS1_17partition_subalgoE9ExjbEEZZNS1_14partition_implILS5_9ELb0ES3_jN6thrust23THRUST_200600_302600_NS6detail15normal_iteratorINS9_10device_ptrIxEEEENSB_INSC_IjEEEEPNS0_10empty_typeENS0_5tupleIJSE_SH_EEENSJ_IJSG_SI_EEENS0_18inequality_wrapperINS9_8equal_toIxEEEEPmJSH_EEE10hipError_tPvRmT3_T4_T5_T6_T7_T9_mT8_P12ihipStream_tbDpT10_ENKUlT_T0_E_clISt17integral_constantIbLb1EES19_IbLb0EEEEDaS15_S16_EUlS15_E_NS1_11comp_targetILNS1_3genE5ELNS1_11target_archE942ELNS1_3gpuE9ELNS1_3repE0EEENS1_30default_config_static_selectorELNS0_4arch9wavefront6targetE0EEEvT1_
	.p2align	8
	.type	_ZN7rocprim17ROCPRIM_400000_NS6detail17trampoline_kernelINS0_14default_configENS1_25partition_config_selectorILNS1_17partition_subalgoE9ExjbEEZZNS1_14partition_implILS5_9ELb0ES3_jN6thrust23THRUST_200600_302600_NS6detail15normal_iteratorINS9_10device_ptrIxEEEENSB_INSC_IjEEEEPNS0_10empty_typeENS0_5tupleIJSE_SH_EEENSJ_IJSG_SI_EEENS0_18inequality_wrapperINS9_8equal_toIxEEEEPmJSH_EEE10hipError_tPvRmT3_T4_T5_T6_T7_T9_mT8_P12ihipStream_tbDpT10_ENKUlT_T0_E_clISt17integral_constantIbLb1EES19_IbLb0EEEEDaS15_S16_EUlS15_E_NS1_11comp_targetILNS1_3genE5ELNS1_11target_archE942ELNS1_3gpuE9ELNS1_3repE0EEENS1_30default_config_static_selectorELNS0_4arch9wavefront6targetE0EEEvT1_,@function
_ZN7rocprim17ROCPRIM_400000_NS6detail17trampoline_kernelINS0_14default_configENS1_25partition_config_selectorILNS1_17partition_subalgoE9ExjbEEZZNS1_14partition_implILS5_9ELb0ES3_jN6thrust23THRUST_200600_302600_NS6detail15normal_iteratorINS9_10device_ptrIxEEEENSB_INSC_IjEEEEPNS0_10empty_typeENS0_5tupleIJSE_SH_EEENSJ_IJSG_SI_EEENS0_18inequality_wrapperINS9_8equal_toIxEEEEPmJSH_EEE10hipError_tPvRmT3_T4_T5_T6_T7_T9_mT8_P12ihipStream_tbDpT10_ENKUlT_T0_E_clISt17integral_constantIbLb1EES19_IbLb0EEEEDaS15_S16_EUlS15_E_NS1_11comp_targetILNS1_3genE5ELNS1_11target_archE942ELNS1_3gpuE9ELNS1_3repE0EEENS1_30default_config_static_selectorELNS0_4arch9wavefront6targetE0EEEvT1_: ; @_ZN7rocprim17ROCPRIM_400000_NS6detail17trampoline_kernelINS0_14default_configENS1_25partition_config_selectorILNS1_17partition_subalgoE9ExjbEEZZNS1_14partition_implILS5_9ELb0ES3_jN6thrust23THRUST_200600_302600_NS6detail15normal_iteratorINS9_10device_ptrIxEEEENSB_INSC_IjEEEEPNS0_10empty_typeENS0_5tupleIJSE_SH_EEENSJ_IJSG_SI_EEENS0_18inequality_wrapperINS9_8equal_toIxEEEEPmJSH_EEE10hipError_tPvRmT3_T4_T5_T6_T7_T9_mT8_P12ihipStream_tbDpT10_ENKUlT_T0_E_clISt17integral_constantIbLb1EES19_IbLb0EEEEDaS15_S16_EUlS15_E_NS1_11comp_targetILNS1_3genE5ELNS1_11target_archE942ELNS1_3gpuE9ELNS1_3repE0EEENS1_30default_config_static_selectorELNS0_4arch9wavefront6targetE0EEEvT1_
; %bb.0:
	.section	.rodata,"a",@progbits
	.p2align	6, 0x0
	.amdhsa_kernel _ZN7rocprim17ROCPRIM_400000_NS6detail17trampoline_kernelINS0_14default_configENS1_25partition_config_selectorILNS1_17partition_subalgoE9ExjbEEZZNS1_14partition_implILS5_9ELb0ES3_jN6thrust23THRUST_200600_302600_NS6detail15normal_iteratorINS9_10device_ptrIxEEEENSB_INSC_IjEEEEPNS0_10empty_typeENS0_5tupleIJSE_SH_EEENSJ_IJSG_SI_EEENS0_18inequality_wrapperINS9_8equal_toIxEEEEPmJSH_EEE10hipError_tPvRmT3_T4_T5_T6_T7_T9_mT8_P12ihipStream_tbDpT10_ENKUlT_T0_E_clISt17integral_constantIbLb1EES19_IbLb0EEEEDaS15_S16_EUlS15_E_NS1_11comp_targetILNS1_3genE5ELNS1_11target_archE942ELNS1_3gpuE9ELNS1_3repE0EEENS1_30default_config_static_selectorELNS0_4arch9wavefront6targetE0EEEvT1_
		.amdhsa_group_segment_fixed_size 0
		.amdhsa_private_segment_fixed_size 0
		.amdhsa_kernarg_size 112
		.amdhsa_user_sgpr_count 15
		.amdhsa_user_sgpr_dispatch_ptr 0
		.amdhsa_user_sgpr_queue_ptr 0
		.amdhsa_user_sgpr_kernarg_segment_ptr 1
		.amdhsa_user_sgpr_dispatch_id 0
		.amdhsa_user_sgpr_private_segment_size 0
		.amdhsa_wavefront_size32 1
		.amdhsa_uses_dynamic_stack 0
		.amdhsa_enable_private_segment 0
		.amdhsa_system_sgpr_workgroup_id_x 1
		.amdhsa_system_sgpr_workgroup_id_y 0
		.amdhsa_system_sgpr_workgroup_id_z 0
		.amdhsa_system_sgpr_workgroup_info 0
		.amdhsa_system_vgpr_workitem_id 0
		.amdhsa_next_free_vgpr 1
		.amdhsa_next_free_sgpr 1
		.amdhsa_reserve_vcc 0
		.amdhsa_float_round_mode_32 0
		.amdhsa_float_round_mode_16_64 0
		.amdhsa_float_denorm_mode_32 3
		.amdhsa_float_denorm_mode_16_64 3
		.amdhsa_dx10_clamp 1
		.amdhsa_ieee_mode 1
		.amdhsa_fp16_overflow 0
		.amdhsa_workgroup_processor_mode 1
		.amdhsa_memory_ordered 1
		.amdhsa_forward_progress 0
		.amdhsa_shared_vgpr_count 0
		.amdhsa_exception_fp_ieee_invalid_op 0
		.amdhsa_exception_fp_denorm_src 0
		.amdhsa_exception_fp_ieee_div_zero 0
		.amdhsa_exception_fp_ieee_overflow 0
		.amdhsa_exception_fp_ieee_underflow 0
		.amdhsa_exception_fp_ieee_inexact 0
		.amdhsa_exception_int_div_zero 0
	.end_amdhsa_kernel
	.section	.text._ZN7rocprim17ROCPRIM_400000_NS6detail17trampoline_kernelINS0_14default_configENS1_25partition_config_selectorILNS1_17partition_subalgoE9ExjbEEZZNS1_14partition_implILS5_9ELb0ES3_jN6thrust23THRUST_200600_302600_NS6detail15normal_iteratorINS9_10device_ptrIxEEEENSB_INSC_IjEEEEPNS0_10empty_typeENS0_5tupleIJSE_SH_EEENSJ_IJSG_SI_EEENS0_18inequality_wrapperINS9_8equal_toIxEEEEPmJSH_EEE10hipError_tPvRmT3_T4_T5_T6_T7_T9_mT8_P12ihipStream_tbDpT10_ENKUlT_T0_E_clISt17integral_constantIbLb1EES19_IbLb0EEEEDaS15_S16_EUlS15_E_NS1_11comp_targetILNS1_3genE5ELNS1_11target_archE942ELNS1_3gpuE9ELNS1_3repE0EEENS1_30default_config_static_selectorELNS0_4arch9wavefront6targetE0EEEvT1_,"axG",@progbits,_ZN7rocprim17ROCPRIM_400000_NS6detail17trampoline_kernelINS0_14default_configENS1_25partition_config_selectorILNS1_17partition_subalgoE9ExjbEEZZNS1_14partition_implILS5_9ELb0ES3_jN6thrust23THRUST_200600_302600_NS6detail15normal_iteratorINS9_10device_ptrIxEEEENSB_INSC_IjEEEEPNS0_10empty_typeENS0_5tupleIJSE_SH_EEENSJ_IJSG_SI_EEENS0_18inequality_wrapperINS9_8equal_toIxEEEEPmJSH_EEE10hipError_tPvRmT3_T4_T5_T6_T7_T9_mT8_P12ihipStream_tbDpT10_ENKUlT_T0_E_clISt17integral_constantIbLb1EES19_IbLb0EEEEDaS15_S16_EUlS15_E_NS1_11comp_targetILNS1_3genE5ELNS1_11target_archE942ELNS1_3gpuE9ELNS1_3repE0EEENS1_30default_config_static_selectorELNS0_4arch9wavefront6targetE0EEEvT1_,comdat
.Lfunc_end614:
	.size	_ZN7rocprim17ROCPRIM_400000_NS6detail17trampoline_kernelINS0_14default_configENS1_25partition_config_selectorILNS1_17partition_subalgoE9ExjbEEZZNS1_14partition_implILS5_9ELb0ES3_jN6thrust23THRUST_200600_302600_NS6detail15normal_iteratorINS9_10device_ptrIxEEEENSB_INSC_IjEEEEPNS0_10empty_typeENS0_5tupleIJSE_SH_EEENSJ_IJSG_SI_EEENS0_18inequality_wrapperINS9_8equal_toIxEEEEPmJSH_EEE10hipError_tPvRmT3_T4_T5_T6_T7_T9_mT8_P12ihipStream_tbDpT10_ENKUlT_T0_E_clISt17integral_constantIbLb1EES19_IbLb0EEEEDaS15_S16_EUlS15_E_NS1_11comp_targetILNS1_3genE5ELNS1_11target_archE942ELNS1_3gpuE9ELNS1_3repE0EEENS1_30default_config_static_selectorELNS0_4arch9wavefront6targetE0EEEvT1_, .Lfunc_end614-_ZN7rocprim17ROCPRIM_400000_NS6detail17trampoline_kernelINS0_14default_configENS1_25partition_config_selectorILNS1_17partition_subalgoE9ExjbEEZZNS1_14partition_implILS5_9ELb0ES3_jN6thrust23THRUST_200600_302600_NS6detail15normal_iteratorINS9_10device_ptrIxEEEENSB_INSC_IjEEEEPNS0_10empty_typeENS0_5tupleIJSE_SH_EEENSJ_IJSG_SI_EEENS0_18inequality_wrapperINS9_8equal_toIxEEEEPmJSH_EEE10hipError_tPvRmT3_T4_T5_T6_T7_T9_mT8_P12ihipStream_tbDpT10_ENKUlT_T0_E_clISt17integral_constantIbLb1EES19_IbLb0EEEEDaS15_S16_EUlS15_E_NS1_11comp_targetILNS1_3genE5ELNS1_11target_archE942ELNS1_3gpuE9ELNS1_3repE0EEENS1_30default_config_static_selectorELNS0_4arch9wavefront6targetE0EEEvT1_
                                        ; -- End function
	.section	.AMDGPU.csdata,"",@progbits
; Kernel info:
; codeLenInByte = 0
; NumSgprs: 0
; NumVgprs: 0
; ScratchSize: 0
; MemoryBound: 0
; FloatMode: 240
; IeeeMode: 1
; LDSByteSize: 0 bytes/workgroup (compile time only)
; SGPRBlocks: 0
; VGPRBlocks: 0
; NumSGPRsForWavesPerEU: 1
; NumVGPRsForWavesPerEU: 1
; Occupancy: 16
; WaveLimiterHint : 0
; COMPUTE_PGM_RSRC2:SCRATCH_EN: 0
; COMPUTE_PGM_RSRC2:USER_SGPR: 15
; COMPUTE_PGM_RSRC2:TRAP_HANDLER: 0
; COMPUTE_PGM_RSRC2:TGID_X_EN: 1
; COMPUTE_PGM_RSRC2:TGID_Y_EN: 0
; COMPUTE_PGM_RSRC2:TGID_Z_EN: 0
; COMPUTE_PGM_RSRC2:TIDIG_COMP_CNT: 0
	.section	.text._ZN7rocprim17ROCPRIM_400000_NS6detail17trampoline_kernelINS0_14default_configENS1_25partition_config_selectorILNS1_17partition_subalgoE9ExjbEEZZNS1_14partition_implILS5_9ELb0ES3_jN6thrust23THRUST_200600_302600_NS6detail15normal_iteratorINS9_10device_ptrIxEEEENSB_INSC_IjEEEEPNS0_10empty_typeENS0_5tupleIJSE_SH_EEENSJ_IJSG_SI_EEENS0_18inequality_wrapperINS9_8equal_toIxEEEEPmJSH_EEE10hipError_tPvRmT3_T4_T5_T6_T7_T9_mT8_P12ihipStream_tbDpT10_ENKUlT_T0_E_clISt17integral_constantIbLb1EES19_IbLb0EEEEDaS15_S16_EUlS15_E_NS1_11comp_targetILNS1_3genE4ELNS1_11target_archE910ELNS1_3gpuE8ELNS1_3repE0EEENS1_30default_config_static_selectorELNS0_4arch9wavefront6targetE0EEEvT1_,"axG",@progbits,_ZN7rocprim17ROCPRIM_400000_NS6detail17trampoline_kernelINS0_14default_configENS1_25partition_config_selectorILNS1_17partition_subalgoE9ExjbEEZZNS1_14partition_implILS5_9ELb0ES3_jN6thrust23THRUST_200600_302600_NS6detail15normal_iteratorINS9_10device_ptrIxEEEENSB_INSC_IjEEEEPNS0_10empty_typeENS0_5tupleIJSE_SH_EEENSJ_IJSG_SI_EEENS0_18inequality_wrapperINS9_8equal_toIxEEEEPmJSH_EEE10hipError_tPvRmT3_T4_T5_T6_T7_T9_mT8_P12ihipStream_tbDpT10_ENKUlT_T0_E_clISt17integral_constantIbLb1EES19_IbLb0EEEEDaS15_S16_EUlS15_E_NS1_11comp_targetILNS1_3genE4ELNS1_11target_archE910ELNS1_3gpuE8ELNS1_3repE0EEENS1_30default_config_static_selectorELNS0_4arch9wavefront6targetE0EEEvT1_,comdat
	.protected	_ZN7rocprim17ROCPRIM_400000_NS6detail17trampoline_kernelINS0_14default_configENS1_25partition_config_selectorILNS1_17partition_subalgoE9ExjbEEZZNS1_14partition_implILS5_9ELb0ES3_jN6thrust23THRUST_200600_302600_NS6detail15normal_iteratorINS9_10device_ptrIxEEEENSB_INSC_IjEEEEPNS0_10empty_typeENS0_5tupleIJSE_SH_EEENSJ_IJSG_SI_EEENS0_18inequality_wrapperINS9_8equal_toIxEEEEPmJSH_EEE10hipError_tPvRmT3_T4_T5_T6_T7_T9_mT8_P12ihipStream_tbDpT10_ENKUlT_T0_E_clISt17integral_constantIbLb1EES19_IbLb0EEEEDaS15_S16_EUlS15_E_NS1_11comp_targetILNS1_3genE4ELNS1_11target_archE910ELNS1_3gpuE8ELNS1_3repE0EEENS1_30default_config_static_selectorELNS0_4arch9wavefront6targetE0EEEvT1_ ; -- Begin function _ZN7rocprim17ROCPRIM_400000_NS6detail17trampoline_kernelINS0_14default_configENS1_25partition_config_selectorILNS1_17partition_subalgoE9ExjbEEZZNS1_14partition_implILS5_9ELb0ES3_jN6thrust23THRUST_200600_302600_NS6detail15normal_iteratorINS9_10device_ptrIxEEEENSB_INSC_IjEEEEPNS0_10empty_typeENS0_5tupleIJSE_SH_EEENSJ_IJSG_SI_EEENS0_18inequality_wrapperINS9_8equal_toIxEEEEPmJSH_EEE10hipError_tPvRmT3_T4_T5_T6_T7_T9_mT8_P12ihipStream_tbDpT10_ENKUlT_T0_E_clISt17integral_constantIbLb1EES19_IbLb0EEEEDaS15_S16_EUlS15_E_NS1_11comp_targetILNS1_3genE4ELNS1_11target_archE910ELNS1_3gpuE8ELNS1_3repE0EEENS1_30default_config_static_selectorELNS0_4arch9wavefront6targetE0EEEvT1_
	.globl	_ZN7rocprim17ROCPRIM_400000_NS6detail17trampoline_kernelINS0_14default_configENS1_25partition_config_selectorILNS1_17partition_subalgoE9ExjbEEZZNS1_14partition_implILS5_9ELb0ES3_jN6thrust23THRUST_200600_302600_NS6detail15normal_iteratorINS9_10device_ptrIxEEEENSB_INSC_IjEEEEPNS0_10empty_typeENS0_5tupleIJSE_SH_EEENSJ_IJSG_SI_EEENS0_18inequality_wrapperINS9_8equal_toIxEEEEPmJSH_EEE10hipError_tPvRmT3_T4_T5_T6_T7_T9_mT8_P12ihipStream_tbDpT10_ENKUlT_T0_E_clISt17integral_constantIbLb1EES19_IbLb0EEEEDaS15_S16_EUlS15_E_NS1_11comp_targetILNS1_3genE4ELNS1_11target_archE910ELNS1_3gpuE8ELNS1_3repE0EEENS1_30default_config_static_selectorELNS0_4arch9wavefront6targetE0EEEvT1_
	.p2align	8
	.type	_ZN7rocprim17ROCPRIM_400000_NS6detail17trampoline_kernelINS0_14default_configENS1_25partition_config_selectorILNS1_17partition_subalgoE9ExjbEEZZNS1_14partition_implILS5_9ELb0ES3_jN6thrust23THRUST_200600_302600_NS6detail15normal_iteratorINS9_10device_ptrIxEEEENSB_INSC_IjEEEEPNS0_10empty_typeENS0_5tupleIJSE_SH_EEENSJ_IJSG_SI_EEENS0_18inequality_wrapperINS9_8equal_toIxEEEEPmJSH_EEE10hipError_tPvRmT3_T4_T5_T6_T7_T9_mT8_P12ihipStream_tbDpT10_ENKUlT_T0_E_clISt17integral_constantIbLb1EES19_IbLb0EEEEDaS15_S16_EUlS15_E_NS1_11comp_targetILNS1_3genE4ELNS1_11target_archE910ELNS1_3gpuE8ELNS1_3repE0EEENS1_30default_config_static_selectorELNS0_4arch9wavefront6targetE0EEEvT1_,@function
_ZN7rocprim17ROCPRIM_400000_NS6detail17trampoline_kernelINS0_14default_configENS1_25partition_config_selectorILNS1_17partition_subalgoE9ExjbEEZZNS1_14partition_implILS5_9ELb0ES3_jN6thrust23THRUST_200600_302600_NS6detail15normal_iteratorINS9_10device_ptrIxEEEENSB_INSC_IjEEEEPNS0_10empty_typeENS0_5tupleIJSE_SH_EEENSJ_IJSG_SI_EEENS0_18inequality_wrapperINS9_8equal_toIxEEEEPmJSH_EEE10hipError_tPvRmT3_T4_T5_T6_T7_T9_mT8_P12ihipStream_tbDpT10_ENKUlT_T0_E_clISt17integral_constantIbLb1EES19_IbLb0EEEEDaS15_S16_EUlS15_E_NS1_11comp_targetILNS1_3genE4ELNS1_11target_archE910ELNS1_3gpuE8ELNS1_3repE0EEENS1_30default_config_static_selectorELNS0_4arch9wavefront6targetE0EEEvT1_: ; @_ZN7rocprim17ROCPRIM_400000_NS6detail17trampoline_kernelINS0_14default_configENS1_25partition_config_selectorILNS1_17partition_subalgoE9ExjbEEZZNS1_14partition_implILS5_9ELb0ES3_jN6thrust23THRUST_200600_302600_NS6detail15normal_iteratorINS9_10device_ptrIxEEEENSB_INSC_IjEEEEPNS0_10empty_typeENS0_5tupleIJSE_SH_EEENSJ_IJSG_SI_EEENS0_18inequality_wrapperINS9_8equal_toIxEEEEPmJSH_EEE10hipError_tPvRmT3_T4_T5_T6_T7_T9_mT8_P12ihipStream_tbDpT10_ENKUlT_T0_E_clISt17integral_constantIbLb1EES19_IbLb0EEEEDaS15_S16_EUlS15_E_NS1_11comp_targetILNS1_3genE4ELNS1_11target_archE910ELNS1_3gpuE8ELNS1_3repE0EEENS1_30default_config_static_selectorELNS0_4arch9wavefront6targetE0EEEvT1_
; %bb.0:
	.section	.rodata,"a",@progbits
	.p2align	6, 0x0
	.amdhsa_kernel _ZN7rocprim17ROCPRIM_400000_NS6detail17trampoline_kernelINS0_14default_configENS1_25partition_config_selectorILNS1_17partition_subalgoE9ExjbEEZZNS1_14partition_implILS5_9ELb0ES3_jN6thrust23THRUST_200600_302600_NS6detail15normal_iteratorINS9_10device_ptrIxEEEENSB_INSC_IjEEEEPNS0_10empty_typeENS0_5tupleIJSE_SH_EEENSJ_IJSG_SI_EEENS0_18inequality_wrapperINS9_8equal_toIxEEEEPmJSH_EEE10hipError_tPvRmT3_T4_T5_T6_T7_T9_mT8_P12ihipStream_tbDpT10_ENKUlT_T0_E_clISt17integral_constantIbLb1EES19_IbLb0EEEEDaS15_S16_EUlS15_E_NS1_11comp_targetILNS1_3genE4ELNS1_11target_archE910ELNS1_3gpuE8ELNS1_3repE0EEENS1_30default_config_static_selectorELNS0_4arch9wavefront6targetE0EEEvT1_
		.amdhsa_group_segment_fixed_size 0
		.amdhsa_private_segment_fixed_size 0
		.amdhsa_kernarg_size 112
		.amdhsa_user_sgpr_count 15
		.amdhsa_user_sgpr_dispatch_ptr 0
		.amdhsa_user_sgpr_queue_ptr 0
		.amdhsa_user_sgpr_kernarg_segment_ptr 1
		.amdhsa_user_sgpr_dispatch_id 0
		.amdhsa_user_sgpr_private_segment_size 0
		.amdhsa_wavefront_size32 1
		.amdhsa_uses_dynamic_stack 0
		.amdhsa_enable_private_segment 0
		.amdhsa_system_sgpr_workgroup_id_x 1
		.amdhsa_system_sgpr_workgroup_id_y 0
		.amdhsa_system_sgpr_workgroup_id_z 0
		.amdhsa_system_sgpr_workgroup_info 0
		.amdhsa_system_vgpr_workitem_id 0
		.amdhsa_next_free_vgpr 1
		.amdhsa_next_free_sgpr 1
		.amdhsa_reserve_vcc 0
		.amdhsa_float_round_mode_32 0
		.amdhsa_float_round_mode_16_64 0
		.amdhsa_float_denorm_mode_32 3
		.amdhsa_float_denorm_mode_16_64 3
		.amdhsa_dx10_clamp 1
		.amdhsa_ieee_mode 1
		.amdhsa_fp16_overflow 0
		.amdhsa_workgroup_processor_mode 1
		.amdhsa_memory_ordered 1
		.amdhsa_forward_progress 0
		.amdhsa_shared_vgpr_count 0
		.amdhsa_exception_fp_ieee_invalid_op 0
		.amdhsa_exception_fp_denorm_src 0
		.amdhsa_exception_fp_ieee_div_zero 0
		.amdhsa_exception_fp_ieee_overflow 0
		.amdhsa_exception_fp_ieee_underflow 0
		.amdhsa_exception_fp_ieee_inexact 0
		.amdhsa_exception_int_div_zero 0
	.end_amdhsa_kernel
	.section	.text._ZN7rocprim17ROCPRIM_400000_NS6detail17trampoline_kernelINS0_14default_configENS1_25partition_config_selectorILNS1_17partition_subalgoE9ExjbEEZZNS1_14partition_implILS5_9ELb0ES3_jN6thrust23THRUST_200600_302600_NS6detail15normal_iteratorINS9_10device_ptrIxEEEENSB_INSC_IjEEEEPNS0_10empty_typeENS0_5tupleIJSE_SH_EEENSJ_IJSG_SI_EEENS0_18inequality_wrapperINS9_8equal_toIxEEEEPmJSH_EEE10hipError_tPvRmT3_T4_T5_T6_T7_T9_mT8_P12ihipStream_tbDpT10_ENKUlT_T0_E_clISt17integral_constantIbLb1EES19_IbLb0EEEEDaS15_S16_EUlS15_E_NS1_11comp_targetILNS1_3genE4ELNS1_11target_archE910ELNS1_3gpuE8ELNS1_3repE0EEENS1_30default_config_static_selectorELNS0_4arch9wavefront6targetE0EEEvT1_,"axG",@progbits,_ZN7rocprim17ROCPRIM_400000_NS6detail17trampoline_kernelINS0_14default_configENS1_25partition_config_selectorILNS1_17partition_subalgoE9ExjbEEZZNS1_14partition_implILS5_9ELb0ES3_jN6thrust23THRUST_200600_302600_NS6detail15normal_iteratorINS9_10device_ptrIxEEEENSB_INSC_IjEEEEPNS0_10empty_typeENS0_5tupleIJSE_SH_EEENSJ_IJSG_SI_EEENS0_18inequality_wrapperINS9_8equal_toIxEEEEPmJSH_EEE10hipError_tPvRmT3_T4_T5_T6_T7_T9_mT8_P12ihipStream_tbDpT10_ENKUlT_T0_E_clISt17integral_constantIbLb1EES19_IbLb0EEEEDaS15_S16_EUlS15_E_NS1_11comp_targetILNS1_3genE4ELNS1_11target_archE910ELNS1_3gpuE8ELNS1_3repE0EEENS1_30default_config_static_selectorELNS0_4arch9wavefront6targetE0EEEvT1_,comdat
.Lfunc_end615:
	.size	_ZN7rocprim17ROCPRIM_400000_NS6detail17trampoline_kernelINS0_14default_configENS1_25partition_config_selectorILNS1_17partition_subalgoE9ExjbEEZZNS1_14partition_implILS5_9ELb0ES3_jN6thrust23THRUST_200600_302600_NS6detail15normal_iteratorINS9_10device_ptrIxEEEENSB_INSC_IjEEEEPNS0_10empty_typeENS0_5tupleIJSE_SH_EEENSJ_IJSG_SI_EEENS0_18inequality_wrapperINS9_8equal_toIxEEEEPmJSH_EEE10hipError_tPvRmT3_T4_T5_T6_T7_T9_mT8_P12ihipStream_tbDpT10_ENKUlT_T0_E_clISt17integral_constantIbLb1EES19_IbLb0EEEEDaS15_S16_EUlS15_E_NS1_11comp_targetILNS1_3genE4ELNS1_11target_archE910ELNS1_3gpuE8ELNS1_3repE0EEENS1_30default_config_static_selectorELNS0_4arch9wavefront6targetE0EEEvT1_, .Lfunc_end615-_ZN7rocprim17ROCPRIM_400000_NS6detail17trampoline_kernelINS0_14default_configENS1_25partition_config_selectorILNS1_17partition_subalgoE9ExjbEEZZNS1_14partition_implILS5_9ELb0ES3_jN6thrust23THRUST_200600_302600_NS6detail15normal_iteratorINS9_10device_ptrIxEEEENSB_INSC_IjEEEEPNS0_10empty_typeENS0_5tupleIJSE_SH_EEENSJ_IJSG_SI_EEENS0_18inequality_wrapperINS9_8equal_toIxEEEEPmJSH_EEE10hipError_tPvRmT3_T4_T5_T6_T7_T9_mT8_P12ihipStream_tbDpT10_ENKUlT_T0_E_clISt17integral_constantIbLb1EES19_IbLb0EEEEDaS15_S16_EUlS15_E_NS1_11comp_targetILNS1_3genE4ELNS1_11target_archE910ELNS1_3gpuE8ELNS1_3repE0EEENS1_30default_config_static_selectorELNS0_4arch9wavefront6targetE0EEEvT1_
                                        ; -- End function
	.section	.AMDGPU.csdata,"",@progbits
; Kernel info:
; codeLenInByte = 0
; NumSgprs: 0
; NumVgprs: 0
; ScratchSize: 0
; MemoryBound: 0
; FloatMode: 240
; IeeeMode: 1
; LDSByteSize: 0 bytes/workgroup (compile time only)
; SGPRBlocks: 0
; VGPRBlocks: 0
; NumSGPRsForWavesPerEU: 1
; NumVGPRsForWavesPerEU: 1
; Occupancy: 15
; WaveLimiterHint : 0
; COMPUTE_PGM_RSRC2:SCRATCH_EN: 0
; COMPUTE_PGM_RSRC2:USER_SGPR: 15
; COMPUTE_PGM_RSRC2:TRAP_HANDLER: 0
; COMPUTE_PGM_RSRC2:TGID_X_EN: 1
; COMPUTE_PGM_RSRC2:TGID_Y_EN: 0
; COMPUTE_PGM_RSRC2:TGID_Z_EN: 0
; COMPUTE_PGM_RSRC2:TIDIG_COMP_CNT: 0
	.section	.text._ZN7rocprim17ROCPRIM_400000_NS6detail17trampoline_kernelINS0_14default_configENS1_25partition_config_selectorILNS1_17partition_subalgoE9ExjbEEZZNS1_14partition_implILS5_9ELb0ES3_jN6thrust23THRUST_200600_302600_NS6detail15normal_iteratorINS9_10device_ptrIxEEEENSB_INSC_IjEEEEPNS0_10empty_typeENS0_5tupleIJSE_SH_EEENSJ_IJSG_SI_EEENS0_18inequality_wrapperINS9_8equal_toIxEEEEPmJSH_EEE10hipError_tPvRmT3_T4_T5_T6_T7_T9_mT8_P12ihipStream_tbDpT10_ENKUlT_T0_E_clISt17integral_constantIbLb1EES19_IbLb0EEEEDaS15_S16_EUlS15_E_NS1_11comp_targetILNS1_3genE3ELNS1_11target_archE908ELNS1_3gpuE7ELNS1_3repE0EEENS1_30default_config_static_selectorELNS0_4arch9wavefront6targetE0EEEvT1_,"axG",@progbits,_ZN7rocprim17ROCPRIM_400000_NS6detail17trampoline_kernelINS0_14default_configENS1_25partition_config_selectorILNS1_17partition_subalgoE9ExjbEEZZNS1_14partition_implILS5_9ELb0ES3_jN6thrust23THRUST_200600_302600_NS6detail15normal_iteratorINS9_10device_ptrIxEEEENSB_INSC_IjEEEEPNS0_10empty_typeENS0_5tupleIJSE_SH_EEENSJ_IJSG_SI_EEENS0_18inequality_wrapperINS9_8equal_toIxEEEEPmJSH_EEE10hipError_tPvRmT3_T4_T5_T6_T7_T9_mT8_P12ihipStream_tbDpT10_ENKUlT_T0_E_clISt17integral_constantIbLb1EES19_IbLb0EEEEDaS15_S16_EUlS15_E_NS1_11comp_targetILNS1_3genE3ELNS1_11target_archE908ELNS1_3gpuE7ELNS1_3repE0EEENS1_30default_config_static_selectorELNS0_4arch9wavefront6targetE0EEEvT1_,comdat
	.protected	_ZN7rocprim17ROCPRIM_400000_NS6detail17trampoline_kernelINS0_14default_configENS1_25partition_config_selectorILNS1_17partition_subalgoE9ExjbEEZZNS1_14partition_implILS5_9ELb0ES3_jN6thrust23THRUST_200600_302600_NS6detail15normal_iteratorINS9_10device_ptrIxEEEENSB_INSC_IjEEEEPNS0_10empty_typeENS0_5tupleIJSE_SH_EEENSJ_IJSG_SI_EEENS0_18inequality_wrapperINS9_8equal_toIxEEEEPmJSH_EEE10hipError_tPvRmT3_T4_T5_T6_T7_T9_mT8_P12ihipStream_tbDpT10_ENKUlT_T0_E_clISt17integral_constantIbLb1EES19_IbLb0EEEEDaS15_S16_EUlS15_E_NS1_11comp_targetILNS1_3genE3ELNS1_11target_archE908ELNS1_3gpuE7ELNS1_3repE0EEENS1_30default_config_static_selectorELNS0_4arch9wavefront6targetE0EEEvT1_ ; -- Begin function _ZN7rocprim17ROCPRIM_400000_NS6detail17trampoline_kernelINS0_14default_configENS1_25partition_config_selectorILNS1_17partition_subalgoE9ExjbEEZZNS1_14partition_implILS5_9ELb0ES3_jN6thrust23THRUST_200600_302600_NS6detail15normal_iteratorINS9_10device_ptrIxEEEENSB_INSC_IjEEEEPNS0_10empty_typeENS0_5tupleIJSE_SH_EEENSJ_IJSG_SI_EEENS0_18inequality_wrapperINS9_8equal_toIxEEEEPmJSH_EEE10hipError_tPvRmT3_T4_T5_T6_T7_T9_mT8_P12ihipStream_tbDpT10_ENKUlT_T0_E_clISt17integral_constantIbLb1EES19_IbLb0EEEEDaS15_S16_EUlS15_E_NS1_11comp_targetILNS1_3genE3ELNS1_11target_archE908ELNS1_3gpuE7ELNS1_3repE0EEENS1_30default_config_static_selectorELNS0_4arch9wavefront6targetE0EEEvT1_
	.globl	_ZN7rocprim17ROCPRIM_400000_NS6detail17trampoline_kernelINS0_14default_configENS1_25partition_config_selectorILNS1_17partition_subalgoE9ExjbEEZZNS1_14partition_implILS5_9ELb0ES3_jN6thrust23THRUST_200600_302600_NS6detail15normal_iteratorINS9_10device_ptrIxEEEENSB_INSC_IjEEEEPNS0_10empty_typeENS0_5tupleIJSE_SH_EEENSJ_IJSG_SI_EEENS0_18inequality_wrapperINS9_8equal_toIxEEEEPmJSH_EEE10hipError_tPvRmT3_T4_T5_T6_T7_T9_mT8_P12ihipStream_tbDpT10_ENKUlT_T0_E_clISt17integral_constantIbLb1EES19_IbLb0EEEEDaS15_S16_EUlS15_E_NS1_11comp_targetILNS1_3genE3ELNS1_11target_archE908ELNS1_3gpuE7ELNS1_3repE0EEENS1_30default_config_static_selectorELNS0_4arch9wavefront6targetE0EEEvT1_
	.p2align	8
	.type	_ZN7rocprim17ROCPRIM_400000_NS6detail17trampoline_kernelINS0_14default_configENS1_25partition_config_selectorILNS1_17partition_subalgoE9ExjbEEZZNS1_14partition_implILS5_9ELb0ES3_jN6thrust23THRUST_200600_302600_NS6detail15normal_iteratorINS9_10device_ptrIxEEEENSB_INSC_IjEEEEPNS0_10empty_typeENS0_5tupleIJSE_SH_EEENSJ_IJSG_SI_EEENS0_18inequality_wrapperINS9_8equal_toIxEEEEPmJSH_EEE10hipError_tPvRmT3_T4_T5_T6_T7_T9_mT8_P12ihipStream_tbDpT10_ENKUlT_T0_E_clISt17integral_constantIbLb1EES19_IbLb0EEEEDaS15_S16_EUlS15_E_NS1_11comp_targetILNS1_3genE3ELNS1_11target_archE908ELNS1_3gpuE7ELNS1_3repE0EEENS1_30default_config_static_selectorELNS0_4arch9wavefront6targetE0EEEvT1_,@function
_ZN7rocprim17ROCPRIM_400000_NS6detail17trampoline_kernelINS0_14default_configENS1_25partition_config_selectorILNS1_17partition_subalgoE9ExjbEEZZNS1_14partition_implILS5_9ELb0ES3_jN6thrust23THRUST_200600_302600_NS6detail15normal_iteratorINS9_10device_ptrIxEEEENSB_INSC_IjEEEEPNS0_10empty_typeENS0_5tupleIJSE_SH_EEENSJ_IJSG_SI_EEENS0_18inequality_wrapperINS9_8equal_toIxEEEEPmJSH_EEE10hipError_tPvRmT3_T4_T5_T6_T7_T9_mT8_P12ihipStream_tbDpT10_ENKUlT_T0_E_clISt17integral_constantIbLb1EES19_IbLb0EEEEDaS15_S16_EUlS15_E_NS1_11comp_targetILNS1_3genE3ELNS1_11target_archE908ELNS1_3gpuE7ELNS1_3repE0EEENS1_30default_config_static_selectorELNS0_4arch9wavefront6targetE0EEEvT1_: ; @_ZN7rocprim17ROCPRIM_400000_NS6detail17trampoline_kernelINS0_14default_configENS1_25partition_config_selectorILNS1_17partition_subalgoE9ExjbEEZZNS1_14partition_implILS5_9ELb0ES3_jN6thrust23THRUST_200600_302600_NS6detail15normal_iteratorINS9_10device_ptrIxEEEENSB_INSC_IjEEEEPNS0_10empty_typeENS0_5tupleIJSE_SH_EEENSJ_IJSG_SI_EEENS0_18inequality_wrapperINS9_8equal_toIxEEEEPmJSH_EEE10hipError_tPvRmT3_T4_T5_T6_T7_T9_mT8_P12ihipStream_tbDpT10_ENKUlT_T0_E_clISt17integral_constantIbLb1EES19_IbLb0EEEEDaS15_S16_EUlS15_E_NS1_11comp_targetILNS1_3genE3ELNS1_11target_archE908ELNS1_3gpuE7ELNS1_3repE0EEENS1_30default_config_static_selectorELNS0_4arch9wavefront6targetE0EEEvT1_
; %bb.0:
	.section	.rodata,"a",@progbits
	.p2align	6, 0x0
	.amdhsa_kernel _ZN7rocprim17ROCPRIM_400000_NS6detail17trampoline_kernelINS0_14default_configENS1_25partition_config_selectorILNS1_17partition_subalgoE9ExjbEEZZNS1_14partition_implILS5_9ELb0ES3_jN6thrust23THRUST_200600_302600_NS6detail15normal_iteratorINS9_10device_ptrIxEEEENSB_INSC_IjEEEEPNS0_10empty_typeENS0_5tupleIJSE_SH_EEENSJ_IJSG_SI_EEENS0_18inequality_wrapperINS9_8equal_toIxEEEEPmJSH_EEE10hipError_tPvRmT3_T4_T5_T6_T7_T9_mT8_P12ihipStream_tbDpT10_ENKUlT_T0_E_clISt17integral_constantIbLb1EES19_IbLb0EEEEDaS15_S16_EUlS15_E_NS1_11comp_targetILNS1_3genE3ELNS1_11target_archE908ELNS1_3gpuE7ELNS1_3repE0EEENS1_30default_config_static_selectorELNS0_4arch9wavefront6targetE0EEEvT1_
		.amdhsa_group_segment_fixed_size 0
		.amdhsa_private_segment_fixed_size 0
		.amdhsa_kernarg_size 112
		.amdhsa_user_sgpr_count 15
		.amdhsa_user_sgpr_dispatch_ptr 0
		.amdhsa_user_sgpr_queue_ptr 0
		.amdhsa_user_sgpr_kernarg_segment_ptr 1
		.amdhsa_user_sgpr_dispatch_id 0
		.amdhsa_user_sgpr_private_segment_size 0
		.amdhsa_wavefront_size32 1
		.amdhsa_uses_dynamic_stack 0
		.amdhsa_enable_private_segment 0
		.amdhsa_system_sgpr_workgroup_id_x 1
		.amdhsa_system_sgpr_workgroup_id_y 0
		.amdhsa_system_sgpr_workgroup_id_z 0
		.amdhsa_system_sgpr_workgroup_info 0
		.amdhsa_system_vgpr_workitem_id 0
		.amdhsa_next_free_vgpr 1
		.amdhsa_next_free_sgpr 1
		.amdhsa_reserve_vcc 0
		.amdhsa_float_round_mode_32 0
		.amdhsa_float_round_mode_16_64 0
		.amdhsa_float_denorm_mode_32 3
		.amdhsa_float_denorm_mode_16_64 3
		.amdhsa_dx10_clamp 1
		.amdhsa_ieee_mode 1
		.amdhsa_fp16_overflow 0
		.amdhsa_workgroup_processor_mode 1
		.amdhsa_memory_ordered 1
		.amdhsa_forward_progress 0
		.amdhsa_shared_vgpr_count 0
		.amdhsa_exception_fp_ieee_invalid_op 0
		.amdhsa_exception_fp_denorm_src 0
		.amdhsa_exception_fp_ieee_div_zero 0
		.amdhsa_exception_fp_ieee_overflow 0
		.amdhsa_exception_fp_ieee_underflow 0
		.amdhsa_exception_fp_ieee_inexact 0
		.amdhsa_exception_int_div_zero 0
	.end_amdhsa_kernel
	.section	.text._ZN7rocprim17ROCPRIM_400000_NS6detail17trampoline_kernelINS0_14default_configENS1_25partition_config_selectorILNS1_17partition_subalgoE9ExjbEEZZNS1_14partition_implILS5_9ELb0ES3_jN6thrust23THRUST_200600_302600_NS6detail15normal_iteratorINS9_10device_ptrIxEEEENSB_INSC_IjEEEEPNS0_10empty_typeENS0_5tupleIJSE_SH_EEENSJ_IJSG_SI_EEENS0_18inequality_wrapperINS9_8equal_toIxEEEEPmJSH_EEE10hipError_tPvRmT3_T4_T5_T6_T7_T9_mT8_P12ihipStream_tbDpT10_ENKUlT_T0_E_clISt17integral_constantIbLb1EES19_IbLb0EEEEDaS15_S16_EUlS15_E_NS1_11comp_targetILNS1_3genE3ELNS1_11target_archE908ELNS1_3gpuE7ELNS1_3repE0EEENS1_30default_config_static_selectorELNS0_4arch9wavefront6targetE0EEEvT1_,"axG",@progbits,_ZN7rocprim17ROCPRIM_400000_NS6detail17trampoline_kernelINS0_14default_configENS1_25partition_config_selectorILNS1_17partition_subalgoE9ExjbEEZZNS1_14partition_implILS5_9ELb0ES3_jN6thrust23THRUST_200600_302600_NS6detail15normal_iteratorINS9_10device_ptrIxEEEENSB_INSC_IjEEEEPNS0_10empty_typeENS0_5tupleIJSE_SH_EEENSJ_IJSG_SI_EEENS0_18inequality_wrapperINS9_8equal_toIxEEEEPmJSH_EEE10hipError_tPvRmT3_T4_T5_T6_T7_T9_mT8_P12ihipStream_tbDpT10_ENKUlT_T0_E_clISt17integral_constantIbLb1EES19_IbLb0EEEEDaS15_S16_EUlS15_E_NS1_11comp_targetILNS1_3genE3ELNS1_11target_archE908ELNS1_3gpuE7ELNS1_3repE0EEENS1_30default_config_static_selectorELNS0_4arch9wavefront6targetE0EEEvT1_,comdat
.Lfunc_end616:
	.size	_ZN7rocprim17ROCPRIM_400000_NS6detail17trampoline_kernelINS0_14default_configENS1_25partition_config_selectorILNS1_17partition_subalgoE9ExjbEEZZNS1_14partition_implILS5_9ELb0ES3_jN6thrust23THRUST_200600_302600_NS6detail15normal_iteratorINS9_10device_ptrIxEEEENSB_INSC_IjEEEEPNS0_10empty_typeENS0_5tupleIJSE_SH_EEENSJ_IJSG_SI_EEENS0_18inequality_wrapperINS9_8equal_toIxEEEEPmJSH_EEE10hipError_tPvRmT3_T4_T5_T6_T7_T9_mT8_P12ihipStream_tbDpT10_ENKUlT_T0_E_clISt17integral_constantIbLb1EES19_IbLb0EEEEDaS15_S16_EUlS15_E_NS1_11comp_targetILNS1_3genE3ELNS1_11target_archE908ELNS1_3gpuE7ELNS1_3repE0EEENS1_30default_config_static_selectorELNS0_4arch9wavefront6targetE0EEEvT1_, .Lfunc_end616-_ZN7rocprim17ROCPRIM_400000_NS6detail17trampoline_kernelINS0_14default_configENS1_25partition_config_selectorILNS1_17partition_subalgoE9ExjbEEZZNS1_14partition_implILS5_9ELb0ES3_jN6thrust23THRUST_200600_302600_NS6detail15normal_iteratorINS9_10device_ptrIxEEEENSB_INSC_IjEEEEPNS0_10empty_typeENS0_5tupleIJSE_SH_EEENSJ_IJSG_SI_EEENS0_18inequality_wrapperINS9_8equal_toIxEEEEPmJSH_EEE10hipError_tPvRmT3_T4_T5_T6_T7_T9_mT8_P12ihipStream_tbDpT10_ENKUlT_T0_E_clISt17integral_constantIbLb1EES19_IbLb0EEEEDaS15_S16_EUlS15_E_NS1_11comp_targetILNS1_3genE3ELNS1_11target_archE908ELNS1_3gpuE7ELNS1_3repE0EEENS1_30default_config_static_selectorELNS0_4arch9wavefront6targetE0EEEvT1_
                                        ; -- End function
	.section	.AMDGPU.csdata,"",@progbits
; Kernel info:
; codeLenInByte = 0
; NumSgprs: 0
; NumVgprs: 0
; ScratchSize: 0
; MemoryBound: 0
; FloatMode: 240
; IeeeMode: 1
; LDSByteSize: 0 bytes/workgroup (compile time only)
; SGPRBlocks: 0
; VGPRBlocks: 0
; NumSGPRsForWavesPerEU: 1
; NumVGPRsForWavesPerEU: 1
; Occupancy: 16
; WaveLimiterHint : 0
; COMPUTE_PGM_RSRC2:SCRATCH_EN: 0
; COMPUTE_PGM_RSRC2:USER_SGPR: 15
; COMPUTE_PGM_RSRC2:TRAP_HANDLER: 0
; COMPUTE_PGM_RSRC2:TGID_X_EN: 1
; COMPUTE_PGM_RSRC2:TGID_Y_EN: 0
; COMPUTE_PGM_RSRC2:TGID_Z_EN: 0
; COMPUTE_PGM_RSRC2:TIDIG_COMP_CNT: 0
	.section	.text._ZN7rocprim17ROCPRIM_400000_NS6detail17trampoline_kernelINS0_14default_configENS1_25partition_config_selectorILNS1_17partition_subalgoE9ExjbEEZZNS1_14partition_implILS5_9ELb0ES3_jN6thrust23THRUST_200600_302600_NS6detail15normal_iteratorINS9_10device_ptrIxEEEENSB_INSC_IjEEEEPNS0_10empty_typeENS0_5tupleIJSE_SH_EEENSJ_IJSG_SI_EEENS0_18inequality_wrapperINS9_8equal_toIxEEEEPmJSH_EEE10hipError_tPvRmT3_T4_T5_T6_T7_T9_mT8_P12ihipStream_tbDpT10_ENKUlT_T0_E_clISt17integral_constantIbLb1EES19_IbLb0EEEEDaS15_S16_EUlS15_E_NS1_11comp_targetILNS1_3genE2ELNS1_11target_archE906ELNS1_3gpuE6ELNS1_3repE0EEENS1_30default_config_static_selectorELNS0_4arch9wavefront6targetE0EEEvT1_,"axG",@progbits,_ZN7rocprim17ROCPRIM_400000_NS6detail17trampoline_kernelINS0_14default_configENS1_25partition_config_selectorILNS1_17partition_subalgoE9ExjbEEZZNS1_14partition_implILS5_9ELb0ES3_jN6thrust23THRUST_200600_302600_NS6detail15normal_iteratorINS9_10device_ptrIxEEEENSB_INSC_IjEEEEPNS0_10empty_typeENS0_5tupleIJSE_SH_EEENSJ_IJSG_SI_EEENS0_18inequality_wrapperINS9_8equal_toIxEEEEPmJSH_EEE10hipError_tPvRmT3_T4_T5_T6_T7_T9_mT8_P12ihipStream_tbDpT10_ENKUlT_T0_E_clISt17integral_constantIbLb1EES19_IbLb0EEEEDaS15_S16_EUlS15_E_NS1_11comp_targetILNS1_3genE2ELNS1_11target_archE906ELNS1_3gpuE6ELNS1_3repE0EEENS1_30default_config_static_selectorELNS0_4arch9wavefront6targetE0EEEvT1_,comdat
	.protected	_ZN7rocprim17ROCPRIM_400000_NS6detail17trampoline_kernelINS0_14default_configENS1_25partition_config_selectorILNS1_17partition_subalgoE9ExjbEEZZNS1_14partition_implILS5_9ELb0ES3_jN6thrust23THRUST_200600_302600_NS6detail15normal_iteratorINS9_10device_ptrIxEEEENSB_INSC_IjEEEEPNS0_10empty_typeENS0_5tupleIJSE_SH_EEENSJ_IJSG_SI_EEENS0_18inequality_wrapperINS9_8equal_toIxEEEEPmJSH_EEE10hipError_tPvRmT3_T4_T5_T6_T7_T9_mT8_P12ihipStream_tbDpT10_ENKUlT_T0_E_clISt17integral_constantIbLb1EES19_IbLb0EEEEDaS15_S16_EUlS15_E_NS1_11comp_targetILNS1_3genE2ELNS1_11target_archE906ELNS1_3gpuE6ELNS1_3repE0EEENS1_30default_config_static_selectorELNS0_4arch9wavefront6targetE0EEEvT1_ ; -- Begin function _ZN7rocprim17ROCPRIM_400000_NS6detail17trampoline_kernelINS0_14default_configENS1_25partition_config_selectorILNS1_17partition_subalgoE9ExjbEEZZNS1_14partition_implILS5_9ELb0ES3_jN6thrust23THRUST_200600_302600_NS6detail15normal_iteratorINS9_10device_ptrIxEEEENSB_INSC_IjEEEEPNS0_10empty_typeENS0_5tupleIJSE_SH_EEENSJ_IJSG_SI_EEENS0_18inequality_wrapperINS9_8equal_toIxEEEEPmJSH_EEE10hipError_tPvRmT3_T4_T5_T6_T7_T9_mT8_P12ihipStream_tbDpT10_ENKUlT_T0_E_clISt17integral_constantIbLb1EES19_IbLb0EEEEDaS15_S16_EUlS15_E_NS1_11comp_targetILNS1_3genE2ELNS1_11target_archE906ELNS1_3gpuE6ELNS1_3repE0EEENS1_30default_config_static_selectorELNS0_4arch9wavefront6targetE0EEEvT1_
	.globl	_ZN7rocprim17ROCPRIM_400000_NS6detail17trampoline_kernelINS0_14default_configENS1_25partition_config_selectorILNS1_17partition_subalgoE9ExjbEEZZNS1_14partition_implILS5_9ELb0ES3_jN6thrust23THRUST_200600_302600_NS6detail15normal_iteratorINS9_10device_ptrIxEEEENSB_INSC_IjEEEEPNS0_10empty_typeENS0_5tupleIJSE_SH_EEENSJ_IJSG_SI_EEENS0_18inequality_wrapperINS9_8equal_toIxEEEEPmJSH_EEE10hipError_tPvRmT3_T4_T5_T6_T7_T9_mT8_P12ihipStream_tbDpT10_ENKUlT_T0_E_clISt17integral_constantIbLb1EES19_IbLb0EEEEDaS15_S16_EUlS15_E_NS1_11comp_targetILNS1_3genE2ELNS1_11target_archE906ELNS1_3gpuE6ELNS1_3repE0EEENS1_30default_config_static_selectorELNS0_4arch9wavefront6targetE0EEEvT1_
	.p2align	8
	.type	_ZN7rocprim17ROCPRIM_400000_NS6detail17trampoline_kernelINS0_14default_configENS1_25partition_config_selectorILNS1_17partition_subalgoE9ExjbEEZZNS1_14partition_implILS5_9ELb0ES3_jN6thrust23THRUST_200600_302600_NS6detail15normal_iteratorINS9_10device_ptrIxEEEENSB_INSC_IjEEEEPNS0_10empty_typeENS0_5tupleIJSE_SH_EEENSJ_IJSG_SI_EEENS0_18inequality_wrapperINS9_8equal_toIxEEEEPmJSH_EEE10hipError_tPvRmT3_T4_T5_T6_T7_T9_mT8_P12ihipStream_tbDpT10_ENKUlT_T0_E_clISt17integral_constantIbLb1EES19_IbLb0EEEEDaS15_S16_EUlS15_E_NS1_11comp_targetILNS1_3genE2ELNS1_11target_archE906ELNS1_3gpuE6ELNS1_3repE0EEENS1_30default_config_static_selectorELNS0_4arch9wavefront6targetE0EEEvT1_,@function
_ZN7rocprim17ROCPRIM_400000_NS6detail17trampoline_kernelINS0_14default_configENS1_25partition_config_selectorILNS1_17partition_subalgoE9ExjbEEZZNS1_14partition_implILS5_9ELb0ES3_jN6thrust23THRUST_200600_302600_NS6detail15normal_iteratorINS9_10device_ptrIxEEEENSB_INSC_IjEEEEPNS0_10empty_typeENS0_5tupleIJSE_SH_EEENSJ_IJSG_SI_EEENS0_18inequality_wrapperINS9_8equal_toIxEEEEPmJSH_EEE10hipError_tPvRmT3_T4_T5_T6_T7_T9_mT8_P12ihipStream_tbDpT10_ENKUlT_T0_E_clISt17integral_constantIbLb1EES19_IbLb0EEEEDaS15_S16_EUlS15_E_NS1_11comp_targetILNS1_3genE2ELNS1_11target_archE906ELNS1_3gpuE6ELNS1_3repE0EEENS1_30default_config_static_selectorELNS0_4arch9wavefront6targetE0EEEvT1_: ; @_ZN7rocprim17ROCPRIM_400000_NS6detail17trampoline_kernelINS0_14default_configENS1_25partition_config_selectorILNS1_17partition_subalgoE9ExjbEEZZNS1_14partition_implILS5_9ELb0ES3_jN6thrust23THRUST_200600_302600_NS6detail15normal_iteratorINS9_10device_ptrIxEEEENSB_INSC_IjEEEEPNS0_10empty_typeENS0_5tupleIJSE_SH_EEENSJ_IJSG_SI_EEENS0_18inequality_wrapperINS9_8equal_toIxEEEEPmJSH_EEE10hipError_tPvRmT3_T4_T5_T6_T7_T9_mT8_P12ihipStream_tbDpT10_ENKUlT_T0_E_clISt17integral_constantIbLb1EES19_IbLb0EEEEDaS15_S16_EUlS15_E_NS1_11comp_targetILNS1_3genE2ELNS1_11target_archE906ELNS1_3gpuE6ELNS1_3repE0EEENS1_30default_config_static_selectorELNS0_4arch9wavefront6targetE0EEEvT1_
; %bb.0:
	.section	.rodata,"a",@progbits
	.p2align	6, 0x0
	.amdhsa_kernel _ZN7rocprim17ROCPRIM_400000_NS6detail17trampoline_kernelINS0_14default_configENS1_25partition_config_selectorILNS1_17partition_subalgoE9ExjbEEZZNS1_14partition_implILS5_9ELb0ES3_jN6thrust23THRUST_200600_302600_NS6detail15normal_iteratorINS9_10device_ptrIxEEEENSB_INSC_IjEEEEPNS0_10empty_typeENS0_5tupleIJSE_SH_EEENSJ_IJSG_SI_EEENS0_18inequality_wrapperINS9_8equal_toIxEEEEPmJSH_EEE10hipError_tPvRmT3_T4_T5_T6_T7_T9_mT8_P12ihipStream_tbDpT10_ENKUlT_T0_E_clISt17integral_constantIbLb1EES19_IbLb0EEEEDaS15_S16_EUlS15_E_NS1_11comp_targetILNS1_3genE2ELNS1_11target_archE906ELNS1_3gpuE6ELNS1_3repE0EEENS1_30default_config_static_selectorELNS0_4arch9wavefront6targetE0EEEvT1_
		.amdhsa_group_segment_fixed_size 0
		.amdhsa_private_segment_fixed_size 0
		.amdhsa_kernarg_size 112
		.amdhsa_user_sgpr_count 15
		.amdhsa_user_sgpr_dispatch_ptr 0
		.amdhsa_user_sgpr_queue_ptr 0
		.amdhsa_user_sgpr_kernarg_segment_ptr 1
		.amdhsa_user_sgpr_dispatch_id 0
		.amdhsa_user_sgpr_private_segment_size 0
		.amdhsa_wavefront_size32 1
		.amdhsa_uses_dynamic_stack 0
		.amdhsa_enable_private_segment 0
		.amdhsa_system_sgpr_workgroup_id_x 1
		.amdhsa_system_sgpr_workgroup_id_y 0
		.amdhsa_system_sgpr_workgroup_id_z 0
		.amdhsa_system_sgpr_workgroup_info 0
		.amdhsa_system_vgpr_workitem_id 0
		.amdhsa_next_free_vgpr 1
		.amdhsa_next_free_sgpr 1
		.amdhsa_reserve_vcc 0
		.amdhsa_float_round_mode_32 0
		.amdhsa_float_round_mode_16_64 0
		.amdhsa_float_denorm_mode_32 3
		.amdhsa_float_denorm_mode_16_64 3
		.amdhsa_dx10_clamp 1
		.amdhsa_ieee_mode 1
		.amdhsa_fp16_overflow 0
		.amdhsa_workgroup_processor_mode 1
		.amdhsa_memory_ordered 1
		.amdhsa_forward_progress 0
		.amdhsa_shared_vgpr_count 0
		.amdhsa_exception_fp_ieee_invalid_op 0
		.amdhsa_exception_fp_denorm_src 0
		.amdhsa_exception_fp_ieee_div_zero 0
		.amdhsa_exception_fp_ieee_overflow 0
		.amdhsa_exception_fp_ieee_underflow 0
		.amdhsa_exception_fp_ieee_inexact 0
		.amdhsa_exception_int_div_zero 0
	.end_amdhsa_kernel
	.section	.text._ZN7rocprim17ROCPRIM_400000_NS6detail17trampoline_kernelINS0_14default_configENS1_25partition_config_selectorILNS1_17partition_subalgoE9ExjbEEZZNS1_14partition_implILS5_9ELb0ES3_jN6thrust23THRUST_200600_302600_NS6detail15normal_iteratorINS9_10device_ptrIxEEEENSB_INSC_IjEEEEPNS0_10empty_typeENS0_5tupleIJSE_SH_EEENSJ_IJSG_SI_EEENS0_18inequality_wrapperINS9_8equal_toIxEEEEPmJSH_EEE10hipError_tPvRmT3_T4_T5_T6_T7_T9_mT8_P12ihipStream_tbDpT10_ENKUlT_T0_E_clISt17integral_constantIbLb1EES19_IbLb0EEEEDaS15_S16_EUlS15_E_NS1_11comp_targetILNS1_3genE2ELNS1_11target_archE906ELNS1_3gpuE6ELNS1_3repE0EEENS1_30default_config_static_selectorELNS0_4arch9wavefront6targetE0EEEvT1_,"axG",@progbits,_ZN7rocprim17ROCPRIM_400000_NS6detail17trampoline_kernelINS0_14default_configENS1_25partition_config_selectorILNS1_17partition_subalgoE9ExjbEEZZNS1_14partition_implILS5_9ELb0ES3_jN6thrust23THRUST_200600_302600_NS6detail15normal_iteratorINS9_10device_ptrIxEEEENSB_INSC_IjEEEEPNS0_10empty_typeENS0_5tupleIJSE_SH_EEENSJ_IJSG_SI_EEENS0_18inequality_wrapperINS9_8equal_toIxEEEEPmJSH_EEE10hipError_tPvRmT3_T4_T5_T6_T7_T9_mT8_P12ihipStream_tbDpT10_ENKUlT_T0_E_clISt17integral_constantIbLb1EES19_IbLb0EEEEDaS15_S16_EUlS15_E_NS1_11comp_targetILNS1_3genE2ELNS1_11target_archE906ELNS1_3gpuE6ELNS1_3repE0EEENS1_30default_config_static_selectorELNS0_4arch9wavefront6targetE0EEEvT1_,comdat
.Lfunc_end617:
	.size	_ZN7rocprim17ROCPRIM_400000_NS6detail17trampoline_kernelINS0_14default_configENS1_25partition_config_selectorILNS1_17partition_subalgoE9ExjbEEZZNS1_14partition_implILS5_9ELb0ES3_jN6thrust23THRUST_200600_302600_NS6detail15normal_iteratorINS9_10device_ptrIxEEEENSB_INSC_IjEEEEPNS0_10empty_typeENS0_5tupleIJSE_SH_EEENSJ_IJSG_SI_EEENS0_18inequality_wrapperINS9_8equal_toIxEEEEPmJSH_EEE10hipError_tPvRmT3_T4_T5_T6_T7_T9_mT8_P12ihipStream_tbDpT10_ENKUlT_T0_E_clISt17integral_constantIbLb1EES19_IbLb0EEEEDaS15_S16_EUlS15_E_NS1_11comp_targetILNS1_3genE2ELNS1_11target_archE906ELNS1_3gpuE6ELNS1_3repE0EEENS1_30default_config_static_selectorELNS0_4arch9wavefront6targetE0EEEvT1_, .Lfunc_end617-_ZN7rocprim17ROCPRIM_400000_NS6detail17trampoline_kernelINS0_14default_configENS1_25partition_config_selectorILNS1_17partition_subalgoE9ExjbEEZZNS1_14partition_implILS5_9ELb0ES3_jN6thrust23THRUST_200600_302600_NS6detail15normal_iteratorINS9_10device_ptrIxEEEENSB_INSC_IjEEEEPNS0_10empty_typeENS0_5tupleIJSE_SH_EEENSJ_IJSG_SI_EEENS0_18inequality_wrapperINS9_8equal_toIxEEEEPmJSH_EEE10hipError_tPvRmT3_T4_T5_T6_T7_T9_mT8_P12ihipStream_tbDpT10_ENKUlT_T0_E_clISt17integral_constantIbLb1EES19_IbLb0EEEEDaS15_S16_EUlS15_E_NS1_11comp_targetILNS1_3genE2ELNS1_11target_archE906ELNS1_3gpuE6ELNS1_3repE0EEENS1_30default_config_static_selectorELNS0_4arch9wavefront6targetE0EEEvT1_
                                        ; -- End function
	.section	.AMDGPU.csdata,"",@progbits
; Kernel info:
; codeLenInByte = 0
; NumSgprs: 0
; NumVgprs: 0
; ScratchSize: 0
; MemoryBound: 0
; FloatMode: 240
; IeeeMode: 1
; LDSByteSize: 0 bytes/workgroup (compile time only)
; SGPRBlocks: 0
; VGPRBlocks: 0
; NumSGPRsForWavesPerEU: 1
; NumVGPRsForWavesPerEU: 1
; Occupancy: 16
; WaveLimiterHint : 0
; COMPUTE_PGM_RSRC2:SCRATCH_EN: 0
; COMPUTE_PGM_RSRC2:USER_SGPR: 15
; COMPUTE_PGM_RSRC2:TRAP_HANDLER: 0
; COMPUTE_PGM_RSRC2:TGID_X_EN: 1
; COMPUTE_PGM_RSRC2:TGID_Y_EN: 0
; COMPUTE_PGM_RSRC2:TGID_Z_EN: 0
; COMPUTE_PGM_RSRC2:TIDIG_COMP_CNT: 0
	.section	.text._ZN7rocprim17ROCPRIM_400000_NS6detail17trampoline_kernelINS0_14default_configENS1_25partition_config_selectorILNS1_17partition_subalgoE9ExjbEEZZNS1_14partition_implILS5_9ELb0ES3_jN6thrust23THRUST_200600_302600_NS6detail15normal_iteratorINS9_10device_ptrIxEEEENSB_INSC_IjEEEEPNS0_10empty_typeENS0_5tupleIJSE_SH_EEENSJ_IJSG_SI_EEENS0_18inequality_wrapperINS9_8equal_toIxEEEEPmJSH_EEE10hipError_tPvRmT3_T4_T5_T6_T7_T9_mT8_P12ihipStream_tbDpT10_ENKUlT_T0_E_clISt17integral_constantIbLb1EES19_IbLb0EEEEDaS15_S16_EUlS15_E_NS1_11comp_targetILNS1_3genE10ELNS1_11target_archE1200ELNS1_3gpuE4ELNS1_3repE0EEENS1_30default_config_static_selectorELNS0_4arch9wavefront6targetE0EEEvT1_,"axG",@progbits,_ZN7rocprim17ROCPRIM_400000_NS6detail17trampoline_kernelINS0_14default_configENS1_25partition_config_selectorILNS1_17partition_subalgoE9ExjbEEZZNS1_14partition_implILS5_9ELb0ES3_jN6thrust23THRUST_200600_302600_NS6detail15normal_iteratorINS9_10device_ptrIxEEEENSB_INSC_IjEEEEPNS0_10empty_typeENS0_5tupleIJSE_SH_EEENSJ_IJSG_SI_EEENS0_18inequality_wrapperINS9_8equal_toIxEEEEPmJSH_EEE10hipError_tPvRmT3_T4_T5_T6_T7_T9_mT8_P12ihipStream_tbDpT10_ENKUlT_T0_E_clISt17integral_constantIbLb1EES19_IbLb0EEEEDaS15_S16_EUlS15_E_NS1_11comp_targetILNS1_3genE10ELNS1_11target_archE1200ELNS1_3gpuE4ELNS1_3repE0EEENS1_30default_config_static_selectorELNS0_4arch9wavefront6targetE0EEEvT1_,comdat
	.protected	_ZN7rocprim17ROCPRIM_400000_NS6detail17trampoline_kernelINS0_14default_configENS1_25partition_config_selectorILNS1_17partition_subalgoE9ExjbEEZZNS1_14partition_implILS5_9ELb0ES3_jN6thrust23THRUST_200600_302600_NS6detail15normal_iteratorINS9_10device_ptrIxEEEENSB_INSC_IjEEEEPNS0_10empty_typeENS0_5tupleIJSE_SH_EEENSJ_IJSG_SI_EEENS0_18inequality_wrapperINS9_8equal_toIxEEEEPmJSH_EEE10hipError_tPvRmT3_T4_T5_T6_T7_T9_mT8_P12ihipStream_tbDpT10_ENKUlT_T0_E_clISt17integral_constantIbLb1EES19_IbLb0EEEEDaS15_S16_EUlS15_E_NS1_11comp_targetILNS1_3genE10ELNS1_11target_archE1200ELNS1_3gpuE4ELNS1_3repE0EEENS1_30default_config_static_selectorELNS0_4arch9wavefront6targetE0EEEvT1_ ; -- Begin function _ZN7rocprim17ROCPRIM_400000_NS6detail17trampoline_kernelINS0_14default_configENS1_25partition_config_selectorILNS1_17partition_subalgoE9ExjbEEZZNS1_14partition_implILS5_9ELb0ES3_jN6thrust23THRUST_200600_302600_NS6detail15normal_iteratorINS9_10device_ptrIxEEEENSB_INSC_IjEEEEPNS0_10empty_typeENS0_5tupleIJSE_SH_EEENSJ_IJSG_SI_EEENS0_18inequality_wrapperINS9_8equal_toIxEEEEPmJSH_EEE10hipError_tPvRmT3_T4_T5_T6_T7_T9_mT8_P12ihipStream_tbDpT10_ENKUlT_T0_E_clISt17integral_constantIbLb1EES19_IbLb0EEEEDaS15_S16_EUlS15_E_NS1_11comp_targetILNS1_3genE10ELNS1_11target_archE1200ELNS1_3gpuE4ELNS1_3repE0EEENS1_30default_config_static_selectorELNS0_4arch9wavefront6targetE0EEEvT1_
	.globl	_ZN7rocprim17ROCPRIM_400000_NS6detail17trampoline_kernelINS0_14default_configENS1_25partition_config_selectorILNS1_17partition_subalgoE9ExjbEEZZNS1_14partition_implILS5_9ELb0ES3_jN6thrust23THRUST_200600_302600_NS6detail15normal_iteratorINS9_10device_ptrIxEEEENSB_INSC_IjEEEEPNS0_10empty_typeENS0_5tupleIJSE_SH_EEENSJ_IJSG_SI_EEENS0_18inequality_wrapperINS9_8equal_toIxEEEEPmJSH_EEE10hipError_tPvRmT3_T4_T5_T6_T7_T9_mT8_P12ihipStream_tbDpT10_ENKUlT_T0_E_clISt17integral_constantIbLb1EES19_IbLb0EEEEDaS15_S16_EUlS15_E_NS1_11comp_targetILNS1_3genE10ELNS1_11target_archE1200ELNS1_3gpuE4ELNS1_3repE0EEENS1_30default_config_static_selectorELNS0_4arch9wavefront6targetE0EEEvT1_
	.p2align	8
	.type	_ZN7rocprim17ROCPRIM_400000_NS6detail17trampoline_kernelINS0_14default_configENS1_25partition_config_selectorILNS1_17partition_subalgoE9ExjbEEZZNS1_14partition_implILS5_9ELb0ES3_jN6thrust23THRUST_200600_302600_NS6detail15normal_iteratorINS9_10device_ptrIxEEEENSB_INSC_IjEEEEPNS0_10empty_typeENS0_5tupleIJSE_SH_EEENSJ_IJSG_SI_EEENS0_18inequality_wrapperINS9_8equal_toIxEEEEPmJSH_EEE10hipError_tPvRmT3_T4_T5_T6_T7_T9_mT8_P12ihipStream_tbDpT10_ENKUlT_T0_E_clISt17integral_constantIbLb1EES19_IbLb0EEEEDaS15_S16_EUlS15_E_NS1_11comp_targetILNS1_3genE10ELNS1_11target_archE1200ELNS1_3gpuE4ELNS1_3repE0EEENS1_30default_config_static_selectorELNS0_4arch9wavefront6targetE0EEEvT1_,@function
_ZN7rocprim17ROCPRIM_400000_NS6detail17trampoline_kernelINS0_14default_configENS1_25partition_config_selectorILNS1_17partition_subalgoE9ExjbEEZZNS1_14partition_implILS5_9ELb0ES3_jN6thrust23THRUST_200600_302600_NS6detail15normal_iteratorINS9_10device_ptrIxEEEENSB_INSC_IjEEEEPNS0_10empty_typeENS0_5tupleIJSE_SH_EEENSJ_IJSG_SI_EEENS0_18inequality_wrapperINS9_8equal_toIxEEEEPmJSH_EEE10hipError_tPvRmT3_T4_T5_T6_T7_T9_mT8_P12ihipStream_tbDpT10_ENKUlT_T0_E_clISt17integral_constantIbLb1EES19_IbLb0EEEEDaS15_S16_EUlS15_E_NS1_11comp_targetILNS1_3genE10ELNS1_11target_archE1200ELNS1_3gpuE4ELNS1_3repE0EEENS1_30default_config_static_selectorELNS0_4arch9wavefront6targetE0EEEvT1_: ; @_ZN7rocprim17ROCPRIM_400000_NS6detail17trampoline_kernelINS0_14default_configENS1_25partition_config_selectorILNS1_17partition_subalgoE9ExjbEEZZNS1_14partition_implILS5_9ELb0ES3_jN6thrust23THRUST_200600_302600_NS6detail15normal_iteratorINS9_10device_ptrIxEEEENSB_INSC_IjEEEEPNS0_10empty_typeENS0_5tupleIJSE_SH_EEENSJ_IJSG_SI_EEENS0_18inequality_wrapperINS9_8equal_toIxEEEEPmJSH_EEE10hipError_tPvRmT3_T4_T5_T6_T7_T9_mT8_P12ihipStream_tbDpT10_ENKUlT_T0_E_clISt17integral_constantIbLb1EES19_IbLb0EEEEDaS15_S16_EUlS15_E_NS1_11comp_targetILNS1_3genE10ELNS1_11target_archE1200ELNS1_3gpuE4ELNS1_3repE0EEENS1_30default_config_static_selectorELNS0_4arch9wavefront6targetE0EEEvT1_
; %bb.0:
	.section	.rodata,"a",@progbits
	.p2align	6, 0x0
	.amdhsa_kernel _ZN7rocprim17ROCPRIM_400000_NS6detail17trampoline_kernelINS0_14default_configENS1_25partition_config_selectorILNS1_17partition_subalgoE9ExjbEEZZNS1_14partition_implILS5_9ELb0ES3_jN6thrust23THRUST_200600_302600_NS6detail15normal_iteratorINS9_10device_ptrIxEEEENSB_INSC_IjEEEEPNS0_10empty_typeENS0_5tupleIJSE_SH_EEENSJ_IJSG_SI_EEENS0_18inequality_wrapperINS9_8equal_toIxEEEEPmJSH_EEE10hipError_tPvRmT3_T4_T5_T6_T7_T9_mT8_P12ihipStream_tbDpT10_ENKUlT_T0_E_clISt17integral_constantIbLb1EES19_IbLb0EEEEDaS15_S16_EUlS15_E_NS1_11comp_targetILNS1_3genE10ELNS1_11target_archE1200ELNS1_3gpuE4ELNS1_3repE0EEENS1_30default_config_static_selectorELNS0_4arch9wavefront6targetE0EEEvT1_
		.amdhsa_group_segment_fixed_size 0
		.amdhsa_private_segment_fixed_size 0
		.amdhsa_kernarg_size 112
		.amdhsa_user_sgpr_count 15
		.amdhsa_user_sgpr_dispatch_ptr 0
		.amdhsa_user_sgpr_queue_ptr 0
		.amdhsa_user_sgpr_kernarg_segment_ptr 1
		.amdhsa_user_sgpr_dispatch_id 0
		.amdhsa_user_sgpr_private_segment_size 0
		.amdhsa_wavefront_size32 1
		.amdhsa_uses_dynamic_stack 0
		.amdhsa_enable_private_segment 0
		.amdhsa_system_sgpr_workgroup_id_x 1
		.amdhsa_system_sgpr_workgroup_id_y 0
		.amdhsa_system_sgpr_workgroup_id_z 0
		.amdhsa_system_sgpr_workgroup_info 0
		.amdhsa_system_vgpr_workitem_id 0
		.amdhsa_next_free_vgpr 1
		.amdhsa_next_free_sgpr 1
		.amdhsa_reserve_vcc 0
		.amdhsa_float_round_mode_32 0
		.amdhsa_float_round_mode_16_64 0
		.amdhsa_float_denorm_mode_32 3
		.amdhsa_float_denorm_mode_16_64 3
		.amdhsa_dx10_clamp 1
		.amdhsa_ieee_mode 1
		.amdhsa_fp16_overflow 0
		.amdhsa_workgroup_processor_mode 1
		.amdhsa_memory_ordered 1
		.amdhsa_forward_progress 0
		.amdhsa_shared_vgpr_count 0
		.amdhsa_exception_fp_ieee_invalid_op 0
		.amdhsa_exception_fp_denorm_src 0
		.amdhsa_exception_fp_ieee_div_zero 0
		.amdhsa_exception_fp_ieee_overflow 0
		.amdhsa_exception_fp_ieee_underflow 0
		.amdhsa_exception_fp_ieee_inexact 0
		.amdhsa_exception_int_div_zero 0
	.end_amdhsa_kernel
	.section	.text._ZN7rocprim17ROCPRIM_400000_NS6detail17trampoline_kernelINS0_14default_configENS1_25partition_config_selectorILNS1_17partition_subalgoE9ExjbEEZZNS1_14partition_implILS5_9ELb0ES3_jN6thrust23THRUST_200600_302600_NS6detail15normal_iteratorINS9_10device_ptrIxEEEENSB_INSC_IjEEEEPNS0_10empty_typeENS0_5tupleIJSE_SH_EEENSJ_IJSG_SI_EEENS0_18inequality_wrapperINS9_8equal_toIxEEEEPmJSH_EEE10hipError_tPvRmT3_T4_T5_T6_T7_T9_mT8_P12ihipStream_tbDpT10_ENKUlT_T0_E_clISt17integral_constantIbLb1EES19_IbLb0EEEEDaS15_S16_EUlS15_E_NS1_11comp_targetILNS1_3genE10ELNS1_11target_archE1200ELNS1_3gpuE4ELNS1_3repE0EEENS1_30default_config_static_selectorELNS0_4arch9wavefront6targetE0EEEvT1_,"axG",@progbits,_ZN7rocprim17ROCPRIM_400000_NS6detail17trampoline_kernelINS0_14default_configENS1_25partition_config_selectorILNS1_17partition_subalgoE9ExjbEEZZNS1_14partition_implILS5_9ELb0ES3_jN6thrust23THRUST_200600_302600_NS6detail15normal_iteratorINS9_10device_ptrIxEEEENSB_INSC_IjEEEEPNS0_10empty_typeENS0_5tupleIJSE_SH_EEENSJ_IJSG_SI_EEENS0_18inequality_wrapperINS9_8equal_toIxEEEEPmJSH_EEE10hipError_tPvRmT3_T4_T5_T6_T7_T9_mT8_P12ihipStream_tbDpT10_ENKUlT_T0_E_clISt17integral_constantIbLb1EES19_IbLb0EEEEDaS15_S16_EUlS15_E_NS1_11comp_targetILNS1_3genE10ELNS1_11target_archE1200ELNS1_3gpuE4ELNS1_3repE0EEENS1_30default_config_static_selectorELNS0_4arch9wavefront6targetE0EEEvT1_,comdat
.Lfunc_end618:
	.size	_ZN7rocprim17ROCPRIM_400000_NS6detail17trampoline_kernelINS0_14default_configENS1_25partition_config_selectorILNS1_17partition_subalgoE9ExjbEEZZNS1_14partition_implILS5_9ELb0ES3_jN6thrust23THRUST_200600_302600_NS6detail15normal_iteratorINS9_10device_ptrIxEEEENSB_INSC_IjEEEEPNS0_10empty_typeENS0_5tupleIJSE_SH_EEENSJ_IJSG_SI_EEENS0_18inequality_wrapperINS9_8equal_toIxEEEEPmJSH_EEE10hipError_tPvRmT3_T4_T5_T6_T7_T9_mT8_P12ihipStream_tbDpT10_ENKUlT_T0_E_clISt17integral_constantIbLb1EES19_IbLb0EEEEDaS15_S16_EUlS15_E_NS1_11comp_targetILNS1_3genE10ELNS1_11target_archE1200ELNS1_3gpuE4ELNS1_3repE0EEENS1_30default_config_static_selectorELNS0_4arch9wavefront6targetE0EEEvT1_, .Lfunc_end618-_ZN7rocprim17ROCPRIM_400000_NS6detail17trampoline_kernelINS0_14default_configENS1_25partition_config_selectorILNS1_17partition_subalgoE9ExjbEEZZNS1_14partition_implILS5_9ELb0ES3_jN6thrust23THRUST_200600_302600_NS6detail15normal_iteratorINS9_10device_ptrIxEEEENSB_INSC_IjEEEEPNS0_10empty_typeENS0_5tupleIJSE_SH_EEENSJ_IJSG_SI_EEENS0_18inequality_wrapperINS9_8equal_toIxEEEEPmJSH_EEE10hipError_tPvRmT3_T4_T5_T6_T7_T9_mT8_P12ihipStream_tbDpT10_ENKUlT_T0_E_clISt17integral_constantIbLb1EES19_IbLb0EEEEDaS15_S16_EUlS15_E_NS1_11comp_targetILNS1_3genE10ELNS1_11target_archE1200ELNS1_3gpuE4ELNS1_3repE0EEENS1_30default_config_static_selectorELNS0_4arch9wavefront6targetE0EEEvT1_
                                        ; -- End function
	.section	.AMDGPU.csdata,"",@progbits
; Kernel info:
; codeLenInByte = 0
; NumSgprs: 0
; NumVgprs: 0
; ScratchSize: 0
; MemoryBound: 0
; FloatMode: 240
; IeeeMode: 1
; LDSByteSize: 0 bytes/workgroup (compile time only)
; SGPRBlocks: 0
; VGPRBlocks: 0
; NumSGPRsForWavesPerEU: 1
; NumVGPRsForWavesPerEU: 1
; Occupancy: 15
; WaveLimiterHint : 0
; COMPUTE_PGM_RSRC2:SCRATCH_EN: 0
; COMPUTE_PGM_RSRC2:USER_SGPR: 15
; COMPUTE_PGM_RSRC2:TRAP_HANDLER: 0
; COMPUTE_PGM_RSRC2:TGID_X_EN: 1
; COMPUTE_PGM_RSRC2:TGID_Y_EN: 0
; COMPUTE_PGM_RSRC2:TGID_Z_EN: 0
; COMPUTE_PGM_RSRC2:TIDIG_COMP_CNT: 0
	.section	.text._ZN7rocprim17ROCPRIM_400000_NS6detail17trampoline_kernelINS0_14default_configENS1_25partition_config_selectorILNS1_17partition_subalgoE9ExjbEEZZNS1_14partition_implILS5_9ELb0ES3_jN6thrust23THRUST_200600_302600_NS6detail15normal_iteratorINS9_10device_ptrIxEEEENSB_INSC_IjEEEEPNS0_10empty_typeENS0_5tupleIJSE_SH_EEENSJ_IJSG_SI_EEENS0_18inequality_wrapperINS9_8equal_toIxEEEEPmJSH_EEE10hipError_tPvRmT3_T4_T5_T6_T7_T9_mT8_P12ihipStream_tbDpT10_ENKUlT_T0_E_clISt17integral_constantIbLb1EES19_IbLb0EEEEDaS15_S16_EUlS15_E_NS1_11comp_targetILNS1_3genE9ELNS1_11target_archE1100ELNS1_3gpuE3ELNS1_3repE0EEENS1_30default_config_static_selectorELNS0_4arch9wavefront6targetE0EEEvT1_,"axG",@progbits,_ZN7rocprim17ROCPRIM_400000_NS6detail17trampoline_kernelINS0_14default_configENS1_25partition_config_selectorILNS1_17partition_subalgoE9ExjbEEZZNS1_14partition_implILS5_9ELb0ES3_jN6thrust23THRUST_200600_302600_NS6detail15normal_iteratorINS9_10device_ptrIxEEEENSB_INSC_IjEEEEPNS0_10empty_typeENS0_5tupleIJSE_SH_EEENSJ_IJSG_SI_EEENS0_18inequality_wrapperINS9_8equal_toIxEEEEPmJSH_EEE10hipError_tPvRmT3_T4_T5_T6_T7_T9_mT8_P12ihipStream_tbDpT10_ENKUlT_T0_E_clISt17integral_constantIbLb1EES19_IbLb0EEEEDaS15_S16_EUlS15_E_NS1_11comp_targetILNS1_3genE9ELNS1_11target_archE1100ELNS1_3gpuE3ELNS1_3repE0EEENS1_30default_config_static_selectorELNS0_4arch9wavefront6targetE0EEEvT1_,comdat
	.protected	_ZN7rocprim17ROCPRIM_400000_NS6detail17trampoline_kernelINS0_14default_configENS1_25partition_config_selectorILNS1_17partition_subalgoE9ExjbEEZZNS1_14partition_implILS5_9ELb0ES3_jN6thrust23THRUST_200600_302600_NS6detail15normal_iteratorINS9_10device_ptrIxEEEENSB_INSC_IjEEEEPNS0_10empty_typeENS0_5tupleIJSE_SH_EEENSJ_IJSG_SI_EEENS0_18inequality_wrapperINS9_8equal_toIxEEEEPmJSH_EEE10hipError_tPvRmT3_T4_T5_T6_T7_T9_mT8_P12ihipStream_tbDpT10_ENKUlT_T0_E_clISt17integral_constantIbLb1EES19_IbLb0EEEEDaS15_S16_EUlS15_E_NS1_11comp_targetILNS1_3genE9ELNS1_11target_archE1100ELNS1_3gpuE3ELNS1_3repE0EEENS1_30default_config_static_selectorELNS0_4arch9wavefront6targetE0EEEvT1_ ; -- Begin function _ZN7rocprim17ROCPRIM_400000_NS6detail17trampoline_kernelINS0_14default_configENS1_25partition_config_selectorILNS1_17partition_subalgoE9ExjbEEZZNS1_14partition_implILS5_9ELb0ES3_jN6thrust23THRUST_200600_302600_NS6detail15normal_iteratorINS9_10device_ptrIxEEEENSB_INSC_IjEEEEPNS0_10empty_typeENS0_5tupleIJSE_SH_EEENSJ_IJSG_SI_EEENS0_18inequality_wrapperINS9_8equal_toIxEEEEPmJSH_EEE10hipError_tPvRmT3_T4_T5_T6_T7_T9_mT8_P12ihipStream_tbDpT10_ENKUlT_T0_E_clISt17integral_constantIbLb1EES19_IbLb0EEEEDaS15_S16_EUlS15_E_NS1_11comp_targetILNS1_3genE9ELNS1_11target_archE1100ELNS1_3gpuE3ELNS1_3repE0EEENS1_30default_config_static_selectorELNS0_4arch9wavefront6targetE0EEEvT1_
	.globl	_ZN7rocprim17ROCPRIM_400000_NS6detail17trampoline_kernelINS0_14default_configENS1_25partition_config_selectorILNS1_17partition_subalgoE9ExjbEEZZNS1_14partition_implILS5_9ELb0ES3_jN6thrust23THRUST_200600_302600_NS6detail15normal_iteratorINS9_10device_ptrIxEEEENSB_INSC_IjEEEEPNS0_10empty_typeENS0_5tupleIJSE_SH_EEENSJ_IJSG_SI_EEENS0_18inequality_wrapperINS9_8equal_toIxEEEEPmJSH_EEE10hipError_tPvRmT3_T4_T5_T6_T7_T9_mT8_P12ihipStream_tbDpT10_ENKUlT_T0_E_clISt17integral_constantIbLb1EES19_IbLb0EEEEDaS15_S16_EUlS15_E_NS1_11comp_targetILNS1_3genE9ELNS1_11target_archE1100ELNS1_3gpuE3ELNS1_3repE0EEENS1_30default_config_static_selectorELNS0_4arch9wavefront6targetE0EEEvT1_
	.p2align	8
	.type	_ZN7rocprim17ROCPRIM_400000_NS6detail17trampoline_kernelINS0_14default_configENS1_25partition_config_selectorILNS1_17partition_subalgoE9ExjbEEZZNS1_14partition_implILS5_9ELb0ES3_jN6thrust23THRUST_200600_302600_NS6detail15normal_iteratorINS9_10device_ptrIxEEEENSB_INSC_IjEEEEPNS0_10empty_typeENS0_5tupleIJSE_SH_EEENSJ_IJSG_SI_EEENS0_18inequality_wrapperINS9_8equal_toIxEEEEPmJSH_EEE10hipError_tPvRmT3_T4_T5_T6_T7_T9_mT8_P12ihipStream_tbDpT10_ENKUlT_T0_E_clISt17integral_constantIbLb1EES19_IbLb0EEEEDaS15_S16_EUlS15_E_NS1_11comp_targetILNS1_3genE9ELNS1_11target_archE1100ELNS1_3gpuE3ELNS1_3repE0EEENS1_30default_config_static_selectorELNS0_4arch9wavefront6targetE0EEEvT1_,@function
_ZN7rocprim17ROCPRIM_400000_NS6detail17trampoline_kernelINS0_14default_configENS1_25partition_config_selectorILNS1_17partition_subalgoE9ExjbEEZZNS1_14partition_implILS5_9ELb0ES3_jN6thrust23THRUST_200600_302600_NS6detail15normal_iteratorINS9_10device_ptrIxEEEENSB_INSC_IjEEEEPNS0_10empty_typeENS0_5tupleIJSE_SH_EEENSJ_IJSG_SI_EEENS0_18inequality_wrapperINS9_8equal_toIxEEEEPmJSH_EEE10hipError_tPvRmT3_T4_T5_T6_T7_T9_mT8_P12ihipStream_tbDpT10_ENKUlT_T0_E_clISt17integral_constantIbLb1EES19_IbLb0EEEEDaS15_S16_EUlS15_E_NS1_11comp_targetILNS1_3genE9ELNS1_11target_archE1100ELNS1_3gpuE3ELNS1_3repE0EEENS1_30default_config_static_selectorELNS0_4arch9wavefront6targetE0EEEvT1_: ; @_ZN7rocprim17ROCPRIM_400000_NS6detail17trampoline_kernelINS0_14default_configENS1_25partition_config_selectorILNS1_17partition_subalgoE9ExjbEEZZNS1_14partition_implILS5_9ELb0ES3_jN6thrust23THRUST_200600_302600_NS6detail15normal_iteratorINS9_10device_ptrIxEEEENSB_INSC_IjEEEEPNS0_10empty_typeENS0_5tupleIJSE_SH_EEENSJ_IJSG_SI_EEENS0_18inequality_wrapperINS9_8equal_toIxEEEEPmJSH_EEE10hipError_tPvRmT3_T4_T5_T6_T7_T9_mT8_P12ihipStream_tbDpT10_ENKUlT_T0_E_clISt17integral_constantIbLb1EES19_IbLb0EEEEDaS15_S16_EUlS15_E_NS1_11comp_targetILNS1_3genE9ELNS1_11target_archE1100ELNS1_3gpuE3ELNS1_3repE0EEENS1_30default_config_static_selectorELNS0_4arch9wavefront6targetE0EEEvT1_
; %bb.0:
	s_clause 0x4
	s_load_b128 s[4:7], s[0:1], 0x8
	s_load_b32 s14, s[0:1], 0x68
	s_load_b128 s[16:19], s[0:1], 0x40
	s_load_b64 s[2:3], s[0:1], 0x50
	s_load_b64 s[12:13], s[0:1], 0x18
	s_mov_b32 s9, 0
	v_lshlrev_b32_e32 v47, 3, v0
	v_lshrrev_b32_e32 v24, 2, v0
	v_or_b32_e32 v21, 0x200, v0
	v_or_b32_e32 v20, 0x400, v0
	v_or_b32_e32 v23, 0x600, v0
	v_or_b32_e32 v22, 0x800, v0
	v_or_b32_e32 v18, 0xa00, v0
	v_or_b32_e32 v17, 0xc00, v0
	v_or_b32_e32 v19, 0xe00, v0
	s_waitcnt lgkmcnt(0)
	s_lshl_b64 s[10:11], s[6:7], 3
	s_delay_alu instid0(SALU_CYCLE_1)
	s_add_u32 s21, s4, s10
	s_addc_u32 s22, s5, s11
	s_add_i32 s20, s14, -1
	s_load_b64 s[10:11], s[18:19], 0x0
	s_lshl_b32 s4, s20, 12
	s_lshl_b32 s5, s14, 12
	s_add_i32 s4, s6, s4
	s_lshl_b32 s8, s15, 12
	s_sub_i32 s19, s2, s4
	s_add_u32 s4, s6, s5
	s_addc_u32 s5, s7, 0
	s_cmp_eq_u32 s15, s20
	v_cmp_ge_u64_e64 s2, s[4:5], s[2:3]
	s_cselect_b32 s14, -1, 0
	s_mov_b32 s5, -1
	s_delay_alu instid0(VALU_DEP_1)
	s_and_b32 s20, s14, s2
	s_lshl_b64 s[2:3], s[8:9], 3
	s_xor_b32 s18, s20, -1
	s_add_u32 s4, s21, s2
	s_addc_u32 s3, s22, s3
	s_and_b32 vcc_lo, exec_lo, s18
	s_cbranch_vccz .LBB619_2
; %bb.1:
	v_add_co_u32 v1, s2, s4, v47
	s_delay_alu instid0(VALU_DEP_1) | instskip(SKIP_1) | instid1(VALU_DEP_3)
	v_add_co_ci_u32_e64 v2, null, s3, 0, s2
	v_lshrrev_b32_e32 v26, 2, v21
	v_add_co_u32 v3, vcc_lo, 0x1000, v1
	s_delay_alu instid0(VALU_DEP_3)
	v_add_co_ci_u32_e32 v4, vcc_lo, 0, v2, vcc_lo
	v_add_co_u32 v5, vcc_lo, 0x2000, v1
	v_add_co_ci_u32_e32 v6, vcc_lo, 0, v2, vcc_lo
	v_add_co_u32 v7, vcc_lo, 0x3000, v1
	v_add_co_ci_u32_e32 v8, vcc_lo, 0, v2, vcc_lo
	v_add_co_u32 v9, vcc_lo, 0x4000, v1
	v_add_co_ci_u32_e32 v10, vcc_lo, 0, v2, vcc_lo
	v_add_co_u32 v11, vcc_lo, 0x5000, v1
	v_add_co_ci_u32_e32 v12, vcc_lo, 0, v2, vcc_lo
	v_add_co_u32 v13, vcc_lo, 0x6000, v1
	v_add_co_ci_u32_e32 v14, vcc_lo, 0, v2, vcc_lo
	v_add_co_u32 v15, vcc_lo, 0x7000, v1
	v_add_co_ci_u32_e32 v16, vcc_lo, 0, v2, vcc_lo
	s_clause 0x7
	flat_load_b64 v[1:2], v[1:2]
	flat_load_b64 v[3:4], v[3:4]
	flat_load_b64 v[5:6], v[5:6]
	flat_load_b64 v[7:8], v[7:8]
	flat_load_b64 v[9:10], v[9:10]
	flat_load_b64 v[11:12], v[11:12]
	flat_load_b64 v[13:14], v[13:14]
	flat_load_b64 v[15:16], v[15:16]
	v_lshrrev_b32_e32 v27, 2, v20
	v_lshrrev_b32_e32 v28, 2, v23
	;; [unrolled: 1-line block ×3, first 2 shown]
	v_and_b32_e32 v25, 0x78, v24
	v_lshrrev_b32_e32 v30, 2, v18
	v_lshrrev_b32_e32 v31, 2, v17
	v_lshrrev_b32_e32 v32, 2, v19
	v_and_b32_e32 v26, 0xf8, v26
	v_and_b32_e32 v27, 0x178, v27
	;; [unrolled: 1-line block ×4, first 2 shown]
	v_add_nc_u32_e32 v25, v25, v47
	v_and_b32_e32 v30, 0x2f8, v30
	v_and_b32_e32 v31, 0x378, v31
	;; [unrolled: 1-line block ×3, first 2 shown]
	v_add_nc_u32_e32 v26, v26, v47
	v_add_nc_u32_e32 v27, v27, v47
	;; [unrolled: 1-line block ×4, first 2 shown]
	s_mov_b32 s5, s9
	v_add_nc_u32_e32 v30, v30, v47
	v_add_nc_u32_e32 v31, v31, v47
	;; [unrolled: 1-line block ×3, first 2 shown]
	s_waitcnt vmcnt(7) lgkmcnt(0)
	ds_store_b64 v25, v[1:2]
	s_waitcnt vmcnt(6)
	ds_store_b64 v26, v[3:4] offset:4096
	s_waitcnt vmcnt(5)
	ds_store_b64 v27, v[5:6] offset:8192
	;; [unrolled: 2-line block ×7, first 2 shown]
	s_waitcnt lgkmcnt(0)
	s_barrier
.LBB619_2:
	v_cmp_gt_u32_e64 s2, s19, v0
	s_and_not1_b32 vcc_lo, exec_lo, s5
	s_cbranch_vccnz .LBB619_20
; %bb.3:
                                        ; implicit-def: $vgpr1_vgpr2_vgpr3_vgpr4_vgpr5_vgpr6_vgpr7_vgpr8_vgpr9_vgpr10_vgpr11_vgpr12_vgpr13_vgpr14_vgpr15_vgpr16
	s_delay_alu instid0(VALU_DEP_1)
	s_and_saveexec_b32 s5, s2
	s_cbranch_execz .LBB619_11
; %bb.4:
	v_add_co_u32 v1, s2, s4, v47
	s_delay_alu instid0(VALU_DEP_1) | instskip(SKIP_2) | instid1(SALU_CYCLE_1)
	v_add_co_ci_u32_e64 v2, null, s3, 0, s2
	flat_load_b64 v[1:2], v[1:2]
	s_or_b32 exec_lo, exec_lo, s5
	s_mov_b32 s2, exec_lo
	v_cmpx_gt_u32_e64 s19, v21
	s_cbranch_execnz .LBB619_12
.LBB619_5:
	s_or_b32 exec_lo, exec_lo, s2
	s_delay_alu instid0(SALU_CYCLE_1)
	s_mov_b32 s2, exec_lo
	v_cmpx_gt_u32_e64 s19, v20
	s_cbranch_execz .LBB619_13
.LBB619_6:
	v_lshlrev_b32_e32 v5, 3, v20
	s_delay_alu instid0(VALU_DEP_1) | instskip(NEXT) | instid1(VALU_DEP_1)
	v_add_co_u32 v5, s5, s4, v5
	v_add_co_ci_u32_e64 v6, null, s3, 0, s5
	flat_load_b64 v[5:6], v[5:6]
	s_or_b32 exec_lo, exec_lo, s2
	s_delay_alu instid0(SALU_CYCLE_1)
	s_mov_b32 s2, exec_lo
	v_cmpx_gt_u32_e64 s19, v23
	s_cbranch_execnz .LBB619_14
.LBB619_7:
	s_or_b32 exec_lo, exec_lo, s2
	s_delay_alu instid0(SALU_CYCLE_1)
	s_mov_b32 s2, exec_lo
	v_cmpx_gt_u32_e64 s19, v22
	s_cbranch_execz .LBB619_15
.LBB619_8:
	v_lshlrev_b32_e32 v9, 3, v22
	s_delay_alu instid0(VALU_DEP_1) | instskip(NEXT) | instid1(VALU_DEP_1)
	v_add_co_u32 v9, s5, s4, v9
	v_add_co_ci_u32_e64 v10, null, s3, 0, s5
	flat_load_b64 v[9:10], v[9:10]
	s_or_b32 exec_lo, exec_lo, s2
	s_delay_alu instid0(SALU_CYCLE_1)
	s_mov_b32 s2, exec_lo
	v_cmpx_gt_u32_e64 s19, v18
	s_cbranch_execnz .LBB619_16
.LBB619_9:
	s_or_b32 exec_lo, exec_lo, s2
	s_delay_alu instid0(SALU_CYCLE_1)
	s_mov_b32 s2, exec_lo
	v_cmpx_gt_u32_e64 s19, v17
	s_cbranch_execz .LBB619_17
.LBB619_10:
	v_lshlrev_b32_e32 v13, 3, v17
	s_delay_alu instid0(VALU_DEP_1) | instskip(NEXT) | instid1(VALU_DEP_1)
	v_add_co_u32 v13, s5, s4, v13
	v_add_co_ci_u32_e64 v14, null, s3, 0, s5
	flat_load_b64 v[13:14], v[13:14]
	s_or_b32 exec_lo, exec_lo, s2
	s_delay_alu instid0(SALU_CYCLE_1)
	s_mov_b32 s2, exec_lo
	v_cmpx_gt_u32_e64 s19, v19
	s_cbranch_execnz .LBB619_18
	s_branch .LBB619_19
.LBB619_11:
	s_or_b32 exec_lo, exec_lo, s5
	s_delay_alu instid0(SALU_CYCLE_1)
	s_mov_b32 s2, exec_lo
	v_cmpx_gt_u32_e64 s19, v21
	s_cbranch_execz .LBB619_5
.LBB619_12:
	v_lshlrev_b32_e32 v3, 3, v21
	s_delay_alu instid0(VALU_DEP_1) | instskip(NEXT) | instid1(VALU_DEP_1)
	v_add_co_u32 v3, s5, s4, v3
	v_add_co_ci_u32_e64 v4, null, s3, 0, s5
	flat_load_b64 v[3:4], v[3:4]
	s_or_b32 exec_lo, exec_lo, s2
	s_delay_alu instid0(SALU_CYCLE_1)
	s_mov_b32 s2, exec_lo
	v_cmpx_gt_u32_e64 s19, v20
	s_cbranch_execnz .LBB619_6
.LBB619_13:
	s_or_b32 exec_lo, exec_lo, s2
	s_delay_alu instid0(SALU_CYCLE_1)
	s_mov_b32 s2, exec_lo
	v_cmpx_gt_u32_e64 s19, v23
	s_cbranch_execz .LBB619_7
.LBB619_14:
	v_lshlrev_b32_e32 v7, 3, v23
	s_delay_alu instid0(VALU_DEP_1) | instskip(NEXT) | instid1(VALU_DEP_1)
	v_add_co_u32 v7, s5, s4, v7
	v_add_co_ci_u32_e64 v8, null, s3, 0, s5
	flat_load_b64 v[7:8], v[7:8]
	s_or_b32 exec_lo, exec_lo, s2
	s_delay_alu instid0(SALU_CYCLE_1)
	s_mov_b32 s2, exec_lo
	v_cmpx_gt_u32_e64 s19, v22
	s_cbranch_execnz .LBB619_8
.LBB619_15:
	s_or_b32 exec_lo, exec_lo, s2
	s_delay_alu instid0(SALU_CYCLE_1)
	s_mov_b32 s2, exec_lo
	v_cmpx_gt_u32_e64 s19, v18
	s_cbranch_execz .LBB619_9
.LBB619_16:
	v_lshlrev_b32_e32 v11, 3, v18
	s_delay_alu instid0(VALU_DEP_1) | instskip(NEXT) | instid1(VALU_DEP_1)
	v_add_co_u32 v11, s5, s4, v11
	v_add_co_ci_u32_e64 v12, null, s3, 0, s5
	flat_load_b64 v[11:12], v[11:12]
	s_or_b32 exec_lo, exec_lo, s2
	s_delay_alu instid0(SALU_CYCLE_1)
	s_mov_b32 s2, exec_lo
	v_cmpx_gt_u32_e64 s19, v17
	s_cbranch_execnz .LBB619_10
.LBB619_17:
	s_or_b32 exec_lo, exec_lo, s2
	s_delay_alu instid0(SALU_CYCLE_1)
	s_mov_b32 s2, exec_lo
	v_cmpx_gt_u32_e64 s19, v19
	s_cbranch_execz .LBB619_19
.LBB619_18:
	v_lshlrev_b32_e32 v15, 3, v19
	s_delay_alu instid0(VALU_DEP_1) | instskip(NEXT) | instid1(VALU_DEP_1)
	v_add_co_u32 v15, s5, s4, v15
	v_add_co_ci_u32_e64 v16, null, s3, 0, s5
	flat_load_b64 v[15:16], v[15:16]
.LBB619_19:
	s_or_b32 exec_lo, exec_lo, s2
	v_lshrrev_b32_e32 v25, 2, v21
	v_lshrrev_b32_e32 v26, 2, v20
	;; [unrolled: 1-line block ×4, first 2 shown]
	v_and_b32_e32 v27, 0x78, v24
	v_lshrrev_b32_e32 v30, 2, v18
	v_lshrrev_b32_e32 v31, 2, v17
	v_lshrrev_b32_e32 v32, 2, v19
	v_and_b32_e32 v25, 0xf8, v25
	v_and_b32_e32 v26, 0x1f8, v26
	v_and_b32_e32 v28, 0x1f8, v28
	v_and_b32_e32 v29, 0x3f8, v29
	v_add_nc_u32_e32 v27, v27, v47
	v_and_b32_e32 v30, 0x3f8, v30
	v_and_b32_e32 v31, 0x3f8, v31
	;; [unrolled: 1-line block ×3, first 2 shown]
	v_add_nc_u32_e32 v25, v25, v47
	v_add_nc_u32_e32 v26, v26, v47
	;; [unrolled: 1-line block ×7, first 2 shown]
	s_waitcnt vmcnt(0) lgkmcnt(0)
	ds_store_b64 v27, v[1:2]
	ds_store_b64 v25, v[3:4] offset:4096
	ds_store_b64 v26, v[5:6] offset:8192
	;; [unrolled: 1-line block ×7, first 2 shown]
	s_waitcnt lgkmcnt(0)
	s_barrier
.LBB619_20:
	v_add_nc_u32_e32 v24, v24, v47
	s_waitcnt lgkmcnt(0)
	buffer_gl0_inv
	s_lshl_b64 s[22:23], s[6:7], 2
	v_lshrrev_b32_e32 v26, 3, v0
	s_add_u32 s2, s12, s22
	v_lshlrev_b32_e32 v25, 3, v24
	s_addc_u32 s5, s13, s23
	s_lshl_b64 s[8:9], s[8:9], 2
	ds_load_2addr_b64 v[13:16], v25 offset1:1
	ds_load_2addr_b64 v[9:12], v25 offset0:2 offset1:3
	ds_load_2addr_b64 v[5:8], v25 offset0:4 offset1:5
	;; [unrolled: 1-line block ×3, first 2 shown]
	s_add_u32 s2, s2, s8
	s_addc_u32 s5, s5, s9
	s_and_b32 vcc_lo, exec_lo, s18
	s_mov_b32 s8, -1
	s_waitcnt lgkmcnt(0)
	s_barrier
	buffer_gl0_inv
	s_cbranch_vccz .LBB619_22
; %bb.21:
	v_lshlrev_b32_e32 v35, 2, v0
	v_lshrrev_b32_e32 v37, 3, v21
	v_lshrrev_b32_e32 v38, 3, v20
	;; [unrolled: 1-line block ×4, first 2 shown]
	v_add_co_u32 v27, s8, s2, v35
	s_delay_alu instid0(VALU_DEP_1) | instskip(SKIP_1) | instid1(VALU_DEP_3)
	v_add_co_ci_u32_e64 v28, null, s5, 0, s8
	v_lshrrev_b32_e32 v41, 3, v18
	v_add_co_u32 v29, vcc_lo, 0x1000, v27
	s_delay_alu instid0(VALU_DEP_3)
	v_add_co_ci_u32_e32 v30, vcc_lo, 0, v28, vcc_lo
	v_add_co_u32 v31, vcc_lo, 0x2000, v27
	v_add_co_ci_u32_e32 v32, vcc_lo, 0, v28, vcc_lo
	v_add_co_u32 v33, vcc_lo, 0x3000, v27
	v_add_co_ci_u32_e32 v34, vcc_lo, 0, v28, vcc_lo
	s_clause 0x7
	flat_load_b32 v36, v[27:28]
	flat_load_b32 v27, v[27:28] offset:2048
	flat_load_b32 v28, v[29:30]
	flat_load_b32 v29, v[29:30] offset:2048
	;; [unrolled: 2-line block ×4, first 2 shown]
	v_and_b32_e32 v34, 60, v26
	v_lshrrev_b32_e32 v42, 3, v17
	v_lshrrev_b32_e32 v43, 3, v19
	v_and_b32_e32 v37, 0x7c, v37
	v_and_b32_e32 v38, 0xbc, v38
	;; [unrolled: 1-line block ×4, first 2 shown]
	v_add_nc_u32_e32 v34, v34, v35
	v_and_b32_e32 v41, 0x17c, v41
	v_and_b32_e32 v42, 0x1bc, v42
	;; [unrolled: 1-line block ×3, first 2 shown]
	v_add_nc_u32_e32 v37, v37, v35
	v_add_nc_u32_e32 v38, v38, v35
	;; [unrolled: 1-line block ×4, first 2 shown]
	s_mov_b32 s8, 0
	v_add_nc_u32_e32 v41, v41, v35
	v_add_nc_u32_e32 v42, v42, v35
	;; [unrolled: 1-line block ×3, first 2 shown]
	s_waitcnt vmcnt(7) lgkmcnt(7)
	ds_store_b32 v34, v36
	s_waitcnt vmcnt(6) lgkmcnt(7)
	ds_store_b32 v37, v27 offset:2048
	s_waitcnt vmcnt(5) lgkmcnt(7)
	ds_store_b32 v38, v28 offset:4096
	s_waitcnt vmcnt(4) lgkmcnt(7)
	ds_store_b32 v39, v29 offset:6144
	s_waitcnt vmcnt(3) lgkmcnt(7)
	ds_store_b32 v40, v30 offset:8192
	s_waitcnt vmcnt(2) lgkmcnt(7)
	ds_store_b32 v41, v31 offset:10240
	s_waitcnt vmcnt(1) lgkmcnt(7)
	ds_store_b32 v42, v32 offset:12288
	s_waitcnt vmcnt(0) lgkmcnt(7)
	ds_store_b32 v35, v33 offset:14336
	s_waitcnt lgkmcnt(0)
	s_barrier
.LBB619_22:
	s_and_not1_b32 vcc_lo, exec_lo, s8
	s_cbranch_vccnz .LBB619_40
; %bb.23:
	s_mov_b32 s8, exec_lo
                                        ; implicit-def: $vgpr27
	v_cmpx_gt_u32_e64 s19, v0
	s_cbranch_execz .LBB619_25
; %bb.24:
	v_lshlrev_b32_e32 v27, 2, v0
	s_delay_alu instid0(VALU_DEP_1) | instskip(NEXT) | instid1(VALU_DEP_1)
	v_add_co_u32 v27, s9, s2, v27
	v_add_co_ci_u32_e64 v28, null, s5, 0, s9
	flat_load_b32 v27, v[27:28]
.LBB619_25:
	s_or_b32 exec_lo, exec_lo, s8
	s_delay_alu instid0(SALU_CYCLE_1)
	s_mov_b32 s8, exec_lo
                                        ; implicit-def: $vgpr28
	v_cmpx_gt_u32_e64 s19, v21
	s_cbranch_execz .LBB619_27
; %bb.26:
	v_lshlrev_b32_e32 v28, 2, v0
	s_delay_alu instid0(VALU_DEP_1) | instskip(NEXT) | instid1(VALU_DEP_1)
	v_add_co_u32 v28, s9, s2, v28
	v_add_co_ci_u32_e64 v29, null, s5, 0, s9
	flat_load_b32 v28, v[28:29] offset:2048
.LBB619_27:
	s_or_b32 exec_lo, exec_lo, s8
	s_delay_alu instid0(SALU_CYCLE_1)
	s_mov_b32 s8, exec_lo
                                        ; implicit-def: $vgpr29
	v_cmpx_gt_u32_e64 s19, v20
	s_cbranch_execz .LBB619_29
; %bb.28:
	v_lshlrev_b32_e32 v29, 2, v20
	s_delay_alu instid0(VALU_DEP_1) | instskip(NEXT) | instid1(VALU_DEP_1)
	v_add_co_u32 v29, s9, s2, v29
	v_add_co_ci_u32_e64 v30, null, s5, 0, s9
	flat_load_b32 v29, v[29:30]
.LBB619_29:
	s_or_b32 exec_lo, exec_lo, s8
	s_delay_alu instid0(SALU_CYCLE_1)
	s_mov_b32 s8, exec_lo
                                        ; implicit-def: $vgpr30
	v_cmpx_gt_u32_e64 s19, v23
	s_cbranch_execz .LBB619_31
; %bb.30:
	v_lshlrev_b32_e32 v30, 2, v23
	s_delay_alu instid0(VALU_DEP_1) | instskip(NEXT) | instid1(VALU_DEP_1)
	v_add_co_u32 v30, s9, s2, v30
	v_add_co_ci_u32_e64 v31, null, s5, 0, s9
	flat_load_b32 v30, v[30:31]
.LBB619_31:
	s_or_b32 exec_lo, exec_lo, s8
	s_delay_alu instid0(SALU_CYCLE_1)
	s_mov_b32 s8, exec_lo
                                        ; implicit-def: $vgpr31
	v_cmpx_gt_u32_e64 s19, v22
	s_cbranch_execz .LBB619_33
; %bb.32:
	v_lshlrev_b32_e32 v31, 2, v22
	s_delay_alu instid0(VALU_DEP_1) | instskip(NEXT) | instid1(VALU_DEP_1)
	v_add_co_u32 v31, s9, s2, v31
	v_add_co_ci_u32_e64 v32, null, s5, 0, s9
	flat_load_b32 v31, v[31:32]
.LBB619_33:
	s_or_b32 exec_lo, exec_lo, s8
	s_delay_alu instid0(SALU_CYCLE_1)
	s_mov_b32 s8, exec_lo
                                        ; implicit-def: $vgpr32
	v_cmpx_gt_u32_e64 s19, v18
	s_cbranch_execz .LBB619_35
; %bb.34:
	v_lshlrev_b32_e32 v32, 2, v18
	s_delay_alu instid0(VALU_DEP_1) | instskip(NEXT) | instid1(VALU_DEP_1)
	v_add_co_u32 v32, s9, s2, v32
	v_add_co_ci_u32_e64 v33, null, s5, 0, s9
	flat_load_b32 v32, v[32:33]
.LBB619_35:
	s_or_b32 exec_lo, exec_lo, s8
	s_delay_alu instid0(SALU_CYCLE_1)
	s_mov_b32 s8, exec_lo
                                        ; implicit-def: $vgpr33
	v_cmpx_gt_u32_e64 s19, v17
	s_cbranch_execz .LBB619_37
; %bb.36:
	v_lshlrev_b32_e32 v33, 2, v17
	s_delay_alu instid0(VALU_DEP_1) | instskip(NEXT) | instid1(VALU_DEP_1)
	v_add_co_u32 v33, s9, s2, v33
	v_add_co_ci_u32_e64 v34, null, s5, 0, s9
	flat_load_b32 v33, v[33:34]
.LBB619_37:
	s_or_b32 exec_lo, exec_lo, s8
	s_delay_alu instid0(SALU_CYCLE_1)
	s_mov_b32 s8, exec_lo
                                        ; implicit-def: $vgpr34
	v_cmpx_gt_u32_e64 s19, v19
	s_cbranch_execz .LBB619_39
; %bb.38:
	v_lshlrev_b32_e32 v34, 2, v19
	s_delay_alu instid0(VALU_DEP_1) | instskip(NEXT) | instid1(VALU_DEP_1)
	v_add_co_u32 v34, s2, s2, v34
	v_add_co_ci_u32_e64 v35, null, s5, 0, s2
	flat_load_b32 v34, v[34:35]
.LBB619_39:
	s_or_b32 exec_lo, exec_lo, s8
	v_lshrrev_b32_e32 v21, 3, v21
	v_lshrrev_b32_e32 v20, 3, v20
	;; [unrolled: 1-line block ×4, first 2 shown]
	v_and_b32_e32 v26, 60, v26
	v_lshlrev_b32_e32 v35, 2, v0
	v_lshrrev_b32_e32 v18, 3, v18
	v_lshrrev_b32_e32 v17, 3, v17
	;; [unrolled: 1-line block ×3, first 2 shown]
	v_and_b32_e32 v21, 0x7c, v21
	v_and_b32_e32 v20, 0xfc, v20
	;; [unrolled: 1-line block ×4, first 2 shown]
	v_add_nc_u32_e32 v26, v26, v35
	v_and_b32_e32 v18, 0x1fc, v18
	v_and_b32_e32 v17, 0x1fc, v17
	;; [unrolled: 1-line block ×3, first 2 shown]
	v_add_nc_u32_e32 v21, v21, v35
	v_add_nc_u32_e32 v20, v20, v35
	;; [unrolled: 1-line block ×7, first 2 shown]
	s_waitcnt vmcnt(0) lgkmcnt(0)
	ds_store_b32 v26, v27
	ds_store_b32 v21, v28 offset:2048
	ds_store_b32 v20, v29 offset:4096
	;; [unrolled: 1-line block ×7, first 2 shown]
	s_waitcnt lgkmcnt(0)
	s_barrier
.LBB619_40:
	v_lshlrev_b32_e32 v17, 2, v24
	buffer_gl0_inv
	s_cmp_lg_u32 s15, 0
	s_mov_b32 s12, 0
	s_cselect_b32 s9, -1, 0
	v_sub_nc_u32_e32 v17, v25, v17
	s_cmp_lg_u64 s[6:7], 0
	ds_load_2addr_b32 v[23:24], v17 offset1:1
	ds_load_2addr_b32 v[21:22], v17 offset0:2 offset1:3
	ds_load_2addr_b32 v[19:20], v17 offset0:4 offset1:5
	;; [unrolled: 1-line block ×3, first 2 shown]
	s_cselect_b32 s2, -1, 0
	s_waitcnt lgkmcnt(0)
	s_or_b32 s2, s9, s2
	s_barrier
	s_and_b32 vcc_lo, exec_lo, s2
	buffer_gl0_inv
	s_cbranch_vccz .LBB619_45
; %bb.41:
	v_add_co_u32 v25, s2, -8, s4
	s_delay_alu instid0(VALU_DEP_1)
	v_add_co_ci_u32_e64 v26, null, -1, s3, s2
	s_mov_b32 s3, -1
	s_and_b32 vcc_lo, exec_lo, s18
	flat_load_b64 v[27:28], v[25:26]
	ds_store_b64 v47, v[3:4]
	s_cbranch_vccz .LBB619_46
; %bb.42:
	s_waitcnt vmcnt(0) lgkmcnt(1)
	v_dual_mov_b32 v25, v27 :: v_dual_mov_b32 v26, v28
	s_mov_b32 s3, 0
	s_mov_b32 s2, exec_lo
	s_waitcnt lgkmcnt(0)
	s_barrier
	buffer_gl0_inv
	v_cmpx_ne_u32_e32 0, v0
	s_cbranch_execz .LBB619_44
; %bb.43:
	v_add_nc_u32_e32 v25, -8, v47
	ds_load_b64 v[25:26], v25
.LBB619_44:
	s_or_b32 exec_lo, exec_lo, s2
	v_cmp_ne_u64_e32 vcc_lo, v[1:2], v[3:4]
	s_waitcnt lgkmcnt(0)
	v_cmp_ne_u64_e64 s2, v[25:26], v[13:14]
	v_cndmask_b32_e64 v29, 0, 1, vcc_lo
	v_cmp_ne_u64_e32 vcc_lo, v[7:8], v[1:2]
	s_delay_alu instid0(VALU_DEP_2) | instskip(SKIP_2) | instid1(VALU_DEP_2)
	v_lshlrev_b16 v29, 8, v29
	v_cndmask_b32_e64 v30, 0, 1, vcc_lo
	v_cmp_ne_u64_e32 vcc_lo, v[5:6], v[7:8]
	v_or_b32_e32 v29, v30, v29
	v_cndmask_b32_e64 v31, 0, 1, vcc_lo
	v_cmp_ne_u64_e32 vcc_lo, v[9:10], v[11:12]
	s_delay_alu instid0(VALU_DEP_3) | instskip(NEXT) | instid1(VALU_DEP_3)
	v_lshlrev_b32_e32 v29, 16, v29
	v_lshlrev_b16 v31, 8, v31
	v_cndmask_b32_e64 v32, 0, 1, vcc_lo
	v_cmp_ne_u64_e32 vcc_lo, v[11:12], v[5:6]
	s_delay_alu instid0(VALU_DEP_2) | instskip(SKIP_2) | instid1(VALU_DEP_2)
	v_lshlrev_b16 v32, 8, v32
	v_cndmask_b32_e64 v33, 0, 1, vcc_lo
	v_cmp_ne_u64_e32 vcc_lo, v[15:16], v[9:10]
	v_or_b32_e32 v31, v33, v31
	v_cndmask_b32_e64 v34, 0, 1, vcc_lo
	v_cmp_ne_u64_e32 vcc_lo, v[13:14], v[15:16]
	s_delay_alu instid0(VALU_DEP_3) | instskip(NEXT) | instid1(VALU_DEP_3)
	v_and_b32_e32 v31, 0xffff, v31
	v_or_b32_e32 v32, v34, v32
	v_cndmask_b32_e64 v35, 0, 1, vcc_lo
	s_delay_alu instid0(VALU_DEP_3) | instskip(NEXT) | instid1(VALU_DEP_3)
	v_or_b32_e32 v26, v31, v29
	v_lshlrev_b32_e32 v30, 16, v32
	s_delay_alu instid0(VALU_DEP_3) | instskip(NEXT) | instid1(VALU_DEP_1)
	v_lshlrev_b16 v34, 8, v35
	v_and_b32_e32 v32, 0xffff, v34
	s_delay_alu instid0(VALU_DEP_1)
	v_or_b32_e32 v25, v32, v30
	s_and_b32 vcc_lo, exec_lo, s3
	s_cbranch_vccnz .LBB619_47
	s_branch .LBB619_50
.LBB619_45:
                                        ; implicit-def: $sgpr2
                                        ; implicit-def: $vgpr26
	s_branch .LBB619_51
.LBB619_46:
                                        ; implicit-def: $sgpr2
                                        ; implicit-def: $vgpr26
	s_and_b32 vcc_lo, exec_lo, s3
	s_cbranch_vccz .LBB619_50
.LBB619_47:
	s_mov_b32 s2, exec_lo
	s_waitcnt vmcnt(0) lgkmcnt(0)
	s_barrier
	buffer_gl0_inv
	v_cmpx_ne_u32_e32 0, v0
	s_cbranch_execz .LBB619_49
; %bb.48:
	v_add_nc_u32_e32 v25, -8, v47
	ds_load_b64 v[27:28], v25
.LBB619_49:
	s_or_b32 exec_lo, exec_lo, s2
	v_or_b32_e32 v25, 7, v47
	v_or_b32_e32 v26, 6, v47
	v_cmp_ne_u64_e32 vcc_lo, v[1:2], v[3:4]
	v_or_b32_e32 v29, 5, v47
	v_cmp_ne_u64_e64 s3, v[7:8], v[1:2]
	v_cmp_gt_u32_e64 s2, s19, v25
	v_cmp_gt_u32_e64 s4, s19, v26
	v_cmp_ne_u64_e64 s5, v[5:6], v[7:8]
	v_cmp_gt_u32_e64 s6, s19, v29
	v_or_b32_e32 v29, 3, v47
	s_and_b32 s2, s2, vcc_lo
	v_or_b32_e32 v30, 4, v47
	v_cndmask_b32_e64 v25, 0, 1, s2
	s_and_b32 s2, s4, s3
	v_cmp_ne_u64_e32 vcc_lo, v[9:10], v[11:12]
	v_cndmask_b32_e64 v26, 0, 1, s2
	s_and_b32 s2, s6, s5
	v_cmp_gt_u32_e64 s3, s19, v30
	v_cndmask_b32_e64 v31, 0, 1, s2
	v_cmp_gt_u32_e64 s2, s19, v29
	v_or_b32_e32 v29, 2, v47
	v_or_b32_e32 v30, 1, v47
	v_cmp_ne_u64_e64 s4, v[11:12], v[5:6]
	v_cmp_ne_u64_e64 s6, v[13:14], v[15:16]
	s_and_b32 s2, s2, vcc_lo
	v_cmp_ne_u64_e32 vcc_lo, v[15:16], v[9:10]
	v_cndmask_b32_e64 v32, 0, 1, s2
	v_cmp_gt_u32_e64 s2, s19, v29
	v_cmp_gt_u32_e64 s5, s19, v30
	s_and_b32 s3, s3, s4
	v_lshlrev_b16 v31, 8, v31
	v_cndmask_b32_e64 v29, 0, 1, s3
	s_and_b32 s2, s2, vcc_lo
	v_lshlrev_b16 v32, 8, v32
	v_cndmask_b32_e64 v30, 0, 1, s2
	s_and_b32 s2, s5, s6
	v_lshlrev_b16 v25, 8, v25
	v_cndmask_b32_e64 v33, 0, 1, s2
	v_or_b32_e32 v29, v29, v31
	v_or_b32_e32 v30, v30, v32
	s_waitcnt lgkmcnt(0)
	v_cmp_ne_u64_e32 vcc_lo, v[27:28], v[13:14]
	v_or_b32_e32 v25, v26, v25
	v_lshlrev_b16 v32, 8, v33
	v_and_b32_e32 v29, 0xffff, v29
	v_lshlrev_b32_e32 v26, 16, v30
	v_cmp_gt_u32_e64 s2, s19, v47
	v_lshlrev_b32_e32 v31, 16, v25
	v_and_b32_e32 v30, 0xffff, v32
	s_delay_alu instid0(VALU_DEP_3) | instskip(NEXT) | instid1(VALU_DEP_1)
	s_and_b32 s2, s2, vcc_lo
	v_or_b32_e32 v25, v30, v26
	s_delay_alu instid0(VALU_DEP_3)
	v_or_b32_e32 v26, v29, v31
.LBB619_50:
	s_mov_b32 s12, -1
	s_cbranch_execnz .LBB619_59
.LBB619_51:
	v_cmp_ne_u64_e64 s3, v[1:2], v[3:4]
	v_cmp_ne_u64_e64 s4, v[7:8], v[1:2]
	;; [unrolled: 1-line block ×7, first 2 shown]
	s_and_b32 vcc_lo, exec_lo, s18
	ds_store_b64 v47, v[3:4]
	s_cbranch_vccz .LBB619_55
; %bb.52:
	v_cndmask_b32_e64 v25, 0, 1, s3
	s_waitcnt vmcnt(0) lgkmcnt(2)
	v_cndmask_b32_e64 v27, 0, 1, s5
	v_cndmask_b32_e64 v29, 0, 1, s7
	;; [unrolled: 1-line block ×6, first 2 shown]
	v_lshlrev_b16 v27, 8, v27
	v_lshlrev_b16 v25, 8, v25
	;; [unrolled: 1-line block ×4, first 2 shown]
	s_mov_b32 s3, 0
	v_or_b32_e32 v27, v28, v27
	v_or_b32_e32 v25, v26, v25
	v_or_b32_e32 v26, v31, v29
	v_or_b32_e32 v28, 1, v30
	s_mov_b32 s4, exec_lo
	v_and_b32_e32 v27, 0xffff, v27
	v_lshlrev_b32_e32 v25, 16, v25
	v_lshlrev_b32_e32 v29, 16, v26
	v_and_b32_e32 v28, 0xffff, v28
	s_waitcnt lgkmcnt(0)
	s_barrier
	v_or_b32_e32 v26, v27, v25
	buffer_gl0_inv
	v_or_b32_e32 v25, v28, v29
                                        ; implicit-def: $sgpr2
	v_cmpx_ne_u32_e32 0, v0
	s_xor_b32 s4, exec_lo, s4
	s_cbranch_execz .LBB619_54
; %bb.53:
	v_add_nc_u32_e32 v27, -8, v47
	s_or_b32 s12, s12, exec_lo
	ds_load_b64 v[27:28], v27
	s_waitcnt lgkmcnt(0)
	v_cmp_ne_u64_e32 vcc_lo, v[27:28], v[13:14]
	s_and_b32 s2, vcc_lo, exec_lo
.LBB619_54:
	s_or_b32 exec_lo, exec_lo, s4
	s_delay_alu instid0(SALU_CYCLE_1)
	s_and_b32 vcc_lo, exec_lo, s3
	s_cbranch_vccnz .LBB619_56
	s_branch .LBB619_59
.LBB619_55:
                                        ; implicit-def: $sgpr2
                                        ; implicit-def: $vgpr26
	s_cbranch_execz .LBB619_59
.LBB619_56:
	v_or_b32_e32 v25, 7, v47
	v_or_b32_e32 v26, 6, v47
	v_cmp_ne_u64_e32 vcc_lo, v[1:2], v[3:4]
	v_cmp_ne_u64_e64 s2, v[7:8], v[1:2]
	s_waitcnt vmcnt(0) lgkmcnt(2)
	v_or_b32_e32 v27, 4, v47
	v_cmp_gt_u32_e64 s3, s19, v25
	v_or_b32_e32 v25, 5, v47
	v_cmp_gt_u32_e64 s5, s19, v26
	v_cmp_ne_u64_e64 s4, v[5:6], v[7:8]
	v_cmp_ne_u64_e64 s6, v[11:12], v[5:6]
	s_and_b32 s3, s3, vcc_lo
	v_cmp_gt_u32_e32 vcc_lo, s19, v25
	v_cndmask_b32_e64 v26, 0, 1, s3
	v_cmp_gt_u32_e64 s3, s19, v27
	s_and_b32 s2, s5, s2
	v_or_b32_e32 v28, 3, v47
	v_cndmask_b32_e64 v25, 0, 1, s2
	s_and_b32 s2, vcc_lo, s4
	v_or_b32_e32 v30, 1, v47
	v_cndmask_b32_e64 v27, 0, 1, s2
	s_and_b32 s2, s3, s6
	v_cmp_ne_u64_e32 vcc_lo, v[9:10], v[11:12]
	v_cndmask_b32_e64 v29, 0, 1, s2
	v_cmp_gt_u32_e64 s2, s19, v28
	v_cmp_ne_u64_e64 s3, v[13:14], v[15:16]
	v_or_b32_e32 v31, 2, v47
	v_cmp_gt_u32_e64 s4, s19, v30
	v_cmp_ne_u64_e64 s5, v[15:16], v[9:10]
	s_and_b32 s2, s2, vcc_lo
	v_lshlrev_b16 v27, 8, v27
	v_cmp_gt_u32_e64 s6, s19, v31
	v_cndmask_b32_e64 v28, 0, 1, s2
	s_and_b32 s2, s4, s3
	v_lshlrev_b16 v26, 8, v26
	v_cndmask_b32_e64 v30, 0, 1, s2
	s_and_b32 s2, s6, s5
	v_lshlrev_b16 v28, 8, v28
	v_cndmask_b32_e64 v31, 0, 1, s2
	v_or_b32_e32 v27, v29, v27
	v_lshlrev_b16 v30, 8, v30
	v_or_b32_e32 v25, v25, v26
	s_mov_b32 s3, exec_lo
	v_or_b32_e32 v26, v31, v28
	v_and_b32_e32 v27, 0xffff, v27
	v_or_b32_e32 v28, 1, v30
	v_lshlrev_b32_e32 v25, 16, v25
	s_waitcnt lgkmcnt(0)
	v_lshlrev_b32_e32 v29, 16, v26
	s_barrier
	v_and_b32_e32 v28, 0xffff, v28
	v_or_b32_e32 v26, v27, v25
	buffer_gl0_inv
                                        ; implicit-def: $sgpr2
	v_or_b32_e32 v25, v28, v29
	v_cmpx_ne_u32_e32 0, v0
	s_cbranch_execz .LBB619_58
; %bb.57:
	v_add_nc_u32_e32 v27, -8, v47
	v_cmp_gt_u32_e64 s2, s19, v47
	s_or_b32 s12, s12, exec_lo
	ds_load_b64 v[27:28], v27
	s_waitcnt lgkmcnt(0)
	v_cmp_ne_u64_e32 vcc_lo, v[27:28], v[13:14]
	s_and_b32 s2, s2, vcc_lo
	s_delay_alu instid0(SALU_CYCLE_1)
	s_and_b32 s2, s2, exec_lo
.LBB619_58:
	s_or_b32 exec_lo, exec_lo, s3
.LBB619_59:
	s_and_saveexec_b32 s3, s12
	s_cbranch_execz .LBB619_61
; %bb.60:
	s_waitcnt vmcnt(0) lgkmcnt(1)
	v_and_b32_e32 v27, 0xffffff00, v25
	v_cndmask_b32_e64 v28, 0, 1, s2
	s_delay_alu instid0(VALU_DEP_1) | instskip(NEXT) | instid1(VALU_DEP_1)
	v_or_b32_e32 v27, v28, v27
	v_and_b32_e32 v27, 0xffff, v27
	s_delay_alu instid0(VALU_DEP_1)
	v_and_or_b32 v25, 0xffff0000, v25, v27
.LBB619_61:
	s_or_b32 exec_lo, exec_lo, s3
	s_load_b64 s[12:13], s[0:1], 0x60
	s_and_not1_b32 vcc_lo, exec_lo, s20
	s_cbranch_vccnz .LBB619_63
; %bb.62:
	v_cmp_gt_u32_e32 vcc_lo, s19, v47
	s_waitcnt vmcnt(0) lgkmcnt(0)
	v_or_b32_e32 v28, 1, v47
	v_and_b32_e32 v29, 0xffffff00, v26
	v_or_b32_e32 v30, 2, v47
	v_cndmask_b32_e32 v27, 0, v25, vcc_lo
	s_delay_alu instid0(VALU_DEP_4) | instskip(SKIP_1) | instid1(VALU_DEP_4)
	v_cmp_gt_u32_e32 vcc_lo, s19, v28
	v_or_b32_e32 v28, 4, v47
	v_cmp_gt_u32_e64 s2, s19, v30
	v_or_b32_e32 v30, 3, v47
	v_and_b32_e32 v27, 0xff, v27
	s_delay_alu instid0(VALU_DEP_2) | instskip(NEXT) | instid1(VALU_DEP_2)
	v_cmp_gt_u32_e64 s3, s19, v30
	v_cndmask_b32_e32 v27, v27, v25, vcc_lo
	v_cmp_gt_u32_e32 vcc_lo, s19, v28
	v_cndmask_b32_e32 v28, v29, v26, vcc_lo
	v_or_b32_e32 v29, 5, v47
	s_delay_alu instid0(VALU_DEP_2) | instskip(SKIP_1) | instid1(VALU_DEP_1)
	v_and_b32_e32 v28, 0xffff00ff, v28
	v_and_b32_e32 v27, 0xffff, v27
	v_cndmask_b32_e64 v27, v27, v25, s2
	s_delay_alu instid0(VALU_DEP_4) | instskip(SKIP_1) | instid1(VALU_DEP_3)
	v_cmp_gt_u32_e64 s2, s19, v29
	v_or_b32_e32 v29, 6, v47
	v_and_b32_e32 v27, 0xffffff, v27
	s_delay_alu instid0(VALU_DEP_3) | instskip(NEXT) | instid1(VALU_DEP_2)
	v_cndmask_b32_e64 v28, v28, v26, s2
	v_cndmask_b32_e64 v27, v27, v25, s3
	s_delay_alu instid0(VALU_DEP_1) | instskip(SKIP_2) | instid1(VALU_DEP_3)
	v_dual_cndmask_b32 v27, v27, v25 :: v_dual_and_b32 v28, 0xff00ffff, v28
	v_cmp_gt_u32_e32 vcc_lo, s19, v29
	v_or_b32_e32 v29, 7, v47
	v_cndmask_b32_e64 v27, v27, v25, s2
	s_delay_alu instid0(VALU_DEP_1) | instskip(NEXT) | instid1(VALU_DEP_1)
	v_dual_cndmask_b32 v28, v28, v26 :: v_dual_cndmask_b32 v27, v27, v25
	v_and_b32_e32 v28, 0xffffff, v28
	s_delay_alu instid0(VALU_DEP_4) | instskip(NEXT) | instid1(VALU_DEP_2)
	v_cmp_gt_u32_e32 vcc_lo, s19, v29
	v_dual_cndmask_b32 v26, v28, v26 :: v_dual_cndmask_b32 v25, v27, v25
.LBB619_63:
	s_delay_alu instid0(VALU_DEP_1) | instskip(SKIP_1) | instid1(VALU_DEP_2)
	v_and_b32_e32 v36, 0xff, v25
	s_waitcnt vmcnt(0) lgkmcnt(0)
	v_alignbit_b32 v27, v26, v25, 24
	v_bfe_u32 v38, v25, 8, 8
	v_bfe_u32 v40, v25, 16, 8
	v_and_b32_e32 v44, 0xff, v26
	v_bfe_u32 v46, v26, 8, 8
	v_and_b32_e32 v42, 0xff, v27
	v_add_nc_u32_e32 v27, v38, v36
	v_mbcnt_lo_u32_b32 v50, -1, 0
	v_bfe_u32 v49, v26, 16, 8
	v_lshrrev_b32_e32 v48, 24, v26
	v_lshrrev_b32_e32 v51, 5, v0
	v_add3_u32 v27, v27, v40, v42
	v_and_b32_e32 v28, 15, v50
	v_and_b32_e32 v29, 16, v50
	s_and_b32 vcc_lo, exec_lo, s9
	s_mov_b32 s9, -1
	v_add3_u32 v27, v27, v44, v46
	v_cmp_eq_u32_e64 s4, 0, v28
	v_cmp_lt_u32_e64 s2, 1, v28
	v_cmp_lt_u32_e64 s5, 3, v28
	v_cmp_lt_u32_e64 s3, 7, v28
	v_add3_u32 v52, v27, v49, v48
	v_or_b32_e32 v27, 31, v0
	v_cmp_eq_u32_e64 s7, 0, v29
	s_barrier
	buffer_gl0_inv
	v_cmp_eq_u32_e64 s6, v27, v0
	s_cbranch_vccz .LBB619_94
; %bb.64:
	v_mov_b32_dpp v27, v52 row_shr:1 row_mask:0xf bank_mask:0xf
	s_delay_alu instid0(VALU_DEP_1) | instskip(NEXT) | instid1(VALU_DEP_1)
	v_cndmask_b32_e64 v27, v27, 0, s4
	v_add_nc_u32_e32 v27, v27, v52
	s_delay_alu instid0(VALU_DEP_1) | instskip(NEXT) | instid1(VALU_DEP_1)
	v_mov_b32_dpp v28, v27 row_shr:2 row_mask:0xf bank_mask:0xf
	v_cndmask_b32_e64 v28, 0, v28, s2
	s_delay_alu instid0(VALU_DEP_1) | instskip(NEXT) | instid1(VALU_DEP_1)
	v_add_nc_u32_e32 v27, v27, v28
	v_mov_b32_dpp v28, v27 row_shr:4 row_mask:0xf bank_mask:0xf
	s_delay_alu instid0(VALU_DEP_1) | instskip(NEXT) | instid1(VALU_DEP_1)
	v_cndmask_b32_e64 v28, 0, v28, s5
	v_add_nc_u32_e32 v27, v27, v28
	s_delay_alu instid0(VALU_DEP_1) | instskip(NEXT) | instid1(VALU_DEP_1)
	v_mov_b32_dpp v28, v27 row_shr:8 row_mask:0xf bank_mask:0xf
	v_cndmask_b32_e64 v28, 0, v28, s3
	s_delay_alu instid0(VALU_DEP_1) | instskip(SKIP_3) | instid1(VALU_DEP_1)
	v_add_nc_u32_e32 v27, v27, v28
	ds_swizzle_b32 v28, v27 offset:swizzle(BROADCAST,32,15)
	s_waitcnt lgkmcnt(0)
	v_cndmask_b32_e64 v28, v28, 0, s7
	v_add_nc_u32_e32 v27, v27, v28
	s_and_saveexec_b32 s8, s6
	s_cbranch_execz .LBB619_66
; %bb.65:
	v_lshlrev_b32_e32 v28, 2, v51
	ds_store_b32 v28, v27
.LBB619_66:
	s_or_b32 exec_lo, exec_lo, s8
	s_delay_alu instid0(SALU_CYCLE_1)
	s_mov_b32 s8, exec_lo
	s_waitcnt lgkmcnt(0)
	s_barrier
	buffer_gl0_inv
	v_cmpx_gt_u32_e32 16, v0
	s_cbranch_execz .LBB619_68
; %bb.67:
	v_lshlrev_b32_e32 v28, 2, v0
	ds_load_b32 v29, v28
	s_waitcnt lgkmcnt(0)
	v_mov_b32_dpp v30, v29 row_shr:1 row_mask:0xf bank_mask:0xf
	s_delay_alu instid0(VALU_DEP_1) | instskip(NEXT) | instid1(VALU_DEP_1)
	v_cndmask_b32_e64 v30, v30, 0, s4
	v_add_nc_u32_e32 v29, v30, v29
	s_delay_alu instid0(VALU_DEP_1) | instskip(NEXT) | instid1(VALU_DEP_1)
	v_mov_b32_dpp v30, v29 row_shr:2 row_mask:0xf bank_mask:0xf
	v_cndmask_b32_e64 v30, 0, v30, s2
	s_delay_alu instid0(VALU_DEP_1) | instskip(NEXT) | instid1(VALU_DEP_1)
	v_add_nc_u32_e32 v29, v29, v30
	v_mov_b32_dpp v30, v29 row_shr:4 row_mask:0xf bank_mask:0xf
	s_delay_alu instid0(VALU_DEP_1) | instskip(NEXT) | instid1(VALU_DEP_1)
	v_cndmask_b32_e64 v30, 0, v30, s5
	v_add_nc_u32_e32 v29, v29, v30
	s_delay_alu instid0(VALU_DEP_1) | instskip(NEXT) | instid1(VALU_DEP_1)
	v_mov_b32_dpp v30, v29 row_shr:8 row_mask:0xf bank_mask:0xf
	v_cndmask_b32_e64 v30, 0, v30, s3
	s_delay_alu instid0(VALU_DEP_1)
	v_add_nc_u32_e32 v29, v29, v30
	ds_store_b32 v28, v29
.LBB619_68:
	s_or_b32 exec_lo, exec_lo, s8
	v_cmp_gt_u32_e32 vcc_lo, 32, v0
	s_mov_b32 s9, exec_lo
	s_waitcnt lgkmcnt(0)
	s_barrier
	buffer_gl0_inv
                                        ; implicit-def: $vgpr35
	v_cmpx_lt_u32_e32 31, v0
	s_cbranch_execz .LBB619_70
; %bb.69:
	v_lshl_add_u32 v28, v51, 2, -4
	ds_load_b32 v35, v28
	s_waitcnt lgkmcnt(0)
	v_add_nc_u32_e32 v27, v35, v27
.LBB619_70:
	s_or_b32 exec_lo, exec_lo, s9
	v_add_nc_u32_e32 v28, -1, v50
	s_delay_alu instid0(VALU_DEP_1) | instskip(NEXT) | instid1(VALU_DEP_1)
	v_cmp_gt_i32_e64 s8, 0, v28
	v_cndmask_b32_e64 v28, v28, v50, s8
	v_cmp_eq_u32_e64 s8, 0, v50
	s_delay_alu instid0(VALU_DEP_2)
	v_lshlrev_b32_e32 v28, 2, v28
	ds_bpermute_b32 v37, v28, v27
	s_and_saveexec_b32 s9, vcc_lo
	s_cbranch_execz .LBB619_93
; %bb.71:
	v_mov_b32_e32 v31, 0
	ds_load_b32 v27, v31 offset:60
	s_and_saveexec_b32 s19, s8
	s_cbranch_execz .LBB619_73
; %bb.72:
	s_add_i32 s20, s15, 32
	s_mov_b32 s21, 0
	v_mov_b32_e32 v28, 1
	s_lshl_b64 s[20:21], s[20:21], 3
	s_delay_alu instid0(SALU_CYCLE_1)
	s_add_u32 s20, s12, s20
	s_addc_u32 s21, s13, s21
	s_waitcnt lgkmcnt(0)
	global_store_b64 v31, v[27:28], s[20:21]
.LBB619_73:
	s_or_b32 exec_lo, exec_lo, s19
	v_xad_u32 v29, v50, -1, s15
	s_mov_b32 s20, 0
	s_mov_b32 s19, exec_lo
	s_delay_alu instid0(VALU_DEP_1) | instskip(NEXT) | instid1(VALU_DEP_1)
	v_add_nc_u32_e32 v30, 32, v29
	v_lshlrev_b64 v[30:31], 3, v[30:31]
	s_delay_alu instid0(VALU_DEP_1) | instskip(NEXT) | instid1(VALU_DEP_2)
	v_add_co_u32 v33, vcc_lo, s12, v30
	v_add_co_ci_u32_e32 v34, vcc_lo, s13, v31, vcc_lo
	global_load_b64 v[31:32], v[33:34], off glc
	s_waitcnt vmcnt(0)
	v_and_b32_e32 v28, 0xff, v32
	s_delay_alu instid0(VALU_DEP_1)
	v_cmpx_eq_u16_e32 0, v28
	s_cbranch_execz .LBB619_79
; %bb.74:
	s_mov_b32 s21, 1
	.p2align	6
.LBB619_75:                             ; =>This Loop Header: Depth=1
                                        ;     Child Loop BB619_76 Depth 2
	s_delay_alu instid0(SALU_CYCLE_1)
	s_max_u32 s22, s21, 1
.LBB619_76:                             ;   Parent Loop BB619_75 Depth=1
                                        ; =>  This Inner Loop Header: Depth=2
	s_delay_alu instid0(SALU_CYCLE_1)
	s_add_i32 s22, s22, -1
	s_sleep 1
	s_cmp_eq_u32 s22, 0
	s_cbranch_scc0 .LBB619_76
; %bb.77:                               ;   in Loop: Header=BB619_75 Depth=1
	global_load_b64 v[31:32], v[33:34], off glc
	s_cmp_lt_u32 s21, 32
	s_cselect_b32 s22, -1, 0
	s_delay_alu instid0(SALU_CYCLE_1) | instskip(SKIP_3) | instid1(VALU_DEP_1)
	s_cmp_lg_u32 s22, 0
	s_addc_u32 s21, s21, 0
	s_waitcnt vmcnt(0)
	v_and_b32_e32 v28, 0xff, v32
	v_cmp_ne_u16_e32 vcc_lo, 0, v28
	s_or_b32 s20, vcc_lo, s20
	s_delay_alu instid0(SALU_CYCLE_1)
	s_and_not1_b32 exec_lo, exec_lo, s20
	s_cbranch_execnz .LBB619_75
; %bb.78:
	s_or_b32 exec_lo, exec_lo, s20
.LBB619_79:
	s_delay_alu instid0(SALU_CYCLE_1)
	s_or_b32 exec_lo, exec_lo, s19
	v_cmp_ne_u32_e32 vcc_lo, 31, v50
	v_lshlrev_b32_e64 v41, v50, -1
	v_add_nc_u32_e32 v45, 2, v50
	v_add_nc_u32_e32 v58, 16, v50
	v_add_co_ci_u32_e32 v28, vcc_lo, 0, v50, vcc_lo
	s_delay_alu instid0(VALU_DEP_1)
	v_lshlrev_b32_e32 v39, 2, v28
	v_and_b32_e32 v28, 0xff, v32
	ds_bpermute_b32 v30, v39, v31
	v_cmp_eq_u16_e32 vcc_lo, 2, v28
	v_and_or_b32 v28, vcc_lo, v41, 0x80000000
	v_cmp_gt_u32_e32 vcc_lo, 30, v50
	s_delay_alu instid0(VALU_DEP_2) | instskip(SKIP_1) | instid1(VALU_DEP_2)
	v_ctz_i32_b32_e32 v28, v28
	v_cndmask_b32_e64 v33, 0, 1, vcc_lo
	v_cmp_lt_u32_e32 vcc_lo, v50, v28
	s_waitcnt lgkmcnt(0)
	s_delay_alu instid0(VALU_DEP_2) | instskip(NEXT) | instid1(VALU_DEP_1)
	v_dual_cndmask_b32 v30, 0, v30 :: v_dual_lshlrev_b32 v33, 1, v33
	v_add_lshl_u32 v43, v33, v50, 2
	v_cmp_gt_u32_e32 vcc_lo, 28, v50
	s_delay_alu instid0(VALU_DEP_3) | instskip(SKIP_4) | instid1(VALU_DEP_1)
	v_add_nc_u32_e32 v30, v30, v31
	v_cndmask_b32_e64 v33, 0, 1, vcc_lo
	v_cmp_le_u32_e32 vcc_lo, v45, v28
	ds_bpermute_b32 v31, v43, v30
	v_lshlrev_b32_e32 v33, 2, v33
	v_add_lshl_u32 v53, v33, v50, 2
	s_waitcnt lgkmcnt(0)
	v_cndmask_b32_e32 v31, 0, v31, vcc_lo
	v_cmp_gt_u32_e32 vcc_lo, 24, v50
	s_delay_alu instid0(VALU_DEP_2) | instskip(SKIP_4) | instid1(VALU_DEP_2)
	v_add_nc_u32_e32 v30, v30, v31
	v_cndmask_b32_e64 v33, 0, 1, vcc_lo
	ds_bpermute_b32 v31, v53, v30
	v_add_nc_u32_e32 v54, 4, v50
	v_lshlrev_b32_e32 v33, 3, v33
	v_cmp_le_u32_e32 vcc_lo, v54, v28
	s_delay_alu instid0(VALU_DEP_2) | instskip(SKIP_3) | instid1(VALU_DEP_2)
	v_add_lshl_u32 v55, v33, v50, 2
	s_waitcnt lgkmcnt(0)
	v_cndmask_b32_e32 v31, 0, v31, vcc_lo
	v_cmp_gt_u32_e32 vcc_lo, 16, v50
	v_add_nc_u32_e32 v30, v30, v31
	v_cndmask_b32_e64 v33, 0, 1, vcc_lo
	ds_bpermute_b32 v31, v55, v30
	v_add_nc_u32_e32 v56, 8, v50
	v_lshlrev_b32_e32 v33, 4, v33
	s_delay_alu instid0(VALU_DEP_2) | instskip(NEXT) | instid1(VALU_DEP_2)
	v_cmp_le_u32_e32 vcc_lo, v56, v28
	v_add_lshl_u32 v57, v33, v50, 2
	s_waitcnt lgkmcnt(0)
	v_cndmask_b32_e32 v31, 0, v31, vcc_lo
	v_cmp_le_u32_e32 vcc_lo, v58, v28
	s_delay_alu instid0(VALU_DEP_2) | instskip(SKIP_3) | instid1(VALU_DEP_1)
	v_add_nc_u32_e32 v30, v30, v31
	ds_bpermute_b32 v31, v57, v30
	s_waitcnt lgkmcnt(0)
	v_cndmask_b32_e32 v28, 0, v31, vcc_lo
	v_dual_mov_b32 v30, 0 :: v_dual_add_nc_u32 v31, v30, v28
	s_branch .LBB619_81
.LBB619_80:                             ;   in Loop: Header=BB619_81 Depth=1
	s_or_b32 exec_lo, exec_lo, s19
	ds_bpermute_b32 v34, v39, v31
	v_and_b32_e32 v33, 0xff, v32
	v_subrev_nc_u32_e32 v29, 32, v29
	s_delay_alu instid0(VALU_DEP_2) | instskip(SKIP_1) | instid1(VALU_DEP_1)
	v_cmp_eq_u16_e32 vcc_lo, 2, v33
	v_and_or_b32 v33, vcc_lo, v41, 0x80000000
	v_ctz_i32_b32_e32 v33, v33
	s_delay_alu instid0(VALU_DEP_1) | instskip(SKIP_3) | instid1(VALU_DEP_2)
	v_cmp_lt_u32_e32 vcc_lo, v50, v33
	s_waitcnt lgkmcnt(0)
	v_cndmask_b32_e32 v34, 0, v34, vcc_lo
	v_cmp_le_u32_e32 vcc_lo, v45, v33
	v_add_nc_u32_e32 v31, v34, v31
	ds_bpermute_b32 v34, v43, v31
	s_waitcnt lgkmcnt(0)
	v_cndmask_b32_e32 v34, 0, v34, vcc_lo
	v_cmp_le_u32_e32 vcc_lo, v54, v33
	s_delay_alu instid0(VALU_DEP_2) | instskip(SKIP_4) | instid1(VALU_DEP_2)
	v_add_nc_u32_e32 v31, v31, v34
	ds_bpermute_b32 v34, v53, v31
	s_waitcnt lgkmcnt(0)
	v_cndmask_b32_e32 v34, 0, v34, vcc_lo
	v_cmp_le_u32_e32 vcc_lo, v56, v33
	v_add_nc_u32_e32 v31, v31, v34
	ds_bpermute_b32 v34, v55, v31
	s_waitcnt lgkmcnt(0)
	v_cndmask_b32_e32 v34, 0, v34, vcc_lo
	v_cmp_le_u32_e32 vcc_lo, v58, v33
	s_delay_alu instid0(VALU_DEP_2) | instskip(SKIP_3) | instid1(VALU_DEP_1)
	v_add_nc_u32_e32 v31, v31, v34
	ds_bpermute_b32 v34, v57, v31
	s_waitcnt lgkmcnt(0)
	v_cndmask_b32_e32 v33, 0, v34, vcc_lo
	v_add3_u32 v31, v33, v28, v31
.LBB619_81:                             ; =>This Loop Header: Depth=1
                                        ;     Child Loop BB619_84 Depth 2
                                        ;       Child Loop BB619_85 Depth 3
	v_and_b32_e32 v28, 0xff, v32
	s_delay_alu instid0(VALU_DEP_1) | instskip(SKIP_2) | instid1(VALU_DEP_1)
	v_cmp_ne_u16_e32 vcc_lo, 2, v28
	v_cndmask_b32_e64 v28, 0, 1, vcc_lo
	;;#ASMSTART
	;;#ASMEND
	v_cmp_ne_u32_e32 vcc_lo, 0, v28
	v_mov_b32_e32 v28, v31
	s_cmp_lg_u32 vcc_lo, exec_lo
	s_cbranch_scc1 .LBB619_88
; %bb.82:                               ;   in Loop: Header=BB619_81 Depth=1
	v_lshlrev_b64 v[31:32], 3, v[29:30]
	s_mov_b32 s19, exec_lo
	s_delay_alu instid0(VALU_DEP_1) | instskip(NEXT) | instid1(VALU_DEP_2)
	v_add_co_u32 v33, vcc_lo, s12, v31
	v_add_co_ci_u32_e32 v34, vcc_lo, s13, v32, vcc_lo
	global_load_b64 v[31:32], v[33:34], off glc
	s_waitcnt vmcnt(0)
	v_and_b32_e32 v59, 0xff, v32
	s_delay_alu instid0(VALU_DEP_1)
	v_cmpx_eq_u16_e32 0, v59
	s_cbranch_execz .LBB619_80
; %bb.83:                               ;   in Loop: Header=BB619_81 Depth=1
	s_mov_b32 s21, 1
	s_mov_b32 s20, 0
	.p2align	6
.LBB619_84:                             ;   Parent Loop BB619_81 Depth=1
                                        ; =>  This Loop Header: Depth=2
                                        ;       Child Loop BB619_85 Depth 3
	s_max_u32 s22, s21, 1
.LBB619_85:                             ;   Parent Loop BB619_81 Depth=1
                                        ;     Parent Loop BB619_84 Depth=2
                                        ; =>    This Inner Loop Header: Depth=3
	s_delay_alu instid0(SALU_CYCLE_1)
	s_add_i32 s22, s22, -1
	s_sleep 1
	s_cmp_eq_u32 s22, 0
	s_cbranch_scc0 .LBB619_85
; %bb.86:                               ;   in Loop: Header=BB619_84 Depth=2
	global_load_b64 v[31:32], v[33:34], off glc
	s_cmp_lt_u32 s21, 32
	s_cselect_b32 s22, -1, 0
	s_delay_alu instid0(SALU_CYCLE_1) | instskip(SKIP_3) | instid1(VALU_DEP_1)
	s_cmp_lg_u32 s22, 0
	s_addc_u32 s21, s21, 0
	s_waitcnt vmcnt(0)
	v_and_b32_e32 v59, 0xff, v32
	v_cmp_ne_u16_e32 vcc_lo, 0, v59
	s_or_b32 s20, vcc_lo, s20
	s_delay_alu instid0(SALU_CYCLE_1)
	s_and_not1_b32 exec_lo, exec_lo, s20
	s_cbranch_execnz .LBB619_84
; %bb.87:                               ;   in Loop: Header=BB619_81 Depth=1
	s_or_b32 exec_lo, exec_lo, s20
	s_branch .LBB619_80
.LBB619_88:                             ;   in Loop: Header=BB619_81 Depth=1
                                        ; implicit-def: $vgpr31
                                        ; implicit-def: $vgpr32
	s_cbranch_execz .LBB619_81
; %bb.89:
	s_and_saveexec_b32 s19, s8
	s_cbranch_execz .LBB619_91
; %bb.90:
	s_add_i32 s20, s15, 32
	s_mov_b32 s21, 0
	v_dual_mov_b32 v30, 2 :: v_dual_add_nc_u32 v29, v28, v27
	s_lshl_b64 s[20:21], s[20:21], 3
	v_mov_b32_e32 v31, 0
	s_add_u32 s20, s12, s20
	s_addc_u32 s21, s13, s21
	global_store_b64 v31, v[29:30], s[20:21]
	ds_store_b64 v31, v[27:28] offset:33792
.LBB619_91:
	s_or_b32 exec_lo, exec_lo, s19
	v_cmp_eq_u32_e32 vcc_lo, 0, v0
	s_and_b32 exec_lo, exec_lo, vcc_lo
	s_cbranch_execz .LBB619_93
; %bb.92:
	v_mov_b32_e32 v27, 0
	ds_store_b32 v27, v28 offset:60
.LBB619_93:
	s_or_b32 exec_lo, exec_lo, s9
	v_mov_b32_e32 v27, 0
	s_waitcnt lgkmcnt(0)
	s_waitcnt_vscnt null, 0x0
	s_barrier
	buffer_gl0_inv
	v_cndmask_b32_e64 v29, v37, v35, s8
	ds_load_b32 v28, v27 offset:60
	v_cmp_ne_u32_e32 vcc_lo, 0, v0
	s_waitcnt lgkmcnt(0)
	s_barrier
	buffer_gl0_inv
	v_cndmask_b32_e32 v29, 0, v29, vcc_lo
	s_delay_alu instid0(VALU_DEP_1) | instskip(SKIP_2) | instid1(VALU_DEP_1)
	v_add_nc_u32_e32 v45, v28, v29
	ds_load_b64 v[27:28], v27 offset:33792
	v_add_nc_u32_e32 v43, v45, v36
	v_add_nc_u32_e32 v41, v43, v38
	s_delay_alu instid0(VALU_DEP_1) | instskip(NEXT) | instid1(VALU_DEP_1)
	v_add_nc_u32_e32 v39, v41, v40
	v_add_nc_u32_e32 v37, v39, v42
	s_waitcnt lgkmcnt(0)
	v_readfirstlane_b32 s8, v28
	s_delay_alu instid0(VALU_DEP_2) | instskip(NEXT) | instid1(VALU_DEP_1)
	v_add_nc_u32_e32 v35, v37, v44
	v_add_nc_u32_e32 v33, v35, v46
	s_delay_alu instid0(VALU_DEP_1)
	v_add_nc_u32_e32 v31, v33, v49
	v_lshrrev_b64 v[29:30], 24, v[25:26]
	s_branch .LBB619_104
.LBB619_94:
                                        ; implicit-def: $vgpr31
                                        ; implicit-def: $vgpr33
                                        ; implicit-def: $vgpr35
                                        ; implicit-def: $vgpr37
                                        ; implicit-def: $vgpr39
                                        ; implicit-def: $vgpr41
                                        ; implicit-def: $vgpr43
                                        ; implicit-def: $vgpr45
                                        ; implicit-def: $sgpr8
                                        ; implicit-def: $vgpr27
	v_lshrrev_b64 v[29:30], 24, v[25:26]
	s_and_b32 vcc_lo, exec_lo, s9
	s_cbranch_vccz .LBB619_104
; %bb.95:
	v_mov_b32_dpp v27, v52 row_shr:1 row_mask:0xf bank_mask:0xf
	s_delay_alu instid0(VALU_DEP_1) | instskip(NEXT) | instid1(VALU_DEP_1)
	v_cndmask_b32_e64 v27, v27, 0, s4
	v_add_nc_u32_e32 v27, v27, v52
	s_delay_alu instid0(VALU_DEP_1) | instskip(NEXT) | instid1(VALU_DEP_1)
	v_mov_b32_dpp v28, v27 row_shr:2 row_mask:0xf bank_mask:0xf
	v_cndmask_b32_e64 v28, 0, v28, s2
	s_delay_alu instid0(VALU_DEP_1) | instskip(NEXT) | instid1(VALU_DEP_1)
	v_add_nc_u32_e32 v27, v27, v28
	v_mov_b32_dpp v28, v27 row_shr:4 row_mask:0xf bank_mask:0xf
	s_delay_alu instid0(VALU_DEP_1) | instskip(NEXT) | instid1(VALU_DEP_1)
	v_cndmask_b32_e64 v28, 0, v28, s5
	v_add_nc_u32_e32 v27, v27, v28
	s_delay_alu instid0(VALU_DEP_1) | instskip(NEXT) | instid1(VALU_DEP_1)
	v_mov_b32_dpp v28, v27 row_shr:8 row_mask:0xf bank_mask:0xf
	v_cndmask_b32_e64 v28, 0, v28, s3
	s_delay_alu instid0(VALU_DEP_1) | instskip(SKIP_3) | instid1(VALU_DEP_1)
	v_add_nc_u32_e32 v27, v27, v28
	ds_swizzle_b32 v28, v27 offset:swizzle(BROADCAST,32,15)
	s_waitcnt lgkmcnt(0)
	v_cndmask_b32_e64 v28, v28, 0, s7
	v_add_nc_u32_e32 v27, v27, v28
	s_and_saveexec_b32 s7, s6
	s_cbranch_execz .LBB619_97
; %bb.96:
	v_lshlrev_b32_e32 v28, 2, v51
	ds_store_b32 v28, v27
.LBB619_97:
	s_or_b32 exec_lo, exec_lo, s7
	s_delay_alu instid0(SALU_CYCLE_1)
	s_mov_b32 s6, exec_lo
	s_waitcnt lgkmcnt(0)
	s_barrier
	buffer_gl0_inv
	v_cmpx_gt_u32_e32 16, v0
	s_cbranch_execz .LBB619_99
; %bb.98:
	v_lshlrev_b32_e32 v28, 2, v0
	ds_load_b32 v30, v28
	s_waitcnt lgkmcnt(0)
	v_mov_b32_dpp v31, v30 row_shr:1 row_mask:0xf bank_mask:0xf
	s_delay_alu instid0(VALU_DEP_1) | instskip(NEXT) | instid1(VALU_DEP_1)
	v_cndmask_b32_e64 v31, v31, 0, s4
	v_add_nc_u32_e32 v30, v31, v30
	s_delay_alu instid0(VALU_DEP_1) | instskip(NEXT) | instid1(VALU_DEP_1)
	v_mov_b32_dpp v31, v30 row_shr:2 row_mask:0xf bank_mask:0xf
	v_cndmask_b32_e64 v31, 0, v31, s2
	s_delay_alu instid0(VALU_DEP_1) | instskip(NEXT) | instid1(VALU_DEP_1)
	v_add_nc_u32_e32 v30, v30, v31
	v_mov_b32_dpp v31, v30 row_shr:4 row_mask:0xf bank_mask:0xf
	s_delay_alu instid0(VALU_DEP_1) | instskip(NEXT) | instid1(VALU_DEP_1)
	v_cndmask_b32_e64 v31, 0, v31, s5
	v_add_nc_u32_e32 v30, v30, v31
	s_delay_alu instid0(VALU_DEP_1) | instskip(NEXT) | instid1(VALU_DEP_1)
	v_mov_b32_dpp v31, v30 row_shr:8 row_mask:0xf bank_mask:0xf
	v_cndmask_b32_e64 v31, 0, v31, s3
	s_delay_alu instid0(VALU_DEP_1)
	v_add_nc_u32_e32 v30, v30, v31
	ds_store_b32 v28, v30
.LBB619_99:
	s_or_b32 exec_lo, exec_lo, s6
	v_mov_b32_e32 v28, 0
	v_mov_b32_e32 v30, 0
	s_mov_b32 s2, exec_lo
	s_waitcnt lgkmcnt(0)
	s_barrier
	buffer_gl0_inv
	v_cmpx_lt_u32_e32 31, v0
	s_cbranch_execz .LBB619_101
; %bb.100:
	v_lshl_add_u32 v30, v51, 2, -4
	ds_load_b32 v30, v30
.LBB619_101:
	s_or_b32 exec_lo, exec_lo, s2
	v_add_nc_u32_e32 v31, -1, v50
	s_waitcnt lgkmcnt(0)
	v_add_nc_u32_e32 v27, v30, v27
	s_mov_b32 s8, 0
	s_delay_alu instid0(VALU_DEP_2) | instskip(SKIP_2) | instid1(VALU_DEP_2)
	v_cmp_gt_i32_e32 vcc_lo, 0, v31
	v_cndmask_b32_e32 v31, v31, v50, vcc_lo
	v_cmp_eq_u32_e32 vcc_lo, 0, v0
	v_lshlrev_b32_e32 v31, 2, v31
	ds_bpermute_b32 v31, v31, v27
	ds_load_b32 v27, v28 offset:60
	s_and_saveexec_b32 s2, vcc_lo
	s_cbranch_execz .LBB619_103
; %bb.102:
	v_mov_b32_e32 v32, 0
	v_mov_b32_e32 v28, 2
	s_waitcnt lgkmcnt(0)
	global_store_b64 v32, v[27:28], s[12:13] offset:256
.LBB619_103:
	s_or_b32 exec_lo, exec_lo, s2
	v_cmp_eq_u32_e64 s2, 0, v50
	s_waitcnt lgkmcnt(0)
	s_waitcnt_vscnt null, 0x0
	s_barrier
	buffer_gl0_inv
	v_cndmask_b32_e64 v28, v31, v30, s2
	s_delay_alu instid0(VALU_DEP_1) | instskip(NEXT) | instid1(VALU_DEP_1)
	v_cndmask_b32_e64 v45, v28, 0, vcc_lo
	v_add_nc_u32_e32 v43, v45, v36
	s_delay_alu instid0(VALU_DEP_1) | instskip(NEXT) | instid1(VALU_DEP_1)
	v_add_nc_u32_e32 v41, v43, v38
	v_add_nc_u32_e32 v39, v41, v40
	s_delay_alu instid0(VALU_DEP_1) | instskip(NEXT) | instid1(VALU_DEP_1)
	v_add_nc_u32_e32 v37, v39, v42
	;; [unrolled: 3-line block ×3, first 2 shown]
	v_add_nc_u32_e32 v31, v33, v49
.LBB619_104:
	s_load_b128 s[4:7], s[0:1], 0x28
	v_add_nc_u32_e32 v51, s8, v27
	v_cmp_gt_u32_e64 s0, 0x201, v27
	v_lshrrev_b32_e32 v50, 8, v25
	v_lshrrev_b32_e32 v49, 16, v25
	;; [unrolled: 1-line block ×4, first 2 shown]
	v_cmp_lt_u32_e64 s1, v45, v51
	s_and_b32 vcc_lo, exec_lo, s0
	s_mov_b32 s2, -1
	s_cbranch_vccz .LBB619_130
; %bb.105:
	s_lshl_b64 s[2:3], s[10:11], 3
	s_waitcnt lgkmcnt(0)
	s_add_u32 s2, s4, s2
	s_addc_u32 s3, s5, s3
	s_or_b32 s9, s18, s1
	s_delay_alu instid0(SALU_CYCLE_1)
	s_and_saveexec_b32 s1, s9
	s_cbranch_execz .LBB619_108
; %bb.106:
	v_and_b32_e32 v32, 1, v25
	s_delay_alu instid0(VALU_DEP_1)
	v_cmp_eq_u32_e32 vcc_lo, 1, v32
	s_and_b32 exec_lo, exec_lo, vcc_lo
	s_cbranch_execz .LBB619_108
; %bb.107:
	v_mov_b32_e32 v46, 0
	s_delay_alu instid0(VALU_DEP_1) | instskip(NEXT) | instid1(VALU_DEP_1)
	v_lshlrev_b64 v[52:53], 3, v[45:46]
	v_add_co_u32 v52, vcc_lo, s2, v52
	s_delay_alu instid0(VALU_DEP_2)
	v_add_co_ci_u32_e32 v53, vcc_lo, s3, v53, vcc_lo
	global_store_b64 v[52:53], v[13:14], off
.LBB619_108:
	s_or_b32 exec_lo, exec_lo, s1
	v_cmp_lt_u32_e32 vcc_lo, v43, v51
	s_or_b32 s9, s18, vcc_lo
	s_delay_alu instid0(SALU_CYCLE_1)
	s_and_saveexec_b32 s1, s9
	s_cbranch_execz .LBB619_111
; %bb.109:
	v_and_b32_e32 v32, 1, v50
	s_delay_alu instid0(VALU_DEP_1)
	v_cmp_eq_u32_e32 vcc_lo, 1, v32
	s_and_b32 exec_lo, exec_lo, vcc_lo
	s_cbranch_execz .LBB619_111
; %bb.110:
	v_mov_b32_e32 v44, 0
	s_delay_alu instid0(VALU_DEP_1) | instskip(NEXT) | instid1(VALU_DEP_1)
	v_lshlrev_b64 v[52:53], 3, v[43:44]
	v_add_co_u32 v52, vcc_lo, s2, v52
	s_delay_alu instid0(VALU_DEP_2)
	v_add_co_ci_u32_e32 v53, vcc_lo, s3, v53, vcc_lo
	global_store_b64 v[52:53], v[15:16], off
.LBB619_111:
	s_or_b32 exec_lo, exec_lo, s1
	v_cmp_lt_u32_e32 vcc_lo, v41, v51
	s_or_b32 s9, s18, vcc_lo
	;; [unrolled: 21-line block ×7, first 2 shown]
	s_delay_alu instid0(SALU_CYCLE_1)
	s_and_saveexec_b32 s1, s9
	s_cbranch_execz .LBB619_129
; %bb.127:
	v_and_b32_e32 v32, 1, v48
	s_delay_alu instid0(VALU_DEP_1)
	v_cmp_eq_u32_e32 vcc_lo, 1, v32
	s_and_b32 exec_lo, exec_lo, vcc_lo
	s_cbranch_execz .LBB619_129
; %bb.128:
	v_mov_b32_e32 v32, 0
	s_delay_alu instid0(VALU_DEP_1) | instskip(NEXT) | instid1(VALU_DEP_1)
	v_lshlrev_b64 v[52:53], 3, v[31:32]
	v_add_co_u32 v52, vcc_lo, s2, v52
	s_delay_alu instid0(VALU_DEP_2)
	v_add_co_ci_u32_e32 v53, vcc_lo, s3, v53, vcc_lo
	global_store_b64 v[52:53], v[3:4], off
.LBB619_129:
	s_or_b32 exec_lo, exec_lo, s1
	s_mov_b32 s2, 0
.LBB619_130:
	v_and_b32_e32 v25, 1, v25
	s_and_b32 vcc_lo, exec_lo, s2
	s_delay_alu instid0(VALU_DEP_1)
	v_cmp_eq_u32_e64 s1, 1, v25
	s_cbranch_vccz .LBB619_151
; %bb.131:
	s_delay_alu instid0(VALU_DEP_1)
	s_and_saveexec_b32 s2, s1
	s_cbranch_execz .LBB619_133
; %bb.132:
	v_subrev_nc_u32_e32 v32, s8, v45
	s_delay_alu instid0(VALU_DEP_1)
	v_lshlrev_b32_e32 v32, 3, v32
	ds_store_b64 v32, v[13:14]
.LBB619_133:
	s_or_b32 exec_lo, exec_lo, s2
	v_and_b32_e32 v13, 1, v50
	s_mov_b32 s1, exec_lo
	s_delay_alu instid0(VALU_DEP_1)
	v_cmpx_eq_u32_e32 1, v13
	s_cbranch_execz .LBB619_135
; %bb.134:
	v_subrev_nc_u32_e32 v13, s8, v43
	s_delay_alu instid0(VALU_DEP_1)
	v_lshlrev_b32_e32 v13, 3, v13
	ds_store_b64 v13, v[15:16]
.LBB619_135:
	s_or_b32 exec_lo, exec_lo, s1
	v_and_b32_e32 v13, 1, v49
	s_mov_b32 s1, exec_lo
	s_delay_alu instid0(VALU_DEP_1)
	v_cmpx_eq_u32_e32 1, v13
	;; [unrolled: 12-line block ×7, first 2 shown]
	s_cbranch_execz .LBB619_147
; %bb.146:
	v_subrev_nc_u32_e32 v1, s8, v31
	s_delay_alu instid0(VALU_DEP_1)
	v_lshlrev_b32_e32 v1, 3, v1
	ds_store_b64 v1, v[3:4]
.LBB619_147:
	s_or_b32 exec_lo, exec_lo, s1
	s_delay_alu instid0(SALU_CYCLE_1)
	s_mov_b32 s2, exec_lo
	s_waitcnt lgkmcnt(0)
	s_waitcnt_vscnt null, 0x0
	s_barrier
	buffer_gl0_inv
	v_cmpx_lt_u32_e64 v0, v27
	s_cbranch_execz .LBB619_150
; %bb.148:
	s_mov_b32 s9, 0
	s_lshl_b64 s[12:13], s[10:11], 3
	s_lshl_b64 s[20:21], s[8:9], 3
	v_mov_b32_e32 v3, v0
	s_add_u32 s1, s12, s20
	s_addc_u32 s3, s13, s21
	s_add_u32 s1, s4, s1
	s_addc_u32 s3, s5, s3
	v_add_co_u32 v1, s1, s1, v47
	s_delay_alu instid0(VALU_DEP_1)
	v_add_co_ci_u32_e64 v2, null, s3, 0, s1
	.p2align	6
.LBB619_149:                            ; =>This Inner Loop Header: Depth=1
	ds_load_b64 v[4:5], v47
	v_add_nc_u32_e32 v3, 0x200, v3
	v_add_nc_u32_e32 v47, 0x1000, v47
	s_delay_alu instid0(VALU_DEP_2) | instskip(SKIP_4) | instid1(VALU_DEP_1)
	v_cmp_ge_u32_e32 vcc_lo, v3, v27
	s_or_b32 s9, vcc_lo, s9
	s_waitcnt lgkmcnt(0)
	global_store_b64 v[1:2], v[4:5], off
	v_add_co_u32 v1, s1, 0x1000, v1
	v_add_co_ci_u32_e64 v2, s1, 0, v2, s1
	s_and_not1_b32 exec_lo, exec_lo, s9
	s_cbranch_execnz .LBB619_149
.LBB619_150:
	s_or_b32 exec_lo, exec_lo, s2
.LBB619_151:
	s_delay_alu instid0(SALU_CYCLE_1)
	s_and_b32 vcc_lo, exec_lo, s0
	s_mov_b32 s0, -1
	s_waitcnt lgkmcnt(0)
	s_waitcnt_vscnt null, 0x0
	s_barrier
	buffer_gl0_inv
	s_cbranch_vccz .LBB619_179
; %bb.152:
	v_cmp_lt_u32_e32 vcc_lo, v45, v51
	s_lshl_b64 s[0:1], s[10:11], 2
	s_delay_alu instid0(SALU_CYCLE_1) | instskip(SKIP_2) | instid1(SALU_CYCLE_1)
	s_add_u32 s0, s6, s0
	s_addc_u32 s1, s7, s1
	s_or_b32 s3, s18, vcc_lo
	s_and_saveexec_b32 s2, s3
	s_cbranch_execz .LBB619_155
; %bb.153:
	v_cmp_eq_u32_e32 vcc_lo, 1, v25
	s_and_b32 exec_lo, exec_lo, vcc_lo
	s_cbranch_execz .LBB619_155
; %bb.154:
	v_mov_b32_e32 v46, 0
	s_delay_alu instid0(VALU_DEP_1) | instskip(NEXT) | instid1(VALU_DEP_1)
	v_lshlrev_b64 v[1:2], 2, v[45:46]
	v_add_co_u32 v1, vcc_lo, s0, v1
	s_delay_alu instid0(VALU_DEP_2)
	v_add_co_ci_u32_e32 v2, vcc_lo, s1, v2, vcc_lo
	global_store_b32 v[1:2], v23, off
.LBB619_155:
	s_or_b32 exec_lo, exec_lo, s2
	v_cmp_lt_u32_e32 vcc_lo, v43, v51
	s_or_b32 s3, s18, vcc_lo
	s_delay_alu instid0(SALU_CYCLE_1)
	s_and_saveexec_b32 s2, s3
	s_cbranch_execz .LBB619_158
; %bb.156:
	v_and_b32_e32 v1, 1, v50
	s_delay_alu instid0(VALU_DEP_1)
	v_cmp_eq_u32_e32 vcc_lo, 1, v1
	s_and_b32 exec_lo, exec_lo, vcc_lo
	s_cbranch_execz .LBB619_158
; %bb.157:
	v_mov_b32_e32 v44, 0
	s_delay_alu instid0(VALU_DEP_1) | instskip(NEXT) | instid1(VALU_DEP_1)
	v_lshlrev_b64 v[1:2], 2, v[43:44]
	v_add_co_u32 v1, vcc_lo, s0, v1
	s_delay_alu instid0(VALU_DEP_2)
	v_add_co_ci_u32_e32 v2, vcc_lo, s1, v2, vcc_lo
	global_store_b32 v[1:2], v24, off
.LBB619_158:
	s_or_b32 exec_lo, exec_lo, s2
	v_cmp_lt_u32_e32 vcc_lo, v41, v51
	s_or_b32 s3, s18, vcc_lo
	s_delay_alu instid0(SALU_CYCLE_1)
	s_and_saveexec_b32 s2, s3
	s_cbranch_execz .LBB619_161
; %bb.159:
	v_and_b32_e32 v1, 1, v49
	s_delay_alu instid0(VALU_DEP_1)
	v_cmp_eq_u32_e32 vcc_lo, 1, v1
	s_and_b32 exec_lo, exec_lo, vcc_lo
	s_cbranch_execz .LBB619_161
; %bb.160:
	v_mov_b32_e32 v42, 0
	s_delay_alu instid0(VALU_DEP_1) | instskip(NEXT) | instid1(VALU_DEP_1)
	v_lshlrev_b64 v[1:2], 2, v[41:42]
	v_add_co_u32 v1, vcc_lo, s0, v1
	s_delay_alu instid0(VALU_DEP_2)
	v_add_co_ci_u32_e32 v2, vcc_lo, s1, v2, vcc_lo
	global_store_b32 v[1:2], v21, off
.LBB619_161:
	;; [unrolled: 21-line block ×7, first 2 shown]
	s_or_b32 exec_lo, exec_lo, s2
.LBB619_177:
	v_cmp_eq_u32_e32 vcc_lo, 0, v0
	s_and_b32 s0, vcc_lo, s14
	s_delay_alu instid0(SALU_CYCLE_1)
	s_and_saveexec_b32 s1, s0
	s_cbranch_execz .LBB619_200
.LBB619_178:
	v_add_co_u32 v0, s0, s10, v27
	s_delay_alu instid0(VALU_DEP_1) | instskip(SKIP_1) | instid1(VALU_DEP_3)
	v_add_co_ci_u32_e64 v1, null, s11, 0, s0
	v_mov_b32_e32 v2, 0
	v_add_co_u32 v0, vcc_lo, v0, s8
	s_delay_alu instid0(VALU_DEP_3)
	v_add_co_ci_u32_e32 v1, vcc_lo, 0, v1, vcc_lo
	global_store_b64 v2, v[0:1], s[16:17]
	s_nop 0
	s_sendmsg sendmsg(MSG_DEALLOC_VGPRS)
	s_endpgm
.LBB619_179:
	s_and_b32 vcc_lo, exec_lo, s0
	s_cbranch_vccz .LBB619_177
; %bb.180:
	s_mov_b32 s0, exec_lo
	v_cmpx_eq_u32_e32 1, v25
	s_cbranch_execz .LBB619_182
; %bb.181:
	v_subrev_nc_u32_e32 v1, s8, v45
	s_delay_alu instid0(VALU_DEP_1)
	v_lshlrev_b32_e32 v1, 2, v1
	ds_store_b32 v1, v23
.LBB619_182:
	s_or_b32 exec_lo, exec_lo, s0
	v_and_b32_e32 v1, 1, v50
	s_mov_b32 s0, exec_lo
	s_delay_alu instid0(VALU_DEP_1)
	v_cmpx_eq_u32_e32 1, v1
	s_cbranch_execz .LBB619_184
; %bb.183:
	v_subrev_nc_u32_e32 v1, s8, v43
	s_delay_alu instid0(VALU_DEP_1)
	v_lshlrev_b32_e32 v1, 2, v1
	ds_store_b32 v1, v24
.LBB619_184:
	s_or_b32 exec_lo, exec_lo, s0
	v_and_b32_e32 v1, 1, v49
	s_mov_b32 s0, exec_lo
	s_delay_alu instid0(VALU_DEP_1)
	;; [unrolled: 12-line block ×7, first 2 shown]
	v_cmpx_eq_u32_e32 1, v1
	s_cbranch_execz .LBB619_196
; %bb.195:
	v_subrev_nc_u32_e32 v1, s8, v31
	s_delay_alu instid0(VALU_DEP_1)
	v_lshlrev_b32_e32 v1, 2, v1
	ds_store_b32 v1, v18
.LBB619_196:
	s_or_b32 exec_lo, exec_lo, s0
	s_delay_alu instid0(SALU_CYCLE_1)
	s_mov_b32 s1, exec_lo
	s_waitcnt lgkmcnt(0)
	s_waitcnt_vscnt null, 0x0
	s_barrier
	buffer_gl0_inv
	v_cmpx_lt_u32_e64 v0, v27
	s_cbranch_execz .LBB619_199
; %bb.197:
	s_mov_b32 s9, 0
	s_lshl_b64 s[2:3], s[10:11], 2
	s_lshl_b64 s[4:5], s[8:9], 2
	v_dual_mov_b32 v4, v0 :: v_dual_lshlrev_b32 v3, 2, v0
	s_add_u32 s0, s2, s4
	s_addc_u32 s2, s3, s5
	s_add_u32 s0, s6, s0
	s_addc_u32 s2, s7, s2
	v_add_co_u32 v1, s0, s0, v3
	s_delay_alu instid0(VALU_DEP_1)
	v_add_co_ci_u32_e64 v2, null, s2, 0, s0
	.p2align	6
.LBB619_198:                            ; =>This Inner Loop Header: Depth=1
	ds_load_b32 v5, v3
	v_add_nc_u32_e32 v4, 0x200, v4
	v_add_nc_u32_e32 v3, 0x800, v3
	s_delay_alu instid0(VALU_DEP_2) | instskip(SKIP_4) | instid1(VALU_DEP_1)
	v_cmp_ge_u32_e32 vcc_lo, v4, v27
	s_or_b32 s9, vcc_lo, s9
	s_waitcnt lgkmcnt(0)
	global_store_b32 v[1:2], v5, off
	v_add_co_u32 v1, s0, 0x800, v1
	v_add_co_ci_u32_e64 v2, s0, 0, v2, s0
	s_and_not1_b32 exec_lo, exec_lo, s9
	s_cbranch_execnz .LBB619_198
.LBB619_199:
	s_or_b32 exec_lo, exec_lo, s1
	v_cmp_eq_u32_e32 vcc_lo, 0, v0
	s_and_b32 s0, vcc_lo, s14
	s_delay_alu instid0(SALU_CYCLE_1)
	s_and_saveexec_b32 s1, s0
	s_cbranch_execnz .LBB619_178
.LBB619_200:
	s_nop 0
	s_sendmsg sendmsg(MSG_DEALLOC_VGPRS)
	s_endpgm
	.section	.rodata,"a",@progbits
	.p2align	6, 0x0
	.amdhsa_kernel _ZN7rocprim17ROCPRIM_400000_NS6detail17trampoline_kernelINS0_14default_configENS1_25partition_config_selectorILNS1_17partition_subalgoE9ExjbEEZZNS1_14partition_implILS5_9ELb0ES3_jN6thrust23THRUST_200600_302600_NS6detail15normal_iteratorINS9_10device_ptrIxEEEENSB_INSC_IjEEEEPNS0_10empty_typeENS0_5tupleIJSE_SH_EEENSJ_IJSG_SI_EEENS0_18inequality_wrapperINS9_8equal_toIxEEEEPmJSH_EEE10hipError_tPvRmT3_T4_T5_T6_T7_T9_mT8_P12ihipStream_tbDpT10_ENKUlT_T0_E_clISt17integral_constantIbLb1EES19_IbLb0EEEEDaS15_S16_EUlS15_E_NS1_11comp_targetILNS1_3genE9ELNS1_11target_archE1100ELNS1_3gpuE3ELNS1_3repE0EEENS1_30default_config_static_selectorELNS0_4arch9wavefront6targetE0EEEvT1_
		.amdhsa_group_segment_fixed_size 33800
		.amdhsa_private_segment_fixed_size 0
		.amdhsa_kernarg_size 112
		.amdhsa_user_sgpr_count 15
		.amdhsa_user_sgpr_dispatch_ptr 0
		.amdhsa_user_sgpr_queue_ptr 0
		.amdhsa_user_sgpr_kernarg_segment_ptr 1
		.amdhsa_user_sgpr_dispatch_id 0
		.amdhsa_user_sgpr_private_segment_size 0
		.amdhsa_wavefront_size32 1
		.amdhsa_uses_dynamic_stack 0
		.amdhsa_enable_private_segment 0
		.amdhsa_system_sgpr_workgroup_id_x 1
		.amdhsa_system_sgpr_workgroup_id_y 0
		.amdhsa_system_sgpr_workgroup_id_z 0
		.amdhsa_system_sgpr_workgroup_info 0
		.amdhsa_system_vgpr_workitem_id 0
		.amdhsa_next_free_vgpr 60
		.amdhsa_next_free_sgpr 24
		.amdhsa_reserve_vcc 1
		.amdhsa_float_round_mode_32 0
		.amdhsa_float_round_mode_16_64 0
		.amdhsa_float_denorm_mode_32 3
		.amdhsa_float_denorm_mode_16_64 3
		.amdhsa_dx10_clamp 1
		.amdhsa_ieee_mode 1
		.amdhsa_fp16_overflow 0
		.amdhsa_workgroup_processor_mode 1
		.amdhsa_memory_ordered 1
		.amdhsa_forward_progress 0
		.amdhsa_shared_vgpr_count 0
		.amdhsa_exception_fp_ieee_invalid_op 0
		.amdhsa_exception_fp_denorm_src 0
		.amdhsa_exception_fp_ieee_div_zero 0
		.amdhsa_exception_fp_ieee_overflow 0
		.amdhsa_exception_fp_ieee_underflow 0
		.amdhsa_exception_fp_ieee_inexact 0
		.amdhsa_exception_int_div_zero 0
	.end_amdhsa_kernel
	.section	.text._ZN7rocprim17ROCPRIM_400000_NS6detail17trampoline_kernelINS0_14default_configENS1_25partition_config_selectorILNS1_17partition_subalgoE9ExjbEEZZNS1_14partition_implILS5_9ELb0ES3_jN6thrust23THRUST_200600_302600_NS6detail15normal_iteratorINS9_10device_ptrIxEEEENSB_INSC_IjEEEEPNS0_10empty_typeENS0_5tupleIJSE_SH_EEENSJ_IJSG_SI_EEENS0_18inequality_wrapperINS9_8equal_toIxEEEEPmJSH_EEE10hipError_tPvRmT3_T4_T5_T6_T7_T9_mT8_P12ihipStream_tbDpT10_ENKUlT_T0_E_clISt17integral_constantIbLb1EES19_IbLb0EEEEDaS15_S16_EUlS15_E_NS1_11comp_targetILNS1_3genE9ELNS1_11target_archE1100ELNS1_3gpuE3ELNS1_3repE0EEENS1_30default_config_static_selectorELNS0_4arch9wavefront6targetE0EEEvT1_,"axG",@progbits,_ZN7rocprim17ROCPRIM_400000_NS6detail17trampoline_kernelINS0_14default_configENS1_25partition_config_selectorILNS1_17partition_subalgoE9ExjbEEZZNS1_14partition_implILS5_9ELb0ES3_jN6thrust23THRUST_200600_302600_NS6detail15normal_iteratorINS9_10device_ptrIxEEEENSB_INSC_IjEEEEPNS0_10empty_typeENS0_5tupleIJSE_SH_EEENSJ_IJSG_SI_EEENS0_18inequality_wrapperINS9_8equal_toIxEEEEPmJSH_EEE10hipError_tPvRmT3_T4_T5_T6_T7_T9_mT8_P12ihipStream_tbDpT10_ENKUlT_T0_E_clISt17integral_constantIbLb1EES19_IbLb0EEEEDaS15_S16_EUlS15_E_NS1_11comp_targetILNS1_3genE9ELNS1_11target_archE1100ELNS1_3gpuE3ELNS1_3repE0EEENS1_30default_config_static_selectorELNS0_4arch9wavefront6targetE0EEEvT1_,comdat
.Lfunc_end619:
	.size	_ZN7rocprim17ROCPRIM_400000_NS6detail17trampoline_kernelINS0_14default_configENS1_25partition_config_selectorILNS1_17partition_subalgoE9ExjbEEZZNS1_14partition_implILS5_9ELb0ES3_jN6thrust23THRUST_200600_302600_NS6detail15normal_iteratorINS9_10device_ptrIxEEEENSB_INSC_IjEEEEPNS0_10empty_typeENS0_5tupleIJSE_SH_EEENSJ_IJSG_SI_EEENS0_18inequality_wrapperINS9_8equal_toIxEEEEPmJSH_EEE10hipError_tPvRmT3_T4_T5_T6_T7_T9_mT8_P12ihipStream_tbDpT10_ENKUlT_T0_E_clISt17integral_constantIbLb1EES19_IbLb0EEEEDaS15_S16_EUlS15_E_NS1_11comp_targetILNS1_3genE9ELNS1_11target_archE1100ELNS1_3gpuE3ELNS1_3repE0EEENS1_30default_config_static_selectorELNS0_4arch9wavefront6targetE0EEEvT1_, .Lfunc_end619-_ZN7rocprim17ROCPRIM_400000_NS6detail17trampoline_kernelINS0_14default_configENS1_25partition_config_selectorILNS1_17partition_subalgoE9ExjbEEZZNS1_14partition_implILS5_9ELb0ES3_jN6thrust23THRUST_200600_302600_NS6detail15normal_iteratorINS9_10device_ptrIxEEEENSB_INSC_IjEEEEPNS0_10empty_typeENS0_5tupleIJSE_SH_EEENSJ_IJSG_SI_EEENS0_18inequality_wrapperINS9_8equal_toIxEEEEPmJSH_EEE10hipError_tPvRmT3_T4_T5_T6_T7_T9_mT8_P12ihipStream_tbDpT10_ENKUlT_T0_E_clISt17integral_constantIbLb1EES19_IbLb0EEEEDaS15_S16_EUlS15_E_NS1_11comp_targetILNS1_3genE9ELNS1_11target_archE1100ELNS1_3gpuE3ELNS1_3repE0EEENS1_30default_config_static_selectorELNS0_4arch9wavefront6targetE0EEEvT1_
                                        ; -- End function
	.section	.AMDGPU.csdata,"",@progbits
; Kernel info:
; codeLenInByte = 9396
; NumSgprs: 26
; NumVgprs: 60
; ScratchSize: 0
; MemoryBound: 0
; FloatMode: 240
; IeeeMode: 1
; LDSByteSize: 33800 bytes/workgroup (compile time only)
; SGPRBlocks: 3
; VGPRBlocks: 7
; NumSGPRsForWavesPerEU: 26
; NumVGPRsForWavesPerEU: 60
; Occupancy: 12
; WaveLimiterHint : 1
; COMPUTE_PGM_RSRC2:SCRATCH_EN: 0
; COMPUTE_PGM_RSRC2:USER_SGPR: 15
; COMPUTE_PGM_RSRC2:TRAP_HANDLER: 0
; COMPUTE_PGM_RSRC2:TGID_X_EN: 1
; COMPUTE_PGM_RSRC2:TGID_Y_EN: 0
; COMPUTE_PGM_RSRC2:TGID_Z_EN: 0
; COMPUTE_PGM_RSRC2:TIDIG_COMP_CNT: 0
	.section	.text._ZN7rocprim17ROCPRIM_400000_NS6detail17trampoline_kernelINS0_14default_configENS1_25partition_config_selectorILNS1_17partition_subalgoE9ExjbEEZZNS1_14partition_implILS5_9ELb0ES3_jN6thrust23THRUST_200600_302600_NS6detail15normal_iteratorINS9_10device_ptrIxEEEENSB_INSC_IjEEEEPNS0_10empty_typeENS0_5tupleIJSE_SH_EEENSJ_IJSG_SI_EEENS0_18inequality_wrapperINS9_8equal_toIxEEEEPmJSH_EEE10hipError_tPvRmT3_T4_T5_T6_T7_T9_mT8_P12ihipStream_tbDpT10_ENKUlT_T0_E_clISt17integral_constantIbLb1EES19_IbLb0EEEEDaS15_S16_EUlS15_E_NS1_11comp_targetILNS1_3genE8ELNS1_11target_archE1030ELNS1_3gpuE2ELNS1_3repE0EEENS1_30default_config_static_selectorELNS0_4arch9wavefront6targetE0EEEvT1_,"axG",@progbits,_ZN7rocprim17ROCPRIM_400000_NS6detail17trampoline_kernelINS0_14default_configENS1_25partition_config_selectorILNS1_17partition_subalgoE9ExjbEEZZNS1_14partition_implILS5_9ELb0ES3_jN6thrust23THRUST_200600_302600_NS6detail15normal_iteratorINS9_10device_ptrIxEEEENSB_INSC_IjEEEEPNS0_10empty_typeENS0_5tupleIJSE_SH_EEENSJ_IJSG_SI_EEENS0_18inequality_wrapperINS9_8equal_toIxEEEEPmJSH_EEE10hipError_tPvRmT3_T4_T5_T6_T7_T9_mT8_P12ihipStream_tbDpT10_ENKUlT_T0_E_clISt17integral_constantIbLb1EES19_IbLb0EEEEDaS15_S16_EUlS15_E_NS1_11comp_targetILNS1_3genE8ELNS1_11target_archE1030ELNS1_3gpuE2ELNS1_3repE0EEENS1_30default_config_static_selectorELNS0_4arch9wavefront6targetE0EEEvT1_,comdat
	.protected	_ZN7rocprim17ROCPRIM_400000_NS6detail17trampoline_kernelINS0_14default_configENS1_25partition_config_selectorILNS1_17partition_subalgoE9ExjbEEZZNS1_14partition_implILS5_9ELb0ES3_jN6thrust23THRUST_200600_302600_NS6detail15normal_iteratorINS9_10device_ptrIxEEEENSB_INSC_IjEEEEPNS0_10empty_typeENS0_5tupleIJSE_SH_EEENSJ_IJSG_SI_EEENS0_18inequality_wrapperINS9_8equal_toIxEEEEPmJSH_EEE10hipError_tPvRmT3_T4_T5_T6_T7_T9_mT8_P12ihipStream_tbDpT10_ENKUlT_T0_E_clISt17integral_constantIbLb1EES19_IbLb0EEEEDaS15_S16_EUlS15_E_NS1_11comp_targetILNS1_3genE8ELNS1_11target_archE1030ELNS1_3gpuE2ELNS1_3repE0EEENS1_30default_config_static_selectorELNS0_4arch9wavefront6targetE0EEEvT1_ ; -- Begin function _ZN7rocprim17ROCPRIM_400000_NS6detail17trampoline_kernelINS0_14default_configENS1_25partition_config_selectorILNS1_17partition_subalgoE9ExjbEEZZNS1_14partition_implILS5_9ELb0ES3_jN6thrust23THRUST_200600_302600_NS6detail15normal_iteratorINS9_10device_ptrIxEEEENSB_INSC_IjEEEEPNS0_10empty_typeENS0_5tupleIJSE_SH_EEENSJ_IJSG_SI_EEENS0_18inequality_wrapperINS9_8equal_toIxEEEEPmJSH_EEE10hipError_tPvRmT3_T4_T5_T6_T7_T9_mT8_P12ihipStream_tbDpT10_ENKUlT_T0_E_clISt17integral_constantIbLb1EES19_IbLb0EEEEDaS15_S16_EUlS15_E_NS1_11comp_targetILNS1_3genE8ELNS1_11target_archE1030ELNS1_3gpuE2ELNS1_3repE0EEENS1_30default_config_static_selectorELNS0_4arch9wavefront6targetE0EEEvT1_
	.globl	_ZN7rocprim17ROCPRIM_400000_NS6detail17trampoline_kernelINS0_14default_configENS1_25partition_config_selectorILNS1_17partition_subalgoE9ExjbEEZZNS1_14partition_implILS5_9ELb0ES3_jN6thrust23THRUST_200600_302600_NS6detail15normal_iteratorINS9_10device_ptrIxEEEENSB_INSC_IjEEEEPNS0_10empty_typeENS0_5tupleIJSE_SH_EEENSJ_IJSG_SI_EEENS0_18inequality_wrapperINS9_8equal_toIxEEEEPmJSH_EEE10hipError_tPvRmT3_T4_T5_T6_T7_T9_mT8_P12ihipStream_tbDpT10_ENKUlT_T0_E_clISt17integral_constantIbLb1EES19_IbLb0EEEEDaS15_S16_EUlS15_E_NS1_11comp_targetILNS1_3genE8ELNS1_11target_archE1030ELNS1_3gpuE2ELNS1_3repE0EEENS1_30default_config_static_selectorELNS0_4arch9wavefront6targetE0EEEvT1_
	.p2align	8
	.type	_ZN7rocprim17ROCPRIM_400000_NS6detail17trampoline_kernelINS0_14default_configENS1_25partition_config_selectorILNS1_17partition_subalgoE9ExjbEEZZNS1_14partition_implILS5_9ELb0ES3_jN6thrust23THRUST_200600_302600_NS6detail15normal_iteratorINS9_10device_ptrIxEEEENSB_INSC_IjEEEEPNS0_10empty_typeENS0_5tupleIJSE_SH_EEENSJ_IJSG_SI_EEENS0_18inequality_wrapperINS9_8equal_toIxEEEEPmJSH_EEE10hipError_tPvRmT3_T4_T5_T6_T7_T9_mT8_P12ihipStream_tbDpT10_ENKUlT_T0_E_clISt17integral_constantIbLb1EES19_IbLb0EEEEDaS15_S16_EUlS15_E_NS1_11comp_targetILNS1_3genE8ELNS1_11target_archE1030ELNS1_3gpuE2ELNS1_3repE0EEENS1_30default_config_static_selectorELNS0_4arch9wavefront6targetE0EEEvT1_,@function
_ZN7rocprim17ROCPRIM_400000_NS6detail17trampoline_kernelINS0_14default_configENS1_25partition_config_selectorILNS1_17partition_subalgoE9ExjbEEZZNS1_14partition_implILS5_9ELb0ES3_jN6thrust23THRUST_200600_302600_NS6detail15normal_iteratorINS9_10device_ptrIxEEEENSB_INSC_IjEEEEPNS0_10empty_typeENS0_5tupleIJSE_SH_EEENSJ_IJSG_SI_EEENS0_18inequality_wrapperINS9_8equal_toIxEEEEPmJSH_EEE10hipError_tPvRmT3_T4_T5_T6_T7_T9_mT8_P12ihipStream_tbDpT10_ENKUlT_T0_E_clISt17integral_constantIbLb1EES19_IbLb0EEEEDaS15_S16_EUlS15_E_NS1_11comp_targetILNS1_3genE8ELNS1_11target_archE1030ELNS1_3gpuE2ELNS1_3repE0EEENS1_30default_config_static_selectorELNS0_4arch9wavefront6targetE0EEEvT1_: ; @_ZN7rocprim17ROCPRIM_400000_NS6detail17trampoline_kernelINS0_14default_configENS1_25partition_config_selectorILNS1_17partition_subalgoE9ExjbEEZZNS1_14partition_implILS5_9ELb0ES3_jN6thrust23THRUST_200600_302600_NS6detail15normal_iteratorINS9_10device_ptrIxEEEENSB_INSC_IjEEEEPNS0_10empty_typeENS0_5tupleIJSE_SH_EEENSJ_IJSG_SI_EEENS0_18inequality_wrapperINS9_8equal_toIxEEEEPmJSH_EEE10hipError_tPvRmT3_T4_T5_T6_T7_T9_mT8_P12ihipStream_tbDpT10_ENKUlT_T0_E_clISt17integral_constantIbLb1EES19_IbLb0EEEEDaS15_S16_EUlS15_E_NS1_11comp_targetILNS1_3genE8ELNS1_11target_archE1030ELNS1_3gpuE2ELNS1_3repE0EEENS1_30default_config_static_selectorELNS0_4arch9wavefront6targetE0EEEvT1_
; %bb.0:
	.section	.rodata,"a",@progbits
	.p2align	6, 0x0
	.amdhsa_kernel _ZN7rocprim17ROCPRIM_400000_NS6detail17trampoline_kernelINS0_14default_configENS1_25partition_config_selectorILNS1_17partition_subalgoE9ExjbEEZZNS1_14partition_implILS5_9ELb0ES3_jN6thrust23THRUST_200600_302600_NS6detail15normal_iteratorINS9_10device_ptrIxEEEENSB_INSC_IjEEEEPNS0_10empty_typeENS0_5tupleIJSE_SH_EEENSJ_IJSG_SI_EEENS0_18inequality_wrapperINS9_8equal_toIxEEEEPmJSH_EEE10hipError_tPvRmT3_T4_T5_T6_T7_T9_mT8_P12ihipStream_tbDpT10_ENKUlT_T0_E_clISt17integral_constantIbLb1EES19_IbLb0EEEEDaS15_S16_EUlS15_E_NS1_11comp_targetILNS1_3genE8ELNS1_11target_archE1030ELNS1_3gpuE2ELNS1_3repE0EEENS1_30default_config_static_selectorELNS0_4arch9wavefront6targetE0EEEvT1_
		.amdhsa_group_segment_fixed_size 0
		.amdhsa_private_segment_fixed_size 0
		.amdhsa_kernarg_size 112
		.amdhsa_user_sgpr_count 15
		.amdhsa_user_sgpr_dispatch_ptr 0
		.amdhsa_user_sgpr_queue_ptr 0
		.amdhsa_user_sgpr_kernarg_segment_ptr 1
		.amdhsa_user_sgpr_dispatch_id 0
		.amdhsa_user_sgpr_private_segment_size 0
		.amdhsa_wavefront_size32 1
		.amdhsa_uses_dynamic_stack 0
		.amdhsa_enable_private_segment 0
		.amdhsa_system_sgpr_workgroup_id_x 1
		.amdhsa_system_sgpr_workgroup_id_y 0
		.amdhsa_system_sgpr_workgroup_id_z 0
		.amdhsa_system_sgpr_workgroup_info 0
		.amdhsa_system_vgpr_workitem_id 0
		.amdhsa_next_free_vgpr 1
		.amdhsa_next_free_sgpr 1
		.amdhsa_reserve_vcc 0
		.amdhsa_float_round_mode_32 0
		.amdhsa_float_round_mode_16_64 0
		.amdhsa_float_denorm_mode_32 3
		.amdhsa_float_denorm_mode_16_64 3
		.amdhsa_dx10_clamp 1
		.amdhsa_ieee_mode 1
		.amdhsa_fp16_overflow 0
		.amdhsa_workgroup_processor_mode 1
		.amdhsa_memory_ordered 1
		.amdhsa_forward_progress 0
		.amdhsa_shared_vgpr_count 0
		.amdhsa_exception_fp_ieee_invalid_op 0
		.amdhsa_exception_fp_denorm_src 0
		.amdhsa_exception_fp_ieee_div_zero 0
		.amdhsa_exception_fp_ieee_overflow 0
		.amdhsa_exception_fp_ieee_underflow 0
		.amdhsa_exception_fp_ieee_inexact 0
		.amdhsa_exception_int_div_zero 0
	.end_amdhsa_kernel
	.section	.text._ZN7rocprim17ROCPRIM_400000_NS6detail17trampoline_kernelINS0_14default_configENS1_25partition_config_selectorILNS1_17partition_subalgoE9ExjbEEZZNS1_14partition_implILS5_9ELb0ES3_jN6thrust23THRUST_200600_302600_NS6detail15normal_iteratorINS9_10device_ptrIxEEEENSB_INSC_IjEEEEPNS0_10empty_typeENS0_5tupleIJSE_SH_EEENSJ_IJSG_SI_EEENS0_18inequality_wrapperINS9_8equal_toIxEEEEPmJSH_EEE10hipError_tPvRmT3_T4_T5_T6_T7_T9_mT8_P12ihipStream_tbDpT10_ENKUlT_T0_E_clISt17integral_constantIbLb1EES19_IbLb0EEEEDaS15_S16_EUlS15_E_NS1_11comp_targetILNS1_3genE8ELNS1_11target_archE1030ELNS1_3gpuE2ELNS1_3repE0EEENS1_30default_config_static_selectorELNS0_4arch9wavefront6targetE0EEEvT1_,"axG",@progbits,_ZN7rocprim17ROCPRIM_400000_NS6detail17trampoline_kernelINS0_14default_configENS1_25partition_config_selectorILNS1_17partition_subalgoE9ExjbEEZZNS1_14partition_implILS5_9ELb0ES3_jN6thrust23THRUST_200600_302600_NS6detail15normal_iteratorINS9_10device_ptrIxEEEENSB_INSC_IjEEEEPNS0_10empty_typeENS0_5tupleIJSE_SH_EEENSJ_IJSG_SI_EEENS0_18inequality_wrapperINS9_8equal_toIxEEEEPmJSH_EEE10hipError_tPvRmT3_T4_T5_T6_T7_T9_mT8_P12ihipStream_tbDpT10_ENKUlT_T0_E_clISt17integral_constantIbLb1EES19_IbLb0EEEEDaS15_S16_EUlS15_E_NS1_11comp_targetILNS1_3genE8ELNS1_11target_archE1030ELNS1_3gpuE2ELNS1_3repE0EEENS1_30default_config_static_selectorELNS0_4arch9wavefront6targetE0EEEvT1_,comdat
.Lfunc_end620:
	.size	_ZN7rocprim17ROCPRIM_400000_NS6detail17trampoline_kernelINS0_14default_configENS1_25partition_config_selectorILNS1_17partition_subalgoE9ExjbEEZZNS1_14partition_implILS5_9ELb0ES3_jN6thrust23THRUST_200600_302600_NS6detail15normal_iteratorINS9_10device_ptrIxEEEENSB_INSC_IjEEEEPNS0_10empty_typeENS0_5tupleIJSE_SH_EEENSJ_IJSG_SI_EEENS0_18inequality_wrapperINS9_8equal_toIxEEEEPmJSH_EEE10hipError_tPvRmT3_T4_T5_T6_T7_T9_mT8_P12ihipStream_tbDpT10_ENKUlT_T0_E_clISt17integral_constantIbLb1EES19_IbLb0EEEEDaS15_S16_EUlS15_E_NS1_11comp_targetILNS1_3genE8ELNS1_11target_archE1030ELNS1_3gpuE2ELNS1_3repE0EEENS1_30default_config_static_selectorELNS0_4arch9wavefront6targetE0EEEvT1_, .Lfunc_end620-_ZN7rocprim17ROCPRIM_400000_NS6detail17trampoline_kernelINS0_14default_configENS1_25partition_config_selectorILNS1_17partition_subalgoE9ExjbEEZZNS1_14partition_implILS5_9ELb0ES3_jN6thrust23THRUST_200600_302600_NS6detail15normal_iteratorINS9_10device_ptrIxEEEENSB_INSC_IjEEEEPNS0_10empty_typeENS0_5tupleIJSE_SH_EEENSJ_IJSG_SI_EEENS0_18inequality_wrapperINS9_8equal_toIxEEEEPmJSH_EEE10hipError_tPvRmT3_T4_T5_T6_T7_T9_mT8_P12ihipStream_tbDpT10_ENKUlT_T0_E_clISt17integral_constantIbLb1EES19_IbLb0EEEEDaS15_S16_EUlS15_E_NS1_11comp_targetILNS1_3genE8ELNS1_11target_archE1030ELNS1_3gpuE2ELNS1_3repE0EEENS1_30default_config_static_selectorELNS0_4arch9wavefront6targetE0EEEvT1_
                                        ; -- End function
	.section	.AMDGPU.csdata,"",@progbits
; Kernel info:
; codeLenInByte = 0
; NumSgprs: 0
; NumVgprs: 0
; ScratchSize: 0
; MemoryBound: 0
; FloatMode: 240
; IeeeMode: 1
; LDSByteSize: 0 bytes/workgroup (compile time only)
; SGPRBlocks: 0
; VGPRBlocks: 0
; NumSGPRsForWavesPerEU: 1
; NumVGPRsForWavesPerEU: 1
; Occupancy: 16
; WaveLimiterHint : 0
; COMPUTE_PGM_RSRC2:SCRATCH_EN: 0
; COMPUTE_PGM_RSRC2:USER_SGPR: 15
; COMPUTE_PGM_RSRC2:TRAP_HANDLER: 0
; COMPUTE_PGM_RSRC2:TGID_X_EN: 1
; COMPUTE_PGM_RSRC2:TGID_Y_EN: 0
; COMPUTE_PGM_RSRC2:TGID_Z_EN: 0
; COMPUTE_PGM_RSRC2:TIDIG_COMP_CNT: 0
	.section	.text._ZN7rocprim17ROCPRIM_400000_NS6detail17trampoline_kernelINS0_14default_configENS1_25partition_config_selectorILNS1_17partition_subalgoE9ExjbEEZZNS1_14partition_implILS5_9ELb0ES3_jN6thrust23THRUST_200600_302600_NS6detail15normal_iteratorINS9_10device_ptrIxEEEENSB_INSC_IjEEEEPNS0_10empty_typeENS0_5tupleIJSE_SH_EEENSJ_IJSG_SI_EEENS0_18inequality_wrapperINS9_8equal_toIxEEEEPmJSH_EEE10hipError_tPvRmT3_T4_T5_T6_T7_T9_mT8_P12ihipStream_tbDpT10_ENKUlT_T0_E_clISt17integral_constantIbLb0EES19_IbLb1EEEEDaS15_S16_EUlS15_E_NS1_11comp_targetILNS1_3genE0ELNS1_11target_archE4294967295ELNS1_3gpuE0ELNS1_3repE0EEENS1_30default_config_static_selectorELNS0_4arch9wavefront6targetE0EEEvT1_,"axG",@progbits,_ZN7rocprim17ROCPRIM_400000_NS6detail17trampoline_kernelINS0_14default_configENS1_25partition_config_selectorILNS1_17partition_subalgoE9ExjbEEZZNS1_14partition_implILS5_9ELb0ES3_jN6thrust23THRUST_200600_302600_NS6detail15normal_iteratorINS9_10device_ptrIxEEEENSB_INSC_IjEEEEPNS0_10empty_typeENS0_5tupleIJSE_SH_EEENSJ_IJSG_SI_EEENS0_18inequality_wrapperINS9_8equal_toIxEEEEPmJSH_EEE10hipError_tPvRmT3_T4_T5_T6_T7_T9_mT8_P12ihipStream_tbDpT10_ENKUlT_T0_E_clISt17integral_constantIbLb0EES19_IbLb1EEEEDaS15_S16_EUlS15_E_NS1_11comp_targetILNS1_3genE0ELNS1_11target_archE4294967295ELNS1_3gpuE0ELNS1_3repE0EEENS1_30default_config_static_selectorELNS0_4arch9wavefront6targetE0EEEvT1_,comdat
	.protected	_ZN7rocprim17ROCPRIM_400000_NS6detail17trampoline_kernelINS0_14default_configENS1_25partition_config_selectorILNS1_17partition_subalgoE9ExjbEEZZNS1_14partition_implILS5_9ELb0ES3_jN6thrust23THRUST_200600_302600_NS6detail15normal_iteratorINS9_10device_ptrIxEEEENSB_INSC_IjEEEEPNS0_10empty_typeENS0_5tupleIJSE_SH_EEENSJ_IJSG_SI_EEENS0_18inequality_wrapperINS9_8equal_toIxEEEEPmJSH_EEE10hipError_tPvRmT3_T4_T5_T6_T7_T9_mT8_P12ihipStream_tbDpT10_ENKUlT_T0_E_clISt17integral_constantIbLb0EES19_IbLb1EEEEDaS15_S16_EUlS15_E_NS1_11comp_targetILNS1_3genE0ELNS1_11target_archE4294967295ELNS1_3gpuE0ELNS1_3repE0EEENS1_30default_config_static_selectorELNS0_4arch9wavefront6targetE0EEEvT1_ ; -- Begin function _ZN7rocprim17ROCPRIM_400000_NS6detail17trampoline_kernelINS0_14default_configENS1_25partition_config_selectorILNS1_17partition_subalgoE9ExjbEEZZNS1_14partition_implILS5_9ELb0ES3_jN6thrust23THRUST_200600_302600_NS6detail15normal_iteratorINS9_10device_ptrIxEEEENSB_INSC_IjEEEEPNS0_10empty_typeENS0_5tupleIJSE_SH_EEENSJ_IJSG_SI_EEENS0_18inequality_wrapperINS9_8equal_toIxEEEEPmJSH_EEE10hipError_tPvRmT3_T4_T5_T6_T7_T9_mT8_P12ihipStream_tbDpT10_ENKUlT_T0_E_clISt17integral_constantIbLb0EES19_IbLb1EEEEDaS15_S16_EUlS15_E_NS1_11comp_targetILNS1_3genE0ELNS1_11target_archE4294967295ELNS1_3gpuE0ELNS1_3repE0EEENS1_30default_config_static_selectorELNS0_4arch9wavefront6targetE0EEEvT1_
	.globl	_ZN7rocprim17ROCPRIM_400000_NS6detail17trampoline_kernelINS0_14default_configENS1_25partition_config_selectorILNS1_17partition_subalgoE9ExjbEEZZNS1_14partition_implILS5_9ELb0ES3_jN6thrust23THRUST_200600_302600_NS6detail15normal_iteratorINS9_10device_ptrIxEEEENSB_INSC_IjEEEEPNS0_10empty_typeENS0_5tupleIJSE_SH_EEENSJ_IJSG_SI_EEENS0_18inequality_wrapperINS9_8equal_toIxEEEEPmJSH_EEE10hipError_tPvRmT3_T4_T5_T6_T7_T9_mT8_P12ihipStream_tbDpT10_ENKUlT_T0_E_clISt17integral_constantIbLb0EES19_IbLb1EEEEDaS15_S16_EUlS15_E_NS1_11comp_targetILNS1_3genE0ELNS1_11target_archE4294967295ELNS1_3gpuE0ELNS1_3repE0EEENS1_30default_config_static_selectorELNS0_4arch9wavefront6targetE0EEEvT1_
	.p2align	8
	.type	_ZN7rocprim17ROCPRIM_400000_NS6detail17trampoline_kernelINS0_14default_configENS1_25partition_config_selectorILNS1_17partition_subalgoE9ExjbEEZZNS1_14partition_implILS5_9ELb0ES3_jN6thrust23THRUST_200600_302600_NS6detail15normal_iteratorINS9_10device_ptrIxEEEENSB_INSC_IjEEEEPNS0_10empty_typeENS0_5tupleIJSE_SH_EEENSJ_IJSG_SI_EEENS0_18inequality_wrapperINS9_8equal_toIxEEEEPmJSH_EEE10hipError_tPvRmT3_T4_T5_T6_T7_T9_mT8_P12ihipStream_tbDpT10_ENKUlT_T0_E_clISt17integral_constantIbLb0EES19_IbLb1EEEEDaS15_S16_EUlS15_E_NS1_11comp_targetILNS1_3genE0ELNS1_11target_archE4294967295ELNS1_3gpuE0ELNS1_3repE0EEENS1_30default_config_static_selectorELNS0_4arch9wavefront6targetE0EEEvT1_,@function
_ZN7rocprim17ROCPRIM_400000_NS6detail17trampoline_kernelINS0_14default_configENS1_25partition_config_selectorILNS1_17partition_subalgoE9ExjbEEZZNS1_14partition_implILS5_9ELb0ES3_jN6thrust23THRUST_200600_302600_NS6detail15normal_iteratorINS9_10device_ptrIxEEEENSB_INSC_IjEEEEPNS0_10empty_typeENS0_5tupleIJSE_SH_EEENSJ_IJSG_SI_EEENS0_18inequality_wrapperINS9_8equal_toIxEEEEPmJSH_EEE10hipError_tPvRmT3_T4_T5_T6_T7_T9_mT8_P12ihipStream_tbDpT10_ENKUlT_T0_E_clISt17integral_constantIbLb0EES19_IbLb1EEEEDaS15_S16_EUlS15_E_NS1_11comp_targetILNS1_3genE0ELNS1_11target_archE4294967295ELNS1_3gpuE0ELNS1_3repE0EEENS1_30default_config_static_selectorELNS0_4arch9wavefront6targetE0EEEvT1_: ; @_ZN7rocprim17ROCPRIM_400000_NS6detail17trampoline_kernelINS0_14default_configENS1_25partition_config_selectorILNS1_17partition_subalgoE9ExjbEEZZNS1_14partition_implILS5_9ELb0ES3_jN6thrust23THRUST_200600_302600_NS6detail15normal_iteratorINS9_10device_ptrIxEEEENSB_INSC_IjEEEEPNS0_10empty_typeENS0_5tupleIJSE_SH_EEENSJ_IJSG_SI_EEENS0_18inequality_wrapperINS9_8equal_toIxEEEEPmJSH_EEE10hipError_tPvRmT3_T4_T5_T6_T7_T9_mT8_P12ihipStream_tbDpT10_ENKUlT_T0_E_clISt17integral_constantIbLb0EES19_IbLb1EEEEDaS15_S16_EUlS15_E_NS1_11comp_targetILNS1_3genE0ELNS1_11target_archE4294967295ELNS1_3gpuE0ELNS1_3repE0EEENS1_30default_config_static_selectorELNS0_4arch9wavefront6targetE0EEEvT1_
; %bb.0:
	.section	.rodata,"a",@progbits
	.p2align	6, 0x0
	.amdhsa_kernel _ZN7rocprim17ROCPRIM_400000_NS6detail17trampoline_kernelINS0_14default_configENS1_25partition_config_selectorILNS1_17partition_subalgoE9ExjbEEZZNS1_14partition_implILS5_9ELb0ES3_jN6thrust23THRUST_200600_302600_NS6detail15normal_iteratorINS9_10device_ptrIxEEEENSB_INSC_IjEEEEPNS0_10empty_typeENS0_5tupleIJSE_SH_EEENSJ_IJSG_SI_EEENS0_18inequality_wrapperINS9_8equal_toIxEEEEPmJSH_EEE10hipError_tPvRmT3_T4_T5_T6_T7_T9_mT8_P12ihipStream_tbDpT10_ENKUlT_T0_E_clISt17integral_constantIbLb0EES19_IbLb1EEEEDaS15_S16_EUlS15_E_NS1_11comp_targetILNS1_3genE0ELNS1_11target_archE4294967295ELNS1_3gpuE0ELNS1_3repE0EEENS1_30default_config_static_selectorELNS0_4arch9wavefront6targetE0EEEvT1_
		.amdhsa_group_segment_fixed_size 0
		.amdhsa_private_segment_fixed_size 0
		.amdhsa_kernarg_size 128
		.amdhsa_user_sgpr_count 15
		.amdhsa_user_sgpr_dispatch_ptr 0
		.amdhsa_user_sgpr_queue_ptr 0
		.amdhsa_user_sgpr_kernarg_segment_ptr 1
		.amdhsa_user_sgpr_dispatch_id 0
		.amdhsa_user_sgpr_private_segment_size 0
		.amdhsa_wavefront_size32 1
		.amdhsa_uses_dynamic_stack 0
		.amdhsa_enable_private_segment 0
		.amdhsa_system_sgpr_workgroup_id_x 1
		.amdhsa_system_sgpr_workgroup_id_y 0
		.amdhsa_system_sgpr_workgroup_id_z 0
		.amdhsa_system_sgpr_workgroup_info 0
		.amdhsa_system_vgpr_workitem_id 0
		.amdhsa_next_free_vgpr 1
		.amdhsa_next_free_sgpr 1
		.amdhsa_reserve_vcc 0
		.amdhsa_float_round_mode_32 0
		.amdhsa_float_round_mode_16_64 0
		.amdhsa_float_denorm_mode_32 3
		.amdhsa_float_denorm_mode_16_64 3
		.amdhsa_dx10_clamp 1
		.amdhsa_ieee_mode 1
		.amdhsa_fp16_overflow 0
		.amdhsa_workgroup_processor_mode 1
		.amdhsa_memory_ordered 1
		.amdhsa_forward_progress 0
		.amdhsa_shared_vgpr_count 0
		.amdhsa_exception_fp_ieee_invalid_op 0
		.amdhsa_exception_fp_denorm_src 0
		.amdhsa_exception_fp_ieee_div_zero 0
		.amdhsa_exception_fp_ieee_overflow 0
		.amdhsa_exception_fp_ieee_underflow 0
		.amdhsa_exception_fp_ieee_inexact 0
		.amdhsa_exception_int_div_zero 0
	.end_amdhsa_kernel
	.section	.text._ZN7rocprim17ROCPRIM_400000_NS6detail17trampoline_kernelINS0_14default_configENS1_25partition_config_selectorILNS1_17partition_subalgoE9ExjbEEZZNS1_14partition_implILS5_9ELb0ES3_jN6thrust23THRUST_200600_302600_NS6detail15normal_iteratorINS9_10device_ptrIxEEEENSB_INSC_IjEEEEPNS0_10empty_typeENS0_5tupleIJSE_SH_EEENSJ_IJSG_SI_EEENS0_18inequality_wrapperINS9_8equal_toIxEEEEPmJSH_EEE10hipError_tPvRmT3_T4_T5_T6_T7_T9_mT8_P12ihipStream_tbDpT10_ENKUlT_T0_E_clISt17integral_constantIbLb0EES19_IbLb1EEEEDaS15_S16_EUlS15_E_NS1_11comp_targetILNS1_3genE0ELNS1_11target_archE4294967295ELNS1_3gpuE0ELNS1_3repE0EEENS1_30default_config_static_selectorELNS0_4arch9wavefront6targetE0EEEvT1_,"axG",@progbits,_ZN7rocprim17ROCPRIM_400000_NS6detail17trampoline_kernelINS0_14default_configENS1_25partition_config_selectorILNS1_17partition_subalgoE9ExjbEEZZNS1_14partition_implILS5_9ELb0ES3_jN6thrust23THRUST_200600_302600_NS6detail15normal_iteratorINS9_10device_ptrIxEEEENSB_INSC_IjEEEEPNS0_10empty_typeENS0_5tupleIJSE_SH_EEENSJ_IJSG_SI_EEENS0_18inequality_wrapperINS9_8equal_toIxEEEEPmJSH_EEE10hipError_tPvRmT3_T4_T5_T6_T7_T9_mT8_P12ihipStream_tbDpT10_ENKUlT_T0_E_clISt17integral_constantIbLb0EES19_IbLb1EEEEDaS15_S16_EUlS15_E_NS1_11comp_targetILNS1_3genE0ELNS1_11target_archE4294967295ELNS1_3gpuE0ELNS1_3repE0EEENS1_30default_config_static_selectorELNS0_4arch9wavefront6targetE0EEEvT1_,comdat
.Lfunc_end621:
	.size	_ZN7rocprim17ROCPRIM_400000_NS6detail17trampoline_kernelINS0_14default_configENS1_25partition_config_selectorILNS1_17partition_subalgoE9ExjbEEZZNS1_14partition_implILS5_9ELb0ES3_jN6thrust23THRUST_200600_302600_NS6detail15normal_iteratorINS9_10device_ptrIxEEEENSB_INSC_IjEEEEPNS0_10empty_typeENS0_5tupleIJSE_SH_EEENSJ_IJSG_SI_EEENS0_18inequality_wrapperINS9_8equal_toIxEEEEPmJSH_EEE10hipError_tPvRmT3_T4_T5_T6_T7_T9_mT8_P12ihipStream_tbDpT10_ENKUlT_T0_E_clISt17integral_constantIbLb0EES19_IbLb1EEEEDaS15_S16_EUlS15_E_NS1_11comp_targetILNS1_3genE0ELNS1_11target_archE4294967295ELNS1_3gpuE0ELNS1_3repE0EEENS1_30default_config_static_selectorELNS0_4arch9wavefront6targetE0EEEvT1_, .Lfunc_end621-_ZN7rocprim17ROCPRIM_400000_NS6detail17trampoline_kernelINS0_14default_configENS1_25partition_config_selectorILNS1_17partition_subalgoE9ExjbEEZZNS1_14partition_implILS5_9ELb0ES3_jN6thrust23THRUST_200600_302600_NS6detail15normal_iteratorINS9_10device_ptrIxEEEENSB_INSC_IjEEEEPNS0_10empty_typeENS0_5tupleIJSE_SH_EEENSJ_IJSG_SI_EEENS0_18inequality_wrapperINS9_8equal_toIxEEEEPmJSH_EEE10hipError_tPvRmT3_T4_T5_T6_T7_T9_mT8_P12ihipStream_tbDpT10_ENKUlT_T0_E_clISt17integral_constantIbLb0EES19_IbLb1EEEEDaS15_S16_EUlS15_E_NS1_11comp_targetILNS1_3genE0ELNS1_11target_archE4294967295ELNS1_3gpuE0ELNS1_3repE0EEENS1_30default_config_static_selectorELNS0_4arch9wavefront6targetE0EEEvT1_
                                        ; -- End function
	.section	.AMDGPU.csdata,"",@progbits
; Kernel info:
; codeLenInByte = 0
; NumSgprs: 0
; NumVgprs: 0
; ScratchSize: 0
; MemoryBound: 0
; FloatMode: 240
; IeeeMode: 1
; LDSByteSize: 0 bytes/workgroup (compile time only)
; SGPRBlocks: 0
; VGPRBlocks: 0
; NumSGPRsForWavesPerEU: 1
; NumVGPRsForWavesPerEU: 1
; Occupancy: 16
; WaveLimiterHint : 0
; COMPUTE_PGM_RSRC2:SCRATCH_EN: 0
; COMPUTE_PGM_RSRC2:USER_SGPR: 15
; COMPUTE_PGM_RSRC2:TRAP_HANDLER: 0
; COMPUTE_PGM_RSRC2:TGID_X_EN: 1
; COMPUTE_PGM_RSRC2:TGID_Y_EN: 0
; COMPUTE_PGM_RSRC2:TGID_Z_EN: 0
; COMPUTE_PGM_RSRC2:TIDIG_COMP_CNT: 0
	.section	.text._ZN7rocprim17ROCPRIM_400000_NS6detail17trampoline_kernelINS0_14default_configENS1_25partition_config_selectorILNS1_17partition_subalgoE9ExjbEEZZNS1_14partition_implILS5_9ELb0ES3_jN6thrust23THRUST_200600_302600_NS6detail15normal_iteratorINS9_10device_ptrIxEEEENSB_INSC_IjEEEEPNS0_10empty_typeENS0_5tupleIJSE_SH_EEENSJ_IJSG_SI_EEENS0_18inequality_wrapperINS9_8equal_toIxEEEEPmJSH_EEE10hipError_tPvRmT3_T4_T5_T6_T7_T9_mT8_P12ihipStream_tbDpT10_ENKUlT_T0_E_clISt17integral_constantIbLb0EES19_IbLb1EEEEDaS15_S16_EUlS15_E_NS1_11comp_targetILNS1_3genE5ELNS1_11target_archE942ELNS1_3gpuE9ELNS1_3repE0EEENS1_30default_config_static_selectorELNS0_4arch9wavefront6targetE0EEEvT1_,"axG",@progbits,_ZN7rocprim17ROCPRIM_400000_NS6detail17trampoline_kernelINS0_14default_configENS1_25partition_config_selectorILNS1_17partition_subalgoE9ExjbEEZZNS1_14partition_implILS5_9ELb0ES3_jN6thrust23THRUST_200600_302600_NS6detail15normal_iteratorINS9_10device_ptrIxEEEENSB_INSC_IjEEEEPNS0_10empty_typeENS0_5tupleIJSE_SH_EEENSJ_IJSG_SI_EEENS0_18inequality_wrapperINS9_8equal_toIxEEEEPmJSH_EEE10hipError_tPvRmT3_T4_T5_T6_T7_T9_mT8_P12ihipStream_tbDpT10_ENKUlT_T0_E_clISt17integral_constantIbLb0EES19_IbLb1EEEEDaS15_S16_EUlS15_E_NS1_11comp_targetILNS1_3genE5ELNS1_11target_archE942ELNS1_3gpuE9ELNS1_3repE0EEENS1_30default_config_static_selectorELNS0_4arch9wavefront6targetE0EEEvT1_,comdat
	.protected	_ZN7rocprim17ROCPRIM_400000_NS6detail17trampoline_kernelINS0_14default_configENS1_25partition_config_selectorILNS1_17partition_subalgoE9ExjbEEZZNS1_14partition_implILS5_9ELb0ES3_jN6thrust23THRUST_200600_302600_NS6detail15normal_iteratorINS9_10device_ptrIxEEEENSB_INSC_IjEEEEPNS0_10empty_typeENS0_5tupleIJSE_SH_EEENSJ_IJSG_SI_EEENS0_18inequality_wrapperINS9_8equal_toIxEEEEPmJSH_EEE10hipError_tPvRmT3_T4_T5_T6_T7_T9_mT8_P12ihipStream_tbDpT10_ENKUlT_T0_E_clISt17integral_constantIbLb0EES19_IbLb1EEEEDaS15_S16_EUlS15_E_NS1_11comp_targetILNS1_3genE5ELNS1_11target_archE942ELNS1_3gpuE9ELNS1_3repE0EEENS1_30default_config_static_selectorELNS0_4arch9wavefront6targetE0EEEvT1_ ; -- Begin function _ZN7rocprim17ROCPRIM_400000_NS6detail17trampoline_kernelINS0_14default_configENS1_25partition_config_selectorILNS1_17partition_subalgoE9ExjbEEZZNS1_14partition_implILS5_9ELb0ES3_jN6thrust23THRUST_200600_302600_NS6detail15normal_iteratorINS9_10device_ptrIxEEEENSB_INSC_IjEEEEPNS0_10empty_typeENS0_5tupleIJSE_SH_EEENSJ_IJSG_SI_EEENS0_18inequality_wrapperINS9_8equal_toIxEEEEPmJSH_EEE10hipError_tPvRmT3_T4_T5_T6_T7_T9_mT8_P12ihipStream_tbDpT10_ENKUlT_T0_E_clISt17integral_constantIbLb0EES19_IbLb1EEEEDaS15_S16_EUlS15_E_NS1_11comp_targetILNS1_3genE5ELNS1_11target_archE942ELNS1_3gpuE9ELNS1_3repE0EEENS1_30default_config_static_selectorELNS0_4arch9wavefront6targetE0EEEvT1_
	.globl	_ZN7rocprim17ROCPRIM_400000_NS6detail17trampoline_kernelINS0_14default_configENS1_25partition_config_selectorILNS1_17partition_subalgoE9ExjbEEZZNS1_14partition_implILS5_9ELb0ES3_jN6thrust23THRUST_200600_302600_NS6detail15normal_iteratorINS9_10device_ptrIxEEEENSB_INSC_IjEEEEPNS0_10empty_typeENS0_5tupleIJSE_SH_EEENSJ_IJSG_SI_EEENS0_18inequality_wrapperINS9_8equal_toIxEEEEPmJSH_EEE10hipError_tPvRmT3_T4_T5_T6_T7_T9_mT8_P12ihipStream_tbDpT10_ENKUlT_T0_E_clISt17integral_constantIbLb0EES19_IbLb1EEEEDaS15_S16_EUlS15_E_NS1_11comp_targetILNS1_3genE5ELNS1_11target_archE942ELNS1_3gpuE9ELNS1_3repE0EEENS1_30default_config_static_selectorELNS0_4arch9wavefront6targetE0EEEvT1_
	.p2align	8
	.type	_ZN7rocprim17ROCPRIM_400000_NS6detail17trampoline_kernelINS0_14default_configENS1_25partition_config_selectorILNS1_17partition_subalgoE9ExjbEEZZNS1_14partition_implILS5_9ELb0ES3_jN6thrust23THRUST_200600_302600_NS6detail15normal_iteratorINS9_10device_ptrIxEEEENSB_INSC_IjEEEEPNS0_10empty_typeENS0_5tupleIJSE_SH_EEENSJ_IJSG_SI_EEENS0_18inequality_wrapperINS9_8equal_toIxEEEEPmJSH_EEE10hipError_tPvRmT3_T4_T5_T6_T7_T9_mT8_P12ihipStream_tbDpT10_ENKUlT_T0_E_clISt17integral_constantIbLb0EES19_IbLb1EEEEDaS15_S16_EUlS15_E_NS1_11comp_targetILNS1_3genE5ELNS1_11target_archE942ELNS1_3gpuE9ELNS1_3repE0EEENS1_30default_config_static_selectorELNS0_4arch9wavefront6targetE0EEEvT1_,@function
_ZN7rocprim17ROCPRIM_400000_NS6detail17trampoline_kernelINS0_14default_configENS1_25partition_config_selectorILNS1_17partition_subalgoE9ExjbEEZZNS1_14partition_implILS5_9ELb0ES3_jN6thrust23THRUST_200600_302600_NS6detail15normal_iteratorINS9_10device_ptrIxEEEENSB_INSC_IjEEEEPNS0_10empty_typeENS0_5tupleIJSE_SH_EEENSJ_IJSG_SI_EEENS0_18inequality_wrapperINS9_8equal_toIxEEEEPmJSH_EEE10hipError_tPvRmT3_T4_T5_T6_T7_T9_mT8_P12ihipStream_tbDpT10_ENKUlT_T0_E_clISt17integral_constantIbLb0EES19_IbLb1EEEEDaS15_S16_EUlS15_E_NS1_11comp_targetILNS1_3genE5ELNS1_11target_archE942ELNS1_3gpuE9ELNS1_3repE0EEENS1_30default_config_static_selectorELNS0_4arch9wavefront6targetE0EEEvT1_: ; @_ZN7rocprim17ROCPRIM_400000_NS6detail17trampoline_kernelINS0_14default_configENS1_25partition_config_selectorILNS1_17partition_subalgoE9ExjbEEZZNS1_14partition_implILS5_9ELb0ES3_jN6thrust23THRUST_200600_302600_NS6detail15normal_iteratorINS9_10device_ptrIxEEEENSB_INSC_IjEEEEPNS0_10empty_typeENS0_5tupleIJSE_SH_EEENSJ_IJSG_SI_EEENS0_18inequality_wrapperINS9_8equal_toIxEEEEPmJSH_EEE10hipError_tPvRmT3_T4_T5_T6_T7_T9_mT8_P12ihipStream_tbDpT10_ENKUlT_T0_E_clISt17integral_constantIbLb0EES19_IbLb1EEEEDaS15_S16_EUlS15_E_NS1_11comp_targetILNS1_3genE5ELNS1_11target_archE942ELNS1_3gpuE9ELNS1_3repE0EEENS1_30default_config_static_selectorELNS0_4arch9wavefront6targetE0EEEvT1_
; %bb.0:
	.section	.rodata,"a",@progbits
	.p2align	6, 0x0
	.amdhsa_kernel _ZN7rocprim17ROCPRIM_400000_NS6detail17trampoline_kernelINS0_14default_configENS1_25partition_config_selectorILNS1_17partition_subalgoE9ExjbEEZZNS1_14partition_implILS5_9ELb0ES3_jN6thrust23THRUST_200600_302600_NS6detail15normal_iteratorINS9_10device_ptrIxEEEENSB_INSC_IjEEEEPNS0_10empty_typeENS0_5tupleIJSE_SH_EEENSJ_IJSG_SI_EEENS0_18inequality_wrapperINS9_8equal_toIxEEEEPmJSH_EEE10hipError_tPvRmT3_T4_T5_T6_T7_T9_mT8_P12ihipStream_tbDpT10_ENKUlT_T0_E_clISt17integral_constantIbLb0EES19_IbLb1EEEEDaS15_S16_EUlS15_E_NS1_11comp_targetILNS1_3genE5ELNS1_11target_archE942ELNS1_3gpuE9ELNS1_3repE0EEENS1_30default_config_static_selectorELNS0_4arch9wavefront6targetE0EEEvT1_
		.amdhsa_group_segment_fixed_size 0
		.amdhsa_private_segment_fixed_size 0
		.amdhsa_kernarg_size 128
		.amdhsa_user_sgpr_count 15
		.amdhsa_user_sgpr_dispatch_ptr 0
		.amdhsa_user_sgpr_queue_ptr 0
		.amdhsa_user_sgpr_kernarg_segment_ptr 1
		.amdhsa_user_sgpr_dispatch_id 0
		.amdhsa_user_sgpr_private_segment_size 0
		.amdhsa_wavefront_size32 1
		.amdhsa_uses_dynamic_stack 0
		.amdhsa_enable_private_segment 0
		.amdhsa_system_sgpr_workgroup_id_x 1
		.amdhsa_system_sgpr_workgroup_id_y 0
		.amdhsa_system_sgpr_workgroup_id_z 0
		.amdhsa_system_sgpr_workgroup_info 0
		.amdhsa_system_vgpr_workitem_id 0
		.amdhsa_next_free_vgpr 1
		.amdhsa_next_free_sgpr 1
		.amdhsa_reserve_vcc 0
		.amdhsa_float_round_mode_32 0
		.amdhsa_float_round_mode_16_64 0
		.amdhsa_float_denorm_mode_32 3
		.amdhsa_float_denorm_mode_16_64 3
		.amdhsa_dx10_clamp 1
		.amdhsa_ieee_mode 1
		.amdhsa_fp16_overflow 0
		.amdhsa_workgroup_processor_mode 1
		.amdhsa_memory_ordered 1
		.amdhsa_forward_progress 0
		.amdhsa_shared_vgpr_count 0
		.amdhsa_exception_fp_ieee_invalid_op 0
		.amdhsa_exception_fp_denorm_src 0
		.amdhsa_exception_fp_ieee_div_zero 0
		.amdhsa_exception_fp_ieee_overflow 0
		.amdhsa_exception_fp_ieee_underflow 0
		.amdhsa_exception_fp_ieee_inexact 0
		.amdhsa_exception_int_div_zero 0
	.end_amdhsa_kernel
	.section	.text._ZN7rocprim17ROCPRIM_400000_NS6detail17trampoline_kernelINS0_14default_configENS1_25partition_config_selectorILNS1_17partition_subalgoE9ExjbEEZZNS1_14partition_implILS5_9ELb0ES3_jN6thrust23THRUST_200600_302600_NS6detail15normal_iteratorINS9_10device_ptrIxEEEENSB_INSC_IjEEEEPNS0_10empty_typeENS0_5tupleIJSE_SH_EEENSJ_IJSG_SI_EEENS0_18inequality_wrapperINS9_8equal_toIxEEEEPmJSH_EEE10hipError_tPvRmT3_T4_T5_T6_T7_T9_mT8_P12ihipStream_tbDpT10_ENKUlT_T0_E_clISt17integral_constantIbLb0EES19_IbLb1EEEEDaS15_S16_EUlS15_E_NS1_11comp_targetILNS1_3genE5ELNS1_11target_archE942ELNS1_3gpuE9ELNS1_3repE0EEENS1_30default_config_static_selectorELNS0_4arch9wavefront6targetE0EEEvT1_,"axG",@progbits,_ZN7rocprim17ROCPRIM_400000_NS6detail17trampoline_kernelINS0_14default_configENS1_25partition_config_selectorILNS1_17partition_subalgoE9ExjbEEZZNS1_14partition_implILS5_9ELb0ES3_jN6thrust23THRUST_200600_302600_NS6detail15normal_iteratorINS9_10device_ptrIxEEEENSB_INSC_IjEEEEPNS0_10empty_typeENS0_5tupleIJSE_SH_EEENSJ_IJSG_SI_EEENS0_18inequality_wrapperINS9_8equal_toIxEEEEPmJSH_EEE10hipError_tPvRmT3_T4_T5_T6_T7_T9_mT8_P12ihipStream_tbDpT10_ENKUlT_T0_E_clISt17integral_constantIbLb0EES19_IbLb1EEEEDaS15_S16_EUlS15_E_NS1_11comp_targetILNS1_3genE5ELNS1_11target_archE942ELNS1_3gpuE9ELNS1_3repE0EEENS1_30default_config_static_selectorELNS0_4arch9wavefront6targetE0EEEvT1_,comdat
.Lfunc_end622:
	.size	_ZN7rocprim17ROCPRIM_400000_NS6detail17trampoline_kernelINS0_14default_configENS1_25partition_config_selectorILNS1_17partition_subalgoE9ExjbEEZZNS1_14partition_implILS5_9ELb0ES3_jN6thrust23THRUST_200600_302600_NS6detail15normal_iteratorINS9_10device_ptrIxEEEENSB_INSC_IjEEEEPNS0_10empty_typeENS0_5tupleIJSE_SH_EEENSJ_IJSG_SI_EEENS0_18inequality_wrapperINS9_8equal_toIxEEEEPmJSH_EEE10hipError_tPvRmT3_T4_T5_T6_T7_T9_mT8_P12ihipStream_tbDpT10_ENKUlT_T0_E_clISt17integral_constantIbLb0EES19_IbLb1EEEEDaS15_S16_EUlS15_E_NS1_11comp_targetILNS1_3genE5ELNS1_11target_archE942ELNS1_3gpuE9ELNS1_3repE0EEENS1_30default_config_static_selectorELNS0_4arch9wavefront6targetE0EEEvT1_, .Lfunc_end622-_ZN7rocprim17ROCPRIM_400000_NS6detail17trampoline_kernelINS0_14default_configENS1_25partition_config_selectorILNS1_17partition_subalgoE9ExjbEEZZNS1_14partition_implILS5_9ELb0ES3_jN6thrust23THRUST_200600_302600_NS6detail15normal_iteratorINS9_10device_ptrIxEEEENSB_INSC_IjEEEEPNS0_10empty_typeENS0_5tupleIJSE_SH_EEENSJ_IJSG_SI_EEENS0_18inequality_wrapperINS9_8equal_toIxEEEEPmJSH_EEE10hipError_tPvRmT3_T4_T5_T6_T7_T9_mT8_P12ihipStream_tbDpT10_ENKUlT_T0_E_clISt17integral_constantIbLb0EES19_IbLb1EEEEDaS15_S16_EUlS15_E_NS1_11comp_targetILNS1_3genE5ELNS1_11target_archE942ELNS1_3gpuE9ELNS1_3repE0EEENS1_30default_config_static_selectorELNS0_4arch9wavefront6targetE0EEEvT1_
                                        ; -- End function
	.section	.AMDGPU.csdata,"",@progbits
; Kernel info:
; codeLenInByte = 0
; NumSgprs: 0
; NumVgprs: 0
; ScratchSize: 0
; MemoryBound: 0
; FloatMode: 240
; IeeeMode: 1
; LDSByteSize: 0 bytes/workgroup (compile time only)
; SGPRBlocks: 0
; VGPRBlocks: 0
; NumSGPRsForWavesPerEU: 1
; NumVGPRsForWavesPerEU: 1
; Occupancy: 16
; WaveLimiterHint : 0
; COMPUTE_PGM_RSRC2:SCRATCH_EN: 0
; COMPUTE_PGM_RSRC2:USER_SGPR: 15
; COMPUTE_PGM_RSRC2:TRAP_HANDLER: 0
; COMPUTE_PGM_RSRC2:TGID_X_EN: 1
; COMPUTE_PGM_RSRC2:TGID_Y_EN: 0
; COMPUTE_PGM_RSRC2:TGID_Z_EN: 0
; COMPUTE_PGM_RSRC2:TIDIG_COMP_CNT: 0
	.section	.text._ZN7rocprim17ROCPRIM_400000_NS6detail17trampoline_kernelINS0_14default_configENS1_25partition_config_selectorILNS1_17partition_subalgoE9ExjbEEZZNS1_14partition_implILS5_9ELb0ES3_jN6thrust23THRUST_200600_302600_NS6detail15normal_iteratorINS9_10device_ptrIxEEEENSB_INSC_IjEEEEPNS0_10empty_typeENS0_5tupleIJSE_SH_EEENSJ_IJSG_SI_EEENS0_18inequality_wrapperINS9_8equal_toIxEEEEPmJSH_EEE10hipError_tPvRmT3_T4_T5_T6_T7_T9_mT8_P12ihipStream_tbDpT10_ENKUlT_T0_E_clISt17integral_constantIbLb0EES19_IbLb1EEEEDaS15_S16_EUlS15_E_NS1_11comp_targetILNS1_3genE4ELNS1_11target_archE910ELNS1_3gpuE8ELNS1_3repE0EEENS1_30default_config_static_selectorELNS0_4arch9wavefront6targetE0EEEvT1_,"axG",@progbits,_ZN7rocprim17ROCPRIM_400000_NS6detail17trampoline_kernelINS0_14default_configENS1_25partition_config_selectorILNS1_17partition_subalgoE9ExjbEEZZNS1_14partition_implILS5_9ELb0ES3_jN6thrust23THRUST_200600_302600_NS6detail15normal_iteratorINS9_10device_ptrIxEEEENSB_INSC_IjEEEEPNS0_10empty_typeENS0_5tupleIJSE_SH_EEENSJ_IJSG_SI_EEENS0_18inequality_wrapperINS9_8equal_toIxEEEEPmJSH_EEE10hipError_tPvRmT3_T4_T5_T6_T7_T9_mT8_P12ihipStream_tbDpT10_ENKUlT_T0_E_clISt17integral_constantIbLb0EES19_IbLb1EEEEDaS15_S16_EUlS15_E_NS1_11comp_targetILNS1_3genE4ELNS1_11target_archE910ELNS1_3gpuE8ELNS1_3repE0EEENS1_30default_config_static_selectorELNS0_4arch9wavefront6targetE0EEEvT1_,comdat
	.protected	_ZN7rocprim17ROCPRIM_400000_NS6detail17trampoline_kernelINS0_14default_configENS1_25partition_config_selectorILNS1_17partition_subalgoE9ExjbEEZZNS1_14partition_implILS5_9ELb0ES3_jN6thrust23THRUST_200600_302600_NS6detail15normal_iteratorINS9_10device_ptrIxEEEENSB_INSC_IjEEEEPNS0_10empty_typeENS0_5tupleIJSE_SH_EEENSJ_IJSG_SI_EEENS0_18inequality_wrapperINS9_8equal_toIxEEEEPmJSH_EEE10hipError_tPvRmT3_T4_T5_T6_T7_T9_mT8_P12ihipStream_tbDpT10_ENKUlT_T0_E_clISt17integral_constantIbLb0EES19_IbLb1EEEEDaS15_S16_EUlS15_E_NS1_11comp_targetILNS1_3genE4ELNS1_11target_archE910ELNS1_3gpuE8ELNS1_3repE0EEENS1_30default_config_static_selectorELNS0_4arch9wavefront6targetE0EEEvT1_ ; -- Begin function _ZN7rocprim17ROCPRIM_400000_NS6detail17trampoline_kernelINS0_14default_configENS1_25partition_config_selectorILNS1_17partition_subalgoE9ExjbEEZZNS1_14partition_implILS5_9ELb0ES3_jN6thrust23THRUST_200600_302600_NS6detail15normal_iteratorINS9_10device_ptrIxEEEENSB_INSC_IjEEEEPNS0_10empty_typeENS0_5tupleIJSE_SH_EEENSJ_IJSG_SI_EEENS0_18inequality_wrapperINS9_8equal_toIxEEEEPmJSH_EEE10hipError_tPvRmT3_T4_T5_T6_T7_T9_mT8_P12ihipStream_tbDpT10_ENKUlT_T0_E_clISt17integral_constantIbLb0EES19_IbLb1EEEEDaS15_S16_EUlS15_E_NS1_11comp_targetILNS1_3genE4ELNS1_11target_archE910ELNS1_3gpuE8ELNS1_3repE0EEENS1_30default_config_static_selectorELNS0_4arch9wavefront6targetE0EEEvT1_
	.globl	_ZN7rocprim17ROCPRIM_400000_NS6detail17trampoline_kernelINS0_14default_configENS1_25partition_config_selectorILNS1_17partition_subalgoE9ExjbEEZZNS1_14partition_implILS5_9ELb0ES3_jN6thrust23THRUST_200600_302600_NS6detail15normal_iteratorINS9_10device_ptrIxEEEENSB_INSC_IjEEEEPNS0_10empty_typeENS0_5tupleIJSE_SH_EEENSJ_IJSG_SI_EEENS0_18inequality_wrapperINS9_8equal_toIxEEEEPmJSH_EEE10hipError_tPvRmT3_T4_T5_T6_T7_T9_mT8_P12ihipStream_tbDpT10_ENKUlT_T0_E_clISt17integral_constantIbLb0EES19_IbLb1EEEEDaS15_S16_EUlS15_E_NS1_11comp_targetILNS1_3genE4ELNS1_11target_archE910ELNS1_3gpuE8ELNS1_3repE0EEENS1_30default_config_static_selectorELNS0_4arch9wavefront6targetE0EEEvT1_
	.p2align	8
	.type	_ZN7rocprim17ROCPRIM_400000_NS6detail17trampoline_kernelINS0_14default_configENS1_25partition_config_selectorILNS1_17partition_subalgoE9ExjbEEZZNS1_14partition_implILS5_9ELb0ES3_jN6thrust23THRUST_200600_302600_NS6detail15normal_iteratorINS9_10device_ptrIxEEEENSB_INSC_IjEEEEPNS0_10empty_typeENS0_5tupleIJSE_SH_EEENSJ_IJSG_SI_EEENS0_18inequality_wrapperINS9_8equal_toIxEEEEPmJSH_EEE10hipError_tPvRmT3_T4_T5_T6_T7_T9_mT8_P12ihipStream_tbDpT10_ENKUlT_T0_E_clISt17integral_constantIbLb0EES19_IbLb1EEEEDaS15_S16_EUlS15_E_NS1_11comp_targetILNS1_3genE4ELNS1_11target_archE910ELNS1_3gpuE8ELNS1_3repE0EEENS1_30default_config_static_selectorELNS0_4arch9wavefront6targetE0EEEvT1_,@function
_ZN7rocprim17ROCPRIM_400000_NS6detail17trampoline_kernelINS0_14default_configENS1_25partition_config_selectorILNS1_17partition_subalgoE9ExjbEEZZNS1_14partition_implILS5_9ELb0ES3_jN6thrust23THRUST_200600_302600_NS6detail15normal_iteratorINS9_10device_ptrIxEEEENSB_INSC_IjEEEEPNS0_10empty_typeENS0_5tupleIJSE_SH_EEENSJ_IJSG_SI_EEENS0_18inequality_wrapperINS9_8equal_toIxEEEEPmJSH_EEE10hipError_tPvRmT3_T4_T5_T6_T7_T9_mT8_P12ihipStream_tbDpT10_ENKUlT_T0_E_clISt17integral_constantIbLb0EES19_IbLb1EEEEDaS15_S16_EUlS15_E_NS1_11comp_targetILNS1_3genE4ELNS1_11target_archE910ELNS1_3gpuE8ELNS1_3repE0EEENS1_30default_config_static_selectorELNS0_4arch9wavefront6targetE0EEEvT1_: ; @_ZN7rocprim17ROCPRIM_400000_NS6detail17trampoline_kernelINS0_14default_configENS1_25partition_config_selectorILNS1_17partition_subalgoE9ExjbEEZZNS1_14partition_implILS5_9ELb0ES3_jN6thrust23THRUST_200600_302600_NS6detail15normal_iteratorINS9_10device_ptrIxEEEENSB_INSC_IjEEEEPNS0_10empty_typeENS0_5tupleIJSE_SH_EEENSJ_IJSG_SI_EEENS0_18inequality_wrapperINS9_8equal_toIxEEEEPmJSH_EEE10hipError_tPvRmT3_T4_T5_T6_T7_T9_mT8_P12ihipStream_tbDpT10_ENKUlT_T0_E_clISt17integral_constantIbLb0EES19_IbLb1EEEEDaS15_S16_EUlS15_E_NS1_11comp_targetILNS1_3genE4ELNS1_11target_archE910ELNS1_3gpuE8ELNS1_3repE0EEENS1_30default_config_static_selectorELNS0_4arch9wavefront6targetE0EEEvT1_
; %bb.0:
	.section	.rodata,"a",@progbits
	.p2align	6, 0x0
	.amdhsa_kernel _ZN7rocprim17ROCPRIM_400000_NS6detail17trampoline_kernelINS0_14default_configENS1_25partition_config_selectorILNS1_17partition_subalgoE9ExjbEEZZNS1_14partition_implILS5_9ELb0ES3_jN6thrust23THRUST_200600_302600_NS6detail15normal_iteratorINS9_10device_ptrIxEEEENSB_INSC_IjEEEEPNS0_10empty_typeENS0_5tupleIJSE_SH_EEENSJ_IJSG_SI_EEENS0_18inequality_wrapperINS9_8equal_toIxEEEEPmJSH_EEE10hipError_tPvRmT3_T4_T5_T6_T7_T9_mT8_P12ihipStream_tbDpT10_ENKUlT_T0_E_clISt17integral_constantIbLb0EES19_IbLb1EEEEDaS15_S16_EUlS15_E_NS1_11comp_targetILNS1_3genE4ELNS1_11target_archE910ELNS1_3gpuE8ELNS1_3repE0EEENS1_30default_config_static_selectorELNS0_4arch9wavefront6targetE0EEEvT1_
		.amdhsa_group_segment_fixed_size 0
		.amdhsa_private_segment_fixed_size 0
		.amdhsa_kernarg_size 128
		.amdhsa_user_sgpr_count 15
		.amdhsa_user_sgpr_dispatch_ptr 0
		.amdhsa_user_sgpr_queue_ptr 0
		.amdhsa_user_sgpr_kernarg_segment_ptr 1
		.amdhsa_user_sgpr_dispatch_id 0
		.amdhsa_user_sgpr_private_segment_size 0
		.amdhsa_wavefront_size32 1
		.amdhsa_uses_dynamic_stack 0
		.amdhsa_enable_private_segment 0
		.amdhsa_system_sgpr_workgroup_id_x 1
		.amdhsa_system_sgpr_workgroup_id_y 0
		.amdhsa_system_sgpr_workgroup_id_z 0
		.amdhsa_system_sgpr_workgroup_info 0
		.amdhsa_system_vgpr_workitem_id 0
		.amdhsa_next_free_vgpr 1
		.amdhsa_next_free_sgpr 1
		.amdhsa_reserve_vcc 0
		.amdhsa_float_round_mode_32 0
		.amdhsa_float_round_mode_16_64 0
		.amdhsa_float_denorm_mode_32 3
		.amdhsa_float_denorm_mode_16_64 3
		.amdhsa_dx10_clamp 1
		.amdhsa_ieee_mode 1
		.amdhsa_fp16_overflow 0
		.amdhsa_workgroup_processor_mode 1
		.amdhsa_memory_ordered 1
		.amdhsa_forward_progress 0
		.amdhsa_shared_vgpr_count 0
		.amdhsa_exception_fp_ieee_invalid_op 0
		.amdhsa_exception_fp_denorm_src 0
		.amdhsa_exception_fp_ieee_div_zero 0
		.amdhsa_exception_fp_ieee_overflow 0
		.amdhsa_exception_fp_ieee_underflow 0
		.amdhsa_exception_fp_ieee_inexact 0
		.amdhsa_exception_int_div_zero 0
	.end_amdhsa_kernel
	.section	.text._ZN7rocprim17ROCPRIM_400000_NS6detail17trampoline_kernelINS0_14default_configENS1_25partition_config_selectorILNS1_17partition_subalgoE9ExjbEEZZNS1_14partition_implILS5_9ELb0ES3_jN6thrust23THRUST_200600_302600_NS6detail15normal_iteratorINS9_10device_ptrIxEEEENSB_INSC_IjEEEEPNS0_10empty_typeENS0_5tupleIJSE_SH_EEENSJ_IJSG_SI_EEENS0_18inequality_wrapperINS9_8equal_toIxEEEEPmJSH_EEE10hipError_tPvRmT3_T4_T5_T6_T7_T9_mT8_P12ihipStream_tbDpT10_ENKUlT_T0_E_clISt17integral_constantIbLb0EES19_IbLb1EEEEDaS15_S16_EUlS15_E_NS1_11comp_targetILNS1_3genE4ELNS1_11target_archE910ELNS1_3gpuE8ELNS1_3repE0EEENS1_30default_config_static_selectorELNS0_4arch9wavefront6targetE0EEEvT1_,"axG",@progbits,_ZN7rocprim17ROCPRIM_400000_NS6detail17trampoline_kernelINS0_14default_configENS1_25partition_config_selectorILNS1_17partition_subalgoE9ExjbEEZZNS1_14partition_implILS5_9ELb0ES3_jN6thrust23THRUST_200600_302600_NS6detail15normal_iteratorINS9_10device_ptrIxEEEENSB_INSC_IjEEEEPNS0_10empty_typeENS0_5tupleIJSE_SH_EEENSJ_IJSG_SI_EEENS0_18inequality_wrapperINS9_8equal_toIxEEEEPmJSH_EEE10hipError_tPvRmT3_T4_T5_T6_T7_T9_mT8_P12ihipStream_tbDpT10_ENKUlT_T0_E_clISt17integral_constantIbLb0EES19_IbLb1EEEEDaS15_S16_EUlS15_E_NS1_11comp_targetILNS1_3genE4ELNS1_11target_archE910ELNS1_3gpuE8ELNS1_3repE0EEENS1_30default_config_static_selectorELNS0_4arch9wavefront6targetE0EEEvT1_,comdat
.Lfunc_end623:
	.size	_ZN7rocprim17ROCPRIM_400000_NS6detail17trampoline_kernelINS0_14default_configENS1_25partition_config_selectorILNS1_17partition_subalgoE9ExjbEEZZNS1_14partition_implILS5_9ELb0ES3_jN6thrust23THRUST_200600_302600_NS6detail15normal_iteratorINS9_10device_ptrIxEEEENSB_INSC_IjEEEEPNS0_10empty_typeENS0_5tupleIJSE_SH_EEENSJ_IJSG_SI_EEENS0_18inequality_wrapperINS9_8equal_toIxEEEEPmJSH_EEE10hipError_tPvRmT3_T4_T5_T6_T7_T9_mT8_P12ihipStream_tbDpT10_ENKUlT_T0_E_clISt17integral_constantIbLb0EES19_IbLb1EEEEDaS15_S16_EUlS15_E_NS1_11comp_targetILNS1_3genE4ELNS1_11target_archE910ELNS1_3gpuE8ELNS1_3repE0EEENS1_30default_config_static_selectorELNS0_4arch9wavefront6targetE0EEEvT1_, .Lfunc_end623-_ZN7rocprim17ROCPRIM_400000_NS6detail17trampoline_kernelINS0_14default_configENS1_25partition_config_selectorILNS1_17partition_subalgoE9ExjbEEZZNS1_14partition_implILS5_9ELb0ES3_jN6thrust23THRUST_200600_302600_NS6detail15normal_iteratorINS9_10device_ptrIxEEEENSB_INSC_IjEEEEPNS0_10empty_typeENS0_5tupleIJSE_SH_EEENSJ_IJSG_SI_EEENS0_18inequality_wrapperINS9_8equal_toIxEEEEPmJSH_EEE10hipError_tPvRmT3_T4_T5_T6_T7_T9_mT8_P12ihipStream_tbDpT10_ENKUlT_T0_E_clISt17integral_constantIbLb0EES19_IbLb1EEEEDaS15_S16_EUlS15_E_NS1_11comp_targetILNS1_3genE4ELNS1_11target_archE910ELNS1_3gpuE8ELNS1_3repE0EEENS1_30default_config_static_selectorELNS0_4arch9wavefront6targetE0EEEvT1_
                                        ; -- End function
	.section	.AMDGPU.csdata,"",@progbits
; Kernel info:
; codeLenInByte = 0
; NumSgprs: 0
; NumVgprs: 0
; ScratchSize: 0
; MemoryBound: 0
; FloatMode: 240
; IeeeMode: 1
; LDSByteSize: 0 bytes/workgroup (compile time only)
; SGPRBlocks: 0
; VGPRBlocks: 0
; NumSGPRsForWavesPerEU: 1
; NumVGPRsForWavesPerEU: 1
; Occupancy: 15
; WaveLimiterHint : 0
; COMPUTE_PGM_RSRC2:SCRATCH_EN: 0
; COMPUTE_PGM_RSRC2:USER_SGPR: 15
; COMPUTE_PGM_RSRC2:TRAP_HANDLER: 0
; COMPUTE_PGM_RSRC2:TGID_X_EN: 1
; COMPUTE_PGM_RSRC2:TGID_Y_EN: 0
; COMPUTE_PGM_RSRC2:TGID_Z_EN: 0
; COMPUTE_PGM_RSRC2:TIDIG_COMP_CNT: 0
	.section	.text._ZN7rocprim17ROCPRIM_400000_NS6detail17trampoline_kernelINS0_14default_configENS1_25partition_config_selectorILNS1_17partition_subalgoE9ExjbEEZZNS1_14partition_implILS5_9ELb0ES3_jN6thrust23THRUST_200600_302600_NS6detail15normal_iteratorINS9_10device_ptrIxEEEENSB_INSC_IjEEEEPNS0_10empty_typeENS0_5tupleIJSE_SH_EEENSJ_IJSG_SI_EEENS0_18inequality_wrapperINS9_8equal_toIxEEEEPmJSH_EEE10hipError_tPvRmT3_T4_T5_T6_T7_T9_mT8_P12ihipStream_tbDpT10_ENKUlT_T0_E_clISt17integral_constantIbLb0EES19_IbLb1EEEEDaS15_S16_EUlS15_E_NS1_11comp_targetILNS1_3genE3ELNS1_11target_archE908ELNS1_3gpuE7ELNS1_3repE0EEENS1_30default_config_static_selectorELNS0_4arch9wavefront6targetE0EEEvT1_,"axG",@progbits,_ZN7rocprim17ROCPRIM_400000_NS6detail17trampoline_kernelINS0_14default_configENS1_25partition_config_selectorILNS1_17partition_subalgoE9ExjbEEZZNS1_14partition_implILS5_9ELb0ES3_jN6thrust23THRUST_200600_302600_NS6detail15normal_iteratorINS9_10device_ptrIxEEEENSB_INSC_IjEEEEPNS0_10empty_typeENS0_5tupleIJSE_SH_EEENSJ_IJSG_SI_EEENS0_18inequality_wrapperINS9_8equal_toIxEEEEPmJSH_EEE10hipError_tPvRmT3_T4_T5_T6_T7_T9_mT8_P12ihipStream_tbDpT10_ENKUlT_T0_E_clISt17integral_constantIbLb0EES19_IbLb1EEEEDaS15_S16_EUlS15_E_NS1_11comp_targetILNS1_3genE3ELNS1_11target_archE908ELNS1_3gpuE7ELNS1_3repE0EEENS1_30default_config_static_selectorELNS0_4arch9wavefront6targetE0EEEvT1_,comdat
	.protected	_ZN7rocprim17ROCPRIM_400000_NS6detail17trampoline_kernelINS0_14default_configENS1_25partition_config_selectorILNS1_17partition_subalgoE9ExjbEEZZNS1_14partition_implILS5_9ELb0ES3_jN6thrust23THRUST_200600_302600_NS6detail15normal_iteratorINS9_10device_ptrIxEEEENSB_INSC_IjEEEEPNS0_10empty_typeENS0_5tupleIJSE_SH_EEENSJ_IJSG_SI_EEENS0_18inequality_wrapperINS9_8equal_toIxEEEEPmJSH_EEE10hipError_tPvRmT3_T4_T5_T6_T7_T9_mT8_P12ihipStream_tbDpT10_ENKUlT_T0_E_clISt17integral_constantIbLb0EES19_IbLb1EEEEDaS15_S16_EUlS15_E_NS1_11comp_targetILNS1_3genE3ELNS1_11target_archE908ELNS1_3gpuE7ELNS1_3repE0EEENS1_30default_config_static_selectorELNS0_4arch9wavefront6targetE0EEEvT1_ ; -- Begin function _ZN7rocprim17ROCPRIM_400000_NS6detail17trampoline_kernelINS0_14default_configENS1_25partition_config_selectorILNS1_17partition_subalgoE9ExjbEEZZNS1_14partition_implILS5_9ELb0ES3_jN6thrust23THRUST_200600_302600_NS6detail15normal_iteratorINS9_10device_ptrIxEEEENSB_INSC_IjEEEEPNS0_10empty_typeENS0_5tupleIJSE_SH_EEENSJ_IJSG_SI_EEENS0_18inequality_wrapperINS9_8equal_toIxEEEEPmJSH_EEE10hipError_tPvRmT3_T4_T5_T6_T7_T9_mT8_P12ihipStream_tbDpT10_ENKUlT_T0_E_clISt17integral_constantIbLb0EES19_IbLb1EEEEDaS15_S16_EUlS15_E_NS1_11comp_targetILNS1_3genE3ELNS1_11target_archE908ELNS1_3gpuE7ELNS1_3repE0EEENS1_30default_config_static_selectorELNS0_4arch9wavefront6targetE0EEEvT1_
	.globl	_ZN7rocprim17ROCPRIM_400000_NS6detail17trampoline_kernelINS0_14default_configENS1_25partition_config_selectorILNS1_17partition_subalgoE9ExjbEEZZNS1_14partition_implILS5_9ELb0ES3_jN6thrust23THRUST_200600_302600_NS6detail15normal_iteratorINS9_10device_ptrIxEEEENSB_INSC_IjEEEEPNS0_10empty_typeENS0_5tupleIJSE_SH_EEENSJ_IJSG_SI_EEENS0_18inequality_wrapperINS9_8equal_toIxEEEEPmJSH_EEE10hipError_tPvRmT3_T4_T5_T6_T7_T9_mT8_P12ihipStream_tbDpT10_ENKUlT_T0_E_clISt17integral_constantIbLb0EES19_IbLb1EEEEDaS15_S16_EUlS15_E_NS1_11comp_targetILNS1_3genE3ELNS1_11target_archE908ELNS1_3gpuE7ELNS1_3repE0EEENS1_30default_config_static_selectorELNS0_4arch9wavefront6targetE0EEEvT1_
	.p2align	8
	.type	_ZN7rocprim17ROCPRIM_400000_NS6detail17trampoline_kernelINS0_14default_configENS1_25partition_config_selectorILNS1_17partition_subalgoE9ExjbEEZZNS1_14partition_implILS5_9ELb0ES3_jN6thrust23THRUST_200600_302600_NS6detail15normal_iteratorINS9_10device_ptrIxEEEENSB_INSC_IjEEEEPNS0_10empty_typeENS0_5tupleIJSE_SH_EEENSJ_IJSG_SI_EEENS0_18inequality_wrapperINS9_8equal_toIxEEEEPmJSH_EEE10hipError_tPvRmT3_T4_T5_T6_T7_T9_mT8_P12ihipStream_tbDpT10_ENKUlT_T0_E_clISt17integral_constantIbLb0EES19_IbLb1EEEEDaS15_S16_EUlS15_E_NS1_11comp_targetILNS1_3genE3ELNS1_11target_archE908ELNS1_3gpuE7ELNS1_3repE0EEENS1_30default_config_static_selectorELNS0_4arch9wavefront6targetE0EEEvT1_,@function
_ZN7rocprim17ROCPRIM_400000_NS6detail17trampoline_kernelINS0_14default_configENS1_25partition_config_selectorILNS1_17partition_subalgoE9ExjbEEZZNS1_14partition_implILS5_9ELb0ES3_jN6thrust23THRUST_200600_302600_NS6detail15normal_iteratorINS9_10device_ptrIxEEEENSB_INSC_IjEEEEPNS0_10empty_typeENS0_5tupleIJSE_SH_EEENSJ_IJSG_SI_EEENS0_18inequality_wrapperINS9_8equal_toIxEEEEPmJSH_EEE10hipError_tPvRmT3_T4_T5_T6_T7_T9_mT8_P12ihipStream_tbDpT10_ENKUlT_T0_E_clISt17integral_constantIbLb0EES19_IbLb1EEEEDaS15_S16_EUlS15_E_NS1_11comp_targetILNS1_3genE3ELNS1_11target_archE908ELNS1_3gpuE7ELNS1_3repE0EEENS1_30default_config_static_selectorELNS0_4arch9wavefront6targetE0EEEvT1_: ; @_ZN7rocprim17ROCPRIM_400000_NS6detail17trampoline_kernelINS0_14default_configENS1_25partition_config_selectorILNS1_17partition_subalgoE9ExjbEEZZNS1_14partition_implILS5_9ELb0ES3_jN6thrust23THRUST_200600_302600_NS6detail15normal_iteratorINS9_10device_ptrIxEEEENSB_INSC_IjEEEEPNS0_10empty_typeENS0_5tupleIJSE_SH_EEENSJ_IJSG_SI_EEENS0_18inequality_wrapperINS9_8equal_toIxEEEEPmJSH_EEE10hipError_tPvRmT3_T4_T5_T6_T7_T9_mT8_P12ihipStream_tbDpT10_ENKUlT_T0_E_clISt17integral_constantIbLb0EES19_IbLb1EEEEDaS15_S16_EUlS15_E_NS1_11comp_targetILNS1_3genE3ELNS1_11target_archE908ELNS1_3gpuE7ELNS1_3repE0EEENS1_30default_config_static_selectorELNS0_4arch9wavefront6targetE0EEEvT1_
; %bb.0:
	.section	.rodata,"a",@progbits
	.p2align	6, 0x0
	.amdhsa_kernel _ZN7rocprim17ROCPRIM_400000_NS6detail17trampoline_kernelINS0_14default_configENS1_25partition_config_selectorILNS1_17partition_subalgoE9ExjbEEZZNS1_14partition_implILS5_9ELb0ES3_jN6thrust23THRUST_200600_302600_NS6detail15normal_iteratorINS9_10device_ptrIxEEEENSB_INSC_IjEEEEPNS0_10empty_typeENS0_5tupleIJSE_SH_EEENSJ_IJSG_SI_EEENS0_18inequality_wrapperINS9_8equal_toIxEEEEPmJSH_EEE10hipError_tPvRmT3_T4_T5_T6_T7_T9_mT8_P12ihipStream_tbDpT10_ENKUlT_T0_E_clISt17integral_constantIbLb0EES19_IbLb1EEEEDaS15_S16_EUlS15_E_NS1_11comp_targetILNS1_3genE3ELNS1_11target_archE908ELNS1_3gpuE7ELNS1_3repE0EEENS1_30default_config_static_selectorELNS0_4arch9wavefront6targetE0EEEvT1_
		.amdhsa_group_segment_fixed_size 0
		.amdhsa_private_segment_fixed_size 0
		.amdhsa_kernarg_size 128
		.amdhsa_user_sgpr_count 15
		.amdhsa_user_sgpr_dispatch_ptr 0
		.amdhsa_user_sgpr_queue_ptr 0
		.amdhsa_user_sgpr_kernarg_segment_ptr 1
		.amdhsa_user_sgpr_dispatch_id 0
		.amdhsa_user_sgpr_private_segment_size 0
		.amdhsa_wavefront_size32 1
		.amdhsa_uses_dynamic_stack 0
		.amdhsa_enable_private_segment 0
		.amdhsa_system_sgpr_workgroup_id_x 1
		.amdhsa_system_sgpr_workgroup_id_y 0
		.amdhsa_system_sgpr_workgroup_id_z 0
		.amdhsa_system_sgpr_workgroup_info 0
		.amdhsa_system_vgpr_workitem_id 0
		.amdhsa_next_free_vgpr 1
		.amdhsa_next_free_sgpr 1
		.amdhsa_reserve_vcc 0
		.amdhsa_float_round_mode_32 0
		.amdhsa_float_round_mode_16_64 0
		.amdhsa_float_denorm_mode_32 3
		.amdhsa_float_denorm_mode_16_64 3
		.amdhsa_dx10_clamp 1
		.amdhsa_ieee_mode 1
		.amdhsa_fp16_overflow 0
		.amdhsa_workgroup_processor_mode 1
		.amdhsa_memory_ordered 1
		.amdhsa_forward_progress 0
		.amdhsa_shared_vgpr_count 0
		.amdhsa_exception_fp_ieee_invalid_op 0
		.amdhsa_exception_fp_denorm_src 0
		.amdhsa_exception_fp_ieee_div_zero 0
		.amdhsa_exception_fp_ieee_overflow 0
		.amdhsa_exception_fp_ieee_underflow 0
		.amdhsa_exception_fp_ieee_inexact 0
		.amdhsa_exception_int_div_zero 0
	.end_amdhsa_kernel
	.section	.text._ZN7rocprim17ROCPRIM_400000_NS6detail17trampoline_kernelINS0_14default_configENS1_25partition_config_selectorILNS1_17partition_subalgoE9ExjbEEZZNS1_14partition_implILS5_9ELb0ES3_jN6thrust23THRUST_200600_302600_NS6detail15normal_iteratorINS9_10device_ptrIxEEEENSB_INSC_IjEEEEPNS0_10empty_typeENS0_5tupleIJSE_SH_EEENSJ_IJSG_SI_EEENS0_18inequality_wrapperINS9_8equal_toIxEEEEPmJSH_EEE10hipError_tPvRmT3_T4_T5_T6_T7_T9_mT8_P12ihipStream_tbDpT10_ENKUlT_T0_E_clISt17integral_constantIbLb0EES19_IbLb1EEEEDaS15_S16_EUlS15_E_NS1_11comp_targetILNS1_3genE3ELNS1_11target_archE908ELNS1_3gpuE7ELNS1_3repE0EEENS1_30default_config_static_selectorELNS0_4arch9wavefront6targetE0EEEvT1_,"axG",@progbits,_ZN7rocprim17ROCPRIM_400000_NS6detail17trampoline_kernelINS0_14default_configENS1_25partition_config_selectorILNS1_17partition_subalgoE9ExjbEEZZNS1_14partition_implILS5_9ELb0ES3_jN6thrust23THRUST_200600_302600_NS6detail15normal_iteratorINS9_10device_ptrIxEEEENSB_INSC_IjEEEEPNS0_10empty_typeENS0_5tupleIJSE_SH_EEENSJ_IJSG_SI_EEENS0_18inequality_wrapperINS9_8equal_toIxEEEEPmJSH_EEE10hipError_tPvRmT3_T4_T5_T6_T7_T9_mT8_P12ihipStream_tbDpT10_ENKUlT_T0_E_clISt17integral_constantIbLb0EES19_IbLb1EEEEDaS15_S16_EUlS15_E_NS1_11comp_targetILNS1_3genE3ELNS1_11target_archE908ELNS1_3gpuE7ELNS1_3repE0EEENS1_30default_config_static_selectorELNS0_4arch9wavefront6targetE0EEEvT1_,comdat
.Lfunc_end624:
	.size	_ZN7rocprim17ROCPRIM_400000_NS6detail17trampoline_kernelINS0_14default_configENS1_25partition_config_selectorILNS1_17partition_subalgoE9ExjbEEZZNS1_14partition_implILS5_9ELb0ES3_jN6thrust23THRUST_200600_302600_NS6detail15normal_iteratorINS9_10device_ptrIxEEEENSB_INSC_IjEEEEPNS0_10empty_typeENS0_5tupleIJSE_SH_EEENSJ_IJSG_SI_EEENS0_18inequality_wrapperINS9_8equal_toIxEEEEPmJSH_EEE10hipError_tPvRmT3_T4_T5_T6_T7_T9_mT8_P12ihipStream_tbDpT10_ENKUlT_T0_E_clISt17integral_constantIbLb0EES19_IbLb1EEEEDaS15_S16_EUlS15_E_NS1_11comp_targetILNS1_3genE3ELNS1_11target_archE908ELNS1_3gpuE7ELNS1_3repE0EEENS1_30default_config_static_selectorELNS0_4arch9wavefront6targetE0EEEvT1_, .Lfunc_end624-_ZN7rocprim17ROCPRIM_400000_NS6detail17trampoline_kernelINS0_14default_configENS1_25partition_config_selectorILNS1_17partition_subalgoE9ExjbEEZZNS1_14partition_implILS5_9ELb0ES3_jN6thrust23THRUST_200600_302600_NS6detail15normal_iteratorINS9_10device_ptrIxEEEENSB_INSC_IjEEEEPNS0_10empty_typeENS0_5tupleIJSE_SH_EEENSJ_IJSG_SI_EEENS0_18inequality_wrapperINS9_8equal_toIxEEEEPmJSH_EEE10hipError_tPvRmT3_T4_T5_T6_T7_T9_mT8_P12ihipStream_tbDpT10_ENKUlT_T0_E_clISt17integral_constantIbLb0EES19_IbLb1EEEEDaS15_S16_EUlS15_E_NS1_11comp_targetILNS1_3genE3ELNS1_11target_archE908ELNS1_3gpuE7ELNS1_3repE0EEENS1_30default_config_static_selectorELNS0_4arch9wavefront6targetE0EEEvT1_
                                        ; -- End function
	.section	.AMDGPU.csdata,"",@progbits
; Kernel info:
; codeLenInByte = 0
; NumSgprs: 0
; NumVgprs: 0
; ScratchSize: 0
; MemoryBound: 0
; FloatMode: 240
; IeeeMode: 1
; LDSByteSize: 0 bytes/workgroup (compile time only)
; SGPRBlocks: 0
; VGPRBlocks: 0
; NumSGPRsForWavesPerEU: 1
; NumVGPRsForWavesPerEU: 1
; Occupancy: 16
; WaveLimiterHint : 0
; COMPUTE_PGM_RSRC2:SCRATCH_EN: 0
; COMPUTE_PGM_RSRC2:USER_SGPR: 15
; COMPUTE_PGM_RSRC2:TRAP_HANDLER: 0
; COMPUTE_PGM_RSRC2:TGID_X_EN: 1
; COMPUTE_PGM_RSRC2:TGID_Y_EN: 0
; COMPUTE_PGM_RSRC2:TGID_Z_EN: 0
; COMPUTE_PGM_RSRC2:TIDIG_COMP_CNT: 0
	.section	.text._ZN7rocprim17ROCPRIM_400000_NS6detail17trampoline_kernelINS0_14default_configENS1_25partition_config_selectorILNS1_17partition_subalgoE9ExjbEEZZNS1_14partition_implILS5_9ELb0ES3_jN6thrust23THRUST_200600_302600_NS6detail15normal_iteratorINS9_10device_ptrIxEEEENSB_INSC_IjEEEEPNS0_10empty_typeENS0_5tupleIJSE_SH_EEENSJ_IJSG_SI_EEENS0_18inequality_wrapperINS9_8equal_toIxEEEEPmJSH_EEE10hipError_tPvRmT3_T4_T5_T6_T7_T9_mT8_P12ihipStream_tbDpT10_ENKUlT_T0_E_clISt17integral_constantIbLb0EES19_IbLb1EEEEDaS15_S16_EUlS15_E_NS1_11comp_targetILNS1_3genE2ELNS1_11target_archE906ELNS1_3gpuE6ELNS1_3repE0EEENS1_30default_config_static_selectorELNS0_4arch9wavefront6targetE0EEEvT1_,"axG",@progbits,_ZN7rocprim17ROCPRIM_400000_NS6detail17trampoline_kernelINS0_14default_configENS1_25partition_config_selectorILNS1_17partition_subalgoE9ExjbEEZZNS1_14partition_implILS5_9ELb0ES3_jN6thrust23THRUST_200600_302600_NS6detail15normal_iteratorINS9_10device_ptrIxEEEENSB_INSC_IjEEEEPNS0_10empty_typeENS0_5tupleIJSE_SH_EEENSJ_IJSG_SI_EEENS0_18inequality_wrapperINS9_8equal_toIxEEEEPmJSH_EEE10hipError_tPvRmT3_T4_T5_T6_T7_T9_mT8_P12ihipStream_tbDpT10_ENKUlT_T0_E_clISt17integral_constantIbLb0EES19_IbLb1EEEEDaS15_S16_EUlS15_E_NS1_11comp_targetILNS1_3genE2ELNS1_11target_archE906ELNS1_3gpuE6ELNS1_3repE0EEENS1_30default_config_static_selectorELNS0_4arch9wavefront6targetE0EEEvT1_,comdat
	.protected	_ZN7rocprim17ROCPRIM_400000_NS6detail17trampoline_kernelINS0_14default_configENS1_25partition_config_selectorILNS1_17partition_subalgoE9ExjbEEZZNS1_14partition_implILS5_9ELb0ES3_jN6thrust23THRUST_200600_302600_NS6detail15normal_iteratorINS9_10device_ptrIxEEEENSB_INSC_IjEEEEPNS0_10empty_typeENS0_5tupleIJSE_SH_EEENSJ_IJSG_SI_EEENS0_18inequality_wrapperINS9_8equal_toIxEEEEPmJSH_EEE10hipError_tPvRmT3_T4_T5_T6_T7_T9_mT8_P12ihipStream_tbDpT10_ENKUlT_T0_E_clISt17integral_constantIbLb0EES19_IbLb1EEEEDaS15_S16_EUlS15_E_NS1_11comp_targetILNS1_3genE2ELNS1_11target_archE906ELNS1_3gpuE6ELNS1_3repE0EEENS1_30default_config_static_selectorELNS0_4arch9wavefront6targetE0EEEvT1_ ; -- Begin function _ZN7rocprim17ROCPRIM_400000_NS6detail17trampoline_kernelINS0_14default_configENS1_25partition_config_selectorILNS1_17partition_subalgoE9ExjbEEZZNS1_14partition_implILS5_9ELb0ES3_jN6thrust23THRUST_200600_302600_NS6detail15normal_iteratorINS9_10device_ptrIxEEEENSB_INSC_IjEEEEPNS0_10empty_typeENS0_5tupleIJSE_SH_EEENSJ_IJSG_SI_EEENS0_18inequality_wrapperINS9_8equal_toIxEEEEPmJSH_EEE10hipError_tPvRmT3_T4_T5_T6_T7_T9_mT8_P12ihipStream_tbDpT10_ENKUlT_T0_E_clISt17integral_constantIbLb0EES19_IbLb1EEEEDaS15_S16_EUlS15_E_NS1_11comp_targetILNS1_3genE2ELNS1_11target_archE906ELNS1_3gpuE6ELNS1_3repE0EEENS1_30default_config_static_selectorELNS0_4arch9wavefront6targetE0EEEvT1_
	.globl	_ZN7rocprim17ROCPRIM_400000_NS6detail17trampoline_kernelINS0_14default_configENS1_25partition_config_selectorILNS1_17partition_subalgoE9ExjbEEZZNS1_14partition_implILS5_9ELb0ES3_jN6thrust23THRUST_200600_302600_NS6detail15normal_iteratorINS9_10device_ptrIxEEEENSB_INSC_IjEEEEPNS0_10empty_typeENS0_5tupleIJSE_SH_EEENSJ_IJSG_SI_EEENS0_18inequality_wrapperINS9_8equal_toIxEEEEPmJSH_EEE10hipError_tPvRmT3_T4_T5_T6_T7_T9_mT8_P12ihipStream_tbDpT10_ENKUlT_T0_E_clISt17integral_constantIbLb0EES19_IbLb1EEEEDaS15_S16_EUlS15_E_NS1_11comp_targetILNS1_3genE2ELNS1_11target_archE906ELNS1_3gpuE6ELNS1_3repE0EEENS1_30default_config_static_selectorELNS0_4arch9wavefront6targetE0EEEvT1_
	.p2align	8
	.type	_ZN7rocprim17ROCPRIM_400000_NS6detail17trampoline_kernelINS0_14default_configENS1_25partition_config_selectorILNS1_17partition_subalgoE9ExjbEEZZNS1_14partition_implILS5_9ELb0ES3_jN6thrust23THRUST_200600_302600_NS6detail15normal_iteratorINS9_10device_ptrIxEEEENSB_INSC_IjEEEEPNS0_10empty_typeENS0_5tupleIJSE_SH_EEENSJ_IJSG_SI_EEENS0_18inequality_wrapperINS9_8equal_toIxEEEEPmJSH_EEE10hipError_tPvRmT3_T4_T5_T6_T7_T9_mT8_P12ihipStream_tbDpT10_ENKUlT_T0_E_clISt17integral_constantIbLb0EES19_IbLb1EEEEDaS15_S16_EUlS15_E_NS1_11comp_targetILNS1_3genE2ELNS1_11target_archE906ELNS1_3gpuE6ELNS1_3repE0EEENS1_30default_config_static_selectorELNS0_4arch9wavefront6targetE0EEEvT1_,@function
_ZN7rocprim17ROCPRIM_400000_NS6detail17trampoline_kernelINS0_14default_configENS1_25partition_config_selectorILNS1_17partition_subalgoE9ExjbEEZZNS1_14partition_implILS5_9ELb0ES3_jN6thrust23THRUST_200600_302600_NS6detail15normal_iteratorINS9_10device_ptrIxEEEENSB_INSC_IjEEEEPNS0_10empty_typeENS0_5tupleIJSE_SH_EEENSJ_IJSG_SI_EEENS0_18inequality_wrapperINS9_8equal_toIxEEEEPmJSH_EEE10hipError_tPvRmT3_T4_T5_T6_T7_T9_mT8_P12ihipStream_tbDpT10_ENKUlT_T0_E_clISt17integral_constantIbLb0EES19_IbLb1EEEEDaS15_S16_EUlS15_E_NS1_11comp_targetILNS1_3genE2ELNS1_11target_archE906ELNS1_3gpuE6ELNS1_3repE0EEENS1_30default_config_static_selectorELNS0_4arch9wavefront6targetE0EEEvT1_: ; @_ZN7rocprim17ROCPRIM_400000_NS6detail17trampoline_kernelINS0_14default_configENS1_25partition_config_selectorILNS1_17partition_subalgoE9ExjbEEZZNS1_14partition_implILS5_9ELb0ES3_jN6thrust23THRUST_200600_302600_NS6detail15normal_iteratorINS9_10device_ptrIxEEEENSB_INSC_IjEEEEPNS0_10empty_typeENS0_5tupleIJSE_SH_EEENSJ_IJSG_SI_EEENS0_18inequality_wrapperINS9_8equal_toIxEEEEPmJSH_EEE10hipError_tPvRmT3_T4_T5_T6_T7_T9_mT8_P12ihipStream_tbDpT10_ENKUlT_T0_E_clISt17integral_constantIbLb0EES19_IbLb1EEEEDaS15_S16_EUlS15_E_NS1_11comp_targetILNS1_3genE2ELNS1_11target_archE906ELNS1_3gpuE6ELNS1_3repE0EEENS1_30default_config_static_selectorELNS0_4arch9wavefront6targetE0EEEvT1_
; %bb.0:
	.section	.rodata,"a",@progbits
	.p2align	6, 0x0
	.amdhsa_kernel _ZN7rocprim17ROCPRIM_400000_NS6detail17trampoline_kernelINS0_14default_configENS1_25partition_config_selectorILNS1_17partition_subalgoE9ExjbEEZZNS1_14partition_implILS5_9ELb0ES3_jN6thrust23THRUST_200600_302600_NS6detail15normal_iteratorINS9_10device_ptrIxEEEENSB_INSC_IjEEEEPNS0_10empty_typeENS0_5tupleIJSE_SH_EEENSJ_IJSG_SI_EEENS0_18inequality_wrapperINS9_8equal_toIxEEEEPmJSH_EEE10hipError_tPvRmT3_T4_T5_T6_T7_T9_mT8_P12ihipStream_tbDpT10_ENKUlT_T0_E_clISt17integral_constantIbLb0EES19_IbLb1EEEEDaS15_S16_EUlS15_E_NS1_11comp_targetILNS1_3genE2ELNS1_11target_archE906ELNS1_3gpuE6ELNS1_3repE0EEENS1_30default_config_static_selectorELNS0_4arch9wavefront6targetE0EEEvT1_
		.amdhsa_group_segment_fixed_size 0
		.amdhsa_private_segment_fixed_size 0
		.amdhsa_kernarg_size 128
		.amdhsa_user_sgpr_count 15
		.amdhsa_user_sgpr_dispatch_ptr 0
		.amdhsa_user_sgpr_queue_ptr 0
		.amdhsa_user_sgpr_kernarg_segment_ptr 1
		.amdhsa_user_sgpr_dispatch_id 0
		.amdhsa_user_sgpr_private_segment_size 0
		.amdhsa_wavefront_size32 1
		.amdhsa_uses_dynamic_stack 0
		.amdhsa_enable_private_segment 0
		.amdhsa_system_sgpr_workgroup_id_x 1
		.amdhsa_system_sgpr_workgroup_id_y 0
		.amdhsa_system_sgpr_workgroup_id_z 0
		.amdhsa_system_sgpr_workgroup_info 0
		.amdhsa_system_vgpr_workitem_id 0
		.amdhsa_next_free_vgpr 1
		.amdhsa_next_free_sgpr 1
		.amdhsa_reserve_vcc 0
		.amdhsa_float_round_mode_32 0
		.amdhsa_float_round_mode_16_64 0
		.amdhsa_float_denorm_mode_32 3
		.amdhsa_float_denorm_mode_16_64 3
		.amdhsa_dx10_clamp 1
		.amdhsa_ieee_mode 1
		.amdhsa_fp16_overflow 0
		.amdhsa_workgroup_processor_mode 1
		.amdhsa_memory_ordered 1
		.amdhsa_forward_progress 0
		.amdhsa_shared_vgpr_count 0
		.amdhsa_exception_fp_ieee_invalid_op 0
		.amdhsa_exception_fp_denorm_src 0
		.amdhsa_exception_fp_ieee_div_zero 0
		.amdhsa_exception_fp_ieee_overflow 0
		.amdhsa_exception_fp_ieee_underflow 0
		.amdhsa_exception_fp_ieee_inexact 0
		.amdhsa_exception_int_div_zero 0
	.end_amdhsa_kernel
	.section	.text._ZN7rocprim17ROCPRIM_400000_NS6detail17trampoline_kernelINS0_14default_configENS1_25partition_config_selectorILNS1_17partition_subalgoE9ExjbEEZZNS1_14partition_implILS5_9ELb0ES3_jN6thrust23THRUST_200600_302600_NS6detail15normal_iteratorINS9_10device_ptrIxEEEENSB_INSC_IjEEEEPNS0_10empty_typeENS0_5tupleIJSE_SH_EEENSJ_IJSG_SI_EEENS0_18inequality_wrapperINS9_8equal_toIxEEEEPmJSH_EEE10hipError_tPvRmT3_T4_T5_T6_T7_T9_mT8_P12ihipStream_tbDpT10_ENKUlT_T0_E_clISt17integral_constantIbLb0EES19_IbLb1EEEEDaS15_S16_EUlS15_E_NS1_11comp_targetILNS1_3genE2ELNS1_11target_archE906ELNS1_3gpuE6ELNS1_3repE0EEENS1_30default_config_static_selectorELNS0_4arch9wavefront6targetE0EEEvT1_,"axG",@progbits,_ZN7rocprim17ROCPRIM_400000_NS6detail17trampoline_kernelINS0_14default_configENS1_25partition_config_selectorILNS1_17partition_subalgoE9ExjbEEZZNS1_14partition_implILS5_9ELb0ES3_jN6thrust23THRUST_200600_302600_NS6detail15normal_iteratorINS9_10device_ptrIxEEEENSB_INSC_IjEEEEPNS0_10empty_typeENS0_5tupleIJSE_SH_EEENSJ_IJSG_SI_EEENS0_18inequality_wrapperINS9_8equal_toIxEEEEPmJSH_EEE10hipError_tPvRmT3_T4_T5_T6_T7_T9_mT8_P12ihipStream_tbDpT10_ENKUlT_T0_E_clISt17integral_constantIbLb0EES19_IbLb1EEEEDaS15_S16_EUlS15_E_NS1_11comp_targetILNS1_3genE2ELNS1_11target_archE906ELNS1_3gpuE6ELNS1_3repE0EEENS1_30default_config_static_selectorELNS0_4arch9wavefront6targetE0EEEvT1_,comdat
.Lfunc_end625:
	.size	_ZN7rocprim17ROCPRIM_400000_NS6detail17trampoline_kernelINS0_14default_configENS1_25partition_config_selectorILNS1_17partition_subalgoE9ExjbEEZZNS1_14partition_implILS5_9ELb0ES3_jN6thrust23THRUST_200600_302600_NS6detail15normal_iteratorINS9_10device_ptrIxEEEENSB_INSC_IjEEEEPNS0_10empty_typeENS0_5tupleIJSE_SH_EEENSJ_IJSG_SI_EEENS0_18inequality_wrapperINS9_8equal_toIxEEEEPmJSH_EEE10hipError_tPvRmT3_T4_T5_T6_T7_T9_mT8_P12ihipStream_tbDpT10_ENKUlT_T0_E_clISt17integral_constantIbLb0EES19_IbLb1EEEEDaS15_S16_EUlS15_E_NS1_11comp_targetILNS1_3genE2ELNS1_11target_archE906ELNS1_3gpuE6ELNS1_3repE0EEENS1_30default_config_static_selectorELNS0_4arch9wavefront6targetE0EEEvT1_, .Lfunc_end625-_ZN7rocprim17ROCPRIM_400000_NS6detail17trampoline_kernelINS0_14default_configENS1_25partition_config_selectorILNS1_17partition_subalgoE9ExjbEEZZNS1_14partition_implILS5_9ELb0ES3_jN6thrust23THRUST_200600_302600_NS6detail15normal_iteratorINS9_10device_ptrIxEEEENSB_INSC_IjEEEEPNS0_10empty_typeENS0_5tupleIJSE_SH_EEENSJ_IJSG_SI_EEENS0_18inequality_wrapperINS9_8equal_toIxEEEEPmJSH_EEE10hipError_tPvRmT3_T4_T5_T6_T7_T9_mT8_P12ihipStream_tbDpT10_ENKUlT_T0_E_clISt17integral_constantIbLb0EES19_IbLb1EEEEDaS15_S16_EUlS15_E_NS1_11comp_targetILNS1_3genE2ELNS1_11target_archE906ELNS1_3gpuE6ELNS1_3repE0EEENS1_30default_config_static_selectorELNS0_4arch9wavefront6targetE0EEEvT1_
                                        ; -- End function
	.section	.AMDGPU.csdata,"",@progbits
; Kernel info:
; codeLenInByte = 0
; NumSgprs: 0
; NumVgprs: 0
; ScratchSize: 0
; MemoryBound: 0
; FloatMode: 240
; IeeeMode: 1
; LDSByteSize: 0 bytes/workgroup (compile time only)
; SGPRBlocks: 0
; VGPRBlocks: 0
; NumSGPRsForWavesPerEU: 1
; NumVGPRsForWavesPerEU: 1
; Occupancy: 16
; WaveLimiterHint : 0
; COMPUTE_PGM_RSRC2:SCRATCH_EN: 0
; COMPUTE_PGM_RSRC2:USER_SGPR: 15
; COMPUTE_PGM_RSRC2:TRAP_HANDLER: 0
; COMPUTE_PGM_RSRC2:TGID_X_EN: 1
; COMPUTE_PGM_RSRC2:TGID_Y_EN: 0
; COMPUTE_PGM_RSRC2:TGID_Z_EN: 0
; COMPUTE_PGM_RSRC2:TIDIG_COMP_CNT: 0
	.section	.text._ZN7rocprim17ROCPRIM_400000_NS6detail17trampoline_kernelINS0_14default_configENS1_25partition_config_selectorILNS1_17partition_subalgoE9ExjbEEZZNS1_14partition_implILS5_9ELb0ES3_jN6thrust23THRUST_200600_302600_NS6detail15normal_iteratorINS9_10device_ptrIxEEEENSB_INSC_IjEEEEPNS0_10empty_typeENS0_5tupleIJSE_SH_EEENSJ_IJSG_SI_EEENS0_18inequality_wrapperINS9_8equal_toIxEEEEPmJSH_EEE10hipError_tPvRmT3_T4_T5_T6_T7_T9_mT8_P12ihipStream_tbDpT10_ENKUlT_T0_E_clISt17integral_constantIbLb0EES19_IbLb1EEEEDaS15_S16_EUlS15_E_NS1_11comp_targetILNS1_3genE10ELNS1_11target_archE1200ELNS1_3gpuE4ELNS1_3repE0EEENS1_30default_config_static_selectorELNS0_4arch9wavefront6targetE0EEEvT1_,"axG",@progbits,_ZN7rocprim17ROCPRIM_400000_NS6detail17trampoline_kernelINS0_14default_configENS1_25partition_config_selectorILNS1_17partition_subalgoE9ExjbEEZZNS1_14partition_implILS5_9ELb0ES3_jN6thrust23THRUST_200600_302600_NS6detail15normal_iteratorINS9_10device_ptrIxEEEENSB_INSC_IjEEEEPNS0_10empty_typeENS0_5tupleIJSE_SH_EEENSJ_IJSG_SI_EEENS0_18inequality_wrapperINS9_8equal_toIxEEEEPmJSH_EEE10hipError_tPvRmT3_T4_T5_T6_T7_T9_mT8_P12ihipStream_tbDpT10_ENKUlT_T0_E_clISt17integral_constantIbLb0EES19_IbLb1EEEEDaS15_S16_EUlS15_E_NS1_11comp_targetILNS1_3genE10ELNS1_11target_archE1200ELNS1_3gpuE4ELNS1_3repE0EEENS1_30default_config_static_selectorELNS0_4arch9wavefront6targetE0EEEvT1_,comdat
	.protected	_ZN7rocprim17ROCPRIM_400000_NS6detail17trampoline_kernelINS0_14default_configENS1_25partition_config_selectorILNS1_17partition_subalgoE9ExjbEEZZNS1_14partition_implILS5_9ELb0ES3_jN6thrust23THRUST_200600_302600_NS6detail15normal_iteratorINS9_10device_ptrIxEEEENSB_INSC_IjEEEEPNS0_10empty_typeENS0_5tupleIJSE_SH_EEENSJ_IJSG_SI_EEENS0_18inequality_wrapperINS9_8equal_toIxEEEEPmJSH_EEE10hipError_tPvRmT3_T4_T5_T6_T7_T9_mT8_P12ihipStream_tbDpT10_ENKUlT_T0_E_clISt17integral_constantIbLb0EES19_IbLb1EEEEDaS15_S16_EUlS15_E_NS1_11comp_targetILNS1_3genE10ELNS1_11target_archE1200ELNS1_3gpuE4ELNS1_3repE0EEENS1_30default_config_static_selectorELNS0_4arch9wavefront6targetE0EEEvT1_ ; -- Begin function _ZN7rocprim17ROCPRIM_400000_NS6detail17trampoline_kernelINS0_14default_configENS1_25partition_config_selectorILNS1_17partition_subalgoE9ExjbEEZZNS1_14partition_implILS5_9ELb0ES3_jN6thrust23THRUST_200600_302600_NS6detail15normal_iteratorINS9_10device_ptrIxEEEENSB_INSC_IjEEEEPNS0_10empty_typeENS0_5tupleIJSE_SH_EEENSJ_IJSG_SI_EEENS0_18inequality_wrapperINS9_8equal_toIxEEEEPmJSH_EEE10hipError_tPvRmT3_T4_T5_T6_T7_T9_mT8_P12ihipStream_tbDpT10_ENKUlT_T0_E_clISt17integral_constantIbLb0EES19_IbLb1EEEEDaS15_S16_EUlS15_E_NS1_11comp_targetILNS1_3genE10ELNS1_11target_archE1200ELNS1_3gpuE4ELNS1_3repE0EEENS1_30default_config_static_selectorELNS0_4arch9wavefront6targetE0EEEvT1_
	.globl	_ZN7rocprim17ROCPRIM_400000_NS6detail17trampoline_kernelINS0_14default_configENS1_25partition_config_selectorILNS1_17partition_subalgoE9ExjbEEZZNS1_14partition_implILS5_9ELb0ES3_jN6thrust23THRUST_200600_302600_NS6detail15normal_iteratorINS9_10device_ptrIxEEEENSB_INSC_IjEEEEPNS0_10empty_typeENS0_5tupleIJSE_SH_EEENSJ_IJSG_SI_EEENS0_18inequality_wrapperINS9_8equal_toIxEEEEPmJSH_EEE10hipError_tPvRmT3_T4_T5_T6_T7_T9_mT8_P12ihipStream_tbDpT10_ENKUlT_T0_E_clISt17integral_constantIbLb0EES19_IbLb1EEEEDaS15_S16_EUlS15_E_NS1_11comp_targetILNS1_3genE10ELNS1_11target_archE1200ELNS1_3gpuE4ELNS1_3repE0EEENS1_30default_config_static_selectorELNS0_4arch9wavefront6targetE0EEEvT1_
	.p2align	8
	.type	_ZN7rocprim17ROCPRIM_400000_NS6detail17trampoline_kernelINS0_14default_configENS1_25partition_config_selectorILNS1_17partition_subalgoE9ExjbEEZZNS1_14partition_implILS5_9ELb0ES3_jN6thrust23THRUST_200600_302600_NS6detail15normal_iteratorINS9_10device_ptrIxEEEENSB_INSC_IjEEEEPNS0_10empty_typeENS0_5tupleIJSE_SH_EEENSJ_IJSG_SI_EEENS0_18inequality_wrapperINS9_8equal_toIxEEEEPmJSH_EEE10hipError_tPvRmT3_T4_T5_T6_T7_T9_mT8_P12ihipStream_tbDpT10_ENKUlT_T0_E_clISt17integral_constantIbLb0EES19_IbLb1EEEEDaS15_S16_EUlS15_E_NS1_11comp_targetILNS1_3genE10ELNS1_11target_archE1200ELNS1_3gpuE4ELNS1_3repE0EEENS1_30default_config_static_selectorELNS0_4arch9wavefront6targetE0EEEvT1_,@function
_ZN7rocprim17ROCPRIM_400000_NS6detail17trampoline_kernelINS0_14default_configENS1_25partition_config_selectorILNS1_17partition_subalgoE9ExjbEEZZNS1_14partition_implILS5_9ELb0ES3_jN6thrust23THRUST_200600_302600_NS6detail15normal_iteratorINS9_10device_ptrIxEEEENSB_INSC_IjEEEEPNS0_10empty_typeENS0_5tupleIJSE_SH_EEENSJ_IJSG_SI_EEENS0_18inequality_wrapperINS9_8equal_toIxEEEEPmJSH_EEE10hipError_tPvRmT3_T4_T5_T6_T7_T9_mT8_P12ihipStream_tbDpT10_ENKUlT_T0_E_clISt17integral_constantIbLb0EES19_IbLb1EEEEDaS15_S16_EUlS15_E_NS1_11comp_targetILNS1_3genE10ELNS1_11target_archE1200ELNS1_3gpuE4ELNS1_3repE0EEENS1_30default_config_static_selectorELNS0_4arch9wavefront6targetE0EEEvT1_: ; @_ZN7rocprim17ROCPRIM_400000_NS6detail17trampoline_kernelINS0_14default_configENS1_25partition_config_selectorILNS1_17partition_subalgoE9ExjbEEZZNS1_14partition_implILS5_9ELb0ES3_jN6thrust23THRUST_200600_302600_NS6detail15normal_iteratorINS9_10device_ptrIxEEEENSB_INSC_IjEEEEPNS0_10empty_typeENS0_5tupleIJSE_SH_EEENSJ_IJSG_SI_EEENS0_18inequality_wrapperINS9_8equal_toIxEEEEPmJSH_EEE10hipError_tPvRmT3_T4_T5_T6_T7_T9_mT8_P12ihipStream_tbDpT10_ENKUlT_T0_E_clISt17integral_constantIbLb0EES19_IbLb1EEEEDaS15_S16_EUlS15_E_NS1_11comp_targetILNS1_3genE10ELNS1_11target_archE1200ELNS1_3gpuE4ELNS1_3repE0EEENS1_30default_config_static_selectorELNS0_4arch9wavefront6targetE0EEEvT1_
; %bb.0:
	.section	.rodata,"a",@progbits
	.p2align	6, 0x0
	.amdhsa_kernel _ZN7rocprim17ROCPRIM_400000_NS6detail17trampoline_kernelINS0_14default_configENS1_25partition_config_selectorILNS1_17partition_subalgoE9ExjbEEZZNS1_14partition_implILS5_9ELb0ES3_jN6thrust23THRUST_200600_302600_NS6detail15normal_iteratorINS9_10device_ptrIxEEEENSB_INSC_IjEEEEPNS0_10empty_typeENS0_5tupleIJSE_SH_EEENSJ_IJSG_SI_EEENS0_18inequality_wrapperINS9_8equal_toIxEEEEPmJSH_EEE10hipError_tPvRmT3_T4_T5_T6_T7_T9_mT8_P12ihipStream_tbDpT10_ENKUlT_T0_E_clISt17integral_constantIbLb0EES19_IbLb1EEEEDaS15_S16_EUlS15_E_NS1_11comp_targetILNS1_3genE10ELNS1_11target_archE1200ELNS1_3gpuE4ELNS1_3repE0EEENS1_30default_config_static_selectorELNS0_4arch9wavefront6targetE0EEEvT1_
		.amdhsa_group_segment_fixed_size 0
		.amdhsa_private_segment_fixed_size 0
		.amdhsa_kernarg_size 128
		.amdhsa_user_sgpr_count 15
		.amdhsa_user_sgpr_dispatch_ptr 0
		.amdhsa_user_sgpr_queue_ptr 0
		.amdhsa_user_sgpr_kernarg_segment_ptr 1
		.amdhsa_user_sgpr_dispatch_id 0
		.amdhsa_user_sgpr_private_segment_size 0
		.amdhsa_wavefront_size32 1
		.amdhsa_uses_dynamic_stack 0
		.amdhsa_enable_private_segment 0
		.amdhsa_system_sgpr_workgroup_id_x 1
		.amdhsa_system_sgpr_workgroup_id_y 0
		.amdhsa_system_sgpr_workgroup_id_z 0
		.amdhsa_system_sgpr_workgroup_info 0
		.amdhsa_system_vgpr_workitem_id 0
		.amdhsa_next_free_vgpr 1
		.amdhsa_next_free_sgpr 1
		.amdhsa_reserve_vcc 0
		.amdhsa_float_round_mode_32 0
		.amdhsa_float_round_mode_16_64 0
		.amdhsa_float_denorm_mode_32 3
		.amdhsa_float_denorm_mode_16_64 3
		.amdhsa_dx10_clamp 1
		.amdhsa_ieee_mode 1
		.amdhsa_fp16_overflow 0
		.amdhsa_workgroup_processor_mode 1
		.amdhsa_memory_ordered 1
		.amdhsa_forward_progress 0
		.amdhsa_shared_vgpr_count 0
		.amdhsa_exception_fp_ieee_invalid_op 0
		.amdhsa_exception_fp_denorm_src 0
		.amdhsa_exception_fp_ieee_div_zero 0
		.amdhsa_exception_fp_ieee_overflow 0
		.amdhsa_exception_fp_ieee_underflow 0
		.amdhsa_exception_fp_ieee_inexact 0
		.amdhsa_exception_int_div_zero 0
	.end_amdhsa_kernel
	.section	.text._ZN7rocprim17ROCPRIM_400000_NS6detail17trampoline_kernelINS0_14default_configENS1_25partition_config_selectorILNS1_17partition_subalgoE9ExjbEEZZNS1_14partition_implILS5_9ELb0ES3_jN6thrust23THRUST_200600_302600_NS6detail15normal_iteratorINS9_10device_ptrIxEEEENSB_INSC_IjEEEEPNS0_10empty_typeENS0_5tupleIJSE_SH_EEENSJ_IJSG_SI_EEENS0_18inequality_wrapperINS9_8equal_toIxEEEEPmJSH_EEE10hipError_tPvRmT3_T4_T5_T6_T7_T9_mT8_P12ihipStream_tbDpT10_ENKUlT_T0_E_clISt17integral_constantIbLb0EES19_IbLb1EEEEDaS15_S16_EUlS15_E_NS1_11comp_targetILNS1_3genE10ELNS1_11target_archE1200ELNS1_3gpuE4ELNS1_3repE0EEENS1_30default_config_static_selectorELNS0_4arch9wavefront6targetE0EEEvT1_,"axG",@progbits,_ZN7rocprim17ROCPRIM_400000_NS6detail17trampoline_kernelINS0_14default_configENS1_25partition_config_selectorILNS1_17partition_subalgoE9ExjbEEZZNS1_14partition_implILS5_9ELb0ES3_jN6thrust23THRUST_200600_302600_NS6detail15normal_iteratorINS9_10device_ptrIxEEEENSB_INSC_IjEEEEPNS0_10empty_typeENS0_5tupleIJSE_SH_EEENSJ_IJSG_SI_EEENS0_18inequality_wrapperINS9_8equal_toIxEEEEPmJSH_EEE10hipError_tPvRmT3_T4_T5_T6_T7_T9_mT8_P12ihipStream_tbDpT10_ENKUlT_T0_E_clISt17integral_constantIbLb0EES19_IbLb1EEEEDaS15_S16_EUlS15_E_NS1_11comp_targetILNS1_3genE10ELNS1_11target_archE1200ELNS1_3gpuE4ELNS1_3repE0EEENS1_30default_config_static_selectorELNS0_4arch9wavefront6targetE0EEEvT1_,comdat
.Lfunc_end626:
	.size	_ZN7rocprim17ROCPRIM_400000_NS6detail17trampoline_kernelINS0_14default_configENS1_25partition_config_selectorILNS1_17partition_subalgoE9ExjbEEZZNS1_14partition_implILS5_9ELb0ES3_jN6thrust23THRUST_200600_302600_NS6detail15normal_iteratorINS9_10device_ptrIxEEEENSB_INSC_IjEEEEPNS0_10empty_typeENS0_5tupleIJSE_SH_EEENSJ_IJSG_SI_EEENS0_18inequality_wrapperINS9_8equal_toIxEEEEPmJSH_EEE10hipError_tPvRmT3_T4_T5_T6_T7_T9_mT8_P12ihipStream_tbDpT10_ENKUlT_T0_E_clISt17integral_constantIbLb0EES19_IbLb1EEEEDaS15_S16_EUlS15_E_NS1_11comp_targetILNS1_3genE10ELNS1_11target_archE1200ELNS1_3gpuE4ELNS1_3repE0EEENS1_30default_config_static_selectorELNS0_4arch9wavefront6targetE0EEEvT1_, .Lfunc_end626-_ZN7rocprim17ROCPRIM_400000_NS6detail17trampoline_kernelINS0_14default_configENS1_25partition_config_selectorILNS1_17partition_subalgoE9ExjbEEZZNS1_14partition_implILS5_9ELb0ES3_jN6thrust23THRUST_200600_302600_NS6detail15normal_iteratorINS9_10device_ptrIxEEEENSB_INSC_IjEEEEPNS0_10empty_typeENS0_5tupleIJSE_SH_EEENSJ_IJSG_SI_EEENS0_18inequality_wrapperINS9_8equal_toIxEEEEPmJSH_EEE10hipError_tPvRmT3_T4_T5_T6_T7_T9_mT8_P12ihipStream_tbDpT10_ENKUlT_T0_E_clISt17integral_constantIbLb0EES19_IbLb1EEEEDaS15_S16_EUlS15_E_NS1_11comp_targetILNS1_3genE10ELNS1_11target_archE1200ELNS1_3gpuE4ELNS1_3repE0EEENS1_30default_config_static_selectorELNS0_4arch9wavefront6targetE0EEEvT1_
                                        ; -- End function
	.section	.AMDGPU.csdata,"",@progbits
; Kernel info:
; codeLenInByte = 0
; NumSgprs: 0
; NumVgprs: 0
; ScratchSize: 0
; MemoryBound: 0
; FloatMode: 240
; IeeeMode: 1
; LDSByteSize: 0 bytes/workgroup (compile time only)
; SGPRBlocks: 0
; VGPRBlocks: 0
; NumSGPRsForWavesPerEU: 1
; NumVGPRsForWavesPerEU: 1
; Occupancy: 15
; WaveLimiterHint : 0
; COMPUTE_PGM_RSRC2:SCRATCH_EN: 0
; COMPUTE_PGM_RSRC2:USER_SGPR: 15
; COMPUTE_PGM_RSRC2:TRAP_HANDLER: 0
; COMPUTE_PGM_RSRC2:TGID_X_EN: 1
; COMPUTE_PGM_RSRC2:TGID_Y_EN: 0
; COMPUTE_PGM_RSRC2:TGID_Z_EN: 0
; COMPUTE_PGM_RSRC2:TIDIG_COMP_CNT: 0
	.section	.text._ZN7rocprim17ROCPRIM_400000_NS6detail17trampoline_kernelINS0_14default_configENS1_25partition_config_selectorILNS1_17partition_subalgoE9ExjbEEZZNS1_14partition_implILS5_9ELb0ES3_jN6thrust23THRUST_200600_302600_NS6detail15normal_iteratorINS9_10device_ptrIxEEEENSB_INSC_IjEEEEPNS0_10empty_typeENS0_5tupleIJSE_SH_EEENSJ_IJSG_SI_EEENS0_18inequality_wrapperINS9_8equal_toIxEEEEPmJSH_EEE10hipError_tPvRmT3_T4_T5_T6_T7_T9_mT8_P12ihipStream_tbDpT10_ENKUlT_T0_E_clISt17integral_constantIbLb0EES19_IbLb1EEEEDaS15_S16_EUlS15_E_NS1_11comp_targetILNS1_3genE9ELNS1_11target_archE1100ELNS1_3gpuE3ELNS1_3repE0EEENS1_30default_config_static_selectorELNS0_4arch9wavefront6targetE0EEEvT1_,"axG",@progbits,_ZN7rocprim17ROCPRIM_400000_NS6detail17trampoline_kernelINS0_14default_configENS1_25partition_config_selectorILNS1_17partition_subalgoE9ExjbEEZZNS1_14partition_implILS5_9ELb0ES3_jN6thrust23THRUST_200600_302600_NS6detail15normal_iteratorINS9_10device_ptrIxEEEENSB_INSC_IjEEEEPNS0_10empty_typeENS0_5tupleIJSE_SH_EEENSJ_IJSG_SI_EEENS0_18inequality_wrapperINS9_8equal_toIxEEEEPmJSH_EEE10hipError_tPvRmT3_T4_T5_T6_T7_T9_mT8_P12ihipStream_tbDpT10_ENKUlT_T0_E_clISt17integral_constantIbLb0EES19_IbLb1EEEEDaS15_S16_EUlS15_E_NS1_11comp_targetILNS1_3genE9ELNS1_11target_archE1100ELNS1_3gpuE3ELNS1_3repE0EEENS1_30default_config_static_selectorELNS0_4arch9wavefront6targetE0EEEvT1_,comdat
	.protected	_ZN7rocprim17ROCPRIM_400000_NS6detail17trampoline_kernelINS0_14default_configENS1_25partition_config_selectorILNS1_17partition_subalgoE9ExjbEEZZNS1_14partition_implILS5_9ELb0ES3_jN6thrust23THRUST_200600_302600_NS6detail15normal_iteratorINS9_10device_ptrIxEEEENSB_INSC_IjEEEEPNS0_10empty_typeENS0_5tupleIJSE_SH_EEENSJ_IJSG_SI_EEENS0_18inequality_wrapperINS9_8equal_toIxEEEEPmJSH_EEE10hipError_tPvRmT3_T4_T5_T6_T7_T9_mT8_P12ihipStream_tbDpT10_ENKUlT_T0_E_clISt17integral_constantIbLb0EES19_IbLb1EEEEDaS15_S16_EUlS15_E_NS1_11comp_targetILNS1_3genE9ELNS1_11target_archE1100ELNS1_3gpuE3ELNS1_3repE0EEENS1_30default_config_static_selectorELNS0_4arch9wavefront6targetE0EEEvT1_ ; -- Begin function _ZN7rocprim17ROCPRIM_400000_NS6detail17trampoline_kernelINS0_14default_configENS1_25partition_config_selectorILNS1_17partition_subalgoE9ExjbEEZZNS1_14partition_implILS5_9ELb0ES3_jN6thrust23THRUST_200600_302600_NS6detail15normal_iteratorINS9_10device_ptrIxEEEENSB_INSC_IjEEEEPNS0_10empty_typeENS0_5tupleIJSE_SH_EEENSJ_IJSG_SI_EEENS0_18inequality_wrapperINS9_8equal_toIxEEEEPmJSH_EEE10hipError_tPvRmT3_T4_T5_T6_T7_T9_mT8_P12ihipStream_tbDpT10_ENKUlT_T0_E_clISt17integral_constantIbLb0EES19_IbLb1EEEEDaS15_S16_EUlS15_E_NS1_11comp_targetILNS1_3genE9ELNS1_11target_archE1100ELNS1_3gpuE3ELNS1_3repE0EEENS1_30default_config_static_selectorELNS0_4arch9wavefront6targetE0EEEvT1_
	.globl	_ZN7rocprim17ROCPRIM_400000_NS6detail17trampoline_kernelINS0_14default_configENS1_25partition_config_selectorILNS1_17partition_subalgoE9ExjbEEZZNS1_14partition_implILS5_9ELb0ES3_jN6thrust23THRUST_200600_302600_NS6detail15normal_iteratorINS9_10device_ptrIxEEEENSB_INSC_IjEEEEPNS0_10empty_typeENS0_5tupleIJSE_SH_EEENSJ_IJSG_SI_EEENS0_18inequality_wrapperINS9_8equal_toIxEEEEPmJSH_EEE10hipError_tPvRmT3_T4_T5_T6_T7_T9_mT8_P12ihipStream_tbDpT10_ENKUlT_T0_E_clISt17integral_constantIbLb0EES19_IbLb1EEEEDaS15_S16_EUlS15_E_NS1_11comp_targetILNS1_3genE9ELNS1_11target_archE1100ELNS1_3gpuE3ELNS1_3repE0EEENS1_30default_config_static_selectorELNS0_4arch9wavefront6targetE0EEEvT1_
	.p2align	8
	.type	_ZN7rocprim17ROCPRIM_400000_NS6detail17trampoline_kernelINS0_14default_configENS1_25partition_config_selectorILNS1_17partition_subalgoE9ExjbEEZZNS1_14partition_implILS5_9ELb0ES3_jN6thrust23THRUST_200600_302600_NS6detail15normal_iteratorINS9_10device_ptrIxEEEENSB_INSC_IjEEEEPNS0_10empty_typeENS0_5tupleIJSE_SH_EEENSJ_IJSG_SI_EEENS0_18inequality_wrapperINS9_8equal_toIxEEEEPmJSH_EEE10hipError_tPvRmT3_T4_T5_T6_T7_T9_mT8_P12ihipStream_tbDpT10_ENKUlT_T0_E_clISt17integral_constantIbLb0EES19_IbLb1EEEEDaS15_S16_EUlS15_E_NS1_11comp_targetILNS1_3genE9ELNS1_11target_archE1100ELNS1_3gpuE3ELNS1_3repE0EEENS1_30default_config_static_selectorELNS0_4arch9wavefront6targetE0EEEvT1_,@function
_ZN7rocprim17ROCPRIM_400000_NS6detail17trampoline_kernelINS0_14default_configENS1_25partition_config_selectorILNS1_17partition_subalgoE9ExjbEEZZNS1_14partition_implILS5_9ELb0ES3_jN6thrust23THRUST_200600_302600_NS6detail15normal_iteratorINS9_10device_ptrIxEEEENSB_INSC_IjEEEEPNS0_10empty_typeENS0_5tupleIJSE_SH_EEENSJ_IJSG_SI_EEENS0_18inequality_wrapperINS9_8equal_toIxEEEEPmJSH_EEE10hipError_tPvRmT3_T4_T5_T6_T7_T9_mT8_P12ihipStream_tbDpT10_ENKUlT_T0_E_clISt17integral_constantIbLb0EES19_IbLb1EEEEDaS15_S16_EUlS15_E_NS1_11comp_targetILNS1_3genE9ELNS1_11target_archE1100ELNS1_3gpuE3ELNS1_3repE0EEENS1_30default_config_static_selectorELNS0_4arch9wavefront6targetE0EEEvT1_: ; @_ZN7rocprim17ROCPRIM_400000_NS6detail17trampoline_kernelINS0_14default_configENS1_25partition_config_selectorILNS1_17partition_subalgoE9ExjbEEZZNS1_14partition_implILS5_9ELb0ES3_jN6thrust23THRUST_200600_302600_NS6detail15normal_iteratorINS9_10device_ptrIxEEEENSB_INSC_IjEEEEPNS0_10empty_typeENS0_5tupleIJSE_SH_EEENSJ_IJSG_SI_EEENS0_18inequality_wrapperINS9_8equal_toIxEEEEPmJSH_EEE10hipError_tPvRmT3_T4_T5_T6_T7_T9_mT8_P12ihipStream_tbDpT10_ENKUlT_T0_E_clISt17integral_constantIbLb0EES19_IbLb1EEEEDaS15_S16_EUlS15_E_NS1_11comp_targetILNS1_3genE9ELNS1_11target_archE1100ELNS1_3gpuE3ELNS1_3repE0EEENS1_30default_config_static_selectorELNS0_4arch9wavefront6targetE0EEEvT1_
; %bb.0:
	s_clause 0x4
	s_load_b128 s[4:7], s[0:1], 0x8
	s_load_b64 s[8:9], s[0:1], 0x18
	s_load_b128 s[12:15], s[0:1], 0x40
	s_load_b64 s[10:11], s[0:1], 0x50
	s_load_b64 s[20:21], s[0:1], 0x60
	v_cmp_ne_u32_e64 s3, 0, v0
	v_cmp_eq_u32_e64 s2, 0, v0
	s_delay_alu instid0(VALU_DEP_1)
	s_and_saveexec_b32 s16, s2
	s_cbranch_execz .LBB627_4
; %bb.1:
	s_mov_b32 s18, exec_lo
	s_mov_b32 s17, exec_lo
	v_mbcnt_lo_u32_b32 v1, s18, 0
                                        ; implicit-def: $vgpr2
	s_delay_alu instid0(VALU_DEP_1)
	v_cmpx_eq_u32_e32 0, v1
	s_cbranch_execz .LBB627_3
; %bb.2:
	s_load_b64 s[22:23], s[0:1], 0x70
	s_bcnt1_i32_b32 s18, s18
	s_delay_alu instid0(SALU_CYCLE_1)
	v_dual_mov_b32 v2, 0 :: v_dual_mov_b32 v3, s18
	s_waitcnt lgkmcnt(0)
	global_atomic_add_u32 v2, v2, v3, s[22:23] glc
.LBB627_3:
	s_or_b32 exec_lo, exec_lo, s17
	s_waitcnt vmcnt(0)
	v_readfirstlane_b32 s17, v2
	s_delay_alu instid0(VALU_DEP_1)
	v_dual_mov_b32 v2, 0 :: v_dual_add_nc_u32 v1, s17, v1
	ds_store_b32 v2, v1
.LBB627_4:
	s_or_b32 exec_lo, exec_lo, s16
	v_mov_b32_e32 v1, 0
	s_clause 0x1
	s_load_b128 s[16:19], s[0:1], 0x28
	s_load_b32 s0, s[0:1], 0x68
	s_waitcnt lgkmcnt(0)
	s_barrier
	buffer_gl0_inv
	ds_load_b32 v3, v1
	s_waitcnt lgkmcnt(0)
	s_barrier
	buffer_gl0_inv
	global_load_b64 v[1:2], v1, s[14:15]
	s_lshl_b64 s[22:23], s[6:7], 3
	s_mov_b32 s15, 0
	s_add_u32 s4, s4, s22
	s_addc_u32 s5, s5, s23
	v_lshlrev_b32_e32 v47, 3, v0
	v_lshrrev_b32_e32 v24, 2, v0
	v_or_b32_e32 v23, 0x200, v0
	v_or_b32_e32 v21, 0x400, v0
	;; [unrolled: 1-line block ×5, first 2 shown]
	s_add_i32 s22, s0, -1
	s_lshl_b32 s0, s0, 12
	s_lshl_b32 s1, s22, 12
	v_or_b32_e32 v17, 0xc00, v0
	v_readfirstlane_b32 s24, v3
	s_add_i32 s1, s6, s1
	v_or_b32_e32 v19, 0xe00, v0
	s_sub_i32 s25, s10, s1
	s_delay_alu instid0(VALU_DEP_2)
	s_lshl_b32 s14, s24, 12
	s_add_u32 s0, s6, s0
	s_addc_u32 s1, s7, 0
	s_cmp_eq_u32 s24, s22
	v_cmp_ge_u64_e64 s0, s[0:1], s[10:11]
	s_cselect_b32 s22, -1, 0
	s_delay_alu instid0(VALU_DEP_1) | instid1(SALU_CYCLE_1)
	s_and_b32 s26, s0, s22
	s_lshl_b64 s[0:1], s[14:15], 3
	s_xor_b32 s23, s26, -1
	s_add_u32 s4, s4, s0
	s_addc_u32 s1, s5, s1
	s_and_b32 vcc_lo, exec_lo, s23
	s_mov_b32 s5, -1
	s_waitcnt vmcnt(0)
	v_readfirstlane_b32 s10, v1
	v_readfirstlane_b32 s11, v2
	s_cbranch_vccz .LBB627_6
; %bb.5:
	v_add_co_u32 v1, s0, s4, v47
	s_delay_alu instid0(VALU_DEP_1) | instskip(SKIP_1) | instid1(VALU_DEP_3)
	v_add_co_ci_u32_e64 v2, null, s1, 0, s0
	v_lshrrev_b32_e32 v26, 2, v23
	v_add_co_u32 v3, vcc_lo, 0x1000, v1
	s_delay_alu instid0(VALU_DEP_3)
	v_add_co_ci_u32_e32 v4, vcc_lo, 0, v2, vcc_lo
	v_add_co_u32 v5, vcc_lo, 0x2000, v1
	v_add_co_ci_u32_e32 v6, vcc_lo, 0, v2, vcc_lo
	v_add_co_u32 v7, vcc_lo, 0x3000, v1
	;; [unrolled: 2-line block ×6, first 2 shown]
	v_add_co_ci_u32_e32 v16, vcc_lo, 0, v2, vcc_lo
	s_clause 0x7
	flat_load_b64 v[1:2], v[1:2]
	flat_load_b64 v[3:4], v[3:4]
	;; [unrolled: 1-line block ×8, first 2 shown]
	v_lshrrev_b32_e32 v27, 2, v21
	v_lshrrev_b32_e32 v28, 2, v22
	;; [unrolled: 1-line block ×3, first 2 shown]
	v_and_b32_e32 v25, 0x78, v24
	v_lshrrev_b32_e32 v30, 2, v18
	v_lshrrev_b32_e32 v31, 2, v17
	;; [unrolled: 1-line block ×3, first 2 shown]
	v_and_b32_e32 v26, 0xf8, v26
	v_and_b32_e32 v27, 0x178, v27
	;; [unrolled: 1-line block ×4, first 2 shown]
	v_add_nc_u32_e32 v25, v25, v47
	v_and_b32_e32 v30, 0x2f8, v30
	v_and_b32_e32 v31, 0x378, v31
	;; [unrolled: 1-line block ×3, first 2 shown]
	v_add_nc_u32_e32 v26, v26, v47
	v_add_nc_u32_e32 v27, v27, v47
	;; [unrolled: 1-line block ×4, first 2 shown]
	s_mov_b32 s5, s15
	v_add_nc_u32_e32 v30, v30, v47
	v_add_nc_u32_e32 v31, v31, v47
	;; [unrolled: 1-line block ×3, first 2 shown]
	s_waitcnt vmcnt(7) lgkmcnt(7)
	ds_store_b64 v25, v[1:2]
	s_waitcnt vmcnt(6) lgkmcnt(7)
	ds_store_b64 v26, v[3:4] offset:4096
	s_waitcnt vmcnt(5) lgkmcnt(7)
	ds_store_b64 v27, v[5:6] offset:8192
	;; [unrolled: 2-line block ×7, first 2 shown]
	s_waitcnt lgkmcnt(0)
	s_barrier
.LBB627_6:
	v_cmp_gt_u32_e64 s0, s25, v0
	s_and_not1_b32 vcc_lo, exec_lo, s5
	s_cbranch_vccnz .LBB627_24
; %bb.7:
                                        ; implicit-def: $vgpr1_vgpr2_vgpr3_vgpr4_vgpr5_vgpr6_vgpr7_vgpr8_vgpr9_vgpr10_vgpr11_vgpr12_vgpr13_vgpr14_vgpr15_vgpr16
	s_delay_alu instid0(VALU_DEP_1)
	s_and_saveexec_b32 s5, s0
	s_cbranch_execz .LBB627_15
; %bb.8:
	v_add_co_u32 v1, s0, s4, v47
	s_delay_alu instid0(VALU_DEP_1) | instskip(SKIP_2) | instid1(SALU_CYCLE_1)
	v_add_co_ci_u32_e64 v2, null, s1, 0, s0
	flat_load_b64 v[1:2], v[1:2]
	s_or_b32 exec_lo, exec_lo, s5
	s_mov_b32 s0, exec_lo
	v_cmpx_gt_u32_e64 s25, v23
	s_cbranch_execnz .LBB627_16
.LBB627_9:
	s_or_b32 exec_lo, exec_lo, s0
	s_delay_alu instid0(SALU_CYCLE_1)
	s_mov_b32 s0, exec_lo
	v_cmpx_gt_u32_e64 s25, v21
	s_cbranch_execz .LBB627_17
.LBB627_10:
	v_lshlrev_b32_e32 v5, 3, v21
	s_delay_alu instid0(VALU_DEP_1) | instskip(NEXT) | instid1(VALU_DEP_1)
	v_add_co_u32 v5, s5, s4, v5
	v_add_co_ci_u32_e64 v6, null, s1, 0, s5
	flat_load_b64 v[5:6], v[5:6]
	s_or_b32 exec_lo, exec_lo, s0
	s_delay_alu instid0(SALU_CYCLE_1)
	s_mov_b32 s0, exec_lo
	v_cmpx_gt_u32_e64 s25, v22
	s_cbranch_execnz .LBB627_18
.LBB627_11:
	s_or_b32 exec_lo, exec_lo, s0
	s_delay_alu instid0(SALU_CYCLE_1)
	s_mov_b32 s0, exec_lo
	v_cmpx_gt_u32_e64 s25, v20
	s_cbranch_execz .LBB627_19
.LBB627_12:
	v_lshlrev_b32_e32 v9, 3, v20
	s_delay_alu instid0(VALU_DEP_1) | instskip(NEXT) | instid1(VALU_DEP_1)
	v_add_co_u32 v9, s5, s4, v9
	v_add_co_ci_u32_e64 v10, null, s1, 0, s5
	flat_load_b64 v[9:10], v[9:10]
	s_or_b32 exec_lo, exec_lo, s0
	s_delay_alu instid0(SALU_CYCLE_1)
	s_mov_b32 s0, exec_lo
	v_cmpx_gt_u32_e64 s25, v18
	s_cbranch_execnz .LBB627_20
.LBB627_13:
	s_or_b32 exec_lo, exec_lo, s0
	s_delay_alu instid0(SALU_CYCLE_1)
	s_mov_b32 s0, exec_lo
	v_cmpx_gt_u32_e64 s25, v17
	s_cbranch_execz .LBB627_21
.LBB627_14:
	v_lshlrev_b32_e32 v13, 3, v17
	s_delay_alu instid0(VALU_DEP_1) | instskip(NEXT) | instid1(VALU_DEP_1)
	v_add_co_u32 v13, s5, s4, v13
	v_add_co_ci_u32_e64 v14, null, s1, 0, s5
	flat_load_b64 v[13:14], v[13:14]
	s_or_b32 exec_lo, exec_lo, s0
	s_delay_alu instid0(SALU_CYCLE_1)
	s_mov_b32 s0, exec_lo
	v_cmpx_gt_u32_e64 s25, v19
	s_cbranch_execnz .LBB627_22
	s_branch .LBB627_23
.LBB627_15:
	s_or_b32 exec_lo, exec_lo, s5
	s_delay_alu instid0(SALU_CYCLE_1)
	s_mov_b32 s0, exec_lo
	v_cmpx_gt_u32_e64 s25, v23
	s_cbranch_execz .LBB627_9
.LBB627_16:
	v_lshlrev_b32_e32 v3, 3, v23
	s_delay_alu instid0(VALU_DEP_1) | instskip(NEXT) | instid1(VALU_DEP_1)
	v_add_co_u32 v3, s5, s4, v3
	v_add_co_ci_u32_e64 v4, null, s1, 0, s5
	flat_load_b64 v[3:4], v[3:4]
	s_or_b32 exec_lo, exec_lo, s0
	s_delay_alu instid0(SALU_CYCLE_1)
	s_mov_b32 s0, exec_lo
	v_cmpx_gt_u32_e64 s25, v21
	s_cbranch_execnz .LBB627_10
.LBB627_17:
	s_or_b32 exec_lo, exec_lo, s0
	s_delay_alu instid0(SALU_CYCLE_1)
	s_mov_b32 s0, exec_lo
	v_cmpx_gt_u32_e64 s25, v22
	s_cbranch_execz .LBB627_11
.LBB627_18:
	v_lshlrev_b32_e32 v7, 3, v22
	s_delay_alu instid0(VALU_DEP_1) | instskip(NEXT) | instid1(VALU_DEP_1)
	v_add_co_u32 v7, s5, s4, v7
	v_add_co_ci_u32_e64 v8, null, s1, 0, s5
	flat_load_b64 v[7:8], v[7:8]
	s_or_b32 exec_lo, exec_lo, s0
	s_delay_alu instid0(SALU_CYCLE_1)
	s_mov_b32 s0, exec_lo
	v_cmpx_gt_u32_e64 s25, v20
	s_cbranch_execnz .LBB627_12
.LBB627_19:
	s_or_b32 exec_lo, exec_lo, s0
	s_delay_alu instid0(SALU_CYCLE_1)
	s_mov_b32 s0, exec_lo
	v_cmpx_gt_u32_e64 s25, v18
	s_cbranch_execz .LBB627_13
.LBB627_20:
	v_lshlrev_b32_e32 v11, 3, v18
	s_delay_alu instid0(VALU_DEP_1) | instskip(NEXT) | instid1(VALU_DEP_1)
	v_add_co_u32 v11, s5, s4, v11
	v_add_co_ci_u32_e64 v12, null, s1, 0, s5
	flat_load_b64 v[11:12], v[11:12]
	s_or_b32 exec_lo, exec_lo, s0
	s_delay_alu instid0(SALU_CYCLE_1)
	s_mov_b32 s0, exec_lo
	v_cmpx_gt_u32_e64 s25, v17
	s_cbranch_execnz .LBB627_14
.LBB627_21:
	s_or_b32 exec_lo, exec_lo, s0
	s_delay_alu instid0(SALU_CYCLE_1)
	s_mov_b32 s0, exec_lo
	v_cmpx_gt_u32_e64 s25, v19
	s_cbranch_execz .LBB627_23
.LBB627_22:
	v_lshlrev_b32_e32 v15, 3, v19
	s_delay_alu instid0(VALU_DEP_1) | instskip(NEXT) | instid1(VALU_DEP_1)
	v_add_co_u32 v15, s5, s4, v15
	v_add_co_ci_u32_e64 v16, null, s1, 0, s5
	flat_load_b64 v[15:16], v[15:16]
.LBB627_23:
	s_or_b32 exec_lo, exec_lo, s0
	v_lshrrev_b32_e32 v25, 2, v23
	v_lshrrev_b32_e32 v26, 2, v21
	v_lshrrev_b32_e32 v28, 2, v22
	v_lshrrev_b32_e32 v29, 2, v20
	v_and_b32_e32 v27, 0x78, v24
	v_lshrrev_b32_e32 v30, 2, v18
	v_lshrrev_b32_e32 v31, 2, v17
	v_lshrrev_b32_e32 v32, 2, v19
	v_and_b32_e32 v25, 0xf8, v25
	v_and_b32_e32 v26, 0x1f8, v26
	;; [unrolled: 1-line block ×4, first 2 shown]
	v_add_nc_u32_e32 v27, v27, v47
	v_and_b32_e32 v30, 0x3f8, v30
	v_and_b32_e32 v31, 0x3f8, v31
	;; [unrolled: 1-line block ×3, first 2 shown]
	v_add_nc_u32_e32 v25, v25, v47
	v_add_nc_u32_e32 v26, v26, v47
	;; [unrolled: 1-line block ×7, first 2 shown]
	s_waitcnt vmcnt(0) lgkmcnt(0)
	ds_store_b64 v27, v[1:2]
	ds_store_b64 v25, v[3:4] offset:4096
	ds_store_b64 v26, v[5:6] offset:8192
	;; [unrolled: 1-line block ×7, first 2 shown]
	s_waitcnt lgkmcnt(0)
	s_barrier
.LBB627_24:
	v_add_nc_u32_e32 v24, v24, v47
	buffer_gl0_inv
	s_lshl_b64 s[28:29], s[6:7], 2
	v_lshrrev_b32_e32 v26, 3, v0
	s_add_u32 s0, s8, s28
	v_lshlrev_b32_e32 v25, 3, v24
	s_addc_u32 s5, s9, s29
	s_lshl_b64 s[8:9], s[14:15], 2
	ds_load_2addr_b64 v[13:16], v25 offset1:1
	ds_load_2addr_b64 v[9:12], v25 offset0:2 offset1:3
	ds_load_2addr_b64 v[5:8], v25 offset0:4 offset1:5
	;; [unrolled: 1-line block ×3, first 2 shown]
	s_add_u32 s0, s0, s8
	s_addc_u32 s5, s5, s9
	s_and_b32 vcc_lo, exec_lo, s23
	s_mov_b32 s8, -1
	s_waitcnt lgkmcnt(0)
	s_barrier
	buffer_gl0_inv
	s_cbranch_vccz .LBB627_26
; %bb.25:
	v_lshlrev_b32_e32 v35, 2, v0
	v_lshrrev_b32_e32 v37, 3, v23
	v_lshrrev_b32_e32 v38, 3, v21
	;; [unrolled: 1-line block ×4, first 2 shown]
	v_add_co_u32 v27, s8, s0, v35
	s_delay_alu instid0(VALU_DEP_1) | instskip(SKIP_1) | instid1(VALU_DEP_3)
	v_add_co_ci_u32_e64 v28, null, s5, 0, s8
	v_lshrrev_b32_e32 v41, 3, v18
	v_add_co_u32 v29, vcc_lo, 0x1000, v27
	s_delay_alu instid0(VALU_DEP_3)
	v_add_co_ci_u32_e32 v30, vcc_lo, 0, v28, vcc_lo
	v_add_co_u32 v31, vcc_lo, 0x2000, v27
	v_add_co_ci_u32_e32 v32, vcc_lo, 0, v28, vcc_lo
	v_add_co_u32 v33, vcc_lo, 0x3000, v27
	v_add_co_ci_u32_e32 v34, vcc_lo, 0, v28, vcc_lo
	s_clause 0x7
	flat_load_b32 v36, v[27:28]
	flat_load_b32 v27, v[27:28] offset:2048
	flat_load_b32 v28, v[29:30]
	flat_load_b32 v29, v[29:30] offset:2048
	;; [unrolled: 2-line block ×4, first 2 shown]
	v_and_b32_e32 v34, 60, v26
	v_lshrrev_b32_e32 v42, 3, v17
	v_lshrrev_b32_e32 v43, 3, v19
	v_and_b32_e32 v37, 0x7c, v37
	v_and_b32_e32 v38, 0xbc, v38
	;; [unrolled: 1-line block ×4, first 2 shown]
	v_add_nc_u32_e32 v34, v34, v35
	v_and_b32_e32 v41, 0x17c, v41
	v_and_b32_e32 v42, 0x1bc, v42
	;; [unrolled: 1-line block ×3, first 2 shown]
	v_add_nc_u32_e32 v37, v37, v35
	v_add_nc_u32_e32 v38, v38, v35
	;; [unrolled: 1-line block ×4, first 2 shown]
	s_mov_b32 s8, 0
	v_add_nc_u32_e32 v41, v41, v35
	v_add_nc_u32_e32 v42, v42, v35
	;; [unrolled: 1-line block ×3, first 2 shown]
	s_waitcnt vmcnt(7) lgkmcnt(7)
	ds_store_b32 v34, v36
	s_waitcnt vmcnt(6) lgkmcnt(7)
	ds_store_b32 v37, v27 offset:2048
	s_waitcnt vmcnt(5) lgkmcnt(7)
	ds_store_b32 v38, v28 offset:4096
	;; [unrolled: 2-line block ×7, first 2 shown]
	s_waitcnt lgkmcnt(0)
	s_barrier
.LBB627_26:
	s_and_not1_b32 vcc_lo, exec_lo, s8
	s_cbranch_vccnz .LBB627_44
; %bb.27:
	s_mov_b32 s8, exec_lo
                                        ; implicit-def: $vgpr27
	v_cmpx_gt_u32_e64 s25, v0
	s_cbranch_execz .LBB627_29
; %bb.28:
	v_lshlrev_b32_e32 v27, 2, v0
	s_delay_alu instid0(VALU_DEP_1) | instskip(NEXT) | instid1(VALU_DEP_1)
	v_add_co_u32 v27, s9, s0, v27
	v_add_co_ci_u32_e64 v28, null, s5, 0, s9
	flat_load_b32 v27, v[27:28]
.LBB627_29:
	s_or_b32 exec_lo, exec_lo, s8
	s_delay_alu instid0(SALU_CYCLE_1)
	s_mov_b32 s8, exec_lo
                                        ; implicit-def: $vgpr28
	v_cmpx_gt_u32_e64 s25, v23
	s_cbranch_execz .LBB627_31
; %bb.30:
	v_lshlrev_b32_e32 v28, 2, v0
	s_delay_alu instid0(VALU_DEP_1) | instskip(NEXT) | instid1(VALU_DEP_1)
	v_add_co_u32 v28, s9, s0, v28
	v_add_co_ci_u32_e64 v29, null, s5, 0, s9
	flat_load_b32 v28, v[28:29] offset:2048
.LBB627_31:
	s_or_b32 exec_lo, exec_lo, s8
	s_delay_alu instid0(SALU_CYCLE_1)
	s_mov_b32 s8, exec_lo
                                        ; implicit-def: $vgpr29
	v_cmpx_gt_u32_e64 s25, v21
	s_cbranch_execz .LBB627_33
; %bb.32:
	v_lshlrev_b32_e32 v29, 2, v21
	s_delay_alu instid0(VALU_DEP_1) | instskip(NEXT) | instid1(VALU_DEP_1)
	v_add_co_u32 v29, s9, s0, v29
	v_add_co_ci_u32_e64 v30, null, s5, 0, s9
	flat_load_b32 v29, v[29:30]
.LBB627_33:
	s_or_b32 exec_lo, exec_lo, s8
	s_delay_alu instid0(SALU_CYCLE_1)
	s_mov_b32 s8, exec_lo
                                        ; implicit-def: $vgpr30
	v_cmpx_gt_u32_e64 s25, v22
	s_cbranch_execz .LBB627_35
; %bb.34:
	v_lshlrev_b32_e32 v30, 2, v22
	s_delay_alu instid0(VALU_DEP_1) | instskip(NEXT) | instid1(VALU_DEP_1)
	v_add_co_u32 v30, s9, s0, v30
	v_add_co_ci_u32_e64 v31, null, s5, 0, s9
	flat_load_b32 v30, v[30:31]
.LBB627_35:
	s_or_b32 exec_lo, exec_lo, s8
	s_delay_alu instid0(SALU_CYCLE_1)
	s_mov_b32 s8, exec_lo
                                        ; implicit-def: $vgpr31
	v_cmpx_gt_u32_e64 s25, v20
	s_cbranch_execz .LBB627_37
; %bb.36:
	v_lshlrev_b32_e32 v31, 2, v20
	s_delay_alu instid0(VALU_DEP_1) | instskip(NEXT) | instid1(VALU_DEP_1)
	v_add_co_u32 v31, s9, s0, v31
	v_add_co_ci_u32_e64 v32, null, s5, 0, s9
	flat_load_b32 v31, v[31:32]
.LBB627_37:
	s_or_b32 exec_lo, exec_lo, s8
	s_delay_alu instid0(SALU_CYCLE_1)
	s_mov_b32 s8, exec_lo
                                        ; implicit-def: $vgpr32
	v_cmpx_gt_u32_e64 s25, v18
	s_cbranch_execz .LBB627_39
; %bb.38:
	v_lshlrev_b32_e32 v32, 2, v18
	s_delay_alu instid0(VALU_DEP_1) | instskip(NEXT) | instid1(VALU_DEP_1)
	v_add_co_u32 v32, s9, s0, v32
	v_add_co_ci_u32_e64 v33, null, s5, 0, s9
	flat_load_b32 v32, v[32:33]
.LBB627_39:
	s_or_b32 exec_lo, exec_lo, s8
	s_delay_alu instid0(SALU_CYCLE_1)
	s_mov_b32 s8, exec_lo
                                        ; implicit-def: $vgpr33
	v_cmpx_gt_u32_e64 s25, v17
	s_cbranch_execz .LBB627_41
; %bb.40:
	v_lshlrev_b32_e32 v33, 2, v17
	s_delay_alu instid0(VALU_DEP_1) | instskip(NEXT) | instid1(VALU_DEP_1)
	v_add_co_u32 v33, s9, s0, v33
	v_add_co_ci_u32_e64 v34, null, s5, 0, s9
	flat_load_b32 v33, v[33:34]
.LBB627_41:
	s_or_b32 exec_lo, exec_lo, s8
	s_delay_alu instid0(SALU_CYCLE_1)
	s_mov_b32 s8, exec_lo
                                        ; implicit-def: $vgpr34
	v_cmpx_gt_u32_e64 s25, v19
	s_cbranch_execz .LBB627_43
; %bb.42:
	v_lshlrev_b32_e32 v34, 2, v19
	s_delay_alu instid0(VALU_DEP_1) | instskip(NEXT) | instid1(VALU_DEP_1)
	v_add_co_u32 v34, s0, s0, v34
	v_add_co_ci_u32_e64 v35, null, s5, 0, s0
	flat_load_b32 v34, v[34:35]
.LBB627_43:
	s_or_b32 exec_lo, exec_lo, s8
	v_lshrrev_b32_e32 v23, 3, v23
	v_lshrrev_b32_e32 v21, 3, v21
	;; [unrolled: 1-line block ×4, first 2 shown]
	v_and_b32_e32 v26, 60, v26
	v_lshlrev_b32_e32 v35, 2, v0
	v_lshrrev_b32_e32 v18, 3, v18
	v_lshrrev_b32_e32 v17, 3, v17
	;; [unrolled: 1-line block ×3, first 2 shown]
	v_and_b32_e32 v23, 0x7c, v23
	v_and_b32_e32 v21, 0xfc, v21
	;; [unrolled: 1-line block ×4, first 2 shown]
	v_add_nc_u32_e32 v26, v26, v35
	v_and_b32_e32 v18, 0x1fc, v18
	v_and_b32_e32 v17, 0x1fc, v17
	;; [unrolled: 1-line block ×3, first 2 shown]
	v_add_nc_u32_e32 v23, v23, v35
	v_add_nc_u32_e32 v21, v21, v35
	;; [unrolled: 1-line block ×7, first 2 shown]
	s_waitcnt vmcnt(0) lgkmcnt(0)
	ds_store_b32 v26, v27
	ds_store_b32 v23, v28 offset:2048
	ds_store_b32 v21, v29 offset:4096
	;; [unrolled: 1-line block ×7, first 2 shown]
	s_waitcnt lgkmcnt(0)
	s_barrier
.LBB627_44:
	v_lshlrev_b32_e32 v17, 2, v24
	buffer_gl0_inv
	s_cmp_lg_u32 s24, 0
	s_mov_b32 s14, 0
	s_cselect_b32 s9, -1, 0
	v_sub_nc_u32_e32 v17, v25, v17
	s_cmp_lg_u64 s[6:7], 0
	ds_load_2addr_b32 v[23:24], v17 offset1:1
	ds_load_2addr_b32 v[21:22], v17 offset0:2 offset1:3
	ds_load_2addr_b32 v[19:20], v17 offset0:4 offset1:5
	;; [unrolled: 1-line block ×3, first 2 shown]
	s_cselect_b32 s0, -1, 0
	s_waitcnt lgkmcnt(0)
	s_or_b32 s0, s0, s9
	s_barrier
	s_and_b32 vcc_lo, exec_lo, s0
	buffer_gl0_inv
	s_cbranch_vccz .LBB627_49
; %bb.45:
	v_add_co_u32 v25, s0, -8, s4
	s_delay_alu instid0(VALU_DEP_1)
	v_add_co_ci_u32_e64 v26, null, -1, s1, s0
	s_mov_b32 s1, -1
	s_and_b32 vcc_lo, exec_lo, s23
	flat_load_b64 v[27:28], v[25:26]
	ds_store_b64 v47, v[3:4]
	s_cbranch_vccz .LBB627_50
; %bb.46:
	s_waitcnt vmcnt(0) lgkmcnt(1)
	v_dual_mov_b32 v25, v27 :: v_dual_mov_b32 v26, v28
	s_waitcnt lgkmcnt(0)
	s_barrier
	buffer_gl0_inv
	s_and_saveexec_b32 s0, s3
	s_cbranch_execz .LBB627_48
; %bb.47:
	v_add_nc_u32_e32 v25, -8, v47
	ds_load_b64 v[25:26], v25
.LBB627_48:
	s_or_b32 exec_lo, exec_lo, s0
	v_cmp_ne_u64_e32 vcc_lo, v[1:2], v[3:4]
	s_waitcnt lgkmcnt(0)
	v_cmp_ne_u64_e64 s0, v[25:26], v[13:14]
	v_cndmask_b32_e64 v29, 0, 1, vcc_lo
	v_cmp_ne_u64_e32 vcc_lo, v[7:8], v[1:2]
	s_delay_alu instid0(VALU_DEP_2) | instskip(SKIP_2) | instid1(VALU_DEP_2)
	v_lshlrev_b16 v29, 8, v29
	v_cndmask_b32_e64 v30, 0, 1, vcc_lo
	v_cmp_ne_u64_e32 vcc_lo, v[5:6], v[7:8]
	v_or_b32_e32 v29, v30, v29
	v_cndmask_b32_e64 v31, 0, 1, vcc_lo
	v_cmp_ne_u64_e32 vcc_lo, v[9:10], v[11:12]
	s_delay_alu instid0(VALU_DEP_3) | instskip(NEXT) | instid1(VALU_DEP_3)
	v_lshlrev_b32_e32 v29, 16, v29
	v_lshlrev_b16 v31, 8, v31
	v_cndmask_b32_e64 v32, 0, 1, vcc_lo
	v_cmp_ne_u64_e32 vcc_lo, v[11:12], v[5:6]
	s_delay_alu instid0(VALU_DEP_2) | instskip(SKIP_2) | instid1(VALU_DEP_2)
	v_lshlrev_b16 v32, 8, v32
	v_cndmask_b32_e64 v33, 0, 1, vcc_lo
	v_cmp_ne_u64_e32 vcc_lo, v[15:16], v[9:10]
	v_or_b32_e32 v31, v33, v31
	v_cndmask_b32_e64 v34, 0, 1, vcc_lo
	v_cmp_ne_u64_e32 vcc_lo, v[13:14], v[15:16]
	s_delay_alu instid0(VALU_DEP_3) | instskip(NEXT) | instid1(VALU_DEP_3)
	v_and_b32_e32 v31, 0xffff, v31
	v_or_b32_e32 v32, v34, v32
	v_cndmask_b32_e64 v35, 0, 1, vcc_lo
	s_delay_alu instid0(VALU_DEP_3) | instskip(NEXT) | instid1(VALU_DEP_3)
	v_or_b32_e32 v26, v31, v29
	v_lshlrev_b32_e32 v30, 16, v32
	s_delay_alu instid0(VALU_DEP_3) | instskip(NEXT) | instid1(VALU_DEP_1)
	v_lshlrev_b16 v34, 8, v35
	v_and_b32_e32 v32, 0xffff, v34
	s_delay_alu instid0(VALU_DEP_1)
	v_or_b32_e32 v25, v32, v30
	s_branch .LBB627_54
.LBB627_49:
                                        ; implicit-def: $sgpr0
                                        ; implicit-def: $vgpr26
	s_branch .LBB627_55
.LBB627_50:
                                        ; implicit-def: $sgpr0
                                        ; implicit-def: $vgpr26
	s_and_b32 vcc_lo, exec_lo, s1
	s_cbranch_vccz .LBB627_54
; %bb.51:
	s_waitcnt vmcnt(0) lgkmcnt(0)
	s_barrier
	buffer_gl0_inv
	s_and_saveexec_b32 s0, s3
	s_cbranch_execz .LBB627_53
; %bb.52:
	v_add_nc_u32_e32 v25, -8, v47
	ds_load_b64 v[27:28], v25
.LBB627_53:
	s_or_b32 exec_lo, exec_lo, s0
	v_or_b32_e32 v25, 7, v47
	v_or_b32_e32 v26, 6, v47
	v_cmp_ne_u64_e32 vcc_lo, v[1:2], v[3:4]
	v_or_b32_e32 v29, 5, v47
	v_cmp_ne_u64_e64 s1, v[7:8], v[1:2]
	v_cmp_gt_u32_e64 s0, s25, v25
	v_cmp_gt_u32_e64 s4, s25, v26
	v_cmp_ne_u64_e64 s5, v[5:6], v[7:8]
	v_cmp_gt_u32_e64 s6, s25, v29
	v_or_b32_e32 v29, 3, v47
	s_and_b32 s0, s0, vcc_lo
	v_or_b32_e32 v30, 4, v47
	v_cndmask_b32_e64 v25, 0, 1, s0
	s_and_b32 s0, s4, s1
	v_cmp_ne_u64_e32 vcc_lo, v[9:10], v[11:12]
	v_cndmask_b32_e64 v26, 0, 1, s0
	s_and_b32 s0, s6, s5
	v_cmp_gt_u32_e64 s1, s25, v30
	v_cndmask_b32_e64 v31, 0, 1, s0
	v_cmp_gt_u32_e64 s0, s25, v29
	v_or_b32_e32 v29, 2, v47
	v_or_b32_e32 v30, 1, v47
	v_cmp_ne_u64_e64 s4, v[11:12], v[5:6]
	v_cmp_ne_u64_e64 s6, v[13:14], v[15:16]
	s_and_b32 s0, s0, vcc_lo
	v_cmp_ne_u64_e32 vcc_lo, v[15:16], v[9:10]
	v_cndmask_b32_e64 v32, 0, 1, s0
	v_cmp_gt_u32_e64 s0, s25, v29
	v_cmp_gt_u32_e64 s5, s25, v30
	s_and_b32 s1, s1, s4
	v_lshlrev_b16 v31, 8, v31
	v_cndmask_b32_e64 v29, 0, 1, s1
	s_and_b32 s0, s0, vcc_lo
	v_lshlrev_b16 v32, 8, v32
	v_cndmask_b32_e64 v30, 0, 1, s0
	s_and_b32 s0, s5, s6
	v_lshlrev_b16 v25, 8, v25
	v_cndmask_b32_e64 v33, 0, 1, s0
	v_or_b32_e32 v29, v29, v31
	v_or_b32_e32 v30, v30, v32
	s_waitcnt lgkmcnt(0)
	v_cmp_ne_u64_e32 vcc_lo, v[27:28], v[13:14]
	v_or_b32_e32 v25, v26, v25
	v_lshlrev_b16 v32, 8, v33
	v_and_b32_e32 v29, 0xffff, v29
	v_lshlrev_b32_e32 v26, 16, v30
	v_cmp_gt_u32_e64 s0, s25, v47
	v_lshlrev_b32_e32 v31, 16, v25
	v_and_b32_e32 v30, 0xffff, v32
	s_delay_alu instid0(VALU_DEP_3) | instskip(NEXT) | instid1(VALU_DEP_1)
	s_and_b32 s0, s0, vcc_lo
	v_or_b32_e32 v25, v30, v26
	s_delay_alu instid0(VALU_DEP_3)
	v_or_b32_e32 v26, v29, v31
.LBB627_54:
	s_mov_b32 s14, -1
	s_cbranch_execnz .LBB627_63
.LBB627_55:
	v_cmp_ne_u64_e64 s1, v[1:2], v[3:4]
	v_cmp_ne_u64_e64 s4, v[7:8], v[1:2]
	;; [unrolled: 1-line block ×7, first 2 shown]
	s_and_b32 vcc_lo, exec_lo, s23
	ds_store_b64 v47, v[3:4]
	s_cbranch_vccz .LBB627_59
; %bb.56:
	v_cndmask_b32_e64 v25, 0, 1, s1
	s_waitcnt vmcnt(0) lgkmcnt(2)
	v_cndmask_b32_e64 v27, 0, 1, s5
	v_cndmask_b32_e64 v29, 0, 1, s7
	;; [unrolled: 1-line block ×6, first 2 shown]
	v_lshlrev_b16 v27, 8, v27
	v_lshlrev_b16 v25, 8, v25
	;; [unrolled: 1-line block ×4, first 2 shown]
	s_waitcnt lgkmcnt(0)
	v_or_b32_e32 v27, v28, v27
	v_or_b32_e32 v25, v26, v25
	v_or_b32_e32 v26, v31, v29
	v_or_b32_e32 v28, 1, v30
	s_barrier
	v_and_b32_e32 v27, 0xffff, v27
	v_lshlrev_b32_e32 v25, 16, v25
	v_lshlrev_b32_e32 v29, 16, v26
	v_and_b32_e32 v28, 0xffff, v28
	buffer_gl0_inv
                                        ; implicit-def: $sgpr0
	v_or_b32_e32 v26, v27, v25
	v_or_b32_e32 v25, v28, v29
	s_and_saveexec_b32 s1, s3
	s_delay_alu instid0(SALU_CYCLE_1)
	s_xor_b32 s1, exec_lo, s1
	s_cbranch_execz .LBB627_58
; %bb.57:
	v_add_nc_u32_e32 v27, -8, v47
	s_or_b32 s14, s14, exec_lo
	ds_load_b64 v[27:28], v27
	s_waitcnt lgkmcnt(0)
	v_cmp_ne_u64_e32 vcc_lo, v[27:28], v[13:14]
	s_and_b32 s0, vcc_lo, exec_lo
.LBB627_58:
	s_or_b32 exec_lo, exec_lo, s1
	s_branch .LBB627_63
.LBB627_59:
                                        ; implicit-def: $sgpr0
                                        ; implicit-def: $vgpr26
	s_cbranch_execz .LBB627_63
; %bb.60:
	v_or_b32_e32 v25, 7, v47
	v_or_b32_e32 v26, 6, v47
	v_cmp_ne_u64_e32 vcc_lo, v[1:2], v[3:4]
	v_cmp_ne_u64_e64 s0, v[7:8], v[1:2]
	s_waitcnt vmcnt(0) lgkmcnt(2)
	v_or_b32_e32 v27, 4, v47
	v_cmp_gt_u32_e64 s1, s25, v25
	v_or_b32_e32 v25, 5, v47
	v_cmp_gt_u32_e64 s5, s25, v26
	v_cmp_ne_u64_e64 s4, v[5:6], v[7:8]
	v_cmp_ne_u64_e64 s6, v[11:12], v[5:6]
	s_and_b32 s1, s1, vcc_lo
	v_cmp_gt_u32_e32 vcc_lo, s25, v25
	v_cndmask_b32_e64 v26, 0, 1, s1
	v_cmp_gt_u32_e64 s1, s25, v27
	s_and_b32 s0, s5, s0
	v_or_b32_e32 v28, 3, v47
	v_cndmask_b32_e64 v25, 0, 1, s0
	s_and_b32 s0, vcc_lo, s4
	v_or_b32_e32 v30, 1, v47
	v_cndmask_b32_e64 v27, 0, 1, s0
	s_and_b32 s0, s1, s6
	v_cmp_ne_u64_e32 vcc_lo, v[9:10], v[11:12]
	v_cndmask_b32_e64 v29, 0, 1, s0
	v_cmp_gt_u32_e64 s0, s25, v28
	v_cmp_ne_u64_e64 s1, v[13:14], v[15:16]
	v_or_b32_e32 v31, 2, v47
	v_cmp_gt_u32_e64 s4, s25, v30
	v_cmp_ne_u64_e64 s5, v[15:16], v[9:10]
	s_and_b32 s0, s0, vcc_lo
	v_lshlrev_b16 v27, 8, v27
	v_cmp_gt_u32_e64 s6, s25, v31
	v_cndmask_b32_e64 v28, 0, 1, s0
	s_and_b32 s0, s4, s1
	v_lshlrev_b16 v26, 8, v26
	v_cndmask_b32_e64 v30, 0, 1, s0
	s_and_b32 s0, s6, s5
	v_lshlrev_b16 v28, 8, v28
	v_cndmask_b32_e64 v31, 0, 1, s0
	v_or_b32_e32 v27, v29, v27
	v_lshlrev_b16 v30, 8, v30
	v_or_b32_e32 v25, v25, v26
	s_waitcnt lgkmcnt(0)
	v_or_b32_e32 v26, v31, v28
	v_and_b32_e32 v27, 0xffff, v27
	v_or_b32_e32 v28, 1, v30
	v_lshlrev_b32_e32 v25, 16, v25
	s_barrier
	v_lshlrev_b32_e32 v29, 16, v26
	buffer_gl0_inv
	v_and_b32_e32 v28, 0xffff, v28
	v_or_b32_e32 v26, v27, v25
                                        ; implicit-def: $sgpr0
	s_delay_alu instid0(VALU_DEP_2)
	v_or_b32_e32 v25, v28, v29
	s_and_saveexec_b32 s1, s3
	s_cbranch_execz .LBB627_62
; %bb.61:
	v_add_nc_u32_e32 v27, -8, v47
	v_cmp_gt_u32_e64 s0, s25, v47
	s_or_b32 s14, s14, exec_lo
	ds_load_b64 v[27:28], v27
	s_waitcnt lgkmcnt(0)
	v_cmp_ne_u64_e32 vcc_lo, v[27:28], v[13:14]
	s_and_b32 s0, s0, vcc_lo
	s_delay_alu instid0(SALU_CYCLE_1)
	s_and_b32 s0, s0, exec_lo
.LBB627_62:
	s_or_b32 exec_lo, exec_lo, s1
.LBB627_63:
	s_and_saveexec_b32 s1, s14
	s_cbranch_execz .LBB627_65
; %bb.64:
	s_waitcnt vmcnt(0) lgkmcnt(1)
	v_and_b32_e32 v27, 0xffffff00, v25
	v_cndmask_b32_e64 v28, 0, 1, s0
	s_delay_alu instid0(VALU_DEP_1) | instskip(NEXT) | instid1(VALU_DEP_1)
	v_or_b32_e32 v27, v28, v27
	v_and_b32_e32 v27, 0xffff, v27
	s_delay_alu instid0(VALU_DEP_1)
	v_and_or_b32 v25, 0xffff0000, v25, v27
.LBB627_65:
	s_or_b32 exec_lo, exec_lo, s1
	s_delay_alu instid0(SALU_CYCLE_1)
	s_and_not1_b32 vcc_lo, exec_lo, s26
	s_cbranch_vccnz .LBB627_67
; %bb.66:
	v_cmp_gt_u32_e32 vcc_lo, s25, v47
	s_waitcnt vmcnt(0) lgkmcnt(1)
	v_or_b32_e32 v28, 1, v47
	v_and_b32_e32 v29, 0xffffff00, v26
	v_or_b32_e32 v30, 2, v47
	v_cndmask_b32_e32 v27, 0, v25, vcc_lo
	s_delay_alu instid0(VALU_DEP_4) | instskip(SKIP_1) | instid1(VALU_DEP_4)
	v_cmp_gt_u32_e32 vcc_lo, s25, v28
	v_or_b32_e32 v28, 4, v47
	v_cmp_gt_u32_e64 s0, s25, v30
	v_or_b32_e32 v30, 3, v47
	v_and_b32_e32 v27, 0xff, v27
	s_delay_alu instid0(VALU_DEP_2) | instskip(NEXT) | instid1(VALU_DEP_2)
	v_cmp_gt_u32_e64 s1, s25, v30
	v_cndmask_b32_e32 v27, v27, v25, vcc_lo
	v_cmp_gt_u32_e32 vcc_lo, s25, v28
	v_cndmask_b32_e32 v28, v29, v26, vcc_lo
	v_or_b32_e32 v29, 5, v47
	s_delay_alu instid0(VALU_DEP_2) | instskip(SKIP_1) | instid1(VALU_DEP_1)
	v_and_b32_e32 v28, 0xffff00ff, v28
	v_and_b32_e32 v27, 0xffff, v27
	v_cndmask_b32_e64 v27, v27, v25, s0
	s_delay_alu instid0(VALU_DEP_4) | instskip(SKIP_1) | instid1(VALU_DEP_3)
	v_cmp_gt_u32_e64 s0, s25, v29
	v_or_b32_e32 v29, 6, v47
	v_and_b32_e32 v27, 0xffffff, v27
	s_delay_alu instid0(VALU_DEP_3) | instskip(NEXT) | instid1(VALU_DEP_2)
	v_cndmask_b32_e64 v28, v28, v26, s0
	v_cndmask_b32_e64 v27, v27, v25, s1
	s_delay_alu instid0(VALU_DEP_1) | instskip(SKIP_2) | instid1(VALU_DEP_3)
	v_dual_cndmask_b32 v27, v27, v25 :: v_dual_and_b32 v28, 0xff00ffff, v28
	v_cmp_gt_u32_e32 vcc_lo, s25, v29
	v_or_b32_e32 v29, 7, v47
	v_cndmask_b32_e64 v27, v27, v25, s0
	s_delay_alu instid0(VALU_DEP_1) | instskip(NEXT) | instid1(VALU_DEP_1)
	v_dual_cndmask_b32 v28, v28, v26 :: v_dual_cndmask_b32 v27, v27, v25
	v_and_b32_e32 v28, 0xffffff, v28
	s_delay_alu instid0(VALU_DEP_4) | instskip(NEXT) | instid1(VALU_DEP_2)
	v_cmp_gt_u32_e32 vcc_lo, s25, v29
	v_dual_cndmask_b32 v26, v28, v26 :: v_dual_cndmask_b32 v25, v27, v25
.LBB627_67:
	s_delay_alu instid0(VALU_DEP_1) | instskip(SKIP_1) | instid1(VALU_DEP_2)
	v_and_b32_e32 v36, 0xff, v25
	s_waitcnt vmcnt(0) lgkmcnt(1)
	v_alignbit_b32 v27, v26, v25, 24
	v_bfe_u32 v38, v25, 8, 8
	v_bfe_u32 v40, v25, 16, 8
	v_and_b32_e32 v44, 0xff, v26
	v_bfe_u32 v46, v26, 8, 8
	v_and_b32_e32 v42, 0xff, v27
	v_add_nc_u32_e32 v27, v38, v36
	v_mbcnt_lo_u32_b32 v50, -1, 0
	v_bfe_u32 v49, v26, 16, 8
	v_lshrrev_b32_e32 v48, 24, v26
	v_lshrrev_b32_e32 v51, 5, v0
	v_add3_u32 v27, v27, v40, v42
	v_and_b32_e32 v28, 15, v50
	v_and_b32_e32 v29, 16, v50
	s_and_b32 vcc_lo, exec_lo, s9
	s_mov_b32 s7, -1
	v_add3_u32 v27, v27, v44, v46
	v_cmp_eq_u32_e64 s3, 0, v28
	v_cmp_lt_u32_e64 s0, 1, v28
	v_cmp_lt_u32_e64 s4, 3, v28
	;; [unrolled: 1-line block ×3, first 2 shown]
	v_add3_u32 v52, v27, v49, v48
	v_or_b32_e32 v27, 31, v0
	v_cmp_eq_u32_e64 s6, 0, v29
	s_waitcnt lgkmcnt(0)
	s_barrier
	buffer_gl0_inv
	v_cmp_eq_u32_e64 s5, v27, v0
	s_cbranch_vccz .LBB627_93
; %bb.68:
	v_mov_b32_dpp v27, v52 row_shr:1 row_mask:0xf bank_mask:0xf
	s_delay_alu instid0(VALU_DEP_1) | instskip(NEXT) | instid1(VALU_DEP_1)
	v_cndmask_b32_e64 v27, v27, 0, s3
	v_add_nc_u32_e32 v27, v27, v52
	s_delay_alu instid0(VALU_DEP_1) | instskip(NEXT) | instid1(VALU_DEP_1)
	v_mov_b32_dpp v28, v27 row_shr:2 row_mask:0xf bank_mask:0xf
	v_cndmask_b32_e64 v28, 0, v28, s0
	s_delay_alu instid0(VALU_DEP_1) | instskip(NEXT) | instid1(VALU_DEP_1)
	v_add_nc_u32_e32 v27, v27, v28
	v_mov_b32_dpp v28, v27 row_shr:4 row_mask:0xf bank_mask:0xf
	s_delay_alu instid0(VALU_DEP_1) | instskip(NEXT) | instid1(VALU_DEP_1)
	v_cndmask_b32_e64 v28, 0, v28, s4
	v_add_nc_u32_e32 v27, v27, v28
	s_delay_alu instid0(VALU_DEP_1) | instskip(NEXT) | instid1(VALU_DEP_1)
	v_mov_b32_dpp v28, v27 row_shr:8 row_mask:0xf bank_mask:0xf
	v_cndmask_b32_e64 v28, 0, v28, s1
	s_delay_alu instid0(VALU_DEP_1) | instskip(SKIP_3) | instid1(VALU_DEP_1)
	v_add_nc_u32_e32 v27, v27, v28
	ds_swizzle_b32 v28, v27 offset:swizzle(BROADCAST,32,15)
	s_waitcnt lgkmcnt(0)
	v_cndmask_b32_e64 v28, v28, 0, s6
	v_add_nc_u32_e32 v27, v27, v28
	s_and_saveexec_b32 s7, s5
	s_cbranch_execz .LBB627_70
; %bb.69:
	v_lshlrev_b32_e32 v28, 2, v51
	ds_store_b32 v28, v27
.LBB627_70:
	s_or_b32 exec_lo, exec_lo, s7
	s_delay_alu instid0(SALU_CYCLE_1)
	s_mov_b32 s7, exec_lo
	s_waitcnt lgkmcnt(0)
	s_barrier
	buffer_gl0_inv
	v_cmpx_gt_u32_e32 16, v0
	s_cbranch_execz .LBB627_72
; %bb.71:
	v_lshlrev_b32_e32 v28, 2, v0
	ds_load_b32 v29, v28
	s_waitcnt lgkmcnt(0)
	v_mov_b32_dpp v30, v29 row_shr:1 row_mask:0xf bank_mask:0xf
	s_delay_alu instid0(VALU_DEP_1) | instskip(NEXT) | instid1(VALU_DEP_1)
	v_cndmask_b32_e64 v30, v30, 0, s3
	v_add_nc_u32_e32 v29, v30, v29
	s_delay_alu instid0(VALU_DEP_1) | instskip(NEXT) | instid1(VALU_DEP_1)
	v_mov_b32_dpp v30, v29 row_shr:2 row_mask:0xf bank_mask:0xf
	v_cndmask_b32_e64 v30, 0, v30, s0
	s_delay_alu instid0(VALU_DEP_1) | instskip(NEXT) | instid1(VALU_DEP_1)
	v_add_nc_u32_e32 v29, v29, v30
	v_mov_b32_dpp v30, v29 row_shr:4 row_mask:0xf bank_mask:0xf
	s_delay_alu instid0(VALU_DEP_1) | instskip(NEXT) | instid1(VALU_DEP_1)
	v_cndmask_b32_e64 v30, 0, v30, s4
	v_add_nc_u32_e32 v29, v29, v30
	s_delay_alu instid0(VALU_DEP_1) | instskip(NEXT) | instid1(VALU_DEP_1)
	v_mov_b32_dpp v30, v29 row_shr:8 row_mask:0xf bank_mask:0xf
	v_cndmask_b32_e64 v30, 0, v30, s1
	s_delay_alu instid0(VALU_DEP_1)
	v_add_nc_u32_e32 v29, v29, v30
	ds_store_b32 v28, v29
.LBB627_72:
	s_or_b32 exec_lo, exec_lo, s7
	v_cmp_gt_u32_e32 vcc_lo, 32, v0
	s_mov_b32 s8, exec_lo
	s_waitcnt lgkmcnt(0)
	s_barrier
	buffer_gl0_inv
                                        ; implicit-def: $vgpr35
	v_cmpx_lt_u32_e32 31, v0
	s_cbranch_execz .LBB627_74
; %bb.73:
	v_lshl_add_u32 v28, v51, 2, -4
	ds_load_b32 v35, v28
	s_waitcnt lgkmcnt(0)
	v_add_nc_u32_e32 v27, v35, v27
.LBB627_74:
	s_or_b32 exec_lo, exec_lo, s8
	v_add_nc_u32_e32 v28, -1, v50
	s_delay_alu instid0(VALU_DEP_1) | instskip(NEXT) | instid1(VALU_DEP_1)
	v_cmp_gt_i32_e64 s7, 0, v28
	v_cndmask_b32_e64 v28, v28, v50, s7
	v_cmp_eq_u32_e64 s7, 0, v50
	s_delay_alu instid0(VALU_DEP_2)
	v_lshlrev_b32_e32 v28, 2, v28
	ds_bpermute_b32 v37, v28, v27
	s_and_saveexec_b32 s8, vcc_lo
	s_cbranch_execz .LBB627_92
; %bb.75:
	v_mov_b32_e32 v31, 0
	ds_load_b32 v27, v31 offset:60
	s_and_saveexec_b32 s9, s7
	s_cbranch_execz .LBB627_77
; %bb.76:
	s_add_i32 s14, s24, 32
	v_mov_b32_e32 v28, 1
	s_lshl_b64 s[14:15], s[14:15], 3
	s_delay_alu instid0(SALU_CYCLE_1)
	s_add_u32 s14, s20, s14
	s_addc_u32 s15, s21, s15
	s_waitcnt lgkmcnt(0)
	global_store_b64 v31, v[27:28], s[14:15]
.LBB627_77:
	s_or_b32 exec_lo, exec_lo, s9
	v_xad_u32 v29, v50, -1, s24
	s_mov_b32 s14, 0
	s_mov_b32 s9, exec_lo
	s_delay_alu instid0(VALU_DEP_1) | instskip(NEXT) | instid1(VALU_DEP_1)
	v_add_nc_u32_e32 v30, 32, v29
	v_lshlrev_b64 v[30:31], 3, v[30:31]
	s_delay_alu instid0(VALU_DEP_1) | instskip(NEXT) | instid1(VALU_DEP_2)
	v_add_co_u32 v33, vcc_lo, s20, v30
	v_add_co_ci_u32_e32 v34, vcc_lo, s21, v31, vcc_lo
	global_load_b64 v[31:32], v[33:34], off glc
	s_waitcnt vmcnt(0)
	v_and_b32_e32 v28, 0xff, v32
	s_delay_alu instid0(VALU_DEP_1)
	v_cmpx_eq_u16_e32 0, v28
	s_cbranch_execz .LBB627_80
.LBB627_78:                             ; =>This Inner Loop Header: Depth=1
	global_load_b64 v[31:32], v[33:34], off glc
	s_waitcnt vmcnt(0)
	v_and_b32_e32 v28, 0xff, v32
	s_delay_alu instid0(VALU_DEP_1) | instskip(SKIP_1) | instid1(SALU_CYCLE_1)
	v_cmp_ne_u16_e32 vcc_lo, 0, v28
	s_or_b32 s14, vcc_lo, s14
	s_and_not1_b32 exec_lo, exec_lo, s14
	s_cbranch_execnz .LBB627_78
; %bb.79:
	s_or_b32 exec_lo, exec_lo, s14
.LBB627_80:
	s_delay_alu instid0(SALU_CYCLE_1)
	s_or_b32 exec_lo, exec_lo, s9
	v_cmp_ne_u32_e32 vcc_lo, 31, v50
	v_lshlrev_b32_e64 v41, v50, -1
	v_add_nc_u32_e32 v45, 2, v50
	v_add_nc_u32_e32 v58, 16, v50
	v_add_co_ci_u32_e32 v28, vcc_lo, 0, v50, vcc_lo
	s_delay_alu instid0(VALU_DEP_1)
	v_lshlrev_b32_e32 v39, 2, v28
	v_and_b32_e32 v28, 0xff, v32
	ds_bpermute_b32 v30, v39, v31
	v_cmp_eq_u16_e32 vcc_lo, 2, v28
	v_and_or_b32 v28, vcc_lo, v41, 0x80000000
	v_cmp_gt_u32_e32 vcc_lo, 30, v50
	s_delay_alu instid0(VALU_DEP_2) | instskip(SKIP_1) | instid1(VALU_DEP_2)
	v_ctz_i32_b32_e32 v28, v28
	v_cndmask_b32_e64 v33, 0, 1, vcc_lo
	v_cmp_lt_u32_e32 vcc_lo, v50, v28
	s_waitcnt lgkmcnt(0)
	s_delay_alu instid0(VALU_DEP_2) | instskip(NEXT) | instid1(VALU_DEP_1)
	v_dual_cndmask_b32 v30, 0, v30 :: v_dual_lshlrev_b32 v33, 1, v33
	v_add_lshl_u32 v43, v33, v50, 2
	v_cmp_gt_u32_e32 vcc_lo, 28, v50
	s_delay_alu instid0(VALU_DEP_3) | instskip(SKIP_4) | instid1(VALU_DEP_1)
	v_add_nc_u32_e32 v30, v30, v31
	v_cndmask_b32_e64 v33, 0, 1, vcc_lo
	v_cmp_le_u32_e32 vcc_lo, v45, v28
	ds_bpermute_b32 v31, v43, v30
	v_lshlrev_b32_e32 v33, 2, v33
	v_add_lshl_u32 v53, v33, v50, 2
	s_waitcnt lgkmcnt(0)
	v_cndmask_b32_e32 v31, 0, v31, vcc_lo
	v_cmp_gt_u32_e32 vcc_lo, 24, v50
	s_delay_alu instid0(VALU_DEP_2) | instskip(SKIP_4) | instid1(VALU_DEP_2)
	v_add_nc_u32_e32 v30, v30, v31
	v_cndmask_b32_e64 v33, 0, 1, vcc_lo
	ds_bpermute_b32 v31, v53, v30
	v_add_nc_u32_e32 v54, 4, v50
	v_lshlrev_b32_e32 v33, 3, v33
	v_cmp_le_u32_e32 vcc_lo, v54, v28
	s_delay_alu instid0(VALU_DEP_2) | instskip(SKIP_3) | instid1(VALU_DEP_2)
	v_add_lshl_u32 v55, v33, v50, 2
	s_waitcnt lgkmcnt(0)
	v_cndmask_b32_e32 v31, 0, v31, vcc_lo
	v_cmp_gt_u32_e32 vcc_lo, 16, v50
	v_add_nc_u32_e32 v30, v30, v31
	v_cndmask_b32_e64 v33, 0, 1, vcc_lo
	ds_bpermute_b32 v31, v55, v30
	v_add_nc_u32_e32 v56, 8, v50
	v_lshlrev_b32_e32 v33, 4, v33
	s_delay_alu instid0(VALU_DEP_2) | instskip(NEXT) | instid1(VALU_DEP_2)
	v_cmp_le_u32_e32 vcc_lo, v56, v28
	v_add_lshl_u32 v57, v33, v50, 2
	s_waitcnt lgkmcnt(0)
	v_cndmask_b32_e32 v31, 0, v31, vcc_lo
	v_cmp_le_u32_e32 vcc_lo, v58, v28
	s_delay_alu instid0(VALU_DEP_2) | instskip(SKIP_3) | instid1(VALU_DEP_1)
	v_add_nc_u32_e32 v30, v30, v31
	ds_bpermute_b32 v31, v57, v30
	s_waitcnt lgkmcnt(0)
	v_cndmask_b32_e32 v28, 0, v31, vcc_lo
	v_dual_mov_b32 v30, 0 :: v_dual_add_nc_u32 v31, v30, v28
	s_branch .LBB627_82
.LBB627_81:                             ;   in Loop: Header=BB627_82 Depth=1
	s_or_b32 exec_lo, exec_lo, s9
	ds_bpermute_b32 v34, v39, v31
	v_and_b32_e32 v33, 0xff, v32
	v_subrev_nc_u32_e32 v29, 32, v29
	s_delay_alu instid0(VALU_DEP_2) | instskip(SKIP_1) | instid1(VALU_DEP_1)
	v_cmp_eq_u16_e32 vcc_lo, 2, v33
	v_and_or_b32 v33, vcc_lo, v41, 0x80000000
	v_ctz_i32_b32_e32 v33, v33
	s_delay_alu instid0(VALU_DEP_1) | instskip(SKIP_3) | instid1(VALU_DEP_2)
	v_cmp_lt_u32_e32 vcc_lo, v50, v33
	s_waitcnt lgkmcnt(0)
	v_cndmask_b32_e32 v34, 0, v34, vcc_lo
	v_cmp_le_u32_e32 vcc_lo, v45, v33
	v_add_nc_u32_e32 v31, v34, v31
	ds_bpermute_b32 v34, v43, v31
	s_waitcnt lgkmcnt(0)
	v_cndmask_b32_e32 v34, 0, v34, vcc_lo
	v_cmp_le_u32_e32 vcc_lo, v54, v33
	s_delay_alu instid0(VALU_DEP_2) | instskip(SKIP_4) | instid1(VALU_DEP_2)
	v_add_nc_u32_e32 v31, v31, v34
	ds_bpermute_b32 v34, v53, v31
	s_waitcnt lgkmcnt(0)
	v_cndmask_b32_e32 v34, 0, v34, vcc_lo
	v_cmp_le_u32_e32 vcc_lo, v56, v33
	v_add_nc_u32_e32 v31, v31, v34
	ds_bpermute_b32 v34, v55, v31
	s_waitcnt lgkmcnt(0)
	v_cndmask_b32_e32 v34, 0, v34, vcc_lo
	v_cmp_le_u32_e32 vcc_lo, v58, v33
	s_delay_alu instid0(VALU_DEP_2) | instskip(SKIP_3) | instid1(VALU_DEP_1)
	v_add_nc_u32_e32 v31, v31, v34
	ds_bpermute_b32 v34, v57, v31
	s_waitcnt lgkmcnt(0)
	v_cndmask_b32_e32 v33, 0, v34, vcc_lo
	v_add3_u32 v31, v33, v28, v31
.LBB627_82:                             ; =>This Loop Header: Depth=1
                                        ;     Child Loop BB627_85 Depth 2
	v_and_b32_e32 v28, 0xff, v32
	s_delay_alu instid0(VALU_DEP_1) | instskip(SKIP_2) | instid1(VALU_DEP_1)
	v_cmp_ne_u16_e32 vcc_lo, 2, v28
	v_cndmask_b32_e64 v28, 0, 1, vcc_lo
	;;#ASMSTART
	;;#ASMEND
	v_cmp_ne_u32_e32 vcc_lo, 0, v28
	v_mov_b32_e32 v28, v31
	s_cmp_lg_u32 vcc_lo, exec_lo
	s_cbranch_scc1 .LBB627_87
; %bb.83:                               ;   in Loop: Header=BB627_82 Depth=1
	v_lshlrev_b64 v[31:32], 3, v[29:30]
	s_mov_b32 s9, exec_lo
	s_delay_alu instid0(VALU_DEP_1) | instskip(NEXT) | instid1(VALU_DEP_2)
	v_add_co_u32 v33, vcc_lo, s20, v31
	v_add_co_ci_u32_e32 v34, vcc_lo, s21, v32, vcc_lo
	global_load_b64 v[31:32], v[33:34], off glc
	s_waitcnt vmcnt(0)
	v_and_b32_e32 v59, 0xff, v32
	s_delay_alu instid0(VALU_DEP_1)
	v_cmpx_eq_u16_e32 0, v59
	s_cbranch_execz .LBB627_81
; %bb.84:                               ;   in Loop: Header=BB627_82 Depth=1
	s_mov_b32 s14, 0
.LBB627_85:                             ;   Parent Loop BB627_82 Depth=1
                                        ; =>  This Inner Loop Header: Depth=2
	global_load_b64 v[31:32], v[33:34], off glc
	s_waitcnt vmcnt(0)
	v_and_b32_e32 v59, 0xff, v32
	s_delay_alu instid0(VALU_DEP_1) | instskip(SKIP_1) | instid1(SALU_CYCLE_1)
	v_cmp_ne_u16_e32 vcc_lo, 0, v59
	s_or_b32 s14, vcc_lo, s14
	s_and_not1_b32 exec_lo, exec_lo, s14
	s_cbranch_execnz .LBB627_85
; %bb.86:                               ;   in Loop: Header=BB627_82 Depth=1
	s_or_b32 exec_lo, exec_lo, s14
	s_branch .LBB627_81
.LBB627_87:                             ;   in Loop: Header=BB627_82 Depth=1
                                        ; implicit-def: $vgpr31
                                        ; implicit-def: $vgpr32
	s_cbranch_execz .LBB627_82
; %bb.88:
	s_and_saveexec_b32 s9, s7
	s_cbranch_execz .LBB627_90
; %bb.89:
	s_add_i32 s14, s24, 32
	s_mov_b32 s15, 0
	v_dual_mov_b32 v30, 2 :: v_dual_add_nc_u32 v29, v28, v27
	s_lshl_b64 s[14:15], s[14:15], 3
	v_mov_b32_e32 v31, 0
	s_add_u32 s14, s20, s14
	s_addc_u32 s15, s21, s15
	global_store_b64 v31, v[29:30], s[14:15]
	ds_store_b64 v31, v[27:28] offset:33792
.LBB627_90:
	s_or_b32 exec_lo, exec_lo, s9
	s_delay_alu instid0(SALU_CYCLE_1)
	s_and_b32 exec_lo, exec_lo, s2
	s_cbranch_execz .LBB627_92
; %bb.91:
	v_mov_b32_e32 v27, 0
	ds_store_b32 v27, v28 offset:60
.LBB627_92:
	s_or_b32 exec_lo, exec_lo, s8
	v_mov_b32_e32 v27, 0
	s_waitcnt lgkmcnt(0)
	s_waitcnt_vscnt null, 0x0
	s_barrier
	buffer_gl0_inv
	v_cndmask_b32_e64 v29, v37, v35, s7
	ds_load_b32 v28, v27 offset:60
	s_waitcnt lgkmcnt(0)
	s_barrier
	buffer_gl0_inv
	v_cndmask_b32_e64 v29, v29, 0, s2
	s_delay_alu instid0(VALU_DEP_1) | instskip(SKIP_2) | instid1(VALU_DEP_1)
	v_add_nc_u32_e32 v45, v28, v29
	ds_load_b64 v[27:28], v27 offset:33792
	v_add_nc_u32_e32 v43, v45, v36
	v_add_nc_u32_e32 v41, v43, v38
	s_delay_alu instid0(VALU_DEP_1) | instskip(NEXT) | instid1(VALU_DEP_1)
	v_add_nc_u32_e32 v39, v41, v40
	v_add_nc_u32_e32 v37, v39, v42
	s_waitcnt lgkmcnt(0)
	v_readfirstlane_b32 s8, v28
	s_delay_alu instid0(VALU_DEP_2) | instskip(NEXT) | instid1(VALU_DEP_1)
	v_add_nc_u32_e32 v35, v37, v44
	v_add_nc_u32_e32 v33, v35, v46
	s_delay_alu instid0(VALU_DEP_1)
	v_add_nc_u32_e32 v31, v33, v49
	v_lshrrev_b64 v[29:30], 24, v[25:26]
	s_branch .LBB627_103
.LBB627_93:
                                        ; implicit-def: $vgpr31
                                        ; implicit-def: $vgpr33
                                        ; implicit-def: $vgpr35
                                        ; implicit-def: $vgpr37
                                        ; implicit-def: $vgpr39
                                        ; implicit-def: $vgpr41
                                        ; implicit-def: $vgpr43
                                        ; implicit-def: $vgpr45
                                        ; implicit-def: $sgpr8
                                        ; implicit-def: $vgpr27
	v_lshrrev_b64 v[29:30], 24, v[25:26]
	s_and_b32 vcc_lo, exec_lo, s7
	s_cbranch_vccz .LBB627_103
; %bb.94:
	v_mov_b32_dpp v27, v52 row_shr:1 row_mask:0xf bank_mask:0xf
	s_delay_alu instid0(VALU_DEP_1) | instskip(NEXT) | instid1(VALU_DEP_1)
	v_cndmask_b32_e64 v27, v27, 0, s3
	v_add_nc_u32_e32 v27, v27, v52
	s_delay_alu instid0(VALU_DEP_1) | instskip(NEXT) | instid1(VALU_DEP_1)
	v_mov_b32_dpp v28, v27 row_shr:2 row_mask:0xf bank_mask:0xf
	v_cndmask_b32_e64 v28, 0, v28, s0
	s_delay_alu instid0(VALU_DEP_1) | instskip(NEXT) | instid1(VALU_DEP_1)
	v_add_nc_u32_e32 v27, v27, v28
	v_mov_b32_dpp v28, v27 row_shr:4 row_mask:0xf bank_mask:0xf
	s_delay_alu instid0(VALU_DEP_1) | instskip(NEXT) | instid1(VALU_DEP_1)
	v_cndmask_b32_e64 v28, 0, v28, s4
	v_add_nc_u32_e32 v27, v27, v28
	s_delay_alu instid0(VALU_DEP_1) | instskip(NEXT) | instid1(VALU_DEP_1)
	v_mov_b32_dpp v28, v27 row_shr:8 row_mask:0xf bank_mask:0xf
	v_cndmask_b32_e64 v28, 0, v28, s1
	s_delay_alu instid0(VALU_DEP_1) | instskip(SKIP_3) | instid1(VALU_DEP_1)
	v_add_nc_u32_e32 v27, v27, v28
	ds_swizzle_b32 v28, v27 offset:swizzle(BROADCAST,32,15)
	s_waitcnt lgkmcnt(0)
	v_cndmask_b32_e64 v28, v28, 0, s6
	v_add_nc_u32_e32 v27, v27, v28
	s_and_saveexec_b32 s6, s5
	s_cbranch_execz .LBB627_96
; %bb.95:
	v_lshlrev_b32_e32 v28, 2, v51
	ds_store_b32 v28, v27
.LBB627_96:
	s_or_b32 exec_lo, exec_lo, s6
	s_delay_alu instid0(SALU_CYCLE_1)
	s_mov_b32 s5, exec_lo
	s_waitcnt lgkmcnt(0)
	s_barrier
	buffer_gl0_inv
	v_cmpx_gt_u32_e32 16, v0
	s_cbranch_execz .LBB627_98
; %bb.97:
	v_lshlrev_b32_e32 v28, 2, v0
	ds_load_b32 v30, v28
	s_waitcnt lgkmcnt(0)
	v_mov_b32_dpp v31, v30 row_shr:1 row_mask:0xf bank_mask:0xf
	s_delay_alu instid0(VALU_DEP_1) | instskip(NEXT) | instid1(VALU_DEP_1)
	v_cndmask_b32_e64 v31, v31, 0, s3
	v_add_nc_u32_e32 v30, v31, v30
	s_delay_alu instid0(VALU_DEP_1) | instskip(NEXT) | instid1(VALU_DEP_1)
	v_mov_b32_dpp v31, v30 row_shr:2 row_mask:0xf bank_mask:0xf
	v_cndmask_b32_e64 v31, 0, v31, s0
	s_delay_alu instid0(VALU_DEP_1) | instskip(NEXT) | instid1(VALU_DEP_1)
	v_add_nc_u32_e32 v30, v30, v31
	v_mov_b32_dpp v31, v30 row_shr:4 row_mask:0xf bank_mask:0xf
	s_delay_alu instid0(VALU_DEP_1) | instskip(NEXT) | instid1(VALU_DEP_1)
	v_cndmask_b32_e64 v31, 0, v31, s4
	v_add_nc_u32_e32 v30, v30, v31
	s_delay_alu instid0(VALU_DEP_1) | instskip(NEXT) | instid1(VALU_DEP_1)
	v_mov_b32_dpp v31, v30 row_shr:8 row_mask:0xf bank_mask:0xf
	v_cndmask_b32_e64 v31, 0, v31, s1
	s_delay_alu instid0(VALU_DEP_1)
	v_add_nc_u32_e32 v30, v30, v31
	ds_store_b32 v28, v30
.LBB627_98:
	s_or_b32 exec_lo, exec_lo, s5
	v_mov_b32_e32 v28, 0
	v_mov_b32_e32 v30, 0
	s_mov_b32 s0, exec_lo
	s_waitcnt lgkmcnt(0)
	s_barrier
	buffer_gl0_inv
	v_cmpx_lt_u32_e32 31, v0
	s_cbranch_execz .LBB627_100
; %bb.99:
	v_lshl_add_u32 v30, v51, 2, -4
	ds_load_b32 v30, v30
.LBB627_100:
	s_or_b32 exec_lo, exec_lo, s0
	v_add_nc_u32_e32 v31, -1, v50
	s_waitcnt lgkmcnt(0)
	v_add_nc_u32_e32 v27, v30, v27
	s_mov_b32 s8, 0
	s_delay_alu instid0(VALU_DEP_2) | instskip(SKIP_1) | instid1(VALU_DEP_1)
	v_cmp_gt_i32_e32 vcc_lo, 0, v31
	v_cndmask_b32_e32 v31, v31, v50, vcc_lo
	v_lshlrev_b32_e32 v31, 2, v31
	ds_bpermute_b32 v31, v31, v27
	ds_load_b32 v27, v28 offset:60
	s_and_saveexec_b32 s0, s2
	s_cbranch_execz .LBB627_102
; %bb.101:
	v_mov_b32_e32 v32, 0
	v_mov_b32_e32 v28, 2
	s_waitcnt lgkmcnt(0)
	global_store_b64 v32, v[27:28], s[20:21] offset:256
.LBB627_102:
	s_or_b32 exec_lo, exec_lo, s0
	v_cmp_eq_u32_e32 vcc_lo, 0, v50
	s_waitcnt lgkmcnt(0)
	s_waitcnt_vscnt null, 0x0
	s_barrier
	buffer_gl0_inv
	v_cndmask_b32_e32 v28, v31, v30, vcc_lo
	s_delay_alu instid0(VALU_DEP_1) | instskip(NEXT) | instid1(VALU_DEP_1)
	v_cndmask_b32_e64 v45, v28, 0, s2
	v_add_nc_u32_e32 v43, v45, v36
	s_delay_alu instid0(VALU_DEP_1) | instskip(NEXT) | instid1(VALU_DEP_1)
	v_add_nc_u32_e32 v41, v43, v38
	v_add_nc_u32_e32 v39, v41, v40
	s_delay_alu instid0(VALU_DEP_1) | instskip(NEXT) | instid1(VALU_DEP_1)
	v_add_nc_u32_e32 v37, v39, v42
	;; [unrolled: 3-line block ×3, first 2 shown]
	v_add_nc_u32_e32 v31, v33, v49
.LBB627_103:
	v_add_nc_u32_e32 v51, s8, v27
	v_cmp_gt_u32_e64 s0, 0x201, v27
	v_lshrrev_b32_e32 v50, 8, v25
	v_lshrrev_b32_e32 v49, 16, v25
	;; [unrolled: 1-line block ×4, first 2 shown]
	v_cmp_lt_u32_e64 s1, v45, v51
	s_and_b32 vcc_lo, exec_lo, s0
	s_mov_b32 s3, -1
	s_cbranch_vccz .LBB627_129
; %bb.104:
	s_lshl_b64 s[4:5], s[10:11], 3
	s_delay_alu instid0(SALU_CYCLE_1) | instskip(SKIP_2) | instid1(SALU_CYCLE_1)
	s_add_u32 s3, s16, s4
	s_addc_u32 s4, s17, s5
	s_or_b32 s5, s23, s1
	s_and_saveexec_b32 s1, s5
	s_cbranch_execz .LBB627_107
; %bb.105:
	v_and_b32_e32 v32, 1, v25
	s_delay_alu instid0(VALU_DEP_1)
	v_cmp_eq_u32_e32 vcc_lo, 1, v32
	s_and_b32 exec_lo, exec_lo, vcc_lo
	s_cbranch_execz .LBB627_107
; %bb.106:
	v_mov_b32_e32 v46, 0
	s_delay_alu instid0(VALU_DEP_1) | instskip(NEXT) | instid1(VALU_DEP_1)
	v_lshlrev_b64 v[52:53], 3, v[45:46]
	v_add_co_u32 v52, vcc_lo, s3, v52
	s_delay_alu instid0(VALU_DEP_2)
	v_add_co_ci_u32_e32 v53, vcc_lo, s4, v53, vcc_lo
	global_store_b64 v[52:53], v[13:14], off
.LBB627_107:
	s_or_b32 exec_lo, exec_lo, s1
	v_cmp_lt_u32_e32 vcc_lo, v43, v51
	s_or_b32 s5, s23, vcc_lo
	s_delay_alu instid0(SALU_CYCLE_1)
	s_and_saveexec_b32 s1, s5
	s_cbranch_execz .LBB627_110
; %bb.108:
	v_and_b32_e32 v32, 1, v50
	s_delay_alu instid0(VALU_DEP_1)
	v_cmp_eq_u32_e32 vcc_lo, 1, v32
	s_and_b32 exec_lo, exec_lo, vcc_lo
	s_cbranch_execz .LBB627_110
; %bb.109:
	v_mov_b32_e32 v44, 0
	s_delay_alu instid0(VALU_DEP_1) | instskip(NEXT) | instid1(VALU_DEP_1)
	v_lshlrev_b64 v[52:53], 3, v[43:44]
	v_add_co_u32 v52, vcc_lo, s3, v52
	s_delay_alu instid0(VALU_DEP_2)
	v_add_co_ci_u32_e32 v53, vcc_lo, s4, v53, vcc_lo
	global_store_b64 v[52:53], v[15:16], off
.LBB627_110:
	s_or_b32 exec_lo, exec_lo, s1
	v_cmp_lt_u32_e32 vcc_lo, v41, v51
	s_or_b32 s5, s23, vcc_lo
	s_delay_alu instid0(SALU_CYCLE_1)
	;; [unrolled: 21-line block ×7, first 2 shown]
	s_and_saveexec_b32 s1, s5
	s_cbranch_execz .LBB627_128
; %bb.126:
	v_and_b32_e32 v32, 1, v48
	s_delay_alu instid0(VALU_DEP_1)
	v_cmp_eq_u32_e32 vcc_lo, 1, v32
	s_and_b32 exec_lo, exec_lo, vcc_lo
	s_cbranch_execz .LBB627_128
; %bb.127:
	v_mov_b32_e32 v32, 0
	s_delay_alu instid0(VALU_DEP_1) | instskip(NEXT) | instid1(VALU_DEP_1)
	v_lshlrev_b64 v[52:53], 3, v[31:32]
	v_add_co_u32 v52, vcc_lo, s3, v52
	s_delay_alu instid0(VALU_DEP_2)
	v_add_co_ci_u32_e32 v53, vcc_lo, s4, v53, vcc_lo
	global_store_b64 v[52:53], v[3:4], off
.LBB627_128:
	s_or_b32 exec_lo, exec_lo, s1
	s_mov_b32 s3, 0
.LBB627_129:
	v_and_b32_e32 v25, 1, v25
	s_and_b32 vcc_lo, exec_lo, s3
	s_delay_alu instid0(VALU_DEP_1)
	v_cmp_eq_u32_e64 s1, 1, v25
	s_cbranch_vccz .LBB627_150
; %bb.130:
	s_delay_alu instid0(VALU_DEP_1)
	s_and_saveexec_b32 s3, s1
	s_cbranch_execz .LBB627_132
; %bb.131:
	v_subrev_nc_u32_e32 v32, s8, v45
	s_delay_alu instid0(VALU_DEP_1)
	v_lshlrev_b32_e32 v32, 3, v32
	ds_store_b64 v32, v[13:14]
.LBB627_132:
	s_or_b32 exec_lo, exec_lo, s3
	v_and_b32_e32 v13, 1, v50
	s_mov_b32 s1, exec_lo
	s_delay_alu instid0(VALU_DEP_1)
	v_cmpx_eq_u32_e32 1, v13
	s_cbranch_execz .LBB627_134
; %bb.133:
	v_subrev_nc_u32_e32 v13, s8, v43
	s_delay_alu instid0(VALU_DEP_1)
	v_lshlrev_b32_e32 v13, 3, v13
	ds_store_b64 v13, v[15:16]
.LBB627_134:
	s_or_b32 exec_lo, exec_lo, s1
	v_and_b32_e32 v13, 1, v49
	s_mov_b32 s1, exec_lo
	s_delay_alu instid0(VALU_DEP_1)
	v_cmpx_eq_u32_e32 1, v13
	;; [unrolled: 12-line block ×7, first 2 shown]
	s_cbranch_execz .LBB627_146
; %bb.145:
	v_subrev_nc_u32_e32 v1, s8, v31
	s_delay_alu instid0(VALU_DEP_1)
	v_lshlrev_b32_e32 v1, 3, v1
	ds_store_b64 v1, v[3:4]
.LBB627_146:
	s_or_b32 exec_lo, exec_lo, s1
	s_delay_alu instid0(SALU_CYCLE_1)
	s_mov_b32 s3, exec_lo
	s_waitcnt lgkmcnt(0)
	s_waitcnt_vscnt null, 0x0
	s_barrier
	buffer_gl0_inv
	v_cmpx_lt_u32_e64 v0, v27
	s_cbranch_execz .LBB627_149
; %bb.147:
	s_mov_b32 s9, 0
	s_lshl_b64 s[4:5], s[10:11], 3
	s_lshl_b64 s[6:7], s[8:9], 3
	v_mov_b32_e32 v3, v0
	s_add_u32 s1, s4, s6
	s_addc_u32 s4, s5, s7
	s_add_u32 s1, s16, s1
	s_addc_u32 s4, s17, s4
	v_add_co_u32 v1, s1, s1, v47
	s_delay_alu instid0(VALU_DEP_1)
	v_add_co_ci_u32_e64 v2, null, s4, 0, s1
	.p2align	6
.LBB627_148:                            ; =>This Inner Loop Header: Depth=1
	ds_load_b64 v[4:5], v47
	v_add_nc_u32_e32 v3, 0x200, v3
	v_add_nc_u32_e32 v47, 0x1000, v47
	s_delay_alu instid0(VALU_DEP_2) | instskip(SKIP_4) | instid1(VALU_DEP_1)
	v_cmp_ge_u32_e32 vcc_lo, v3, v27
	s_or_b32 s9, vcc_lo, s9
	s_waitcnt lgkmcnt(0)
	global_store_b64 v[1:2], v[4:5], off
	v_add_co_u32 v1, s1, 0x1000, v1
	v_add_co_ci_u32_e64 v2, s1, 0, v2, s1
	s_and_not1_b32 exec_lo, exec_lo, s9
	s_cbranch_execnz .LBB627_148
.LBB627_149:
	s_or_b32 exec_lo, exec_lo, s3
.LBB627_150:
	s_delay_alu instid0(SALU_CYCLE_1)
	s_and_b32 vcc_lo, exec_lo, s0
	s_mov_b32 s0, -1
	s_waitcnt_vscnt null, 0x0
	s_barrier
	buffer_gl0_inv
	s_cbranch_vccz .LBB627_178
; %bb.151:
	v_cmp_lt_u32_e32 vcc_lo, v45, v51
	s_lshl_b64 s[0:1], s[10:11], 2
	s_delay_alu instid0(SALU_CYCLE_1) | instskip(SKIP_2) | instid1(SALU_CYCLE_1)
	s_add_u32 s0, s18, s0
	s_addc_u32 s1, s19, s1
	s_or_b32 s4, s23, vcc_lo
	s_and_saveexec_b32 s3, s4
	s_cbranch_execz .LBB627_154
; %bb.152:
	v_cmp_eq_u32_e32 vcc_lo, 1, v25
	s_and_b32 exec_lo, exec_lo, vcc_lo
	s_cbranch_execz .LBB627_154
; %bb.153:
	v_mov_b32_e32 v46, 0
	s_delay_alu instid0(VALU_DEP_1) | instskip(NEXT) | instid1(VALU_DEP_1)
	v_lshlrev_b64 v[1:2], 2, v[45:46]
	v_add_co_u32 v1, vcc_lo, s0, v1
	s_delay_alu instid0(VALU_DEP_2)
	v_add_co_ci_u32_e32 v2, vcc_lo, s1, v2, vcc_lo
	global_store_b32 v[1:2], v23, off
.LBB627_154:
	s_or_b32 exec_lo, exec_lo, s3
	v_cmp_lt_u32_e32 vcc_lo, v43, v51
	s_or_b32 s4, s23, vcc_lo
	s_delay_alu instid0(SALU_CYCLE_1)
	s_and_saveexec_b32 s3, s4
	s_cbranch_execz .LBB627_157
; %bb.155:
	v_and_b32_e32 v1, 1, v50
	s_delay_alu instid0(VALU_DEP_1)
	v_cmp_eq_u32_e32 vcc_lo, 1, v1
	s_and_b32 exec_lo, exec_lo, vcc_lo
	s_cbranch_execz .LBB627_157
; %bb.156:
	v_mov_b32_e32 v44, 0
	s_delay_alu instid0(VALU_DEP_1) | instskip(NEXT) | instid1(VALU_DEP_1)
	v_lshlrev_b64 v[1:2], 2, v[43:44]
	v_add_co_u32 v1, vcc_lo, s0, v1
	s_delay_alu instid0(VALU_DEP_2)
	v_add_co_ci_u32_e32 v2, vcc_lo, s1, v2, vcc_lo
	global_store_b32 v[1:2], v24, off
.LBB627_157:
	s_or_b32 exec_lo, exec_lo, s3
	v_cmp_lt_u32_e32 vcc_lo, v41, v51
	s_or_b32 s4, s23, vcc_lo
	s_delay_alu instid0(SALU_CYCLE_1)
	s_and_saveexec_b32 s3, s4
	s_cbranch_execz .LBB627_160
; %bb.158:
	v_and_b32_e32 v1, 1, v49
	s_delay_alu instid0(VALU_DEP_1)
	v_cmp_eq_u32_e32 vcc_lo, 1, v1
	s_and_b32 exec_lo, exec_lo, vcc_lo
	s_cbranch_execz .LBB627_160
; %bb.159:
	v_mov_b32_e32 v42, 0
	s_delay_alu instid0(VALU_DEP_1) | instskip(NEXT) | instid1(VALU_DEP_1)
	v_lshlrev_b64 v[1:2], 2, v[41:42]
	v_add_co_u32 v1, vcc_lo, s0, v1
	s_delay_alu instid0(VALU_DEP_2)
	v_add_co_ci_u32_e32 v2, vcc_lo, s1, v2, vcc_lo
	global_store_b32 v[1:2], v21, off
.LBB627_160:
	;; [unrolled: 21-line block ×7, first 2 shown]
	s_or_b32 exec_lo, exec_lo, s3
.LBB627_176:
	s_and_b32 s0, s2, s22
	s_delay_alu instid0(SALU_CYCLE_1)
	s_and_saveexec_b32 s1, s0
	s_cbranch_execz .LBB627_199
.LBB627_177:
	v_add_co_u32 v0, s0, s10, v27
	s_delay_alu instid0(VALU_DEP_1) | instskip(SKIP_1) | instid1(VALU_DEP_3)
	v_add_co_ci_u32_e64 v1, null, s11, 0, s0
	v_mov_b32_e32 v2, 0
	v_add_co_u32 v0, vcc_lo, v0, s8
	s_delay_alu instid0(VALU_DEP_3)
	v_add_co_ci_u32_e32 v1, vcc_lo, 0, v1, vcc_lo
	global_store_b64 v2, v[0:1], s[12:13]
	s_nop 0
	s_sendmsg sendmsg(MSG_DEALLOC_VGPRS)
	s_endpgm
.LBB627_178:
	s_and_b32 vcc_lo, exec_lo, s0
	s_cbranch_vccz .LBB627_176
; %bb.179:
	s_mov_b32 s0, exec_lo
	v_cmpx_eq_u32_e32 1, v25
	s_cbranch_execz .LBB627_181
; %bb.180:
	v_subrev_nc_u32_e32 v1, s8, v45
	s_delay_alu instid0(VALU_DEP_1)
	v_lshlrev_b32_e32 v1, 2, v1
	ds_store_b32 v1, v23
.LBB627_181:
	s_or_b32 exec_lo, exec_lo, s0
	v_and_b32_e32 v1, 1, v50
	s_mov_b32 s0, exec_lo
	s_delay_alu instid0(VALU_DEP_1)
	v_cmpx_eq_u32_e32 1, v1
	s_cbranch_execz .LBB627_183
; %bb.182:
	v_subrev_nc_u32_e32 v1, s8, v43
	s_delay_alu instid0(VALU_DEP_1)
	v_lshlrev_b32_e32 v1, 2, v1
	ds_store_b32 v1, v24
.LBB627_183:
	s_or_b32 exec_lo, exec_lo, s0
	v_and_b32_e32 v1, 1, v49
	s_mov_b32 s0, exec_lo
	s_delay_alu instid0(VALU_DEP_1)
	;; [unrolled: 12-line block ×7, first 2 shown]
	v_cmpx_eq_u32_e32 1, v1
	s_cbranch_execz .LBB627_195
; %bb.194:
	v_subrev_nc_u32_e32 v1, s8, v31
	s_delay_alu instid0(VALU_DEP_1)
	v_lshlrev_b32_e32 v1, 2, v1
	ds_store_b32 v1, v18
.LBB627_195:
	s_or_b32 exec_lo, exec_lo, s0
	s_delay_alu instid0(SALU_CYCLE_1)
	s_mov_b32 s1, exec_lo
	s_waitcnt lgkmcnt(0)
	s_waitcnt_vscnt null, 0x0
	s_barrier
	buffer_gl0_inv
	v_cmpx_lt_u32_e64 v0, v27
	s_cbranch_execz .LBB627_198
; %bb.196:
	s_mov_b32 s9, 0
	s_lshl_b64 s[4:5], s[10:11], 2
	s_lshl_b64 s[6:7], s[8:9], 2
	v_lshlrev_b32_e32 v3, 2, v0
	s_add_u32 s0, s4, s6
	s_addc_u32 s3, s5, s7
	s_add_u32 s0, s18, s0
	s_addc_u32 s3, s19, s3
	v_add_co_u32 v1, s0, s0, v3
	s_delay_alu instid0(VALU_DEP_1)
	v_add_co_ci_u32_e64 v2, null, s3, 0, s0
	.p2align	6
.LBB627_197:                            ; =>This Inner Loop Header: Depth=1
	ds_load_b32 v4, v3
	v_add_nc_u32_e32 v0, 0x200, v0
	v_add_nc_u32_e32 v3, 0x800, v3
	s_delay_alu instid0(VALU_DEP_2) | instskip(SKIP_4) | instid1(VALU_DEP_1)
	v_cmp_ge_u32_e32 vcc_lo, v0, v27
	s_or_b32 s9, vcc_lo, s9
	s_waitcnt lgkmcnt(0)
	global_store_b32 v[1:2], v4, off
	v_add_co_u32 v1, s0, 0x800, v1
	v_add_co_ci_u32_e64 v2, s0, 0, v2, s0
	s_and_not1_b32 exec_lo, exec_lo, s9
	s_cbranch_execnz .LBB627_197
.LBB627_198:
	s_or_b32 exec_lo, exec_lo, s1
	s_and_b32 s0, s2, s22
	s_delay_alu instid0(SALU_CYCLE_1)
	s_and_saveexec_b32 s1, s0
	s_cbranch_execnz .LBB627_177
.LBB627_199:
	s_nop 0
	s_sendmsg sendmsg(MSG_DEALLOC_VGPRS)
	s_endpgm
	.section	.rodata,"a",@progbits
	.p2align	6, 0x0
	.amdhsa_kernel _ZN7rocprim17ROCPRIM_400000_NS6detail17trampoline_kernelINS0_14default_configENS1_25partition_config_selectorILNS1_17partition_subalgoE9ExjbEEZZNS1_14partition_implILS5_9ELb0ES3_jN6thrust23THRUST_200600_302600_NS6detail15normal_iteratorINS9_10device_ptrIxEEEENSB_INSC_IjEEEEPNS0_10empty_typeENS0_5tupleIJSE_SH_EEENSJ_IJSG_SI_EEENS0_18inequality_wrapperINS9_8equal_toIxEEEEPmJSH_EEE10hipError_tPvRmT3_T4_T5_T6_T7_T9_mT8_P12ihipStream_tbDpT10_ENKUlT_T0_E_clISt17integral_constantIbLb0EES19_IbLb1EEEEDaS15_S16_EUlS15_E_NS1_11comp_targetILNS1_3genE9ELNS1_11target_archE1100ELNS1_3gpuE3ELNS1_3repE0EEENS1_30default_config_static_selectorELNS0_4arch9wavefront6targetE0EEEvT1_
		.amdhsa_group_segment_fixed_size 33800
		.amdhsa_private_segment_fixed_size 0
		.amdhsa_kernarg_size 128
		.amdhsa_user_sgpr_count 15
		.amdhsa_user_sgpr_dispatch_ptr 0
		.amdhsa_user_sgpr_queue_ptr 0
		.amdhsa_user_sgpr_kernarg_segment_ptr 1
		.amdhsa_user_sgpr_dispatch_id 0
		.amdhsa_user_sgpr_private_segment_size 0
		.amdhsa_wavefront_size32 1
		.amdhsa_uses_dynamic_stack 0
		.amdhsa_enable_private_segment 0
		.amdhsa_system_sgpr_workgroup_id_x 1
		.amdhsa_system_sgpr_workgroup_id_y 0
		.amdhsa_system_sgpr_workgroup_id_z 0
		.amdhsa_system_sgpr_workgroup_info 0
		.amdhsa_system_vgpr_workitem_id 0
		.amdhsa_next_free_vgpr 60
		.amdhsa_next_free_sgpr 30
		.amdhsa_reserve_vcc 1
		.amdhsa_float_round_mode_32 0
		.amdhsa_float_round_mode_16_64 0
		.amdhsa_float_denorm_mode_32 3
		.amdhsa_float_denorm_mode_16_64 3
		.amdhsa_dx10_clamp 1
		.amdhsa_ieee_mode 1
		.amdhsa_fp16_overflow 0
		.amdhsa_workgroup_processor_mode 1
		.amdhsa_memory_ordered 1
		.amdhsa_forward_progress 0
		.amdhsa_shared_vgpr_count 0
		.amdhsa_exception_fp_ieee_invalid_op 0
		.amdhsa_exception_fp_denorm_src 0
		.amdhsa_exception_fp_ieee_div_zero 0
		.amdhsa_exception_fp_ieee_overflow 0
		.amdhsa_exception_fp_ieee_underflow 0
		.amdhsa_exception_fp_ieee_inexact 0
		.amdhsa_exception_int_div_zero 0
	.end_amdhsa_kernel
	.section	.text._ZN7rocprim17ROCPRIM_400000_NS6detail17trampoline_kernelINS0_14default_configENS1_25partition_config_selectorILNS1_17partition_subalgoE9ExjbEEZZNS1_14partition_implILS5_9ELb0ES3_jN6thrust23THRUST_200600_302600_NS6detail15normal_iteratorINS9_10device_ptrIxEEEENSB_INSC_IjEEEEPNS0_10empty_typeENS0_5tupleIJSE_SH_EEENSJ_IJSG_SI_EEENS0_18inequality_wrapperINS9_8equal_toIxEEEEPmJSH_EEE10hipError_tPvRmT3_T4_T5_T6_T7_T9_mT8_P12ihipStream_tbDpT10_ENKUlT_T0_E_clISt17integral_constantIbLb0EES19_IbLb1EEEEDaS15_S16_EUlS15_E_NS1_11comp_targetILNS1_3genE9ELNS1_11target_archE1100ELNS1_3gpuE3ELNS1_3repE0EEENS1_30default_config_static_selectorELNS0_4arch9wavefront6targetE0EEEvT1_,"axG",@progbits,_ZN7rocprim17ROCPRIM_400000_NS6detail17trampoline_kernelINS0_14default_configENS1_25partition_config_selectorILNS1_17partition_subalgoE9ExjbEEZZNS1_14partition_implILS5_9ELb0ES3_jN6thrust23THRUST_200600_302600_NS6detail15normal_iteratorINS9_10device_ptrIxEEEENSB_INSC_IjEEEEPNS0_10empty_typeENS0_5tupleIJSE_SH_EEENSJ_IJSG_SI_EEENS0_18inequality_wrapperINS9_8equal_toIxEEEEPmJSH_EEE10hipError_tPvRmT3_T4_T5_T6_T7_T9_mT8_P12ihipStream_tbDpT10_ENKUlT_T0_E_clISt17integral_constantIbLb0EES19_IbLb1EEEEDaS15_S16_EUlS15_E_NS1_11comp_targetILNS1_3genE9ELNS1_11target_archE1100ELNS1_3gpuE3ELNS1_3repE0EEENS1_30default_config_static_selectorELNS0_4arch9wavefront6targetE0EEEvT1_,comdat
.Lfunc_end627:
	.size	_ZN7rocprim17ROCPRIM_400000_NS6detail17trampoline_kernelINS0_14default_configENS1_25partition_config_selectorILNS1_17partition_subalgoE9ExjbEEZZNS1_14partition_implILS5_9ELb0ES3_jN6thrust23THRUST_200600_302600_NS6detail15normal_iteratorINS9_10device_ptrIxEEEENSB_INSC_IjEEEEPNS0_10empty_typeENS0_5tupleIJSE_SH_EEENSJ_IJSG_SI_EEENS0_18inequality_wrapperINS9_8equal_toIxEEEEPmJSH_EEE10hipError_tPvRmT3_T4_T5_T6_T7_T9_mT8_P12ihipStream_tbDpT10_ENKUlT_T0_E_clISt17integral_constantIbLb0EES19_IbLb1EEEEDaS15_S16_EUlS15_E_NS1_11comp_targetILNS1_3genE9ELNS1_11target_archE1100ELNS1_3gpuE3ELNS1_3repE0EEENS1_30default_config_static_selectorELNS0_4arch9wavefront6targetE0EEEvT1_, .Lfunc_end627-_ZN7rocprim17ROCPRIM_400000_NS6detail17trampoline_kernelINS0_14default_configENS1_25partition_config_selectorILNS1_17partition_subalgoE9ExjbEEZZNS1_14partition_implILS5_9ELb0ES3_jN6thrust23THRUST_200600_302600_NS6detail15normal_iteratorINS9_10device_ptrIxEEEENSB_INSC_IjEEEEPNS0_10empty_typeENS0_5tupleIJSE_SH_EEENSJ_IJSG_SI_EEENS0_18inequality_wrapperINS9_8equal_toIxEEEEPmJSH_EEE10hipError_tPvRmT3_T4_T5_T6_T7_T9_mT8_P12ihipStream_tbDpT10_ENKUlT_T0_E_clISt17integral_constantIbLb0EES19_IbLb1EEEEDaS15_S16_EUlS15_E_NS1_11comp_targetILNS1_3genE9ELNS1_11target_archE1100ELNS1_3gpuE3ELNS1_3repE0EEENS1_30default_config_static_selectorELNS0_4arch9wavefront6targetE0EEEvT1_
                                        ; -- End function
	.section	.AMDGPU.csdata,"",@progbits
; Kernel info:
; codeLenInByte = 9416
; NumSgprs: 32
; NumVgprs: 60
; ScratchSize: 0
; MemoryBound: 0
; FloatMode: 240
; IeeeMode: 1
; LDSByteSize: 33800 bytes/workgroup (compile time only)
; SGPRBlocks: 3
; VGPRBlocks: 7
; NumSGPRsForWavesPerEU: 32
; NumVGPRsForWavesPerEU: 60
; Occupancy: 12
; WaveLimiterHint : 1
; COMPUTE_PGM_RSRC2:SCRATCH_EN: 0
; COMPUTE_PGM_RSRC2:USER_SGPR: 15
; COMPUTE_PGM_RSRC2:TRAP_HANDLER: 0
; COMPUTE_PGM_RSRC2:TGID_X_EN: 1
; COMPUTE_PGM_RSRC2:TGID_Y_EN: 0
; COMPUTE_PGM_RSRC2:TGID_Z_EN: 0
; COMPUTE_PGM_RSRC2:TIDIG_COMP_CNT: 0
	.section	.text._ZN7rocprim17ROCPRIM_400000_NS6detail17trampoline_kernelINS0_14default_configENS1_25partition_config_selectorILNS1_17partition_subalgoE9ExjbEEZZNS1_14partition_implILS5_9ELb0ES3_jN6thrust23THRUST_200600_302600_NS6detail15normal_iteratorINS9_10device_ptrIxEEEENSB_INSC_IjEEEEPNS0_10empty_typeENS0_5tupleIJSE_SH_EEENSJ_IJSG_SI_EEENS0_18inequality_wrapperINS9_8equal_toIxEEEEPmJSH_EEE10hipError_tPvRmT3_T4_T5_T6_T7_T9_mT8_P12ihipStream_tbDpT10_ENKUlT_T0_E_clISt17integral_constantIbLb0EES19_IbLb1EEEEDaS15_S16_EUlS15_E_NS1_11comp_targetILNS1_3genE8ELNS1_11target_archE1030ELNS1_3gpuE2ELNS1_3repE0EEENS1_30default_config_static_selectorELNS0_4arch9wavefront6targetE0EEEvT1_,"axG",@progbits,_ZN7rocprim17ROCPRIM_400000_NS6detail17trampoline_kernelINS0_14default_configENS1_25partition_config_selectorILNS1_17partition_subalgoE9ExjbEEZZNS1_14partition_implILS5_9ELb0ES3_jN6thrust23THRUST_200600_302600_NS6detail15normal_iteratorINS9_10device_ptrIxEEEENSB_INSC_IjEEEEPNS0_10empty_typeENS0_5tupleIJSE_SH_EEENSJ_IJSG_SI_EEENS0_18inequality_wrapperINS9_8equal_toIxEEEEPmJSH_EEE10hipError_tPvRmT3_T4_T5_T6_T7_T9_mT8_P12ihipStream_tbDpT10_ENKUlT_T0_E_clISt17integral_constantIbLb0EES19_IbLb1EEEEDaS15_S16_EUlS15_E_NS1_11comp_targetILNS1_3genE8ELNS1_11target_archE1030ELNS1_3gpuE2ELNS1_3repE0EEENS1_30default_config_static_selectorELNS0_4arch9wavefront6targetE0EEEvT1_,comdat
	.protected	_ZN7rocprim17ROCPRIM_400000_NS6detail17trampoline_kernelINS0_14default_configENS1_25partition_config_selectorILNS1_17partition_subalgoE9ExjbEEZZNS1_14partition_implILS5_9ELb0ES3_jN6thrust23THRUST_200600_302600_NS6detail15normal_iteratorINS9_10device_ptrIxEEEENSB_INSC_IjEEEEPNS0_10empty_typeENS0_5tupleIJSE_SH_EEENSJ_IJSG_SI_EEENS0_18inequality_wrapperINS9_8equal_toIxEEEEPmJSH_EEE10hipError_tPvRmT3_T4_T5_T6_T7_T9_mT8_P12ihipStream_tbDpT10_ENKUlT_T0_E_clISt17integral_constantIbLb0EES19_IbLb1EEEEDaS15_S16_EUlS15_E_NS1_11comp_targetILNS1_3genE8ELNS1_11target_archE1030ELNS1_3gpuE2ELNS1_3repE0EEENS1_30default_config_static_selectorELNS0_4arch9wavefront6targetE0EEEvT1_ ; -- Begin function _ZN7rocprim17ROCPRIM_400000_NS6detail17trampoline_kernelINS0_14default_configENS1_25partition_config_selectorILNS1_17partition_subalgoE9ExjbEEZZNS1_14partition_implILS5_9ELb0ES3_jN6thrust23THRUST_200600_302600_NS6detail15normal_iteratorINS9_10device_ptrIxEEEENSB_INSC_IjEEEEPNS0_10empty_typeENS0_5tupleIJSE_SH_EEENSJ_IJSG_SI_EEENS0_18inequality_wrapperINS9_8equal_toIxEEEEPmJSH_EEE10hipError_tPvRmT3_T4_T5_T6_T7_T9_mT8_P12ihipStream_tbDpT10_ENKUlT_T0_E_clISt17integral_constantIbLb0EES19_IbLb1EEEEDaS15_S16_EUlS15_E_NS1_11comp_targetILNS1_3genE8ELNS1_11target_archE1030ELNS1_3gpuE2ELNS1_3repE0EEENS1_30default_config_static_selectorELNS0_4arch9wavefront6targetE0EEEvT1_
	.globl	_ZN7rocprim17ROCPRIM_400000_NS6detail17trampoline_kernelINS0_14default_configENS1_25partition_config_selectorILNS1_17partition_subalgoE9ExjbEEZZNS1_14partition_implILS5_9ELb0ES3_jN6thrust23THRUST_200600_302600_NS6detail15normal_iteratorINS9_10device_ptrIxEEEENSB_INSC_IjEEEEPNS0_10empty_typeENS0_5tupleIJSE_SH_EEENSJ_IJSG_SI_EEENS0_18inequality_wrapperINS9_8equal_toIxEEEEPmJSH_EEE10hipError_tPvRmT3_T4_T5_T6_T7_T9_mT8_P12ihipStream_tbDpT10_ENKUlT_T0_E_clISt17integral_constantIbLb0EES19_IbLb1EEEEDaS15_S16_EUlS15_E_NS1_11comp_targetILNS1_3genE8ELNS1_11target_archE1030ELNS1_3gpuE2ELNS1_3repE0EEENS1_30default_config_static_selectorELNS0_4arch9wavefront6targetE0EEEvT1_
	.p2align	8
	.type	_ZN7rocprim17ROCPRIM_400000_NS6detail17trampoline_kernelINS0_14default_configENS1_25partition_config_selectorILNS1_17partition_subalgoE9ExjbEEZZNS1_14partition_implILS5_9ELb0ES3_jN6thrust23THRUST_200600_302600_NS6detail15normal_iteratorINS9_10device_ptrIxEEEENSB_INSC_IjEEEEPNS0_10empty_typeENS0_5tupleIJSE_SH_EEENSJ_IJSG_SI_EEENS0_18inequality_wrapperINS9_8equal_toIxEEEEPmJSH_EEE10hipError_tPvRmT3_T4_T5_T6_T7_T9_mT8_P12ihipStream_tbDpT10_ENKUlT_T0_E_clISt17integral_constantIbLb0EES19_IbLb1EEEEDaS15_S16_EUlS15_E_NS1_11comp_targetILNS1_3genE8ELNS1_11target_archE1030ELNS1_3gpuE2ELNS1_3repE0EEENS1_30default_config_static_selectorELNS0_4arch9wavefront6targetE0EEEvT1_,@function
_ZN7rocprim17ROCPRIM_400000_NS6detail17trampoline_kernelINS0_14default_configENS1_25partition_config_selectorILNS1_17partition_subalgoE9ExjbEEZZNS1_14partition_implILS5_9ELb0ES3_jN6thrust23THRUST_200600_302600_NS6detail15normal_iteratorINS9_10device_ptrIxEEEENSB_INSC_IjEEEEPNS0_10empty_typeENS0_5tupleIJSE_SH_EEENSJ_IJSG_SI_EEENS0_18inequality_wrapperINS9_8equal_toIxEEEEPmJSH_EEE10hipError_tPvRmT3_T4_T5_T6_T7_T9_mT8_P12ihipStream_tbDpT10_ENKUlT_T0_E_clISt17integral_constantIbLb0EES19_IbLb1EEEEDaS15_S16_EUlS15_E_NS1_11comp_targetILNS1_3genE8ELNS1_11target_archE1030ELNS1_3gpuE2ELNS1_3repE0EEENS1_30default_config_static_selectorELNS0_4arch9wavefront6targetE0EEEvT1_: ; @_ZN7rocprim17ROCPRIM_400000_NS6detail17trampoline_kernelINS0_14default_configENS1_25partition_config_selectorILNS1_17partition_subalgoE9ExjbEEZZNS1_14partition_implILS5_9ELb0ES3_jN6thrust23THRUST_200600_302600_NS6detail15normal_iteratorINS9_10device_ptrIxEEEENSB_INSC_IjEEEEPNS0_10empty_typeENS0_5tupleIJSE_SH_EEENSJ_IJSG_SI_EEENS0_18inequality_wrapperINS9_8equal_toIxEEEEPmJSH_EEE10hipError_tPvRmT3_T4_T5_T6_T7_T9_mT8_P12ihipStream_tbDpT10_ENKUlT_T0_E_clISt17integral_constantIbLb0EES19_IbLb1EEEEDaS15_S16_EUlS15_E_NS1_11comp_targetILNS1_3genE8ELNS1_11target_archE1030ELNS1_3gpuE2ELNS1_3repE0EEENS1_30default_config_static_selectorELNS0_4arch9wavefront6targetE0EEEvT1_
; %bb.0:
	.section	.rodata,"a",@progbits
	.p2align	6, 0x0
	.amdhsa_kernel _ZN7rocprim17ROCPRIM_400000_NS6detail17trampoline_kernelINS0_14default_configENS1_25partition_config_selectorILNS1_17partition_subalgoE9ExjbEEZZNS1_14partition_implILS5_9ELb0ES3_jN6thrust23THRUST_200600_302600_NS6detail15normal_iteratorINS9_10device_ptrIxEEEENSB_INSC_IjEEEEPNS0_10empty_typeENS0_5tupleIJSE_SH_EEENSJ_IJSG_SI_EEENS0_18inequality_wrapperINS9_8equal_toIxEEEEPmJSH_EEE10hipError_tPvRmT3_T4_T5_T6_T7_T9_mT8_P12ihipStream_tbDpT10_ENKUlT_T0_E_clISt17integral_constantIbLb0EES19_IbLb1EEEEDaS15_S16_EUlS15_E_NS1_11comp_targetILNS1_3genE8ELNS1_11target_archE1030ELNS1_3gpuE2ELNS1_3repE0EEENS1_30default_config_static_selectorELNS0_4arch9wavefront6targetE0EEEvT1_
		.amdhsa_group_segment_fixed_size 0
		.amdhsa_private_segment_fixed_size 0
		.amdhsa_kernarg_size 128
		.amdhsa_user_sgpr_count 15
		.amdhsa_user_sgpr_dispatch_ptr 0
		.amdhsa_user_sgpr_queue_ptr 0
		.amdhsa_user_sgpr_kernarg_segment_ptr 1
		.amdhsa_user_sgpr_dispatch_id 0
		.amdhsa_user_sgpr_private_segment_size 0
		.amdhsa_wavefront_size32 1
		.amdhsa_uses_dynamic_stack 0
		.amdhsa_enable_private_segment 0
		.amdhsa_system_sgpr_workgroup_id_x 1
		.amdhsa_system_sgpr_workgroup_id_y 0
		.amdhsa_system_sgpr_workgroup_id_z 0
		.amdhsa_system_sgpr_workgroup_info 0
		.amdhsa_system_vgpr_workitem_id 0
		.amdhsa_next_free_vgpr 1
		.amdhsa_next_free_sgpr 1
		.amdhsa_reserve_vcc 0
		.amdhsa_float_round_mode_32 0
		.amdhsa_float_round_mode_16_64 0
		.amdhsa_float_denorm_mode_32 3
		.amdhsa_float_denorm_mode_16_64 3
		.amdhsa_dx10_clamp 1
		.amdhsa_ieee_mode 1
		.amdhsa_fp16_overflow 0
		.amdhsa_workgroup_processor_mode 1
		.amdhsa_memory_ordered 1
		.amdhsa_forward_progress 0
		.amdhsa_shared_vgpr_count 0
		.amdhsa_exception_fp_ieee_invalid_op 0
		.amdhsa_exception_fp_denorm_src 0
		.amdhsa_exception_fp_ieee_div_zero 0
		.amdhsa_exception_fp_ieee_overflow 0
		.amdhsa_exception_fp_ieee_underflow 0
		.amdhsa_exception_fp_ieee_inexact 0
		.amdhsa_exception_int_div_zero 0
	.end_amdhsa_kernel
	.section	.text._ZN7rocprim17ROCPRIM_400000_NS6detail17trampoline_kernelINS0_14default_configENS1_25partition_config_selectorILNS1_17partition_subalgoE9ExjbEEZZNS1_14partition_implILS5_9ELb0ES3_jN6thrust23THRUST_200600_302600_NS6detail15normal_iteratorINS9_10device_ptrIxEEEENSB_INSC_IjEEEEPNS0_10empty_typeENS0_5tupleIJSE_SH_EEENSJ_IJSG_SI_EEENS0_18inequality_wrapperINS9_8equal_toIxEEEEPmJSH_EEE10hipError_tPvRmT3_T4_T5_T6_T7_T9_mT8_P12ihipStream_tbDpT10_ENKUlT_T0_E_clISt17integral_constantIbLb0EES19_IbLb1EEEEDaS15_S16_EUlS15_E_NS1_11comp_targetILNS1_3genE8ELNS1_11target_archE1030ELNS1_3gpuE2ELNS1_3repE0EEENS1_30default_config_static_selectorELNS0_4arch9wavefront6targetE0EEEvT1_,"axG",@progbits,_ZN7rocprim17ROCPRIM_400000_NS6detail17trampoline_kernelINS0_14default_configENS1_25partition_config_selectorILNS1_17partition_subalgoE9ExjbEEZZNS1_14partition_implILS5_9ELb0ES3_jN6thrust23THRUST_200600_302600_NS6detail15normal_iteratorINS9_10device_ptrIxEEEENSB_INSC_IjEEEEPNS0_10empty_typeENS0_5tupleIJSE_SH_EEENSJ_IJSG_SI_EEENS0_18inequality_wrapperINS9_8equal_toIxEEEEPmJSH_EEE10hipError_tPvRmT3_T4_T5_T6_T7_T9_mT8_P12ihipStream_tbDpT10_ENKUlT_T0_E_clISt17integral_constantIbLb0EES19_IbLb1EEEEDaS15_S16_EUlS15_E_NS1_11comp_targetILNS1_3genE8ELNS1_11target_archE1030ELNS1_3gpuE2ELNS1_3repE0EEENS1_30default_config_static_selectorELNS0_4arch9wavefront6targetE0EEEvT1_,comdat
.Lfunc_end628:
	.size	_ZN7rocprim17ROCPRIM_400000_NS6detail17trampoline_kernelINS0_14default_configENS1_25partition_config_selectorILNS1_17partition_subalgoE9ExjbEEZZNS1_14partition_implILS5_9ELb0ES3_jN6thrust23THRUST_200600_302600_NS6detail15normal_iteratorINS9_10device_ptrIxEEEENSB_INSC_IjEEEEPNS0_10empty_typeENS0_5tupleIJSE_SH_EEENSJ_IJSG_SI_EEENS0_18inequality_wrapperINS9_8equal_toIxEEEEPmJSH_EEE10hipError_tPvRmT3_T4_T5_T6_T7_T9_mT8_P12ihipStream_tbDpT10_ENKUlT_T0_E_clISt17integral_constantIbLb0EES19_IbLb1EEEEDaS15_S16_EUlS15_E_NS1_11comp_targetILNS1_3genE8ELNS1_11target_archE1030ELNS1_3gpuE2ELNS1_3repE0EEENS1_30default_config_static_selectorELNS0_4arch9wavefront6targetE0EEEvT1_, .Lfunc_end628-_ZN7rocprim17ROCPRIM_400000_NS6detail17trampoline_kernelINS0_14default_configENS1_25partition_config_selectorILNS1_17partition_subalgoE9ExjbEEZZNS1_14partition_implILS5_9ELb0ES3_jN6thrust23THRUST_200600_302600_NS6detail15normal_iteratorINS9_10device_ptrIxEEEENSB_INSC_IjEEEEPNS0_10empty_typeENS0_5tupleIJSE_SH_EEENSJ_IJSG_SI_EEENS0_18inequality_wrapperINS9_8equal_toIxEEEEPmJSH_EEE10hipError_tPvRmT3_T4_T5_T6_T7_T9_mT8_P12ihipStream_tbDpT10_ENKUlT_T0_E_clISt17integral_constantIbLb0EES19_IbLb1EEEEDaS15_S16_EUlS15_E_NS1_11comp_targetILNS1_3genE8ELNS1_11target_archE1030ELNS1_3gpuE2ELNS1_3repE0EEENS1_30default_config_static_selectorELNS0_4arch9wavefront6targetE0EEEvT1_
                                        ; -- End function
	.section	.AMDGPU.csdata,"",@progbits
; Kernel info:
; codeLenInByte = 0
; NumSgprs: 0
; NumVgprs: 0
; ScratchSize: 0
; MemoryBound: 0
; FloatMode: 240
; IeeeMode: 1
; LDSByteSize: 0 bytes/workgroup (compile time only)
; SGPRBlocks: 0
; VGPRBlocks: 0
; NumSGPRsForWavesPerEU: 1
; NumVGPRsForWavesPerEU: 1
; Occupancy: 16
; WaveLimiterHint : 0
; COMPUTE_PGM_RSRC2:SCRATCH_EN: 0
; COMPUTE_PGM_RSRC2:USER_SGPR: 15
; COMPUTE_PGM_RSRC2:TRAP_HANDLER: 0
; COMPUTE_PGM_RSRC2:TGID_X_EN: 1
; COMPUTE_PGM_RSRC2:TGID_Y_EN: 0
; COMPUTE_PGM_RSRC2:TGID_Z_EN: 0
; COMPUTE_PGM_RSRC2:TIDIG_COMP_CNT: 0
	.section	.text._ZN7rocprim17ROCPRIM_400000_NS6detail17trampoline_kernelINS0_14default_configENS1_25partition_config_selectorILNS1_17partition_subalgoE9EijbEEZZNS1_14partition_implILS5_9ELb0ES3_jN6thrust23THRUST_200600_302600_NS6detail15normal_iteratorINS9_10device_ptrIiEEEENSB_INSC_IjEEEEPNS0_10empty_typeENS0_5tupleIJSE_SH_EEENSJ_IJSG_SI_EEENS0_18inequality_wrapperINS9_8equal_toIiEEEEPmJSH_EEE10hipError_tPvRmT3_T4_T5_T6_T7_T9_mT8_P12ihipStream_tbDpT10_ENKUlT_T0_E_clISt17integral_constantIbLb0EES1A_EEDaS15_S16_EUlS15_E_NS1_11comp_targetILNS1_3genE0ELNS1_11target_archE4294967295ELNS1_3gpuE0ELNS1_3repE0EEENS1_30default_config_static_selectorELNS0_4arch9wavefront6targetE0EEEvT1_,"axG",@progbits,_ZN7rocprim17ROCPRIM_400000_NS6detail17trampoline_kernelINS0_14default_configENS1_25partition_config_selectorILNS1_17partition_subalgoE9EijbEEZZNS1_14partition_implILS5_9ELb0ES3_jN6thrust23THRUST_200600_302600_NS6detail15normal_iteratorINS9_10device_ptrIiEEEENSB_INSC_IjEEEEPNS0_10empty_typeENS0_5tupleIJSE_SH_EEENSJ_IJSG_SI_EEENS0_18inequality_wrapperINS9_8equal_toIiEEEEPmJSH_EEE10hipError_tPvRmT3_T4_T5_T6_T7_T9_mT8_P12ihipStream_tbDpT10_ENKUlT_T0_E_clISt17integral_constantIbLb0EES1A_EEDaS15_S16_EUlS15_E_NS1_11comp_targetILNS1_3genE0ELNS1_11target_archE4294967295ELNS1_3gpuE0ELNS1_3repE0EEENS1_30default_config_static_selectorELNS0_4arch9wavefront6targetE0EEEvT1_,comdat
	.protected	_ZN7rocprim17ROCPRIM_400000_NS6detail17trampoline_kernelINS0_14default_configENS1_25partition_config_selectorILNS1_17partition_subalgoE9EijbEEZZNS1_14partition_implILS5_9ELb0ES3_jN6thrust23THRUST_200600_302600_NS6detail15normal_iteratorINS9_10device_ptrIiEEEENSB_INSC_IjEEEEPNS0_10empty_typeENS0_5tupleIJSE_SH_EEENSJ_IJSG_SI_EEENS0_18inequality_wrapperINS9_8equal_toIiEEEEPmJSH_EEE10hipError_tPvRmT3_T4_T5_T6_T7_T9_mT8_P12ihipStream_tbDpT10_ENKUlT_T0_E_clISt17integral_constantIbLb0EES1A_EEDaS15_S16_EUlS15_E_NS1_11comp_targetILNS1_3genE0ELNS1_11target_archE4294967295ELNS1_3gpuE0ELNS1_3repE0EEENS1_30default_config_static_selectorELNS0_4arch9wavefront6targetE0EEEvT1_ ; -- Begin function _ZN7rocprim17ROCPRIM_400000_NS6detail17trampoline_kernelINS0_14default_configENS1_25partition_config_selectorILNS1_17partition_subalgoE9EijbEEZZNS1_14partition_implILS5_9ELb0ES3_jN6thrust23THRUST_200600_302600_NS6detail15normal_iteratorINS9_10device_ptrIiEEEENSB_INSC_IjEEEEPNS0_10empty_typeENS0_5tupleIJSE_SH_EEENSJ_IJSG_SI_EEENS0_18inequality_wrapperINS9_8equal_toIiEEEEPmJSH_EEE10hipError_tPvRmT3_T4_T5_T6_T7_T9_mT8_P12ihipStream_tbDpT10_ENKUlT_T0_E_clISt17integral_constantIbLb0EES1A_EEDaS15_S16_EUlS15_E_NS1_11comp_targetILNS1_3genE0ELNS1_11target_archE4294967295ELNS1_3gpuE0ELNS1_3repE0EEENS1_30default_config_static_selectorELNS0_4arch9wavefront6targetE0EEEvT1_
	.globl	_ZN7rocprim17ROCPRIM_400000_NS6detail17trampoline_kernelINS0_14default_configENS1_25partition_config_selectorILNS1_17partition_subalgoE9EijbEEZZNS1_14partition_implILS5_9ELb0ES3_jN6thrust23THRUST_200600_302600_NS6detail15normal_iteratorINS9_10device_ptrIiEEEENSB_INSC_IjEEEEPNS0_10empty_typeENS0_5tupleIJSE_SH_EEENSJ_IJSG_SI_EEENS0_18inequality_wrapperINS9_8equal_toIiEEEEPmJSH_EEE10hipError_tPvRmT3_T4_T5_T6_T7_T9_mT8_P12ihipStream_tbDpT10_ENKUlT_T0_E_clISt17integral_constantIbLb0EES1A_EEDaS15_S16_EUlS15_E_NS1_11comp_targetILNS1_3genE0ELNS1_11target_archE4294967295ELNS1_3gpuE0ELNS1_3repE0EEENS1_30default_config_static_selectorELNS0_4arch9wavefront6targetE0EEEvT1_
	.p2align	8
	.type	_ZN7rocprim17ROCPRIM_400000_NS6detail17trampoline_kernelINS0_14default_configENS1_25partition_config_selectorILNS1_17partition_subalgoE9EijbEEZZNS1_14partition_implILS5_9ELb0ES3_jN6thrust23THRUST_200600_302600_NS6detail15normal_iteratorINS9_10device_ptrIiEEEENSB_INSC_IjEEEEPNS0_10empty_typeENS0_5tupleIJSE_SH_EEENSJ_IJSG_SI_EEENS0_18inequality_wrapperINS9_8equal_toIiEEEEPmJSH_EEE10hipError_tPvRmT3_T4_T5_T6_T7_T9_mT8_P12ihipStream_tbDpT10_ENKUlT_T0_E_clISt17integral_constantIbLb0EES1A_EEDaS15_S16_EUlS15_E_NS1_11comp_targetILNS1_3genE0ELNS1_11target_archE4294967295ELNS1_3gpuE0ELNS1_3repE0EEENS1_30default_config_static_selectorELNS0_4arch9wavefront6targetE0EEEvT1_,@function
_ZN7rocprim17ROCPRIM_400000_NS6detail17trampoline_kernelINS0_14default_configENS1_25partition_config_selectorILNS1_17partition_subalgoE9EijbEEZZNS1_14partition_implILS5_9ELb0ES3_jN6thrust23THRUST_200600_302600_NS6detail15normal_iteratorINS9_10device_ptrIiEEEENSB_INSC_IjEEEEPNS0_10empty_typeENS0_5tupleIJSE_SH_EEENSJ_IJSG_SI_EEENS0_18inequality_wrapperINS9_8equal_toIiEEEEPmJSH_EEE10hipError_tPvRmT3_T4_T5_T6_T7_T9_mT8_P12ihipStream_tbDpT10_ENKUlT_T0_E_clISt17integral_constantIbLb0EES1A_EEDaS15_S16_EUlS15_E_NS1_11comp_targetILNS1_3genE0ELNS1_11target_archE4294967295ELNS1_3gpuE0ELNS1_3repE0EEENS1_30default_config_static_selectorELNS0_4arch9wavefront6targetE0EEEvT1_: ; @_ZN7rocprim17ROCPRIM_400000_NS6detail17trampoline_kernelINS0_14default_configENS1_25partition_config_selectorILNS1_17partition_subalgoE9EijbEEZZNS1_14partition_implILS5_9ELb0ES3_jN6thrust23THRUST_200600_302600_NS6detail15normal_iteratorINS9_10device_ptrIiEEEENSB_INSC_IjEEEEPNS0_10empty_typeENS0_5tupleIJSE_SH_EEENSJ_IJSG_SI_EEENS0_18inequality_wrapperINS9_8equal_toIiEEEEPmJSH_EEE10hipError_tPvRmT3_T4_T5_T6_T7_T9_mT8_P12ihipStream_tbDpT10_ENKUlT_T0_E_clISt17integral_constantIbLb0EES1A_EEDaS15_S16_EUlS15_E_NS1_11comp_targetILNS1_3genE0ELNS1_11target_archE4294967295ELNS1_3gpuE0ELNS1_3repE0EEENS1_30default_config_static_selectorELNS0_4arch9wavefront6targetE0EEEvT1_
; %bb.0:
	.section	.rodata,"a",@progbits
	.p2align	6, 0x0
	.amdhsa_kernel _ZN7rocprim17ROCPRIM_400000_NS6detail17trampoline_kernelINS0_14default_configENS1_25partition_config_selectorILNS1_17partition_subalgoE9EijbEEZZNS1_14partition_implILS5_9ELb0ES3_jN6thrust23THRUST_200600_302600_NS6detail15normal_iteratorINS9_10device_ptrIiEEEENSB_INSC_IjEEEEPNS0_10empty_typeENS0_5tupleIJSE_SH_EEENSJ_IJSG_SI_EEENS0_18inequality_wrapperINS9_8equal_toIiEEEEPmJSH_EEE10hipError_tPvRmT3_T4_T5_T6_T7_T9_mT8_P12ihipStream_tbDpT10_ENKUlT_T0_E_clISt17integral_constantIbLb0EES1A_EEDaS15_S16_EUlS15_E_NS1_11comp_targetILNS1_3genE0ELNS1_11target_archE4294967295ELNS1_3gpuE0ELNS1_3repE0EEENS1_30default_config_static_selectorELNS0_4arch9wavefront6targetE0EEEvT1_
		.amdhsa_group_segment_fixed_size 0
		.amdhsa_private_segment_fixed_size 0
		.amdhsa_kernarg_size 112
		.amdhsa_user_sgpr_count 15
		.amdhsa_user_sgpr_dispatch_ptr 0
		.amdhsa_user_sgpr_queue_ptr 0
		.amdhsa_user_sgpr_kernarg_segment_ptr 1
		.amdhsa_user_sgpr_dispatch_id 0
		.amdhsa_user_sgpr_private_segment_size 0
		.amdhsa_wavefront_size32 1
		.amdhsa_uses_dynamic_stack 0
		.amdhsa_enable_private_segment 0
		.amdhsa_system_sgpr_workgroup_id_x 1
		.amdhsa_system_sgpr_workgroup_id_y 0
		.amdhsa_system_sgpr_workgroup_id_z 0
		.amdhsa_system_sgpr_workgroup_info 0
		.amdhsa_system_vgpr_workitem_id 0
		.amdhsa_next_free_vgpr 1
		.amdhsa_next_free_sgpr 1
		.amdhsa_reserve_vcc 0
		.amdhsa_float_round_mode_32 0
		.amdhsa_float_round_mode_16_64 0
		.amdhsa_float_denorm_mode_32 3
		.amdhsa_float_denorm_mode_16_64 3
		.amdhsa_dx10_clamp 1
		.amdhsa_ieee_mode 1
		.amdhsa_fp16_overflow 0
		.amdhsa_workgroup_processor_mode 1
		.amdhsa_memory_ordered 1
		.amdhsa_forward_progress 0
		.amdhsa_shared_vgpr_count 0
		.amdhsa_exception_fp_ieee_invalid_op 0
		.amdhsa_exception_fp_denorm_src 0
		.amdhsa_exception_fp_ieee_div_zero 0
		.amdhsa_exception_fp_ieee_overflow 0
		.amdhsa_exception_fp_ieee_underflow 0
		.amdhsa_exception_fp_ieee_inexact 0
		.amdhsa_exception_int_div_zero 0
	.end_amdhsa_kernel
	.section	.text._ZN7rocprim17ROCPRIM_400000_NS6detail17trampoline_kernelINS0_14default_configENS1_25partition_config_selectorILNS1_17partition_subalgoE9EijbEEZZNS1_14partition_implILS5_9ELb0ES3_jN6thrust23THRUST_200600_302600_NS6detail15normal_iteratorINS9_10device_ptrIiEEEENSB_INSC_IjEEEEPNS0_10empty_typeENS0_5tupleIJSE_SH_EEENSJ_IJSG_SI_EEENS0_18inequality_wrapperINS9_8equal_toIiEEEEPmJSH_EEE10hipError_tPvRmT3_T4_T5_T6_T7_T9_mT8_P12ihipStream_tbDpT10_ENKUlT_T0_E_clISt17integral_constantIbLb0EES1A_EEDaS15_S16_EUlS15_E_NS1_11comp_targetILNS1_3genE0ELNS1_11target_archE4294967295ELNS1_3gpuE0ELNS1_3repE0EEENS1_30default_config_static_selectorELNS0_4arch9wavefront6targetE0EEEvT1_,"axG",@progbits,_ZN7rocprim17ROCPRIM_400000_NS6detail17trampoline_kernelINS0_14default_configENS1_25partition_config_selectorILNS1_17partition_subalgoE9EijbEEZZNS1_14partition_implILS5_9ELb0ES3_jN6thrust23THRUST_200600_302600_NS6detail15normal_iteratorINS9_10device_ptrIiEEEENSB_INSC_IjEEEEPNS0_10empty_typeENS0_5tupleIJSE_SH_EEENSJ_IJSG_SI_EEENS0_18inequality_wrapperINS9_8equal_toIiEEEEPmJSH_EEE10hipError_tPvRmT3_T4_T5_T6_T7_T9_mT8_P12ihipStream_tbDpT10_ENKUlT_T0_E_clISt17integral_constantIbLb0EES1A_EEDaS15_S16_EUlS15_E_NS1_11comp_targetILNS1_3genE0ELNS1_11target_archE4294967295ELNS1_3gpuE0ELNS1_3repE0EEENS1_30default_config_static_selectorELNS0_4arch9wavefront6targetE0EEEvT1_,comdat
.Lfunc_end629:
	.size	_ZN7rocprim17ROCPRIM_400000_NS6detail17trampoline_kernelINS0_14default_configENS1_25partition_config_selectorILNS1_17partition_subalgoE9EijbEEZZNS1_14partition_implILS5_9ELb0ES3_jN6thrust23THRUST_200600_302600_NS6detail15normal_iteratorINS9_10device_ptrIiEEEENSB_INSC_IjEEEEPNS0_10empty_typeENS0_5tupleIJSE_SH_EEENSJ_IJSG_SI_EEENS0_18inequality_wrapperINS9_8equal_toIiEEEEPmJSH_EEE10hipError_tPvRmT3_T4_T5_T6_T7_T9_mT8_P12ihipStream_tbDpT10_ENKUlT_T0_E_clISt17integral_constantIbLb0EES1A_EEDaS15_S16_EUlS15_E_NS1_11comp_targetILNS1_3genE0ELNS1_11target_archE4294967295ELNS1_3gpuE0ELNS1_3repE0EEENS1_30default_config_static_selectorELNS0_4arch9wavefront6targetE0EEEvT1_, .Lfunc_end629-_ZN7rocprim17ROCPRIM_400000_NS6detail17trampoline_kernelINS0_14default_configENS1_25partition_config_selectorILNS1_17partition_subalgoE9EijbEEZZNS1_14partition_implILS5_9ELb0ES3_jN6thrust23THRUST_200600_302600_NS6detail15normal_iteratorINS9_10device_ptrIiEEEENSB_INSC_IjEEEEPNS0_10empty_typeENS0_5tupleIJSE_SH_EEENSJ_IJSG_SI_EEENS0_18inequality_wrapperINS9_8equal_toIiEEEEPmJSH_EEE10hipError_tPvRmT3_T4_T5_T6_T7_T9_mT8_P12ihipStream_tbDpT10_ENKUlT_T0_E_clISt17integral_constantIbLb0EES1A_EEDaS15_S16_EUlS15_E_NS1_11comp_targetILNS1_3genE0ELNS1_11target_archE4294967295ELNS1_3gpuE0ELNS1_3repE0EEENS1_30default_config_static_selectorELNS0_4arch9wavefront6targetE0EEEvT1_
                                        ; -- End function
	.section	.AMDGPU.csdata,"",@progbits
; Kernel info:
; codeLenInByte = 0
; NumSgprs: 0
; NumVgprs: 0
; ScratchSize: 0
; MemoryBound: 0
; FloatMode: 240
; IeeeMode: 1
; LDSByteSize: 0 bytes/workgroup (compile time only)
; SGPRBlocks: 0
; VGPRBlocks: 0
; NumSGPRsForWavesPerEU: 1
; NumVGPRsForWavesPerEU: 1
; Occupancy: 16
; WaveLimiterHint : 0
; COMPUTE_PGM_RSRC2:SCRATCH_EN: 0
; COMPUTE_PGM_RSRC2:USER_SGPR: 15
; COMPUTE_PGM_RSRC2:TRAP_HANDLER: 0
; COMPUTE_PGM_RSRC2:TGID_X_EN: 1
; COMPUTE_PGM_RSRC2:TGID_Y_EN: 0
; COMPUTE_PGM_RSRC2:TGID_Z_EN: 0
; COMPUTE_PGM_RSRC2:TIDIG_COMP_CNT: 0
	.section	.text._ZN7rocprim17ROCPRIM_400000_NS6detail17trampoline_kernelINS0_14default_configENS1_25partition_config_selectorILNS1_17partition_subalgoE9EijbEEZZNS1_14partition_implILS5_9ELb0ES3_jN6thrust23THRUST_200600_302600_NS6detail15normal_iteratorINS9_10device_ptrIiEEEENSB_INSC_IjEEEEPNS0_10empty_typeENS0_5tupleIJSE_SH_EEENSJ_IJSG_SI_EEENS0_18inequality_wrapperINS9_8equal_toIiEEEEPmJSH_EEE10hipError_tPvRmT3_T4_T5_T6_T7_T9_mT8_P12ihipStream_tbDpT10_ENKUlT_T0_E_clISt17integral_constantIbLb0EES1A_EEDaS15_S16_EUlS15_E_NS1_11comp_targetILNS1_3genE5ELNS1_11target_archE942ELNS1_3gpuE9ELNS1_3repE0EEENS1_30default_config_static_selectorELNS0_4arch9wavefront6targetE0EEEvT1_,"axG",@progbits,_ZN7rocprim17ROCPRIM_400000_NS6detail17trampoline_kernelINS0_14default_configENS1_25partition_config_selectorILNS1_17partition_subalgoE9EijbEEZZNS1_14partition_implILS5_9ELb0ES3_jN6thrust23THRUST_200600_302600_NS6detail15normal_iteratorINS9_10device_ptrIiEEEENSB_INSC_IjEEEEPNS0_10empty_typeENS0_5tupleIJSE_SH_EEENSJ_IJSG_SI_EEENS0_18inequality_wrapperINS9_8equal_toIiEEEEPmJSH_EEE10hipError_tPvRmT3_T4_T5_T6_T7_T9_mT8_P12ihipStream_tbDpT10_ENKUlT_T0_E_clISt17integral_constantIbLb0EES1A_EEDaS15_S16_EUlS15_E_NS1_11comp_targetILNS1_3genE5ELNS1_11target_archE942ELNS1_3gpuE9ELNS1_3repE0EEENS1_30default_config_static_selectorELNS0_4arch9wavefront6targetE0EEEvT1_,comdat
	.protected	_ZN7rocprim17ROCPRIM_400000_NS6detail17trampoline_kernelINS0_14default_configENS1_25partition_config_selectorILNS1_17partition_subalgoE9EijbEEZZNS1_14partition_implILS5_9ELb0ES3_jN6thrust23THRUST_200600_302600_NS6detail15normal_iteratorINS9_10device_ptrIiEEEENSB_INSC_IjEEEEPNS0_10empty_typeENS0_5tupleIJSE_SH_EEENSJ_IJSG_SI_EEENS0_18inequality_wrapperINS9_8equal_toIiEEEEPmJSH_EEE10hipError_tPvRmT3_T4_T5_T6_T7_T9_mT8_P12ihipStream_tbDpT10_ENKUlT_T0_E_clISt17integral_constantIbLb0EES1A_EEDaS15_S16_EUlS15_E_NS1_11comp_targetILNS1_3genE5ELNS1_11target_archE942ELNS1_3gpuE9ELNS1_3repE0EEENS1_30default_config_static_selectorELNS0_4arch9wavefront6targetE0EEEvT1_ ; -- Begin function _ZN7rocprim17ROCPRIM_400000_NS6detail17trampoline_kernelINS0_14default_configENS1_25partition_config_selectorILNS1_17partition_subalgoE9EijbEEZZNS1_14partition_implILS5_9ELb0ES3_jN6thrust23THRUST_200600_302600_NS6detail15normal_iteratorINS9_10device_ptrIiEEEENSB_INSC_IjEEEEPNS0_10empty_typeENS0_5tupleIJSE_SH_EEENSJ_IJSG_SI_EEENS0_18inequality_wrapperINS9_8equal_toIiEEEEPmJSH_EEE10hipError_tPvRmT3_T4_T5_T6_T7_T9_mT8_P12ihipStream_tbDpT10_ENKUlT_T0_E_clISt17integral_constantIbLb0EES1A_EEDaS15_S16_EUlS15_E_NS1_11comp_targetILNS1_3genE5ELNS1_11target_archE942ELNS1_3gpuE9ELNS1_3repE0EEENS1_30default_config_static_selectorELNS0_4arch9wavefront6targetE0EEEvT1_
	.globl	_ZN7rocprim17ROCPRIM_400000_NS6detail17trampoline_kernelINS0_14default_configENS1_25partition_config_selectorILNS1_17partition_subalgoE9EijbEEZZNS1_14partition_implILS5_9ELb0ES3_jN6thrust23THRUST_200600_302600_NS6detail15normal_iteratorINS9_10device_ptrIiEEEENSB_INSC_IjEEEEPNS0_10empty_typeENS0_5tupleIJSE_SH_EEENSJ_IJSG_SI_EEENS0_18inequality_wrapperINS9_8equal_toIiEEEEPmJSH_EEE10hipError_tPvRmT3_T4_T5_T6_T7_T9_mT8_P12ihipStream_tbDpT10_ENKUlT_T0_E_clISt17integral_constantIbLb0EES1A_EEDaS15_S16_EUlS15_E_NS1_11comp_targetILNS1_3genE5ELNS1_11target_archE942ELNS1_3gpuE9ELNS1_3repE0EEENS1_30default_config_static_selectorELNS0_4arch9wavefront6targetE0EEEvT1_
	.p2align	8
	.type	_ZN7rocprim17ROCPRIM_400000_NS6detail17trampoline_kernelINS0_14default_configENS1_25partition_config_selectorILNS1_17partition_subalgoE9EijbEEZZNS1_14partition_implILS5_9ELb0ES3_jN6thrust23THRUST_200600_302600_NS6detail15normal_iteratorINS9_10device_ptrIiEEEENSB_INSC_IjEEEEPNS0_10empty_typeENS0_5tupleIJSE_SH_EEENSJ_IJSG_SI_EEENS0_18inequality_wrapperINS9_8equal_toIiEEEEPmJSH_EEE10hipError_tPvRmT3_T4_T5_T6_T7_T9_mT8_P12ihipStream_tbDpT10_ENKUlT_T0_E_clISt17integral_constantIbLb0EES1A_EEDaS15_S16_EUlS15_E_NS1_11comp_targetILNS1_3genE5ELNS1_11target_archE942ELNS1_3gpuE9ELNS1_3repE0EEENS1_30default_config_static_selectorELNS0_4arch9wavefront6targetE0EEEvT1_,@function
_ZN7rocprim17ROCPRIM_400000_NS6detail17trampoline_kernelINS0_14default_configENS1_25partition_config_selectorILNS1_17partition_subalgoE9EijbEEZZNS1_14partition_implILS5_9ELb0ES3_jN6thrust23THRUST_200600_302600_NS6detail15normal_iteratorINS9_10device_ptrIiEEEENSB_INSC_IjEEEEPNS0_10empty_typeENS0_5tupleIJSE_SH_EEENSJ_IJSG_SI_EEENS0_18inequality_wrapperINS9_8equal_toIiEEEEPmJSH_EEE10hipError_tPvRmT3_T4_T5_T6_T7_T9_mT8_P12ihipStream_tbDpT10_ENKUlT_T0_E_clISt17integral_constantIbLb0EES1A_EEDaS15_S16_EUlS15_E_NS1_11comp_targetILNS1_3genE5ELNS1_11target_archE942ELNS1_3gpuE9ELNS1_3repE0EEENS1_30default_config_static_selectorELNS0_4arch9wavefront6targetE0EEEvT1_: ; @_ZN7rocprim17ROCPRIM_400000_NS6detail17trampoline_kernelINS0_14default_configENS1_25partition_config_selectorILNS1_17partition_subalgoE9EijbEEZZNS1_14partition_implILS5_9ELb0ES3_jN6thrust23THRUST_200600_302600_NS6detail15normal_iteratorINS9_10device_ptrIiEEEENSB_INSC_IjEEEEPNS0_10empty_typeENS0_5tupleIJSE_SH_EEENSJ_IJSG_SI_EEENS0_18inequality_wrapperINS9_8equal_toIiEEEEPmJSH_EEE10hipError_tPvRmT3_T4_T5_T6_T7_T9_mT8_P12ihipStream_tbDpT10_ENKUlT_T0_E_clISt17integral_constantIbLb0EES1A_EEDaS15_S16_EUlS15_E_NS1_11comp_targetILNS1_3genE5ELNS1_11target_archE942ELNS1_3gpuE9ELNS1_3repE0EEENS1_30default_config_static_selectorELNS0_4arch9wavefront6targetE0EEEvT1_
; %bb.0:
	.section	.rodata,"a",@progbits
	.p2align	6, 0x0
	.amdhsa_kernel _ZN7rocprim17ROCPRIM_400000_NS6detail17trampoline_kernelINS0_14default_configENS1_25partition_config_selectorILNS1_17partition_subalgoE9EijbEEZZNS1_14partition_implILS5_9ELb0ES3_jN6thrust23THRUST_200600_302600_NS6detail15normal_iteratorINS9_10device_ptrIiEEEENSB_INSC_IjEEEEPNS0_10empty_typeENS0_5tupleIJSE_SH_EEENSJ_IJSG_SI_EEENS0_18inequality_wrapperINS9_8equal_toIiEEEEPmJSH_EEE10hipError_tPvRmT3_T4_T5_T6_T7_T9_mT8_P12ihipStream_tbDpT10_ENKUlT_T0_E_clISt17integral_constantIbLb0EES1A_EEDaS15_S16_EUlS15_E_NS1_11comp_targetILNS1_3genE5ELNS1_11target_archE942ELNS1_3gpuE9ELNS1_3repE0EEENS1_30default_config_static_selectorELNS0_4arch9wavefront6targetE0EEEvT1_
		.amdhsa_group_segment_fixed_size 0
		.amdhsa_private_segment_fixed_size 0
		.amdhsa_kernarg_size 112
		.amdhsa_user_sgpr_count 15
		.amdhsa_user_sgpr_dispatch_ptr 0
		.amdhsa_user_sgpr_queue_ptr 0
		.amdhsa_user_sgpr_kernarg_segment_ptr 1
		.amdhsa_user_sgpr_dispatch_id 0
		.amdhsa_user_sgpr_private_segment_size 0
		.amdhsa_wavefront_size32 1
		.amdhsa_uses_dynamic_stack 0
		.amdhsa_enable_private_segment 0
		.amdhsa_system_sgpr_workgroup_id_x 1
		.amdhsa_system_sgpr_workgroup_id_y 0
		.amdhsa_system_sgpr_workgroup_id_z 0
		.amdhsa_system_sgpr_workgroup_info 0
		.amdhsa_system_vgpr_workitem_id 0
		.amdhsa_next_free_vgpr 1
		.amdhsa_next_free_sgpr 1
		.amdhsa_reserve_vcc 0
		.amdhsa_float_round_mode_32 0
		.amdhsa_float_round_mode_16_64 0
		.amdhsa_float_denorm_mode_32 3
		.amdhsa_float_denorm_mode_16_64 3
		.amdhsa_dx10_clamp 1
		.amdhsa_ieee_mode 1
		.amdhsa_fp16_overflow 0
		.amdhsa_workgroup_processor_mode 1
		.amdhsa_memory_ordered 1
		.amdhsa_forward_progress 0
		.amdhsa_shared_vgpr_count 0
		.amdhsa_exception_fp_ieee_invalid_op 0
		.amdhsa_exception_fp_denorm_src 0
		.amdhsa_exception_fp_ieee_div_zero 0
		.amdhsa_exception_fp_ieee_overflow 0
		.amdhsa_exception_fp_ieee_underflow 0
		.amdhsa_exception_fp_ieee_inexact 0
		.amdhsa_exception_int_div_zero 0
	.end_amdhsa_kernel
	.section	.text._ZN7rocprim17ROCPRIM_400000_NS6detail17trampoline_kernelINS0_14default_configENS1_25partition_config_selectorILNS1_17partition_subalgoE9EijbEEZZNS1_14partition_implILS5_9ELb0ES3_jN6thrust23THRUST_200600_302600_NS6detail15normal_iteratorINS9_10device_ptrIiEEEENSB_INSC_IjEEEEPNS0_10empty_typeENS0_5tupleIJSE_SH_EEENSJ_IJSG_SI_EEENS0_18inequality_wrapperINS9_8equal_toIiEEEEPmJSH_EEE10hipError_tPvRmT3_T4_T5_T6_T7_T9_mT8_P12ihipStream_tbDpT10_ENKUlT_T0_E_clISt17integral_constantIbLb0EES1A_EEDaS15_S16_EUlS15_E_NS1_11comp_targetILNS1_3genE5ELNS1_11target_archE942ELNS1_3gpuE9ELNS1_3repE0EEENS1_30default_config_static_selectorELNS0_4arch9wavefront6targetE0EEEvT1_,"axG",@progbits,_ZN7rocprim17ROCPRIM_400000_NS6detail17trampoline_kernelINS0_14default_configENS1_25partition_config_selectorILNS1_17partition_subalgoE9EijbEEZZNS1_14partition_implILS5_9ELb0ES3_jN6thrust23THRUST_200600_302600_NS6detail15normal_iteratorINS9_10device_ptrIiEEEENSB_INSC_IjEEEEPNS0_10empty_typeENS0_5tupleIJSE_SH_EEENSJ_IJSG_SI_EEENS0_18inequality_wrapperINS9_8equal_toIiEEEEPmJSH_EEE10hipError_tPvRmT3_T4_T5_T6_T7_T9_mT8_P12ihipStream_tbDpT10_ENKUlT_T0_E_clISt17integral_constantIbLb0EES1A_EEDaS15_S16_EUlS15_E_NS1_11comp_targetILNS1_3genE5ELNS1_11target_archE942ELNS1_3gpuE9ELNS1_3repE0EEENS1_30default_config_static_selectorELNS0_4arch9wavefront6targetE0EEEvT1_,comdat
.Lfunc_end630:
	.size	_ZN7rocprim17ROCPRIM_400000_NS6detail17trampoline_kernelINS0_14default_configENS1_25partition_config_selectorILNS1_17partition_subalgoE9EijbEEZZNS1_14partition_implILS5_9ELb0ES3_jN6thrust23THRUST_200600_302600_NS6detail15normal_iteratorINS9_10device_ptrIiEEEENSB_INSC_IjEEEEPNS0_10empty_typeENS0_5tupleIJSE_SH_EEENSJ_IJSG_SI_EEENS0_18inequality_wrapperINS9_8equal_toIiEEEEPmJSH_EEE10hipError_tPvRmT3_T4_T5_T6_T7_T9_mT8_P12ihipStream_tbDpT10_ENKUlT_T0_E_clISt17integral_constantIbLb0EES1A_EEDaS15_S16_EUlS15_E_NS1_11comp_targetILNS1_3genE5ELNS1_11target_archE942ELNS1_3gpuE9ELNS1_3repE0EEENS1_30default_config_static_selectorELNS0_4arch9wavefront6targetE0EEEvT1_, .Lfunc_end630-_ZN7rocprim17ROCPRIM_400000_NS6detail17trampoline_kernelINS0_14default_configENS1_25partition_config_selectorILNS1_17partition_subalgoE9EijbEEZZNS1_14partition_implILS5_9ELb0ES3_jN6thrust23THRUST_200600_302600_NS6detail15normal_iteratorINS9_10device_ptrIiEEEENSB_INSC_IjEEEEPNS0_10empty_typeENS0_5tupleIJSE_SH_EEENSJ_IJSG_SI_EEENS0_18inequality_wrapperINS9_8equal_toIiEEEEPmJSH_EEE10hipError_tPvRmT3_T4_T5_T6_T7_T9_mT8_P12ihipStream_tbDpT10_ENKUlT_T0_E_clISt17integral_constantIbLb0EES1A_EEDaS15_S16_EUlS15_E_NS1_11comp_targetILNS1_3genE5ELNS1_11target_archE942ELNS1_3gpuE9ELNS1_3repE0EEENS1_30default_config_static_selectorELNS0_4arch9wavefront6targetE0EEEvT1_
                                        ; -- End function
	.section	.AMDGPU.csdata,"",@progbits
; Kernel info:
; codeLenInByte = 0
; NumSgprs: 0
; NumVgprs: 0
; ScratchSize: 0
; MemoryBound: 0
; FloatMode: 240
; IeeeMode: 1
; LDSByteSize: 0 bytes/workgroup (compile time only)
; SGPRBlocks: 0
; VGPRBlocks: 0
; NumSGPRsForWavesPerEU: 1
; NumVGPRsForWavesPerEU: 1
; Occupancy: 16
; WaveLimiterHint : 0
; COMPUTE_PGM_RSRC2:SCRATCH_EN: 0
; COMPUTE_PGM_RSRC2:USER_SGPR: 15
; COMPUTE_PGM_RSRC2:TRAP_HANDLER: 0
; COMPUTE_PGM_RSRC2:TGID_X_EN: 1
; COMPUTE_PGM_RSRC2:TGID_Y_EN: 0
; COMPUTE_PGM_RSRC2:TGID_Z_EN: 0
; COMPUTE_PGM_RSRC2:TIDIG_COMP_CNT: 0
	.section	.text._ZN7rocprim17ROCPRIM_400000_NS6detail17trampoline_kernelINS0_14default_configENS1_25partition_config_selectorILNS1_17partition_subalgoE9EijbEEZZNS1_14partition_implILS5_9ELb0ES3_jN6thrust23THRUST_200600_302600_NS6detail15normal_iteratorINS9_10device_ptrIiEEEENSB_INSC_IjEEEEPNS0_10empty_typeENS0_5tupleIJSE_SH_EEENSJ_IJSG_SI_EEENS0_18inequality_wrapperINS9_8equal_toIiEEEEPmJSH_EEE10hipError_tPvRmT3_T4_T5_T6_T7_T9_mT8_P12ihipStream_tbDpT10_ENKUlT_T0_E_clISt17integral_constantIbLb0EES1A_EEDaS15_S16_EUlS15_E_NS1_11comp_targetILNS1_3genE4ELNS1_11target_archE910ELNS1_3gpuE8ELNS1_3repE0EEENS1_30default_config_static_selectorELNS0_4arch9wavefront6targetE0EEEvT1_,"axG",@progbits,_ZN7rocprim17ROCPRIM_400000_NS6detail17trampoline_kernelINS0_14default_configENS1_25partition_config_selectorILNS1_17partition_subalgoE9EijbEEZZNS1_14partition_implILS5_9ELb0ES3_jN6thrust23THRUST_200600_302600_NS6detail15normal_iteratorINS9_10device_ptrIiEEEENSB_INSC_IjEEEEPNS0_10empty_typeENS0_5tupleIJSE_SH_EEENSJ_IJSG_SI_EEENS0_18inequality_wrapperINS9_8equal_toIiEEEEPmJSH_EEE10hipError_tPvRmT3_T4_T5_T6_T7_T9_mT8_P12ihipStream_tbDpT10_ENKUlT_T0_E_clISt17integral_constantIbLb0EES1A_EEDaS15_S16_EUlS15_E_NS1_11comp_targetILNS1_3genE4ELNS1_11target_archE910ELNS1_3gpuE8ELNS1_3repE0EEENS1_30default_config_static_selectorELNS0_4arch9wavefront6targetE0EEEvT1_,comdat
	.protected	_ZN7rocprim17ROCPRIM_400000_NS6detail17trampoline_kernelINS0_14default_configENS1_25partition_config_selectorILNS1_17partition_subalgoE9EijbEEZZNS1_14partition_implILS5_9ELb0ES3_jN6thrust23THRUST_200600_302600_NS6detail15normal_iteratorINS9_10device_ptrIiEEEENSB_INSC_IjEEEEPNS0_10empty_typeENS0_5tupleIJSE_SH_EEENSJ_IJSG_SI_EEENS0_18inequality_wrapperINS9_8equal_toIiEEEEPmJSH_EEE10hipError_tPvRmT3_T4_T5_T6_T7_T9_mT8_P12ihipStream_tbDpT10_ENKUlT_T0_E_clISt17integral_constantIbLb0EES1A_EEDaS15_S16_EUlS15_E_NS1_11comp_targetILNS1_3genE4ELNS1_11target_archE910ELNS1_3gpuE8ELNS1_3repE0EEENS1_30default_config_static_selectorELNS0_4arch9wavefront6targetE0EEEvT1_ ; -- Begin function _ZN7rocprim17ROCPRIM_400000_NS6detail17trampoline_kernelINS0_14default_configENS1_25partition_config_selectorILNS1_17partition_subalgoE9EijbEEZZNS1_14partition_implILS5_9ELb0ES3_jN6thrust23THRUST_200600_302600_NS6detail15normal_iteratorINS9_10device_ptrIiEEEENSB_INSC_IjEEEEPNS0_10empty_typeENS0_5tupleIJSE_SH_EEENSJ_IJSG_SI_EEENS0_18inequality_wrapperINS9_8equal_toIiEEEEPmJSH_EEE10hipError_tPvRmT3_T4_T5_T6_T7_T9_mT8_P12ihipStream_tbDpT10_ENKUlT_T0_E_clISt17integral_constantIbLb0EES1A_EEDaS15_S16_EUlS15_E_NS1_11comp_targetILNS1_3genE4ELNS1_11target_archE910ELNS1_3gpuE8ELNS1_3repE0EEENS1_30default_config_static_selectorELNS0_4arch9wavefront6targetE0EEEvT1_
	.globl	_ZN7rocprim17ROCPRIM_400000_NS6detail17trampoline_kernelINS0_14default_configENS1_25partition_config_selectorILNS1_17partition_subalgoE9EijbEEZZNS1_14partition_implILS5_9ELb0ES3_jN6thrust23THRUST_200600_302600_NS6detail15normal_iteratorINS9_10device_ptrIiEEEENSB_INSC_IjEEEEPNS0_10empty_typeENS0_5tupleIJSE_SH_EEENSJ_IJSG_SI_EEENS0_18inequality_wrapperINS9_8equal_toIiEEEEPmJSH_EEE10hipError_tPvRmT3_T4_T5_T6_T7_T9_mT8_P12ihipStream_tbDpT10_ENKUlT_T0_E_clISt17integral_constantIbLb0EES1A_EEDaS15_S16_EUlS15_E_NS1_11comp_targetILNS1_3genE4ELNS1_11target_archE910ELNS1_3gpuE8ELNS1_3repE0EEENS1_30default_config_static_selectorELNS0_4arch9wavefront6targetE0EEEvT1_
	.p2align	8
	.type	_ZN7rocprim17ROCPRIM_400000_NS6detail17trampoline_kernelINS0_14default_configENS1_25partition_config_selectorILNS1_17partition_subalgoE9EijbEEZZNS1_14partition_implILS5_9ELb0ES3_jN6thrust23THRUST_200600_302600_NS6detail15normal_iteratorINS9_10device_ptrIiEEEENSB_INSC_IjEEEEPNS0_10empty_typeENS0_5tupleIJSE_SH_EEENSJ_IJSG_SI_EEENS0_18inequality_wrapperINS9_8equal_toIiEEEEPmJSH_EEE10hipError_tPvRmT3_T4_T5_T6_T7_T9_mT8_P12ihipStream_tbDpT10_ENKUlT_T0_E_clISt17integral_constantIbLb0EES1A_EEDaS15_S16_EUlS15_E_NS1_11comp_targetILNS1_3genE4ELNS1_11target_archE910ELNS1_3gpuE8ELNS1_3repE0EEENS1_30default_config_static_selectorELNS0_4arch9wavefront6targetE0EEEvT1_,@function
_ZN7rocprim17ROCPRIM_400000_NS6detail17trampoline_kernelINS0_14default_configENS1_25partition_config_selectorILNS1_17partition_subalgoE9EijbEEZZNS1_14partition_implILS5_9ELb0ES3_jN6thrust23THRUST_200600_302600_NS6detail15normal_iteratorINS9_10device_ptrIiEEEENSB_INSC_IjEEEEPNS0_10empty_typeENS0_5tupleIJSE_SH_EEENSJ_IJSG_SI_EEENS0_18inequality_wrapperINS9_8equal_toIiEEEEPmJSH_EEE10hipError_tPvRmT3_T4_T5_T6_T7_T9_mT8_P12ihipStream_tbDpT10_ENKUlT_T0_E_clISt17integral_constantIbLb0EES1A_EEDaS15_S16_EUlS15_E_NS1_11comp_targetILNS1_3genE4ELNS1_11target_archE910ELNS1_3gpuE8ELNS1_3repE0EEENS1_30default_config_static_selectorELNS0_4arch9wavefront6targetE0EEEvT1_: ; @_ZN7rocprim17ROCPRIM_400000_NS6detail17trampoline_kernelINS0_14default_configENS1_25partition_config_selectorILNS1_17partition_subalgoE9EijbEEZZNS1_14partition_implILS5_9ELb0ES3_jN6thrust23THRUST_200600_302600_NS6detail15normal_iteratorINS9_10device_ptrIiEEEENSB_INSC_IjEEEEPNS0_10empty_typeENS0_5tupleIJSE_SH_EEENSJ_IJSG_SI_EEENS0_18inequality_wrapperINS9_8equal_toIiEEEEPmJSH_EEE10hipError_tPvRmT3_T4_T5_T6_T7_T9_mT8_P12ihipStream_tbDpT10_ENKUlT_T0_E_clISt17integral_constantIbLb0EES1A_EEDaS15_S16_EUlS15_E_NS1_11comp_targetILNS1_3genE4ELNS1_11target_archE910ELNS1_3gpuE8ELNS1_3repE0EEENS1_30default_config_static_selectorELNS0_4arch9wavefront6targetE0EEEvT1_
; %bb.0:
	.section	.rodata,"a",@progbits
	.p2align	6, 0x0
	.amdhsa_kernel _ZN7rocprim17ROCPRIM_400000_NS6detail17trampoline_kernelINS0_14default_configENS1_25partition_config_selectorILNS1_17partition_subalgoE9EijbEEZZNS1_14partition_implILS5_9ELb0ES3_jN6thrust23THRUST_200600_302600_NS6detail15normal_iteratorINS9_10device_ptrIiEEEENSB_INSC_IjEEEEPNS0_10empty_typeENS0_5tupleIJSE_SH_EEENSJ_IJSG_SI_EEENS0_18inequality_wrapperINS9_8equal_toIiEEEEPmJSH_EEE10hipError_tPvRmT3_T4_T5_T6_T7_T9_mT8_P12ihipStream_tbDpT10_ENKUlT_T0_E_clISt17integral_constantIbLb0EES1A_EEDaS15_S16_EUlS15_E_NS1_11comp_targetILNS1_3genE4ELNS1_11target_archE910ELNS1_3gpuE8ELNS1_3repE0EEENS1_30default_config_static_selectorELNS0_4arch9wavefront6targetE0EEEvT1_
		.amdhsa_group_segment_fixed_size 0
		.amdhsa_private_segment_fixed_size 0
		.amdhsa_kernarg_size 112
		.amdhsa_user_sgpr_count 15
		.amdhsa_user_sgpr_dispatch_ptr 0
		.amdhsa_user_sgpr_queue_ptr 0
		.amdhsa_user_sgpr_kernarg_segment_ptr 1
		.amdhsa_user_sgpr_dispatch_id 0
		.amdhsa_user_sgpr_private_segment_size 0
		.amdhsa_wavefront_size32 1
		.amdhsa_uses_dynamic_stack 0
		.amdhsa_enable_private_segment 0
		.amdhsa_system_sgpr_workgroup_id_x 1
		.amdhsa_system_sgpr_workgroup_id_y 0
		.amdhsa_system_sgpr_workgroup_id_z 0
		.amdhsa_system_sgpr_workgroup_info 0
		.amdhsa_system_vgpr_workitem_id 0
		.amdhsa_next_free_vgpr 1
		.amdhsa_next_free_sgpr 1
		.amdhsa_reserve_vcc 0
		.amdhsa_float_round_mode_32 0
		.amdhsa_float_round_mode_16_64 0
		.amdhsa_float_denorm_mode_32 3
		.amdhsa_float_denorm_mode_16_64 3
		.amdhsa_dx10_clamp 1
		.amdhsa_ieee_mode 1
		.amdhsa_fp16_overflow 0
		.amdhsa_workgroup_processor_mode 1
		.amdhsa_memory_ordered 1
		.amdhsa_forward_progress 0
		.amdhsa_shared_vgpr_count 0
		.amdhsa_exception_fp_ieee_invalid_op 0
		.amdhsa_exception_fp_denorm_src 0
		.amdhsa_exception_fp_ieee_div_zero 0
		.amdhsa_exception_fp_ieee_overflow 0
		.amdhsa_exception_fp_ieee_underflow 0
		.amdhsa_exception_fp_ieee_inexact 0
		.amdhsa_exception_int_div_zero 0
	.end_amdhsa_kernel
	.section	.text._ZN7rocprim17ROCPRIM_400000_NS6detail17trampoline_kernelINS0_14default_configENS1_25partition_config_selectorILNS1_17partition_subalgoE9EijbEEZZNS1_14partition_implILS5_9ELb0ES3_jN6thrust23THRUST_200600_302600_NS6detail15normal_iteratorINS9_10device_ptrIiEEEENSB_INSC_IjEEEEPNS0_10empty_typeENS0_5tupleIJSE_SH_EEENSJ_IJSG_SI_EEENS0_18inequality_wrapperINS9_8equal_toIiEEEEPmJSH_EEE10hipError_tPvRmT3_T4_T5_T6_T7_T9_mT8_P12ihipStream_tbDpT10_ENKUlT_T0_E_clISt17integral_constantIbLb0EES1A_EEDaS15_S16_EUlS15_E_NS1_11comp_targetILNS1_3genE4ELNS1_11target_archE910ELNS1_3gpuE8ELNS1_3repE0EEENS1_30default_config_static_selectorELNS0_4arch9wavefront6targetE0EEEvT1_,"axG",@progbits,_ZN7rocprim17ROCPRIM_400000_NS6detail17trampoline_kernelINS0_14default_configENS1_25partition_config_selectorILNS1_17partition_subalgoE9EijbEEZZNS1_14partition_implILS5_9ELb0ES3_jN6thrust23THRUST_200600_302600_NS6detail15normal_iteratorINS9_10device_ptrIiEEEENSB_INSC_IjEEEEPNS0_10empty_typeENS0_5tupleIJSE_SH_EEENSJ_IJSG_SI_EEENS0_18inequality_wrapperINS9_8equal_toIiEEEEPmJSH_EEE10hipError_tPvRmT3_T4_T5_T6_T7_T9_mT8_P12ihipStream_tbDpT10_ENKUlT_T0_E_clISt17integral_constantIbLb0EES1A_EEDaS15_S16_EUlS15_E_NS1_11comp_targetILNS1_3genE4ELNS1_11target_archE910ELNS1_3gpuE8ELNS1_3repE0EEENS1_30default_config_static_selectorELNS0_4arch9wavefront6targetE0EEEvT1_,comdat
.Lfunc_end631:
	.size	_ZN7rocprim17ROCPRIM_400000_NS6detail17trampoline_kernelINS0_14default_configENS1_25partition_config_selectorILNS1_17partition_subalgoE9EijbEEZZNS1_14partition_implILS5_9ELb0ES3_jN6thrust23THRUST_200600_302600_NS6detail15normal_iteratorINS9_10device_ptrIiEEEENSB_INSC_IjEEEEPNS0_10empty_typeENS0_5tupleIJSE_SH_EEENSJ_IJSG_SI_EEENS0_18inequality_wrapperINS9_8equal_toIiEEEEPmJSH_EEE10hipError_tPvRmT3_T4_T5_T6_T7_T9_mT8_P12ihipStream_tbDpT10_ENKUlT_T0_E_clISt17integral_constantIbLb0EES1A_EEDaS15_S16_EUlS15_E_NS1_11comp_targetILNS1_3genE4ELNS1_11target_archE910ELNS1_3gpuE8ELNS1_3repE0EEENS1_30default_config_static_selectorELNS0_4arch9wavefront6targetE0EEEvT1_, .Lfunc_end631-_ZN7rocprim17ROCPRIM_400000_NS6detail17trampoline_kernelINS0_14default_configENS1_25partition_config_selectorILNS1_17partition_subalgoE9EijbEEZZNS1_14partition_implILS5_9ELb0ES3_jN6thrust23THRUST_200600_302600_NS6detail15normal_iteratorINS9_10device_ptrIiEEEENSB_INSC_IjEEEEPNS0_10empty_typeENS0_5tupleIJSE_SH_EEENSJ_IJSG_SI_EEENS0_18inequality_wrapperINS9_8equal_toIiEEEEPmJSH_EEE10hipError_tPvRmT3_T4_T5_T6_T7_T9_mT8_P12ihipStream_tbDpT10_ENKUlT_T0_E_clISt17integral_constantIbLb0EES1A_EEDaS15_S16_EUlS15_E_NS1_11comp_targetILNS1_3genE4ELNS1_11target_archE910ELNS1_3gpuE8ELNS1_3repE0EEENS1_30default_config_static_selectorELNS0_4arch9wavefront6targetE0EEEvT1_
                                        ; -- End function
	.section	.AMDGPU.csdata,"",@progbits
; Kernel info:
; codeLenInByte = 0
; NumSgprs: 0
; NumVgprs: 0
; ScratchSize: 0
; MemoryBound: 0
; FloatMode: 240
; IeeeMode: 1
; LDSByteSize: 0 bytes/workgroup (compile time only)
; SGPRBlocks: 0
; VGPRBlocks: 0
; NumSGPRsForWavesPerEU: 1
; NumVGPRsForWavesPerEU: 1
; Occupancy: 15
; WaveLimiterHint : 0
; COMPUTE_PGM_RSRC2:SCRATCH_EN: 0
; COMPUTE_PGM_RSRC2:USER_SGPR: 15
; COMPUTE_PGM_RSRC2:TRAP_HANDLER: 0
; COMPUTE_PGM_RSRC2:TGID_X_EN: 1
; COMPUTE_PGM_RSRC2:TGID_Y_EN: 0
; COMPUTE_PGM_RSRC2:TGID_Z_EN: 0
; COMPUTE_PGM_RSRC2:TIDIG_COMP_CNT: 0
	.section	.text._ZN7rocprim17ROCPRIM_400000_NS6detail17trampoline_kernelINS0_14default_configENS1_25partition_config_selectorILNS1_17partition_subalgoE9EijbEEZZNS1_14partition_implILS5_9ELb0ES3_jN6thrust23THRUST_200600_302600_NS6detail15normal_iteratorINS9_10device_ptrIiEEEENSB_INSC_IjEEEEPNS0_10empty_typeENS0_5tupleIJSE_SH_EEENSJ_IJSG_SI_EEENS0_18inequality_wrapperINS9_8equal_toIiEEEEPmJSH_EEE10hipError_tPvRmT3_T4_T5_T6_T7_T9_mT8_P12ihipStream_tbDpT10_ENKUlT_T0_E_clISt17integral_constantIbLb0EES1A_EEDaS15_S16_EUlS15_E_NS1_11comp_targetILNS1_3genE3ELNS1_11target_archE908ELNS1_3gpuE7ELNS1_3repE0EEENS1_30default_config_static_selectorELNS0_4arch9wavefront6targetE0EEEvT1_,"axG",@progbits,_ZN7rocprim17ROCPRIM_400000_NS6detail17trampoline_kernelINS0_14default_configENS1_25partition_config_selectorILNS1_17partition_subalgoE9EijbEEZZNS1_14partition_implILS5_9ELb0ES3_jN6thrust23THRUST_200600_302600_NS6detail15normal_iteratorINS9_10device_ptrIiEEEENSB_INSC_IjEEEEPNS0_10empty_typeENS0_5tupleIJSE_SH_EEENSJ_IJSG_SI_EEENS0_18inequality_wrapperINS9_8equal_toIiEEEEPmJSH_EEE10hipError_tPvRmT3_T4_T5_T6_T7_T9_mT8_P12ihipStream_tbDpT10_ENKUlT_T0_E_clISt17integral_constantIbLb0EES1A_EEDaS15_S16_EUlS15_E_NS1_11comp_targetILNS1_3genE3ELNS1_11target_archE908ELNS1_3gpuE7ELNS1_3repE0EEENS1_30default_config_static_selectorELNS0_4arch9wavefront6targetE0EEEvT1_,comdat
	.protected	_ZN7rocprim17ROCPRIM_400000_NS6detail17trampoline_kernelINS0_14default_configENS1_25partition_config_selectorILNS1_17partition_subalgoE9EijbEEZZNS1_14partition_implILS5_9ELb0ES3_jN6thrust23THRUST_200600_302600_NS6detail15normal_iteratorINS9_10device_ptrIiEEEENSB_INSC_IjEEEEPNS0_10empty_typeENS0_5tupleIJSE_SH_EEENSJ_IJSG_SI_EEENS0_18inequality_wrapperINS9_8equal_toIiEEEEPmJSH_EEE10hipError_tPvRmT3_T4_T5_T6_T7_T9_mT8_P12ihipStream_tbDpT10_ENKUlT_T0_E_clISt17integral_constantIbLb0EES1A_EEDaS15_S16_EUlS15_E_NS1_11comp_targetILNS1_3genE3ELNS1_11target_archE908ELNS1_3gpuE7ELNS1_3repE0EEENS1_30default_config_static_selectorELNS0_4arch9wavefront6targetE0EEEvT1_ ; -- Begin function _ZN7rocprim17ROCPRIM_400000_NS6detail17trampoline_kernelINS0_14default_configENS1_25partition_config_selectorILNS1_17partition_subalgoE9EijbEEZZNS1_14partition_implILS5_9ELb0ES3_jN6thrust23THRUST_200600_302600_NS6detail15normal_iteratorINS9_10device_ptrIiEEEENSB_INSC_IjEEEEPNS0_10empty_typeENS0_5tupleIJSE_SH_EEENSJ_IJSG_SI_EEENS0_18inequality_wrapperINS9_8equal_toIiEEEEPmJSH_EEE10hipError_tPvRmT3_T4_T5_T6_T7_T9_mT8_P12ihipStream_tbDpT10_ENKUlT_T0_E_clISt17integral_constantIbLb0EES1A_EEDaS15_S16_EUlS15_E_NS1_11comp_targetILNS1_3genE3ELNS1_11target_archE908ELNS1_3gpuE7ELNS1_3repE0EEENS1_30default_config_static_selectorELNS0_4arch9wavefront6targetE0EEEvT1_
	.globl	_ZN7rocprim17ROCPRIM_400000_NS6detail17trampoline_kernelINS0_14default_configENS1_25partition_config_selectorILNS1_17partition_subalgoE9EijbEEZZNS1_14partition_implILS5_9ELb0ES3_jN6thrust23THRUST_200600_302600_NS6detail15normal_iteratorINS9_10device_ptrIiEEEENSB_INSC_IjEEEEPNS0_10empty_typeENS0_5tupleIJSE_SH_EEENSJ_IJSG_SI_EEENS0_18inequality_wrapperINS9_8equal_toIiEEEEPmJSH_EEE10hipError_tPvRmT3_T4_T5_T6_T7_T9_mT8_P12ihipStream_tbDpT10_ENKUlT_T0_E_clISt17integral_constantIbLb0EES1A_EEDaS15_S16_EUlS15_E_NS1_11comp_targetILNS1_3genE3ELNS1_11target_archE908ELNS1_3gpuE7ELNS1_3repE0EEENS1_30default_config_static_selectorELNS0_4arch9wavefront6targetE0EEEvT1_
	.p2align	8
	.type	_ZN7rocprim17ROCPRIM_400000_NS6detail17trampoline_kernelINS0_14default_configENS1_25partition_config_selectorILNS1_17partition_subalgoE9EijbEEZZNS1_14partition_implILS5_9ELb0ES3_jN6thrust23THRUST_200600_302600_NS6detail15normal_iteratorINS9_10device_ptrIiEEEENSB_INSC_IjEEEEPNS0_10empty_typeENS0_5tupleIJSE_SH_EEENSJ_IJSG_SI_EEENS0_18inequality_wrapperINS9_8equal_toIiEEEEPmJSH_EEE10hipError_tPvRmT3_T4_T5_T6_T7_T9_mT8_P12ihipStream_tbDpT10_ENKUlT_T0_E_clISt17integral_constantIbLb0EES1A_EEDaS15_S16_EUlS15_E_NS1_11comp_targetILNS1_3genE3ELNS1_11target_archE908ELNS1_3gpuE7ELNS1_3repE0EEENS1_30default_config_static_selectorELNS0_4arch9wavefront6targetE0EEEvT1_,@function
_ZN7rocprim17ROCPRIM_400000_NS6detail17trampoline_kernelINS0_14default_configENS1_25partition_config_selectorILNS1_17partition_subalgoE9EijbEEZZNS1_14partition_implILS5_9ELb0ES3_jN6thrust23THRUST_200600_302600_NS6detail15normal_iteratorINS9_10device_ptrIiEEEENSB_INSC_IjEEEEPNS0_10empty_typeENS0_5tupleIJSE_SH_EEENSJ_IJSG_SI_EEENS0_18inequality_wrapperINS9_8equal_toIiEEEEPmJSH_EEE10hipError_tPvRmT3_T4_T5_T6_T7_T9_mT8_P12ihipStream_tbDpT10_ENKUlT_T0_E_clISt17integral_constantIbLb0EES1A_EEDaS15_S16_EUlS15_E_NS1_11comp_targetILNS1_3genE3ELNS1_11target_archE908ELNS1_3gpuE7ELNS1_3repE0EEENS1_30default_config_static_selectorELNS0_4arch9wavefront6targetE0EEEvT1_: ; @_ZN7rocprim17ROCPRIM_400000_NS6detail17trampoline_kernelINS0_14default_configENS1_25partition_config_selectorILNS1_17partition_subalgoE9EijbEEZZNS1_14partition_implILS5_9ELb0ES3_jN6thrust23THRUST_200600_302600_NS6detail15normal_iteratorINS9_10device_ptrIiEEEENSB_INSC_IjEEEEPNS0_10empty_typeENS0_5tupleIJSE_SH_EEENSJ_IJSG_SI_EEENS0_18inequality_wrapperINS9_8equal_toIiEEEEPmJSH_EEE10hipError_tPvRmT3_T4_T5_T6_T7_T9_mT8_P12ihipStream_tbDpT10_ENKUlT_T0_E_clISt17integral_constantIbLb0EES1A_EEDaS15_S16_EUlS15_E_NS1_11comp_targetILNS1_3genE3ELNS1_11target_archE908ELNS1_3gpuE7ELNS1_3repE0EEENS1_30default_config_static_selectorELNS0_4arch9wavefront6targetE0EEEvT1_
; %bb.0:
	.section	.rodata,"a",@progbits
	.p2align	6, 0x0
	.amdhsa_kernel _ZN7rocprim17ROCPRIM_400000_NS6detail17trampoline_kernelINS0_14default_configENS1_25partition_config_selectorILNS1_17partition_subalgoE9EijbEEZZNS1_14partition_implILS5_9ELb0ES3_jN6thrust23THRUST_200600_302600_NS6detail15normal_iteratorINS9_10device_ptrIiEEEENSB_INSC_IjEEEEPNS0_10empty_typeENS0_5tupleIJSE_SH_EEENSJ_IJSG_SI_EEENS0_18inequality_wrapperINS9_8equal_toIiEEEEPmJSH_EEE10hipError_tPvRmT3_T4_T5_T6_T7_T9_mT8_P12ihipStream_tbDpT10_ENKUlT_T0_E_clISt17integral_constantIbLb0EES1A_EEDaS15_S16_EUlS15_E_NS1_11comp_targetILNS1_3genE3ELNS1_11target_archE908ELNS1_3gpuE7ELNS1_3repE0EEENS1_30default_config_static_selectorELNS0_4arch9wavefront6targetE0EEEvT1_
		.amdhsa_group_segment_fixed_size 0
		.amdhsa_private_segment_fixed_size 0
		.amdhsa_kernarg_size 112
		.amdhsa_user_sgpr_count 15
		.amdhsa_user_sgpr_dispatch_ptr 0
		.amdhsa_user_sgpr_queue_ptr 0
		.amdhsa_user_sgpr_kernarg_segment_ptr 1
		.amdhsa_user_sgpr_dispatch_id 0
		.amdhsa_user_sgpr_private_segment_size 0
		.amdhsa_wavefront_size32 1
		.amdhsa_uses_dynamic_stack 0
		.amdhsa_enable_private_segment 0
		.amdhsa_system_sgpr_workgroup_id_x 1
		.amdhsa_system_sgpr_workgroup_id_y 0
		.amdhsa_system_sgpr_workgroup_id_z 0
		.amdhsa_system_sgpr_workgroup_info 0
		.amdhsa_system_vgpr_workitem_id 0
		.amdhsa_next_free_vgpr 1
		.amdhsa_next_free_sgpr 1
		.amdhsa_reserve_vcc 0
		.amdhsa_float_round_mode_32 0
		.amdhsa_float_round_mode_16_64 0
		.amdhsa_float_denorm_mode_32 3
		.amdhsa_float_denorm_mode_16_64 3
		.amdhsa_dx10_clamp 1
		.amdhsa_ieee_mode 1
		.amdhsa_fp16_overflow 0
		.amdhsa_workgroup_processor_mode 1
		.amdhsa_memory_ordered 1
		.amdhsa_forward_progress 0
		.amdhsa_shared_vgpr_count 0
		.amdhsa_exception_fp_ieee_invalid_op 0
		.amdhsa_exception_fp_denorm_src 0
		.amdhsa_exception_fp_ieee_div_zero 0
		.amdhsa_exception_fp_ieee_overflow 0
		.amdhsa_exception_fp_ieee_underflow 0
		.amdhsa_exception_fp_ieee_inexact 0
		.amdhsa_exception_int_div_zero 0
	.end_amdhsa_kernel
	.section	.text._ZN7rocprim17ROCPRIM_400000_NS6detail17trampoline_kernelINS0_14default_configENS1_25partition_config_selectorILNS1_17partition_subalgoE9EijbEEZZNS1_14partition_implILS5_9ELb0ES3_jN6thrust23THRUST_200600_302600_NS6detail15normal_iteratorINS9_10device_ptrIiEEEENSB_INSC_IjEEEEPNS0_10empty_typeENS0_5tupleIJSE_SH_EEENSJ_IJSG_SI_EEENS0_18inequality_wrapperINS9_8equal_toIiEEEEPmJSH_EEE10hipError_tPvRmT3_T4_T5_T6_T7_T9_mT8_P12ihipStream_tbDpT10_ENKUlT_T0_E_clISt17integral_constantIbLb0EES1A_EEDaS15_S16_EUlS15_E_NS1_11comp_targetILNS1_3genE3ELNS1_11target_archE908ELNS1_3gpuE7ELNS1_3repE0EEENS1_30default_config_static_selectorELNS0_4arch9wavefront6targetE0EEEvT1_,"axG",@progbits,_ZN7rocprim17ROCPRIM_400000_NS6detail17trampoline_kernelINS0_14default_configENS1_25partition_config_selectorILNS1_17partition_subalgoE9EijbEEZZNS1_14partition_implILS5_9ELb0ES3_jN6thrust23THRUST_200600_302600_NS6detail15normal_iteratorINS9_10device_ptrIiEEEENSB_INSC_IjEEEEPNS0_10empty_typeENS0_5tupleIJSE_SH_EEENSJ_IJSG_SI_EEENS0_18inequality_wrapperINS9_8equal_toIiEEEEPmJSH_EEE10hipError_tPvRmT3_T4_T5_T6_T7_T9_mT8_P12ihipStream_tbDpT10_ENKUlT_T0_E_clISt17integral_constantIbLb0EES1A_EEDaS15_S16_EUlS15_E_NS1_11comp_targetILNS1_3genE3ELNS1_11target_archE908ELNS1_3gpuE7ELNS1_3repE0EEENS1_30default_config_static_selectorELNS0_4arch9wavefront6targetE0EEEvT1_,comdat
.Lfunc_end632:
	.size	_ZN7rocprim17ROCPRIM_400000_NS6detail17trampoline_kernelINS0_14default_configENS1_25partition_config_selectorILNS1_17partition_subalgoE9EijbEEZZNS1_14partition_implILS5_9ELb0ES3_jN6thrust23THRUST_200600_302600_NS6detail15normal_iteratorINS9_10device_ptrIiEEEENSB_INSC_IjEEEEPNS0_10empty_typeENS0_5tupleIJSE_SH_EEENSJ_IJSG_SI_EEENS0_18inequality_wrapperINS9_8equal_toIiEEEEPmJSH_EEE10hipError_tPvRmT3_T4_T5_T6_T7_T9_mT8_P12ihipStream_tbDpT10_ENKUlT_T0_E_clISt17integral_constantIbLb0EES1A_EEDaS15_S16_EUlS15_E_NS1_11comp_targetILNS1_3genE3ELNS1_11target_archE908ELNS1_3gpuE7ELNS1_3repE0EEENS1_30default_config_static_selectorELNS0_4arch9wavefront6targetE0EEEvT1_, .Lfunc_end632-_ZN7rocprim17ROCPRIM_400000_NS6detail17trampoline_kernelINS0_14default_configENS1_25partition_config_selectorILNS1_17partition_subalgoE9EijbEEZZNS1_14partition_implILS5_9ELb0ES3_jN6thrust23THRUST_200600_302600_NS6detail15normal_iteratorINS9_10device_ptrIiEEEENSB_INSC_IjEEEEPNS0_10empty_typeENS0_5tupleIJSE_SH_EEENSJ_IJSG_SI_EEENS0_18inequality_wrapperINS9_8equal_toIiEEEEPmJSH_EEE10hipError_tPvRmT3_T4_T5_T6_T7_T9_mT8_P12ihipStream_tbDpT10_ENKUlT_T0_E_clISt17integral_constantIbLb0EES1A_EEDaS15_S16_EUlS15_E_NS1_11comp_targetILNS1_3genE3ELNS1_11target_archE908ELNS1_3gpuE7ELNS1_3repE0EEENS1_30default_config_static_selectorELNS0_4arch9wavefront6targetE0EEEvT1_
                                        ; -- End function
	.section	.AMDGPU.csdata,"",@progbits
; Kernel info:
; codeLenInByte = 0
; NumSgprs: 0
; NumVgprs: 0
; ScratchSize: 0
; MemoryBound: 0
; FloatMode: 240
; IeeeMode: 1
; LDSByteSize: 0 bytes/workgroup (compile time only)
; SGPRBlocks: 0
; VGPRBlocks: 0
; NumSGPRsForWavesPerEU: 1
; NumVGPRsForWavesPerEU: 1
; Occupancy: 16
; WaveLimiterHint : 0
; COMPUTE_PGM_RSRC2:SCRATCH_EN: 0
; COMPUTE_PGM_RSRC2:USER_SGPR: 15
; COMPUTE_PGM_RSRC2:TRAP_HANDLER: 0
; COMPUTE_PGM_RSRC2:TGID_X_EN: 1
; COMPUTE_PGM_RSRC2:TGID_Y_EN: 0
; COMPUTE_PGM_RSRC2:TGID_Z_EN: 0
; COMPUTE_PGM_RSRC2:TIDIG_COMP_CNT: 0
	.section	.text._ZN7rocprim17ROCPRIM_400000_NS6detail17trampoline_kernelINS0_14default_configENS1_25partition_config_selectorILNS1_17partition_subalgoE9EijbEEZZNS1_14partition_implILS5_9ELb0ES3_jN6thrust23THRUST_200600_302600_NS6detail15normal_iteratorINS9_10device_ptrIiEEEENSB_INSC_IjEEEEPNS0_10empty_typeENS0_5tupleIJSE_SH_EEENSJ_IJSG_SI_EEENS0_18inequality_wrapperINS9_8equal_toIiEEEEPmJSH_EEE10hipError_tPvRmT3_T4_T5_T6_T7_T9_mT8_P12ihipStream_tbDpT10_ENKUlT_T0_E_clISt17integral_constantIbLb0EES1A_EEDaS15_S16_EUlS15_E_NS1_11comp_targetILNS1_3genE2ELNS1_11target_archE906ELNS1_3gpuE6ELNS1_3repE0EEENS1_30default_config_static_selectorELNS0_4arch9wavefront6targetE0EEEvT1_,"axG",@progbits,_ZN7rocprim17ROCPRIM_400000_NS6detail17trampoline_kernelINS0_14default_configENS1_25partition_config_selectorILNS1_17partition_subalgoE9EijbEEZZNS1_14partition_implILS5_9ELb0ES3_jN6thrust23THRUST_200600_302600_NS6detail15normal_iteratorINS9_10device_ptrIiEEEENSB_INSC_IjEEEEPNS0_10empty_typeENS0_5tupleIJSE_SH_EEENSJ_IJSG_SI_EEENS0_18inequality_wrapperINS9_8equal_toIiEEEEPmJSH_EEE10hipError_tPvRmT3_T4_T5_T6_T7_T9_mT8_P12ihipStream_tbDpT10_ENKUlT_T0_E_clISt17integral_constantIbLb0EES1A_EEDaS15_S16_EUlS15_E_NS1_11comp_targetILNS1_3genE2ELNS1_11target_archE906ELNS1_3gpuE6ELNS1_3repE0EEENS1_30default_config_static_selectorELNS0_4arch9wavefront6targetE0EEEvT1_,comdat
	.protected	_ZN7rocprim17ROCPRIM_400000_NS6detail17trampoline_kernelINS0_14default_configENS1_25partition_config_selectorILNS1_17partition_subalgoE9EijbEEZZNS1_14partition_implILS5_9ELb0ES3_jN6thrust23THRUST_200600_302600_NS6detail15normal_iteratorINS9_10device_ptrIiEEEENSB_INSC_IjEEEEPNS0_10empty_typeENS0_5tupleIJSE_SH_EEENSJ_IJSG_SI_EEENS0_18inequality_wrapperINS9_8equal_toIiEEEEPmJSH_EEE10hipError_tPvRmT3_T4_T5_T6_T7_T9_mT8_P12ihipStream_tbDpT10_ENKUlT_T0_E_clISt17integral_constantIbLb0EES1A_EEDaS15_S16_EUlS15_E_NS1_11comp_targetILNS1_3genE2ELNS1_11target_archE906ELNS1_3gpuE6ELNS1_3repE0EEENS1_30default_config_static_selectorELNS0_4arch9wavefront6targetE0EEEvT1_ ; -- Begin function _ZN7rocprim17ROCPRIM_400000_NS6detail17trampoline_kernelINS0_14default_configENS1_25partition_config_selectorILNS1_17partition_subalgoE9EijbEEZZNS1_14partition_implILS5_9ELb0ES3_jN6thrust23THRUST_200600_302600_NS6detail15normal_iteratorINS9_10device_ptrIiEEEENSB_INSC_IjEEEEPNS0_10empty_typeENS0_5tupleIJSE_SH_EEENSJ_IJSG_SI_EEENS0_18inequality_wrapperINS9_8equal_toIiEEEEPmJSH_EEE10hipError_tPvRmT3_T4_T5_T6_T7_T9_mT8_P12ihipStream_tbDpT10_ENKUlT_T0_E_clISt17integral_constantIbLb0EES1A_EEDaS15_S16_EUlS15_E_NS1_11comp_targetILNS1_3genE2ELNS1_11target_archE906ELNS1_3gpuE6ELNS1_3repE0EEENS1_30default_config_static_selectorELNS0_4arch9wavefront6targetE0EEEvT1_
	.globl	_ZN7rocprim17ROCPRIM_400000_NS6detail17trampoline_kernelINS0_14default_configENS1_25partition_config_selectorILNS1_17partition_subalgoE9EijbEEZZNS1_14partition_implILS5_9ELb0ES3_jN6thrust23THRUST_200600_302600_NS6detail15normal_iteratorINS9_10device_ptrIiEEEENSB_INSC_IjEEEEPNS0_10empty_typeENS0_5tupleIJSE_SH_EEENSJ_IJSG_SI_EEENS0_18inequality_wrapperINS9_8equal_toIiEEEEPmJSH_EEE10hipError_tPvRmT3_T4_T5_T6_T7_T9_mT8_P12ihipStream_tbDpT10_ENKUlT_T0_E_clISt17integral_constantIbLb0EES1A_EEDaS15_S16_EUlS15_E_NS1_11comp_targetILNS1_3genE2ELNS1_11target_archE906ELNS1_3gpuE6ELNS1_3repE0EEENS1_30default_config_static_selectorELNS0_4arch9wavefront6targetE0EEEvT1_
	.p2align	8
	.type	_ZN7rocprim17ROCPRIM_400000_NS6detail17trampoline_kernelINS0_14default_configENS1_25partition_config_selectorILNS1_17partition_subalgoE9EijbEEZZNS1_14partition_implILS5_9ELb0ES3_jN6thrust23THRUST_200600_302600_NS6detail15normal_iteratorINS9_10device_ptrIiEEEENSB_INSC_IjEEEEPNS0_10empty_typeENS0_5tupleIJSE_SH_EEENSJ_IJSG_SI_EEENS0_18inequality_wrapperINS9_8equal_toIiEEEEPmJSH_EEE10hipError_tPvRmT3_T4_T5_T6_T7_T9_mT8_P12ihipStream_tbDpT10_ENKUlT_T0_E_clISt17integral_constantIbLb0EES1A_EEDaS15_S16_EUlS15_E_NS1_11comp_targetILNS1_3genE2ELNS1_11target_archE906ELNS1_3gpuE6ELNS1_3repE0EEENS1_30default_config_static_selectorELNS0_4arch9wavefront6targetE0EEEvT1_,@function
_ZN7rocprim17ROCPRIM_400000_NS6detail17trampoline_kernelINS0_14default_configENS1_25partition_config_selectorILNS1_17partition_subalgoE9EijbEEZZNS1_14partition_implILS5_9ELb0ES3_jN6thrust23THRUST_200600_302600_NS6detail15normal_iteratorINS9_10device_ptrIiEEEENSB_INSC_IjEEEEPNS0_10empty_typeENS0_5tupleIJSE_SH_EEENSJ_IJSG_SI_EEENS0_18inequality_wrapperINS9_8equal_toIiEEEEPmJSH_EEE10hipError_tPvRmT3_T4_T5_T6_T7_T9_mT8_P12ihipStream_tbDpT10_ENKUlT_T0_E_clISt17integral_constantIbLb0EES1A_EEDaS15_S16_EUlS15_E_NS1_11comp_targetILNS1_3genE2ELNS1_11target_archE906ELNS1_3gpuE6ELNS1_3repE0EEENS1_30default_config_static_selectorELNS0_4arch9wavefront6targetE0EEEvT1_: ; @_ZN7rocprim17ROCPRIM_400000_NS6detail17trampoline_kernelINS0_14default_configENS1_25partition_config_selectorILNS1_17partition_subalgoE9EijbEEZZNS1_14partition_implILS5_9ELb0ES3_jN6thrust23THRUST_200600_302600_NS6detail15normal_iteratorINS9_10device_ptrIiEEEENSB_INSC_IjEEEEPNS0_10empty_typeENS0_5tupleIJSE_SH_EEENSJ_IJSG_SI_EEENS0_18inequality_wrapperINS9_8equal_toIiEEEEPmJSH_EEE10hipError_tPvRmT3_T4_T5_T6_T7_T9_mT8_P12ihipStream_tbDpT10_ENKUlT_T0_E_clISt17integral_constantIbLb0EES1A_EEDaS15_S16_EUlS15_E_NS1_11comp_targetILNS1_3genE2ELNS1_11target_archE906ELNS1_3gpuE6ELNS1_3repE0EEENS1_30default_config_static_selectorELNS0_4arch9wavefront6targetE0EEEvT1_
; %bb.0:
	.section	.rodata,"a",@progbits
	.p2align	6, 0x0
	.amdhsa_kernel _ZN7rocprim17ROCPRIM_400000_NS6detail17trampoline_kernelINS0_14default_configENS1_25partition_config_selectorILNS1_17partition_subalgoE9EijbEEZZNS1_14partition_implILS5_9ELb0ES3_jN6thrust23THRUST_200600_302600_NS6detail15normal_iteratorINS9_10device_ptrIiEEEENSB_INSC_IjEEEEPNS0_10empty_typeENS0_5tupleIJSE_SH_EEENSJ_IJSG_SI_EEENS0_18inequality_wrapperINS9_8equal_toIiEEEEPmJSH_EEE10hipError_tPvRmT3_T4_T5_T6_T7_T9_mT8_P12ihipStream_tbDpT10_ENKUlT_T0_E_clISt17integral_constantIbLb0EES1A_EEDaS15_S16_EUlS15_E_NS1_11comp_targetILNS1_3genE2ELNS1_11target_archE906ELNS1_3gpuE6ELNS1_3repE0EEENS1_30default_config_static_selectorELNS0_4arch9wavefront6targetE0EEEvT1_
		.amdhsa_group_segment_fixed_size 0
		.amdhsa_private_segment_fixed_size 0
		.amdhsa_kernarg_size 112
		.amdhsa_user_sgpr_count 15
		.amdhsa_user_sgpr_dispatch_ptr 0
		.amdhsa_user_sgpr_queue_ptr 0
		.amdhsa_user_sgpr_kernarg_segment_ptr 1
		.amdhsa_user_sgpr_dispatch_id 0
		.amdhsa_user_sgpr_private_segment_size 0
		.amdhsa_wavefront_size32 1
		.amdhsa_uses_dynamic_stack 0
		.amdhsa_enable_private_segment 0
		.amdhsa_system_sgpr_workgroup_id_x 1
		.amdhsa_system_sgpr_workgroup_id_y 0
		.amdhsa_system_sgpr_workgroup_id_z 0
		.amdhsa_system_sgpr_workgroup_info 0
		.amdhsa_system_vgpr_workitem_id 0
		.amdhsa_next_free_vgpr 1
		.amdhsa_next_free_sgpr 1
		.amdhsa_reserve_vcc 0
		.amdhsa_float_round_mode_32 0
		.amdhsa_float_round_mode_16_64 0
		.amdhsa_float_denorm_mode_32 3
		.amdhsa_float_denorm_mode_16_64 3
		.amdhsa_dx10_clamp 1
		.amdhsa_ieee_mode 1
		.amdhsa_fp16_overflow 0
		.amdhsa_workgroup_processor_mode 1
		.amdhsa_memory_ordered 1
		.amdhsa_forward_progress 0
		.amdhsa_shared_vgpr_count 0
		.amdhsa_exception_fp_ieee_invalid_op 0
		.amdhsa_exception_fp_denorm_src 0
		.amdhsa_exception_fp_ieee_div_zero 0
		.amdhsa_exception_fp_ieee_overflow 0
		.amdhsa_exception_fp_ieee_underflow 0
		.amdhsa_exception_fp_ieee_inexact 0
		.amdhsa_exception_int_div_zero 0
	.end_amdhsa_kernel
	.section	.text._ZN7rocprim17ROCPRIM_400000_NS6detail17trampoline_kernelINS0_14default_configENS1_25partition_config_selectorILNS1_17partition_subalgoE9EijbEEZZNS1_14partition_implILS5_9ELb0ES3_jN6thrust23THRUST_200600_302600_NS6detail15normal_iteratorINS9_10device_ptrIiEEEENSB_INSC_IjEEEEPNS0_10empty_typeENS0_5tupleIJSE_SH_EEENSJ_IJSG_SI_EEENS0_18inequality_wrapperINS9_8equal_toIiEEEEPmJSH_EEE10hipError_tPvRmT3_T4_T5_T6_T7_T9_mT8_P12ihipStream_tbDpT10_ENKUlT_T0_E_clISt17integral_constantIbLb0EES1A_EEDaS15_S16_EUlS15_E_NS1_11comp_targetILNS1_3genE2ELNS1_11target_archE906ELNS1_3gpuE6ELNS1_3repE0EEENS1_30default_config_static_selectorELNS0_4arch9wavefront6targetE0EEEvT1_,"axG",@progbits,_ZN7rocprim17ROCPRIM_400000_NS6detail17trampoline_kernelINS0_14default_configENS1_25partition_config_selectorILNS1_17partition_subalgoE9EijbEEZZNS1_14partition_implILS5_9ELb0ES3_jN6thrust23THRUST_200600_302600_NS6detail15normal_iteratorINS9_10device_ptrIiEEEENSB_INSC_IjEEEEPNS0_10empty_typeENS0_5tupleIJSE_SH_EEENSJ_IJSG_SI_EEENS0_18inequality_wrapperINS9_8equal_toIiEEEEPmJSH_EEE10hipError_tPvRmT3_T4_T5_T6_T7_T9_mT8_P12ihipStream_tbDpT10_ENKUlT_T0_E_clISt17integral_constantIbLb0EES1A_EEDaS15_S16_EUlS15_E_NS1_11comp_targetILNS1_3genE2ELNS1_11target_archE906ELNS1_3gpuE6ELNS1_3repE0EEENS1_30default_config_static_selectorELNS0_4arch9wavefront6targetE0EEEvT1_,comdat
.Lfunc_end633:
	.size	_ZN7rocprim17ROCPRIM_400000_NS6detail17trampoline_kernelINS0_14default_configENS1_25partition_config_selectorILNS1_17partition_subalgoE9EijbEEZZNS1_14partition_implILS5_9ELb0ES3_jN6thrust23THRUST_200600_302600_NS6detail15normal_iteratorINS9_10device_ptrIiEEEENSB_INSC_IjEEEEPNS0_10empty_typeENS0_5tupleIJSE_SH_EEENSJ_IJSG_SI_EEENS0_18inequality_wrapperINS9_8equal_toIiEEEEPmJSH_EEE10hipError_tPvRmT3_T4_T5_T6_T7_T9_mT8_P12ihipStream_tbDpT10_ENKUlT_T0_E_clISt17integral_constantIbLb0EES1A_EEDaS15_S16_EUlS15_E_NS1_11comp_targetILNS1_3genE2ELNS1_11target_archE906ELNS1_3gpuE6ELNS1_3repE0EEENS1_30default_config_static_selectorELNS0_4arch9wavefront6targetE0EEEvT1_, .Lfunc_end633-_ZN7rocprim17ROCPRIM_400000_NS6detail17trampoline_kernelINS0_14default_configENS1_25partition_config_selectorILNS1_17partition_subalgoE9EijbEEZZNS1_14partition_implILS5_9ELb0ES3_jN6thrust23THRUST_200600_302600_NS6detail15normal_iteratorINS9_10device_ptrIiEEEENSB_INSC_IjEEEEPNS0_10empty_typeENS0_5tupleIJSE_SH_EEENSJ_IJSG_SI_EEENS0_18inequality_wrapperINS9_8equal_toIiEEEEPmJSH_EEE10hipError_tPvRmT3_T4_T5_T6_T7_T9_mT8_P12ihipStream_tbDpT10_ENKUlT_T0_E_clISt17integral_constantIbLb0EES1A_EEDaS15_S16_EUlS15_E_NS1_11comp_targetILNS1_3genE2ELNS1_11target_archE906ELNS1_3gpuE6ELNS1_3repE0EEENS1_30default_config_static_selectorELNS0_4arch9wavefront6targetE0EEEvT1_
                                        ; -- End function
	.section	.AMDGPU.csdata,"",@progbits
; Kernel info:
; codeLenInByte = 0
; NumSgprs: 0
; NumVgprs: 0
; ScratchSize: 0
; MemoryBound: 0
; FloatMode: 240
; IeeeMode: 1
; LDSByteSize: 0 bytes/workgroup (compile time only)
; SGPRBlocks: 0
; VGPRBlocks: 0
; NumSGPRsForWavesPerEU: 1
; NumVGPRsForWavesPerEU: 1
; Occupancy: 16
; WaveLimiterHint : 0
; COMPUTE_PGM_RSRC2:SCRATCH_EN: 0
; COMPUTE_PGM_RSRC2:USER_SGPR: 15
; COMPUTE_PGM_RSRC2:TRAP_HANDLER: 0
; COMPUTE_PGM_RSRC2:TGID_X_EN: 1
; COMPUTE_PGM_RSRC2:TGID_Y_EN: 0
; COMPUTE_PGM_RSRC2:TGID_Z_EN: 0
; COMPUTE_PGM_RSRC2:TIDIG_COMP_CNT: 0
	.section	.text._ZN7rocprim17ROCPRIM_400000_NS6detail17trampoline_kernelINS0_14default_configENS1_25partition_config_selectorILNS1_17partition_subalgoE9EijbEEZZNS1_14partition_implILS5_9ELb0ES3_jN6thrust23THRUST_200600_302600_NS6detail15normal_iteratorINS9_10device_ptrIiEEEENSB_INSC_IjEEEEPNS0_10empty_typeENS0_5tupleIJSE_SH_EEENSJ_IJSG_SI_EEENS0_18inequality_wrapperINS9_8equal_toIiEEEEPmJSH_EEE10hipError_tPvRmT3_T4_T5_T6_T7_T9_mT8_P12ihipStream_tbDpT10_ENKUlT_T0_E_clISt17integral_constantIbLb0EES1A_EEDaS15_S16_EUlS15_E_NS1_11comp_targetILNS1_3genE10ELNS1_11target_archE1200ELNS1_3gpuE4ELNS1_3repE0EEENS1_30default_config_static_selectorELNS0_4arch9wavefront6targetE0EEEvT1_,"axG",@progbits,_ZN7rocprim17ROCPRIM_400000_NS6detail17trampoline_kernelINS0_14default_configENS1_25partition_config_selectorILNS1_17partition_subalgoE9EijbEEZZNS1_14partition_implILS5_9ELb0ES3_jN6thrust23THRUST_200600_302600_NS6detail15normal_iteratorINS9_10device_ptrIiEEEENSB_INSC_IjEEEEPNS0_10empty_typeENS0_5tupleIJSE_SH_EEENSJ_IJSG_SI_EEENS0_18inequality_wrapperINS9_8equal_toIiEEEEPmJSH_EEE10hipError_tPvRmT3_T4_T5_T6_T7_T9_mT8_P12ihipStream_tbDpT10_ENKUlT_T0_E_clISt17integral_constantIbLb0EES1A_EEDaS15_S16_EUlS15_E_NS1_11comp_targetILNS1_3genE10ELNS1_11target_archE1200ELNS1_3gpuE4ELNS1_3repE0EEENS1_30default_config_static_selectorELNS0_4arch9wavefront6targetE0EEEvT1_,comdat
	.protected	_ZN7rocprim17ROCPRIM_400000_NS6detail17trampoline_kernelINS0_14default_configENS1_25partition_config_selectorILNS1_17partition_subalgoE9EijbEEZZNS1_14partition_implILS5_9ELb0ES3_jN6thrust23THRUST_200600_302600_NS6detail15normal_iteratorINS9_10device_ptrIiEEEENSB_INSC_IjEEEEPNS0_10empty_typeENS0_5tupleIJSE_SH_EEENSJ_IJSG_SI_EEENS0_18inequality_wrapperINS9_8equal_toIiEEEEPmJSH_EEE10hipError_tPvRmT3_T4_T5_T6_T7_T9_mT8_P12ihipStream_tbDpT10_ENKUlT_T0_E_clISt17integral_constantIbLb0EES1A_EEDaS15_S16_EUlS15_E_NS1_11comp_targetILNS1_3genE10ELNS1_11target_archE1200ELNS1_3gpuE4ELNS1_3repE0EEENS1_30default_config_static_selectorELNS0_4arch9wavefront6targetE0EEEvT1_ ; -- Begin function _ZN7rocprim17ROCPRIM_400000_NS6detail17trampoline_kernelINS0_14default_configENS1_25partition_config_selectorILNS1_17partition_subalgoE9EijbEEZZNS1_14partition_implILS5_9ELb0ES3_jN6thrust23THRUST_200600_302600_NS6detail15normal_iteratorINS9_10device_ptrIiEEEENSB_INSC_IjEEEEPNS0_10empty_typeENS0_5tupleIJSE_SH_EEENSJ_IJSG_SI_EEENS0_18inequality_wrapperINS9_8equal_toIiEEEEPmJSH_EEE10hipError_tPvRmT3_T4_T5_T6_T7_T9_mT8_P12ihipStream_tbDpT10_ENKUlT_T0_E_clISt17integral_constantIbLb0EES1A_EEDaS15_S16_EUlS15_E_NS1_11comp_targetILNS1_3genE10ELNS1_11target_archE1200ELNS1_3gpuE4ELNS1_3repE0EEENS1_30default_config_static_selectorELNS0_4arch9wavefront6targetE0EEEvT1_
	.globl	_ZN7rocprim17ROCPRIM_400000_NS6detail17trampoline_kernelINS0_14default_configENS1_25partition_config_selectorILNS1_17partition_subalgoE9EijbEEZZNS1_14partition_implILS5_9ELb0ES3_jN6thrust23THRUST_200600_302600_NS6detail15normal_iteratorINS9_10device_ptrIiEEEENSB_INSC_IjEEEEPNS0_10empty_typeENS0_5tupleIJSE_SH_EEENSJ_IJSG_SI_EEENS0_18inequality_wrapperINS9_8equal_toIiEEEEPmJSH_EEE10hipError_tPvRmT3_T4_T5_T6_T7_T9_mT8_P12ihipStream_tbDpT10_ENKUlT_T0_E_clISt17integral_constantIbLb0EES1A_EEDaS15_S16_EUlS15_E_NS1_11comp_targetILNS1_3genE10ELNS1_11target_archE1200ELNS1_3gpuE4ELNS1_3repE0EEENS1_30default_config_static_selectorELNS0_4arch9wavefront6targetE0EEEvT1_
	.p2align	8
	.type	_ZN7rocprim17ROCPRIM_400000_NS6detail17trampoline_kernelINS0_14default_configENS1_25partition_config_selectorILNS1_17partition_subalgoE9EijbEEZZNS1_14partition_implILS5_9ELb0ES3_jN6thrust23THRUST_200600_302600_NS6detail15normal_iteratorINS9_10device_ptrIiEEEENSB_INSC_IjEEEEPNS0_10empty_typeENS0_5tupleIJSE_SH_EEENSJ_IJSG_SI_EEENS0_18inequality_wrapperINS9_8equal_toIiEEEEPmJSH_EEE10hipError_tPvRmT3_T4_T5_T6_T7_T9_mT8_P12ihipStream_tbDpT10_ENKUlT_T0_E_clISt17integral_constantIbLb0EES1A_EEDaS15_S16_EUlS15_E_NS1_11comp_targetILNS1_3genE10ELNS1_11target_archE1200ELNS1_3gpuE4ELNS1_3repE0EEENS1_30default_config_static_selectorELNS0_4arch9wavefront6targetE0EEEvT1_,@function
_ZN7rocprim17ROCPRIM_400000_NS6detail17trampoline_kernelINS0_14default_configENS1_25partition_config_selectorILNS1_17partition_subalgoE9EijbEEZZNS1_14partition_implILS5_9ELb0ES3_jN6thrust23THRUST_200600_302600_NS6detail15normal_iteratorINS9_10device_ptrIiEEEENSB_INSC_IjEEEEPNS0_10empty_typeENS0_5tupleIJSE_SH_EEENSJ_IJSG_SI_EEENS0_18inequality_wrapperINS9_8equal_toIiEEEEPmJSH_EEE10hipError_tPvRmT3_T4_T5_T6_T7_T9_mT8_P12ihipStream_tbDpT10_ENKUlT_T0_E_clISt17integral_constantIbLb0EES1A_EEDaS15_S16_EUlS15_E_NS1_11comp_targetILNS1_3genE10ELNS1_11target_archE1200ELNS1_3gpuE4ELNS1_3repE0EEENS1_30default_config_static_selectorELNS0_4arch9wavefront6targetE0EEEvT1_: ; @_ZN7rocprim17ROCPRIM_400000_NS6detail17trampoline_kernelINS0_14default_configENS1_25partition_config_selectorILNS1_17partition_subalgoE9EijbEEZZNS1_14partition_implILS5_9ELb0ES3_jN6thrust23THRUST_200600_302600_NS6detail15normal_iteratorINS9_10device_ptrIiEEEENSB_INSC_IjEEEEPNS0_10empty_typeENS0_5tupleIJSE_SH_EEENSJ_IJSG_SI_EEENS0_18inequality_wrapperINS9_8equal_toIiEEEEPmJSH_EEE10hipError_tPvRmT3_T4_T5_T6_T7_T9_mT8_P12ihipStream_tbDpT10_ENKUlT_T0_E_clISt17integral_constantIbLb0EES1A_EEDaS15_S16_EUlS15_E_NS1_11comp_targetILNS1_3genE10ELNS1_11target_archE1200ELNS1_3gpuE4ELNS1_3repE0EEENS1_30default_config_static_selectorELNS0_4arch9wavefront6targetE0EEEvT1_
; %bb.0:
	.section	.rodata,"a",@progbits
	.p2align	6, 0x0
	.amdhsa_kernel _ZN7rocprim17ROCPRIM_400000_NS6detail17trampoline_kernelINS0_14default_configENS1_25partition_config_selectorILNS1_17partition_subalgoE9EijbEEZZNS1_14partition_implILS5_9ELb0ES3_jN6thrust23THRUST_200600_302600_NS6detail15normal_iteratorINS9_10device_ptrIiEEEENSB_INSC_IjEEEEPNS0_10empty_typeENS0_5tupleIJSE_SH_EEENSJ_IJSG_SI_EEENS0_18inequality_wrapperINS9_8equal_toIiEEEEPmJSH_EEE10hipError_tPvRmT3_T4_T5_T6_T7_T9_mT8_P12ihipStream_tbDpT10_ENKUlT_T0_E_clISt17integral_constantIbLb0EES1A_EEDaS15_S16_EUlS15_E_NS1_11comp_targetILNS1_3genE10ELNS1_11target_archE1200ELNS1_3gpuE4ELNS1_3repE0EEENS1_30default_config_static_selectorELNS0_4arch9wavefront6targetE0EEEvT1_
		.amdhsa_group_segment_fixed_size 0
		.amdhsa_private_segment_fixed_size 0
		.amdhsa_kernarg_size 112
		.amdhsa_user_sgpr_count 15
		.amdhsa_user_sgpr_dispatch_ptr 0
		.amdhsa_user_sgpr_queue_ptr 0
		.amdhsa_user_sgpr_kernarg_segment_ptr 1
		.amdhsa_user_sgpr_dispatch_id 0
		.amdhsa_user_sgpr_private_segment_size 0
		.amdhsa_wavefront_size32 1
		.amdhsa_uses_dynamic_stack 0
		.amdhsa_enable_private_segment 0
		.amdhsa_system_sgpr_workgroup_id_x 1
		.amdhsa_system_sgpr_workgroup_id_y 0
		.amdhsa_system_sgpr_workgroup_id_z 0
		.amdhsa_system_sgpr_workgroup_info 0
		.amdhsa_system_vgpr_workitem_id 0
		.amdhsa_next_free_vgpr 1
		.amdhsa_next_free_sgpr 1
		.amdhsa_reserve_vcc 0
		.amdhsa_float_round_mode_32 0
		.amdhsa_float_round_mode_16_64 0
		.amdhsa_float_denorm_mode_32 3
		.amdhsa_float_denorm_mode_16_64 3
		.amdhsa_dx10_clamp 1
		.amdhsa_ieee_mode 1
		.amdhsa_fp16_overflow 0
		.amdhsa_workgroup_processor_mode 1
		.amdhsa_memory_ordered 1
		.amdhsa_forward_progress 0
		.amdhsa_shared_vgpr_count 0
		.amdhsa_exception_fp_ieee_invalid_op 0
		.amdhsa_exception_fp_denorm_src 0
		.amdhsa_exception_fp_ieee_div_zero 0
		.amdhsa_exception_fp_ieee_overflow 0
		.amdhsa_exception_fp_ieee_underflow 0
		.amdhsa_exception_fp_ieee_inexact 0
		.amdhsa_exception_int_div_zero 0
	.end_amdhsa_kernel
	.section	.text._ZN7rocprim17ROCPRIM_400000_NS6detail17trampoline_kernelINS0_14default_configENS1_25partition_config_selectorILNS1_17partition_subalgoE9EijbEEZZNS1_14partition_implILS5_9ELb0ES3_jN6thrust23THRUST_200600_302600_NS6detail15normal_iteratorINS9_10device_ptrIiEEEENSB_INSC_IjEEEEPNS0_10empty_typeENS0_5tupleIJSE_SH_EEENSJ_IJSG_SI_EEENS0_18inequality_wrapperINS9_8equal_toIiEEEEPmJSH_EEE10hipError_tPvRmT3_T4_T5_T6_T7_T9_mT8_P12ihipStream_tbDpT10_ENKUlT_T0_E_clISt17integral_constantIbLb0EES1A_EEDaS15_S16_EUlS15_E_NS1_11comp_targetILNS1_3genE10ELNS1_11target_archE1200ELNS1_3gpuE4ELNS1_3repE0EEENS1_30default_config_static_selectorELNS0_4arch9wavefront6targetE0EEEvT1_,"axG",@progbits,_ZN7rocprim17ROCPRIM_400000_NS6detail17trampoline_kernelINS0_14default_configENS1_25partition_config_selectorILNS1_17partition_subalgoE9EijbEEZZNS1_14partition_implILS5_9ELb0ES3_jN6thrust23THRUST_200600_302600_NS6detail15normal_iteratorINS9_10device_ptrIiEEEENSB_INSC_IjEEEEPNS0_10empty_typeENS0_5tupleIJSE_SH_EEENSJ_IJSG_SI_EEENS0_18inequality_wrapperINS9_8equal_toIiEEEEPmJSH_EEE10hipError_tPvRmT3_T4_T5_T6_T7_T9_mT8_P12ihipStream_tbDpT10_ENKUlT_T0_E_clISt17integral_constantIbLb0EES1A_EEDaS15_S16_EUlS15_E_NS1_11comp_targetILNS1_3genE10ELNS1_11target_archE1200ELNS1_3gpuE4ELNS1_3repE0EEENS1_30default_config_static_selectorELNS0_4arch9wavefront6targetE0EEEvT1_,comdat
.Lfunc_end634:
	.size	_ZN7rocprim17ROCPRIM_400000_NS6detail17trampoline_kernelINS0_14default_configENS1_25partition_config_selectorILNS1_17partition_subalgoE9EijbEEZZNS1_14partition_implILS5_9ELb0ES3_jN6thrust23THRUST_200600_302600_NS6detail15normal_iteratorINS9_10device_ptrIiEEEENSB_INSC_IjEEEEPNS0_10empty_typeENS0_5tupleIJSE_SH_EEENSJ_IJSG_SI_EEENS0_18inequality_wrapperINS9_8equal_toIiEEEEPmJSH_EEE10hipError_tPvRmT3_T4_T5_T6_T7_T9_mT8_P12ihipStream_tbDpT10_ENKUlT_T0_E_clISt17integral_constantIbLb0EES1A_EEDaS15_S16_EUlS15_E_NS1_11comp_targetILNS1_3genE10ELNS1_11target_archE1200ELNS1_3gpuE4ELNS1_3repE0EEENS1_30default_config_static_selectorELNS0_4arch9wavefront6targetE0EEEvT1_, .Lfunc_end634-_ZN7rocprim17ROCPRIM_400000_NS6detail17trampoline_kernelINS0_14default_configENS1_25partition_config_selectorILNS1_17partition_subalgoE9EijbEEZZNS1_14partition_implILS5_9ELb0ES3_jN6thrust23THRUST_200600_302600_NS6detail15normal_iteratorINS9_10device_ptrIiEEEENSB_INSC_IjEEEEPNS0_10empty_typeENS0_5tupleIJSE_SH_EEENSJ_IJSG_SI_EEENS0_18inequality_wrapperINS9_8equal_toIiEEEEPmJSH_EEE10hipError_tPvRmT3_T4_T5_T6_T7_T9_mT8_P12ihipStream_tbDpT10_ENKUlT_T0_E_clISt17integral_constantIbLb0EES1A_EEDaS15_S16_EUlS15_E_NS1_11comp_targetILNS1_3genE10ELNS1_11target_archE1200ELNS1_3gpuE4ELNS1_3repE0EEENS1_30default_config_static_selectorELNS0_4arch9wavefront6targetE0EEEvT1_
                                        ; -- End function
	.section	.AMDGPU.csdata,"",@progbits
; Kernel info:
; codeLenInByte = 0
; NumSgprs: 0
; NumVgprs: 0
; ScratchSize: 0
; MemoryBound: 0
; FloatMode: 240
; IeeeMode: 1
; LDSByteSize: 0 bytes/workgroup (compile time only)
; SGPRBlocks: 0
; VGPRBlocks: 0
; NumSGPRsForWavesPerEU: 1
; NumVGPRsForWavesPerEU: 1
; Occupancy: 15
; WaveLimiterHint : 0
; COMPUTE_PGM_RSRC2:SCRATCH_EN: 0
; COMPUTE_PGM_RSRC2:USER_SGPR: 15
; COMPUTE_PGM_RSRC2:TRAP_HANDLER: 0
; COMPUTE_PGM_RSRC2:TGID_X_EN: 1
; COMPUTE_PGM_RSRC2:TGID_Y_EN: 0
; COMPUTE_PGM_RSRC2:TGID_Z_EN: 0
; COMPUTE_PGM_RSRC2:TIDIG_COMP_CNT: 0
	.section	.text._ZN7rocprim17ROCPRIM_400000_NS6detail17trampoline_kernelINS0_14default_configENS1_25partition_config_selectorILNS1_17partition_subalgoE9EijbEEZZNS1_14partition_implILS5_9ELb0ES3_jN6thrust23THRUST_200600_302600_NS6detail15normal_iteratorINS9_10device_ptrIiEEEENSB_INSC_IjEEEEPNS0_10empty_typeENS0_5tupleIJSE_SH_EEENSJ_IJSG_SI_EEENS0_18inequality_wrapperINS9_8equal_toIiEEEEPmJSH_EEE10hipError_tPvRmT3_T4_T5_T6_T7_T9_mT8_P12ihipStream_tbDpT10_ENKUlT_T0_E_clISt17integral_constantIbLb0EES1A_EEDaS15_S16_EUlS15_E_NS1_11comp_targetILNS1_3genE9ELNS1_11target_archE1100ELNS1_3gpuE3ELNS1_3repE0EEENS1_30default_config_static_selectorELNS0_4arch9wavefront6targetE0EEEvT1_,"axG",@progbits,_ZN7rocprim17ROCPRIM_400000_NS6detail17trampoline_kernelINS0_14default_configENS1_25partition_config_selectorILNS1_17partition_subalgoE9EijbEEZZNS1_14partition_implILS5_9ELb0ES3_jN6thrust23THRUST_200600_302600_NS6detail15normal_iteratorINS9_10device_ptrIiEEEENSB_INSC_IjEEEEPNS0_10empty_typeENS0_5tupleIJSE_SH_EEENSJ_IJSG_SI_EEENS0_18inequality_wrapperINS9_8equal_toIiEEEEPmJSH_EEE10hipError_tPvRmT3_T4_T5_T6_T7_T9_mT8_P12ihipStream_tbDpT10_ENKUlT_T0_E_clISt17integral_constantIbLb0EES1A_EEDaS15_S16_EUlS15_E_NS1_11comp_targetILNS1_3genE9ELNS1_11target_archE1100ELNS1_3gpuE3ELNS1_3repE0EEENS1_30default_config_static_selectorELNS0_4arch9wavefront6targetE0EEEvT1_,comdat
	.protected	_ZN7rocprim17ROCPRIM_400000_NS6detail17trampoline_kernelINS0_14default_configENS1_25partition_config_selectorILNS1_17partition_subalgoE9EijbEEZZNS1_14partition_implILS5_9ELb0ES3_jN6thrust23THRUST_200600_302600_NS6detail15normal_iteratorINS9_10device_ptrIiEEEENSB_INSC_IjEEEEPNS0_10empty_typeENS0_5tupleIJSE_SH_EEENSJ_IJSG_SI_EEENS0_18inequality_wrapperINS9_8equal_toIiEEEEPmJSH_EEE10hipError_tPvRmT3_T4_T5_T6_T7_T9_mT8_P12ihipStream_tbDpT10_ENKUlT_T0_E_clISt17integral_constantIbLb0EES1A_EEDaS15_S16_EUlS15_E_NS1_11comp_targetILNS1_3genE9ELNS1_11target_archE1100ELNS1_3gpuE3ELNS1_3repE0EEENS1_30default_config_static_selectorELNS0_4arch9wavefront6targetE0EEEvT1_ ; -- Begin function _ZN7rocprim17ROCPRIM_400000_NS6detail17trampoline_kernelINS0_14default_configENS1_25partition_config_selectorILNS1_17partition_subalgoE9EijbEEZZNS1_14partition_implILS5_9ELb0ES3_jN6thrust23THRUST_200600_302600_NS6detail15normal_iteratorINS9_10device_ptrIiEEEENSB_INSC_IjEEEEPNS0_10empty_typeENS0_5tupleIJSE_SH_EEENSJ_IJSG_SI_EEENS0_18inequality_wrapperINS9_8equal_toIiEEEEPmJSH_EEE10hipError_tPvRmT3_T4_T5_T6_T7_T9_mT8_P12ihipStream_tbDpT10_ENKUlT_T0_E_clISt17integral_constantIbLb0EES1A_EEDaS15_S16_EUlS15_E_NS1_11comp_targetILNS1_3genE9ELNS1_11target_archE1100ELNS1_3gpuE3ELNS1_3repE0EEENS1_30default_config_static_selectorELNS0_4arch9wavefront6targetE0EEEvT1_
	.globl	_ZN7rocprim17ROCPRIM_400000_NS6detail17trampoline_kernelINS0_14default_configENS1_25partition_config_selectorILNS1_17partition_subalgoE9EijbEEZZNS1_14partition_implILS5_9ELb0ES3_jN6thrust23THRUST_200600_302600_NS6detail15normal_iteratorINS9_10device_ptrIiEEEENSB_INSC_IjEEEEPNS0_10empty_typeENS0_5tupleIJSE_SH_EEENSJ_IJSG_SI_EEENS0_18inequality_wrapperINS9_8equal_toIiEEEEPmJSH_EEE10hipError_tPvRmT3_T4_T5_T6_T7_T9_mT8_P12ihipStream_tbDpT10_ENKUlT_T0_E_clISt17integral_constantIbLb0EES1A_EEDaS15_S16_EUlS15_E_NS1_11comp_targetILNS1_3genE9ELNS1_11target_archE1100ELNS1_3gpuE3ELNS1_3repE0EEENS1_30default_config_static_selectorELNS0_4arch9wavefront6targetE0EEEvT1_
	.p2align	8
	.type	_ZN7rocprim17ROCPRIM_400000_NS6detail17trampoline_kernelINS0_14default_configENS1_25partition_config_selectorILNS1_17partition_subalgoE9EijbEEZZNS1_14partition_implILS5_9ELb0ES3_jN6thrust23THRUST_200600_302600_NS6detail15normal_iteratorINS9_10device_ptrIiEEEENSB_INSC_IjEEEEPNS0_10empty_typeENS0_5tupleIJSE_SH_EEENSJ_IJSG_SI_EEENS0_18inequality_wrapperINS9_8equal_toIiEEEEPmJSH_EEE10hipError_tPvRmT3_T4_T5_T6_T7_T9_mT8_P12ihipStream_tbDpT10_ENKUlT_T0_E_clISt17integral_constantIbLb0EES1A_EEDaS15_S16_EUlS15_E_NS1_11comp_targetILNS1_3genE9ELNS1_11target_archE1100ELNS1_3gpuE3ELNS1_3repE0EEENS1_30default_config_static_selectorELNS0_4arch9wavefront6targetE0EEEvT1_,@function
_ZN7rocprim17ROCPRIM_400000_NS6detail17trampoline_kernelINS0_14default_configENS1_25partition_config_selectorILNS1_17partition_subalgoE9EijbEEZZNS1_14partition_implILS5_9ELb0ES3_jN6thrust23THRUST_200600_302600_NS6detail15normal_iteratorINS9_10device_ptrIiEEEENSB_INSC_IjEEEEPNS0_10empty_typeENS0_5tupleIJSE_SH_EEENSJ_IJSG_SI_EEENS0_18inequality_wrapperINS9_8equal_toIiEEEEPmJSH_EEE10hipError_tPvRmT3_T4_T5_T6_T7_T9_mT8_P12ihipStream_tbDpT10_ENKUlT_T0_E_clISt17integral_constantIbLb0EES1A_EEDaS15_S16_EUlS15_E_NS1_11comp_targetILNS1_3genE9ELNS1_11target_archE1100ELNS1_3gpuE3ELNS1_3repE0EEENS1_30default_config_static_selectorELNS0_4arch9wavefront6targetE0EEEvT1_: ; @_ZN7rocprim17ROCPRIM_400000_NS6detail17trampoline_kernelINS0_14default_configENS1_25partition_config_selectorILNS1_17partition_subalgoE9EijbEEZZNS1_14partition_implILS5_9ELb0ES3_jN6thrust23THRUST_200600_302600_NS6detail15normal_iteratorINS9_10device_ptrIiEEEENSB_INSC_IjEEEEPNS0_10empty_typeENS0_5tupleIJSE_SH_EEENSJ_IJSG_SI_EEENS0_18inequality_wrapperINS9_8equal_toIiEEEEPmJSH_EEE10hipError_tPvRmT3_T4_T5_T6_T7_T9_mT8_P12ihipStream_tbDpT10_ENKUlT_T0_E_clISt17integral_constantIbLb0EES1A_EEDaS15_S16_EUlS15_E_NS1_11comp_targetILNS1_3genE9ELNS1_11target_archE1100ELNS1_3gpuE3ELNS1_3repE0EEENS1_30default_config_static_selectorELNS0_4arch9wavefront6targetE0EEEvT1_
; %bb.0:
	s_clause 0x4
	s_load_b128 s[4:7], s[0:1], 0x8
	s_load_b32 s14, s[0:1], 0x68
	s_load_b128 s[16:19], s[0:1], 0x40
	s_load_b64 s[2:3], s[0:1], 0x50
	s_load_b64 s[8:9], s[0:1], 0x18
	s_mov_b32 s23, 0
	s_mul_i32 s22, s15, 0xc00
	v_lshrrev_b32_e32 v18, 3, v0
	v_add_nc_u32_e32 v23, 0x180, v0
	v_add_nc_u32_e32 v22, 0x300, v0
	;; [unrolled: 1-line block ×3, first 2 shown]
	v_or_b32_e32 v24, 0x600, v0
	v_add_nc_u32_e32 v20, 0x780, v0
	v_add_nc_u32_e32 v17, 0x900, v0
	;; [unrolled: 1-line block ×3, first 2 shown]
	s_waitcnt lgkmcnt(0)
	s_lshl_b64 s[12:13], s[6:7], 2
	s_mul_i32 s20, s14, 0xc00
	s_add_u32 s21, s4, s12
	s_addc_u32 s24, s5, s13
	s_add_i32 s4, s20, s6
	s_load_b64 s[10:11], s[18:19], 0x0
	s_sub_i32 s19, s2, s4
	s_add_i32 s14, s14, -1
	s_addk_i32 s19, 0xc00
	s_add_u32 s4, s6, s20
	s_addc_u32 s5, s7, 0
	s_cmp_eq_u32 s15, s14
	v_cmp_ge_u64_e64 s2, s[4:5], s[2:3]
	s_cselect_b32 s14, -1, 0
	s_lshl_b64 s[4:5], s[22:23], 2
	s_mov_b32 s22, -1
	s_delay_alu instid0(VALU_DEP_1) | instskip(NEXT) | instid1(SALU_CYCLE_1)
	s_and_b32 s20, s14, s2
	s_xor_b32 s18, s20, -1
	s_add_u32 s21, s21, s4
	s_addc_u32 s3, s24, s5
	s_and_b32 vcc_lo, exec_lo, s18
	s_cbranch_vccz .LBB635_2
; %bb.1:
	v_lshlrev_b32_e32 v7, 2, v0
	v_lshrrev_b32_e32 v11, 3, v23
	v_lshrrev_b32_e32 v12, 3, v22
	;; [unrolled: 1-line block ×4, first 2 shown]
	v_add_co_u32 v1, s2, s21, v7
	s_delay_alu instid0(VALU_DEP_1) | instskip(SKIP_1) | instid1(VALU_DEP_3)
	v_add_co_ci_u32_e64 v2, null, s3, 0, s2
	v_lshrrev_b32_e32 v15, 3, v20
	v_add_co_u32 v3, vcc_lo, 0x1000, v1
	s_delay_alu instid0(VALU_DEP_3)
	v_add_co_ci_u32_e32 v4, vcc_lo, 0, v2, vcc_lo
	v_add_co_u32 v5, vcc_lo, 0x2000, v1
	v_add_co_ci_u32_e32 v6, vcc_lo, 0, v2, vcc_lo
	s_clause 0x7
	flat_load_b32 v8, v[1:2]
	flat_load_b32 v9, v[1:2] offset:1536
	flat_load_b32 v1, v[1:2] offset:3072
	;; [unrolled: 1-line block ×7, first 2 shown]
	v_and_b32_e32 v6, 60, v18
	v_lshrrev_b32_e32 v16, 3, v17
	v_lshrrev_b32_e32 v19, 3, v21
	v_and_b32_e32 v11, 0x7c, v11
	v_and_b32_e32 v12, 0xfc, v12
	;; [unrolled: 1-line block ×4, first 2 shown]
	v_add_nc_u32_e32 v6, v6, v7
	v_and_b32_e32 v15, 0x1fc, v15
	v_and_b32_e32 v16, 0x17c, v16
	v_and_b32_e32 v19, 0x1fc, v19
	v_add_nc_u32_e32 v11, v11, v7
	v_add_nc_u32_e32 v12, v12, v7
	;; [unrolled: 1-line block ×4, first 2 shown]
	s_mov_b32 s22, 0
	v_add_nc_u32_e32 v15, v15, v7
	v_add_nc_u32_e32 v16, v16, v7
	;; [unrolled: 1-line block ×3, first 2 shown]
	s_waitcnt vmcnt(7) lgkmcnt(0)
	ds_store_b32 v6, v8
	s_waitcnt vmcnt(6)
	ds_store_b32 v11, v9 offset:1536
	s_waitcnt vmcnt(5)
	ds_store_b32 v12, v1 offset:3072
	;; [unrolled: 2-line block ×7, first 2 shown]
	s_waitcnt lgkmcnt(0)
	s_barrier
.LBB635_2:
	v_cmp_gt_u32_e64 s2, s19, v0
	s_and_not1_b32 vcc_lo, exec_lo, s22
	s_cbranch_vccnz .LBB635_20
; %bb.3:
                                        ; implicit-def: $vgpr1_vgpr2_vgpr3_vgpr4_vgpr5_vgpr6_vgpr7_vgpr8
	s_delay_alu instid0(VALU_DEP_1)
	s_and_saveexec_b32 s22, s2
	s_cbranch_execz .LBB635_11
; %bb.4:
	v_lshlrev_b32_e32 v1, 2, v0
	s_delay_alu instid0(VALU_DEP_1) | instskip(NEXT) | instid1(VALU_DEP_1)
	v_add_co_u32 v1, s2, s21, v1
	v_add_co_ci_u32_e64 v2, null, s3, 0, s2
	flat_load_b32 v1, v[1:2]
	s_or_b32 exec_lo, exec_lo, s22
	s_delay_alu instid0(SALU_CYCLE_1)
	s_mov_b32 s2, exec_lo
	v_cmpx_gt_u32_e64 s19, v23
	s_cbranch_execnz .LBB635_12
.LBB635_5:
	s_or_b32 exec_lo, exec_lo, s2
	s_delay_alu instid0(SALU_CYCLE_1)
	s_mov_b32 s2, exec_lo
	v_cmpx_gt_u32_e64 s19, v22
	s_cbranch_execz .LBB635_13
.LBB635_6:
	v_lshlrev_b32_e32 v3, 2, v0
	s_delay_alu instid0(VALU_DEP_1) | instskip(NEXT) | instid1(VALU_DEP_1)
	v_add_co_u32 v9, s22, s21, v3
	v_add_co_ci_u32_e64 v10, null, s3, 0, s22
	flat_load_b32 v3, v[9:10] offset:3072
	s_or_b32 exec_lo, exec_lo, s2
	s_delay_alu instid0(SALU_CYCLE_1)
	s_mov_b32 s2, exec_lo
	v_cmpx_gt_u32_e64 s19, v25
	s_cbranch_execnz .LBB635_14
.LBB635_7:
	s_or_b32 exec_lo, exec_lo, s2
	s_delay_alu instid0(SALU_CYCLE_1)
	s_mov_b32 s2, exec_lo
	v_cmpx_gt_u32_e64 s19, v24
	s_cbranch_execz .LBB635_15
.LBB635_8:
	v_lshlrev_b32_e32 v5, 2, v24
	s_delay_alu instid0(VALU_DEP_1) | instskip(NEXT) | instid1(VALU_DEP_1)
	v_add_co_u32 v9, s22, s21, v5
	v_add_co_ci_u32_e64 v10, null, s3, 0, s22
	flat_load_b32 v5, v[9:10]
	s_or_b32 exec_lo, exec_lo, s2
	s_delay_alu instid0(SALU_CYCLE_1)
	s_mov_b32 s2, exec_lo
	v_cmpx_gt_u32_e64 s19, v20
	s_cbranch_execnz .LBB635_16
.LBB635_9:
	s_or_b32 exec_lo, exec_lo, s2
	s_delay_alu instid0(SALU_CYCLE_1)
	s_mov_b32 s2, exec_lo
	v_cmpx_gt_u32_e64 s19, v17
	s_cbranch_execz .LBB635_17
.LBB635_10:
	v_lshlrev_b32_e32 v7, 2, v17
	s_delay_alu instid0(VALU_DEP_1) | instskip(NEXT) | instid1(VALU_DEP_1)
	v_add_co_u32 v9, s22, s21, v7
	v_add_co_ci_u32_e64 v10, null, s3, 0, s22
	flat_load_b32 v7, v[9:10]
	s_or_b32 exec_lo, exec_lo, s2
	s_delay_alu instid0(SALU_CYCLE_1)
	s_mov_b32 s2, exec_lo
	v_cmpx_gt_u32_e64 s19, v21
	s_cbranch_execnz .LBB635_18
	s_branch .LBB635_19
.LBB635_11:
	s_or_b32 exec_lo, exec_lo, s22
	s_delay_alu instid0(SALU_CYCLE_1)
	s_mov_b32 s2, exec_lo
	v_cmpx_gt_u32_e64 s19, v23
	s_cbranch_execz .LBB635_5
.LBB635_12:
	v_lshlrev_b32_e32 v2, 2, v0
	s_delay_alu instid0(VALU_DEP_1) | instskip(NEXT) | instid1(VALU_DEP_1)
	v_add_co_u32 v9, s22, s21, v2
	v_add_co_ci_u32_e64 v10, null, s3, 0, s22
	flat_load_b32 v2, v[9:10] offset:1536
	s_or_b32 exec_lo, exec_lo, s2
	s_delay_alu instid0(SALU_CYCLE_1)
	s_mov_b32 s2, exec_lo
	v_cmpx_gt_u32_e64 s19, v22
	s_cbranch_execnz .LBB635_6
.LBB635_13:
	s_or_b32 exec_lo, exec_lo, s2
	s_delay_alu instid0(SALU_CYCLE_1)
	s_mov_b32 s2, exec_lo
	v_cmpx_gt_u32_e64 s19, v25
	s_cbranch_execz .LBB635_7
.LBB635_14:
	v_lshlrev_b32_e32 v4, 2, v25
	s_delay_alu instid0(VALU_DEP_1) | instskip(NEXT) | instid1(VALU_DEP_1)
	v_add_co_u32 v9, s22, s21, v4
	v_add_co_ci_u32_e64 v10, null, s3, 0, s22
	flat_load_b32 v4, v[9:10]
	s_or_b32 exec_lo, exec_lo, s2
	s_delay_alu instid0(SALU_CYCLE_1)
	s_mov_b32 s2, exec_lo
	v_cmpx_gt_u32_e64 s19, v24
	s_cbranch_execnz .LBB635_8
.LBB635_15:
	s_or_b32 exec_lo, exec_lo, s2
	s_delay_alu instid0(SALU_CYCLE_1)
	s_mov_b32 s2, exec_lo
	v_cmpx_gt_u32_e64 s19, v20
	s_cbranch_execz .LBB635_9
.LBB635_16:
	v_lshlrev_b32_e32 v6, 2, v20
	s_delay_alu instid0(VALU_DEP_1) | instskip(NEXT) | instid1(VALU_DEP_1)
	v_add_co_u32 v9, s22, s21, v6
	v_add_co_ci_u32_e64 v10, null, s3, 0, s22
	flat_load_b32 v6, v[9:10]
	s_or_b32 exec_lo, exec_lo, s2
	s_delay_alu instid0(SALU_CYCLE_1)
	s_mov_b32 s2, exec_lo
	v_cmpx_gt_u32_e64 s19, v17
	s_cbranch_execnz .LBB635_10
.LBB635_17:
	s_or_b32 exec_lo, exec_lo, s2
	s_delay_alu instid0(SALU_CYCLE_1)
	s_mov_b32 s2, exec_lo
	v_cmpx_gt_u32_e64 s19, v21
	s_cbranch_execz .LBB635_19
.LBB635_18:
	v_lshlrev_b32_e32 v8, 2, v21
	s_delay_alu instid0(VALU_DEP_1) | instskip(NEXT) | instid1(VALU_DEP_1)
	v_add_co_u32 v8, s22, s21, v8
	v_add_co_ci_u32_e64 v9, null, s3, 0, s22
	flat_load_b32 v8, v[8:9]
.LBB635_19:
	s_or_b32 exec_lo, exec_lo, s2
	v_lshrrev_b32_e32 v9, 3, v23
	v_lshrrev_b32_e32 v10, 3, v22
	;; [unrolled: 1-line block ×4, first 2 shown]
	v_and_b32_e32 v11, 60, v18
	v_lshlrev_b32_e32 v12, 2, v0
	v_lshrrev_b32_e32 v15, 3, v20
	v_lshrrev_b32_e32 v16, 3, v17
	;; [unrolled: 1-line block ×3, first 2 shown]
	v_and_b32_e32 v9, 0x7c, v9
	v_and_b32_e32 v10, 0xfc, v10
	;; [unrolled: 1-line block ×4, first 2 shown]
	v_add_nc_u32_e32 v11, v11, v12
	v_and_b32_e32 v15, 0x1fc, v15
	v_and_b32_e32 v16, 0x1fc, v16
	;; [unrolled: 1-line block ×3, first 2 shown]
	v_add_nc_u32_e32 v9, v9, v12
	v_add_nc_u32_e32 v10, v10, v12
	;; [unrolled: 1-line block ×7, first 2 shown]
	s_waitcnt vmcnt(0) lgkmcnt(0)
	ds_store_b32 v11, v1
	ds_store_b32 v9, v2 offset:1536
	ds_store_b32 v10, v3 offset:3072
	ds_store_b32 v13, v4 offset:4608
	ds_store_b32 v14, v5 offset:6144
	ds_store_b32 v15, v6 offset:7680
	ds_store_b32 v16, v7 offset:9216
	ds_store_b32 v12, v8 offset:10752
	s_waitcnt lgkmcnt(0)
	s_barrier
.LBB635_20:
	v_lshlrev_b32_e32 v19, 3, v0
	v_lshrrev_b32_e32 v1, 2, v0
	s_waitcnt lgkmcnt(0)
	buffer_gl0_inv
	s_add_u32 s2, s8, s12
	s_addc_u32 s8, s9, s13
	s_add_u32 s2, s2, s4
	v_add_lshl_u32 v1, v1, v19, 2
	s_addc_u32 s4, s8, s5
	s_and_b32 vcc_lo, exec_lo, s18
	s_mov_b32 s5, -1
	ds_load_2addr_b32 v[15:16], v1 offset1:1
	ds_load_2addr_b32 v[13:14], v1 offset0:2 offset1:3
	ds_load_2addr_b32 v[11:12], v1 offset0:4 offset1:5
	;; [unrolled: 1-line block ×3, first 2 shown]
	s_waitcnt lgkmcnt(0)
	s_barrier
	buffer_gl0_inv
	s_cbranch_vccz .LBB635_22
; %bb.21:
	v_lshlrev_b32_e32 v8, 2, v0
	v_lshrrev_b32_e32 v29, 3, v23
	v_lshrrev_b32_e32 v30, 3, v22
	;; [unrolled: 1-line block ×4, first 2 shown]
	v_add_co_u32 v2, s5, s2, v8
	s_delay_alu instid0(VALU_DEP_1) | instskip(SKIP_1) | instid1(VALU_DEP_3)
	v_add_co_ci_u32_e64 v3, null, s4, 0, s5
	v_lshrrev_b32_e32 v33, 3, v20
	v_add_co_u32 v4, vcc_lo, 0x1000, v2
	s_delay_alu instid0(VALU_DEP_3)
	v_add_co_ci_u32_e32 v5, vcc_lo, 0, v3, vcc_lo
	v_add_co_u32 v6, vcc_lo, 0x2000, v2
	v_add_co_ci_u32_e32 v7, vcc_lo, 0, v3, vcc_lo
	s_clause 0x7
	flat_load_b32 v26, v[2:3]
	flat_load_b32 v27, v[2:3] offset:1536
	flat_load_b32 v2, v[2:3] offset:3072
	;; [unrolled: 1-line block ×7, first 2 shown]
	v_and_b32_e32 v7, 60, v18
	v_lshrrev_b32_e32 v34, 3, v17
	v_lshrrev_b32_e32 v35, 3, v21
	v_and_b32_e32 v29, 0x7c, v29
	v_and_b32_e32 v30, 0xfc, v30
	;; [unrolled: 1-line block ×4, first 2 shown]
	v_add_nc_u32_e32 v7, v7, v8
	v_and_b32_e32 v33, 0x1fc, v33
	v_and_b32_e32 v34, 0x17c, v34
	v_and_b32_e32 v35, 0x1fc, v35
	v_add_nc_u32_e32 v29, v29, v8
	v_add_nc_u32_e32 v30, v30, v8
	;; [unrolled: 1-line block ×4, first 2 shown]
	s_mov_b32 s5, 0
	v_add_nc_u32_e32 v33, v33, v8
	v_add_nc_u32_e32 v34, v34, v8
	;; [unrolled: 1-line block ×3, first 2 shown]
	s_waitcnt vmcnt(7) lgkmcnt(7)
	ds_store_b32 v7, v26
	s_waitcnt vmcnt(6) lgkmcnt(7)
	ds_store_b32 v29, v27 offset:1536
	s_waitcnt vmcnt(5) lgkmcnt(7)
	ds_store_b32 v30, v2 offset:3072
	;; [unrolled: 2-line block ×7, first 2 shown]
	s_waitcnt lgkmcnt(0)
	s_barrier
.LBB635_22:
	s_and_not1_b32 vcc_lo, exec_lo, s5
	s_cbranch_vccnz .LBB635_40
; %bb.23:
	s_mov_b32 s5, exec_lo
                                        ; implicit-def: $vgpr2
	v_cmpx_gt_u32_e64 s19, v0
	s_cbranch_execz .LBB635_25
; %bb.24:
	v_lshlrev_b32_e32 v2, 2, v0
	s_delay_alu instid0(VALU_DEP_1) | instskip(NEXT) | instid1(VALU_DEP_1)
	v_add_co_u32 v2, s8, s2, v2
	v_add_co_ci_u32_e64 v3, null, s4, 0, s8
	flat_load_b32 v2, v[2:3]
.LBB635_25:
	s_or_b32 exec_lo, exec_lo, s5
	s_delay_alu instid0(SALU_CYCLE_1)
	s_mov_b32 s5, exec_lo
                                        ; implicit-def: $vgpr3
	v_cmpx_gt_u32_e64 s19, v23
	s_cbranch_execz .LBB635_27
; %bb.26:
	v_lshlrev_b32_e32 v3, 2, v0
	s_delay_alu instid0(VALU_DEP_1) | instskip(NEXT) | instid1(VALU_DEP_1)
	v_add_co_u32 v3, s8, s2, v3
	v_add_co_ci_u32_e64 v4, null, s4, 0, s8
	flat_load_b32 v3, v[3:4] offset:1536
.LBB635_27:
	s_or_b32 exec_lo, exec_lo, s5
	s_delay_alu instid0(SALU_CYCLE_1)
	s_mov_b32 s5, exec_lo
                                        ; implicit-def: $vgpr4
	v_cmpx_gt_u32_e64 s19, v22
	s_cbranch_execz .LBB635_29
; %bb.28:
	v_lshlrev_b32_e32 v4, 2, v0
	s_delay_alu instid0(VALU_DEP_1) | instskip(NEXT) | instid1(VALU_DEP_1)
	v_add_co_u32 v4, s8, s2, v4
	v_add_co_ci_u32_e64 v5, null, s4, 0, s8
	flat_load_b32 v4, v[4:5] offset:3072
.LBB635_29:
	s_or_b32 exec_lo, exec_lo, s5
	s_delay_alu instid0(SALU_CYCLE_1)
	s_mov_b32 s5, exec_lo
                                        ; implicit-def: $vgpr5
	v_cmpx_gt_u32_e64 s19, v25
	s_cbranch_execz .LBB635_31
; %bb.30:
	v_lshlrev_b32_e32 v5, 2, v25
	s_delay_alu instid0(VALU_DEP_1) | instskip(NEXT) | instid1(VALU_DEP_1)
	v_add_co_u32 v5, s8, s2, v5
	v_add_co_ci_u32_e64 v6, null, s4, 0, s8
	flat_load_b32 v5, v[5:6]
.LBB635_31:
	s_or_b32 exec_lo, exec_lo, s5
	s_delay_alu instid0(SALU_CYCLE_1)
	s_mov_b32 s5, exec_lo
                                        ; implicit-def: $vgpr6
	v_cmpx_gt_u32_e64 s19, v24
	s_cbranch_execz .LBB635_33
; %bb.32:
	v_lshlrev_b32_e32 v6, 2, v24
	s_delay_alu instid0(VALU_DEP_1) | instskip(NEXT) | instid1(VALU_DEP_1)
	v_add_co_u32 v6, s8, s2, v6
	v_add_co_ci_u32_e64 v7, null, s4, 0, s8
	flat_load_b32 v6, v[6:7]
.LBB635_33:
	s_or_b32 exec_lo, exec_lo, s5
	s_delay_alu instid0(SALU_CYCLE_1)
	s_mov_b32 s5, exec_lo
                                        ; implicit-def: $vgpr7
	v_cmpx_gt_u32_e64 s19, v20
	s_cbranch_execz .LBB635_35
; %bb.34:
	v_lshlrev_b32_e32 v7, 2, v20
	s_delay_alu instid0(VALU_DEP_1) | instskip(NEXT) | instid1(VALU_DEP_1)
	v_add_co_u32 v7, s8, s2, v7
	v_add_co_ci_u32_e64 v8, null, s4, 0, s8
	flat_load_b32 v7, v[7:8]
.LBB635_35:
	s_or_b32 exec_lo, exec_lo, s5
	s_delay_alu instid0(SALU_CYCLE_1)
	s_mov_b32 s5, exec_lo
                                        ; implicit-def: $vgpr8
	v_cmpx_gt_u32_e64 s19, v17
	s_cbranch_execz .LBB635_37
; %bb.36:
	v_lshlrev_b32_e32 v8, 2, v17
	s_delay_alu instid0(VALU_DEP_1) | instskip(NEXT) | instid1(VALU_DEP_1)
	v_add_co_u32 v26, s8, s2, v8
	v_add_co_ci_u32_e64 v27, null, s4, 0, s8
	flat_load_b32 v8, v[26:27]
.LBB635_37:
	s_or_b32 exec_lo, exec_lo, s5
	s_delay_alu instid0(SALU_CYCLE_1)
	s_mov_b32 s5, exec_lo
                                        ; implicit-def: $vgpr26
	v_cmpx_gt_u32_e64 s19, v21
	s_cbranch_execz .LBB635_39
; %bb.38:
	v_lshlrev_b32_e32 v26, 2, v21
	s_delay_alu instid0(VALU_DEP_1) | instskip(NEXT) | instid1(VALU_DEP_1)
	v_add_co_u32 v26, s2, s2, v26
	v_add_co_ci_u32_e64 v27, null, s4, 0, s2
	flat_load_b32 v26, v[26:27]
.LBB635_39:
	s_or_b32 exec_lo, exec_lo, s5
	v_lshrrev_b32_e32 v23, 3, v23
	v_lshrrev_b32_e32 v22, 3, v22
	;; [unrolled: 1-line block ×4, first 2 shown]
	v_and_b32_e32 v18, 60, v18
	v_lshlrev_b32_e32 v27, 2, v0
	v_lshrrev_b32_e32 v20, 3, v20
	v_lshrrev_b32_e32 v17, 3, v17
	;; [unrolled: 1-line block ×3, first 2 shown]
	v_and_b32_e32 v23, 0x7c, v23
	v_and_b32_e32 v22, 0xfc, v22
	v_and_b32_e32 v25, 0xfc, v25
	v_and_b32_e32 v24, 0xfc, v24
	v_add_nc_u32_e32 v18, v18, v27
	v_and_b32_e32 v20, 0x1fc, v20
	v_and_b32_e32 v17, 0x1fc, v17
	;; [unrolled: 1-line block ×3, first 2 shown]
	v_add_nc_u32_e32 v23, v23, v27
	v_add_nc_u32_e32 v22, v22, v27
	;; [unrolled: 1-line block ×7, first 2 shown]
	s_waitcnt vmcnt(0) lgkmcnt(0)
	ds_store_b32 v18, v2
	ds_store_b32 v23, v3 offset:1536
	ds_store_b32 v22, v4 offset:3072
	;; [unrolled: 1-line block ×7, first 2 shown]
	s_waitcnt lgkmcnt(0)
	s_barrier
.LBB635_40:
	buffer_gl0_inv
	ds_load_2addr_b32 v[7:8], v1 offset1:1
	ds_load_2addr_b32 v[5:6], v1 offset0:2 offset1:3
	ds_load_2addr_b32 v[3:4], v1 offset0:4 offset1:5
	;; [unrolled: 1-line block ×3, first 2 shown]
	s_cmp_lg_u32 s15, 0
	s_mov_b32 s12, 0
	s_cselect_b32 s9, -1, 0
	s_cmp_lg_u64 s[6:7], 0
	s_waitcnt lgkmcnt(0)
	s_cselect_b32 s2, -1, 0
	s_barrier
	s_or_b32 s2, s9, s2
	buffer_gl0_inv
	s_and_b32 vcc_lo, exec_lo, s2
	s_cbranch_vccz .LBB635_45
; %bb.41:
	v_add_co_u32 v17, s2, -4, s21
	s_delay_alu instid0(VALU_DEP_1)
	v_add_co_ci_u32_e64 v18, null, -1, s3, s2
	v_lshlrev_b32_e32 v21, 2, v0
	s_mov_b32 s3, -1
	s_and_b32 vcc_lo, exec_lo, s18
	flat_load_b32 v20, v[17:18]
	ds_store_b32 v21, v10
	s_cbranch_vccz .LBB635_46
; %bb.42:
	s_waitcnt vmcnt(0) lgkmcnt(1)
	v_mov_b32_e32 v17, v20
	s_mov_b32 s3, 0
	s_mov_b32 s2, exec_lo
	s_waitcnt lgkmcnt(0)
	s_barrier
	buffer_gl0_inv
	v_cmpx_ne_u32_e32 0, v0
	s_cbranch_execz .LBB635_44
; %bb.43:
	v_add_nc_u32_e32 v17, -4, v21
	ds_load_b32 v17, v17
.LBB635_44:
	s_or_b32 exec_lo, exec_lo, s2
	v_cmp_ne_u32_e32 vcc_lo, v9, v10
	s_waitcnt lgkmcnt(0)
	v_cmp_ne_u32_e64 s2, v17, v15
	v_cndmask_b32_e64 v18, 0, 1, vcc_lo
	v_cmp_ne_u32_e32 vcc_lo, v12, v9
	s_delay_alu instid0(VALU_DEP_2) | instskip(SKIP_2) | instid1(VALU_DEP_2)
	v_lshlrev_b16 v18, 8, v18
	v_cndmask_b32_e64 v22, 0, 1, vcc_lo
	v_cmp_ne_u32_e32 vcc_lo, v11, v12
	v_or_b32_e32 v18, v22, v18
	v_cndmask_b32_e64 v23, 0, 1, vcc_lo
	v_cmp_ne_u32_e32 vcc_lo, v13, v14
	s_delay_alu instid0(VALU_DEP_3) | instskip(NEXT) | instid1(VALU_DEP_3)
	v_lshlrev_b32_e32 v18, 16, v18
	v_lshlrev_b16 v23, 8, v23
	v_cndmask_b32_e64 v24, 0, 1, vcc_lo
	v_cmp_ne_u32_e32 vcc_lo, v14, v11
	s_delay_alu instid0(VALU_DEP_2) | instskip(SKIP_2) | instid1(VALU_DEP_2)
	v_lshlrev_b16 v24, 8, v24
	v_cndmask_b32_e64 v25, 0, 1, vcc_lo
	v_cmp_ne_u32_e32 vcc_lo, v16, v13
	v_or_b32_e32 v23, v25, v23
	v_cndmask_b32_e64 v26, 0, 1, vcc_lo
	v_cmp_ne_u32_e32 vcc_lo, v15, v16
	s_delay_alu instid0(VALU_DEP_3) | instskip(NEXT) | instid1(VALU_DEP_3)
	v_and_b32_e32 v23, 0xffff, v23
	v_or_b32_e32 v24, v26, v24
	v_cndmask_b32_e64 v27, 0, 1, vcc_lo
	s_delay_alu instid0(VALU_DEP_3) | instskip(NEXT) | instid1(VALU_DEP_3)
	v_or_b32_e32 v18, v23, v18
	v_lshlrev_b32_e32 v22, 16, v24
	s_delay_alu instid0(VALU_DEP_3) | instskip(NEXT) | instid1(VALU_DEP_1)
	v_lshlrev_b16 v26, 8, v27
	v_and_b32_e32 v24, 0xffff, v26
	s_delay_alu instid0(VALU_DEP_1)
	v_or_b32_e32 v17, v24, v22
	s_and_b32 vcc_lo, exec_lo, s3
	s_cbranch_vccnz .LBB635_47
	s_branch .LBB635_50
.LBB635_45:
                                        ; implicit-def: $sgpr2
                                        ; implicit-def: $vgpr18
	s_branch .LBB635_51
.LBB635_46:
                                        ; implicit-def: $sgpr2
                                        ; implicit-def: $vgpr18
	s_and_b32 vcc_lo, exec_lo, s3
	s_cbranch_vccz .LBB635_50
.LBB635_47:
	s_mov_b32 s2, exec_lo
	s_waitcnt vmcnt(0) lgkmcnt(0)
	s_barrier
	buffer_gl0_inv
	v_cmpx_ne_u32_e32 0, v0
	s_cbranch_execz .LBB635_49
; %bb.48:
	v_add_nc_u32_e32 v17, -4, v21
	ds_load_b32 v20, v17
.LBB635_49:
	s_or_b32 exec_lo, exec_lo, s2
	v_or_b32_e32 v17, 7, v19
	v_or_b32_e32 v18, 6, v19
	;; [unrolled: 1-line block ×3, first 2 shown]
	v_cmp_ne_u32_e32 vcc_lo, v9, v10
	v_cmp_ne_u32_e64 s3, v12, v9
	v_cmp_gt_u32_e64 s2, s19, v17
	v_cmp_gt_u32_e64 s5, s19, v18
	v_cmp_ne_u32_e64 s4, v11, v12
	v_cmp_gt_u32_e64 s6, s19, v21
	v_or_b32_e32 v18, 3, v19
	s_and_b32 s2, s2, vcc_lo
	v_or_b32_e32 v22, 4, v19
	v_cndmask_b32_e64 v17, 0, 1, s2
	s_and_b32 s2, s5, s3
	v_cmp_gt_u32_e32 vcc_lo, s19, v18
	v_cndmask_b32_e64 v21, 0, 1, s2
	s_and_b32 s2, s6, s4
	v_or_b32_e32 v18, 2, v19
	v_cndmask_b32_e64 v23, 0, 1, s2
	v_cmp_ne_u32_e64 s2, v13, v14
	v_cmp_gt_u32_e64 s3, s19, v22
	v_or_b32_e32 v22, 1, v19
	v_cmp_ne_u32_e64 s4, v14, v11
	v_cmp_ne_u32_e64 s6, v15, v16
	s_and_b32 s2, vcc_lo, s2
	v_cmp_gt_u32_e32 vcc_lo, s19, v18
	v_cndmask_b32_e64 v24, 0, 1, s2
	v_cmp_ne_u32_e64 s2, v16, v13
	v_cmp_gt_u32_e64 s5, s19, v22
	s_and_b32 s3, s3, s4
	v_lshlrev_b16 v23, 8, v23
	v_cndmask_b32_e64 v18, 0, 1, s3
	s_and_b32 s2, vcc_lo, s2
	v_lshlrev_b16 v24, 8, v24
	v_cndmask_b32_e64 v22, 0, 1, s2
	s_and_b32 s2, s5, s6
	v_lshlrev_b16 v17, 8, v17
	v_cndmask_b32_e64 v25, 0, 1, s2
	v_or_b32_e32 v18, v18, v23
	v_or_b32_e32 v22, v22, v24
	v_cmp_gt_u32_e32 vcc_lo, s19, v19
	v_or_b32_e32 v17, v21, v17
	v_lshlrev_b16 v24, 8, v25
	v_and_b32_e32 v18, 0xffff, v18
	v_lshlrev_b32_e32 v21, 16, v22
	s_waitcnt lgkmcnt(0)
	v_cmp_ne_u32_e64 s2, v20, v15
	v_lshlrev_b32_e32 v23, 16, v17
	v_and_b32_e32 v22, 0xffff, v24
	s_delay_alu instid0(VALU_DEP_3) | instskip(NEXT) | instid1(VALU_DEP_2)
	s_and_b32 s2, vcc_lo, s2
	v_or_b32_e32 v18, v18, v23
	s_delay_alu instid0(VALU_DEP_2)
	v_or_b32_e32 v17, v22, v21
.LBB635_50:
	s_mov_b32 s12, -1
	s_cbranch_execnz .LBB635_59
.LBB635_51:
	s_waitcnt vmcnt(0) lgkmcnt(1)
	v_lshlrev_b32_e32 v20, 2, v0
	v_cmp_ne_u32_e64 s3, v9, v10
	v_cmp_ne_u32_e64 s4, v12, v9
	;; [unrolled: 1-line block ×7, first 2 shown]
	s_and_b32 vcc_lo, exec_lo, s18
	ds_store_b32 v20, v10
	s_cbranch_vccz .LBB635_55
; %bb.52:
	v_cndmask_b32_e64 v17, 0, 1, s3
	v_cndmask_b32_e64 v21, 0, 1, s5
	;; [unrolled: 1-line block ×7, first 2 shown]
	v_lshlrev_b16 v21, 8, v21
	v_lshlrev_b16 v17, 8, v17
	;; [unrolled: 1-line block ×4, first 2 shown]
	s_mov_b32 s3, 0
	v_or_b32_e32 v21, v22, v21
	v_or_b32_e32 v17, v18, v17
	;; [unrolled: 1-line block ×4, first 2 shown]
	s_mov_b32 s4, exec_lo
	v_and_b32_e32 v21, 0xffff, v21
	v_lshlrev_b32_e32 v17, 16, v17
	v_lshlrev_b32_e32 v23, 16, v18
	v_and_b32_e32 v22, 0xffff, v22
	s_waitcnt lgkmcnt(0)
	s_barrier
	v_or_b32_e32 v18, v21, v17
	buffer_gl0_inv
	v_or_b32_e32 v17, v22, v23
                                        ; implicit-def: $sgpr2
	v_cmpx_ne_u32_e32 0, v0
	s_xor_b32 s4, exec_lo, s4
	s_cbranch_execz .LBB635_54
; %bb.53:
	v_add_nc_u32_e32 v21, -4, v20
	s_or_b32 s12, s12, exec_lo
	ds_load_b32 v21, v21
	s_waitcnt lgkmcnt(0)
	v_cmp_ne_u32_e32 vcc_lo, v21, v15
	s_and_b32 s2, vcc_lo, exec_lo
.LBB635_54:
	s_or_b32 exec_lo, exec_lo, s4
	s_delay_alu instid0(SALU_CYCLE_1)
	s_and_b32 vcc_lo, exec_lo, s3
	s_cbranch_vccnz .LBB635_56
	s_branch .LBB635_59
.LBB635_55:
                                        ; implicit-def: $sgpr2
                                        ; implicit-def: $vgpr18
	s_cbranch_execz .LBB635_59
.LBB635_56:
	v_or_b32_e32 v17, 7, v19
	v_or_b32_e32 v18, 6, v19
	v_cmp_ne_u32_e32 vcc_lo, v9, v10
	v_cmp_ne_u32_e64 s3, v12, v9
	v_or_b32_e32 v21, 5, v19
	v_cmp_gt_u32_e64 s2, s19, v17
	v_cmp_gt_u32_e64 s4, s19, v18
	v_or_b32_e32 v17, 4, v19
	v_or_b32_e32 v22, 3, v19
	v_cmp_gt_u32_e64 s5, s19, v21
	s_and_b32 s2, s2, vcc_lo
	v_cmp_ne_u32_e32 vcc_lo, v11, v12
	v_cndmask_b32_e64 v18, 0, 1, s2
	s_and_b32 s2, s4, s3
	v_cmp_ne_u32_e64 s3, v14, v11
	v_cndmask_b32_e64 v21, 0, 1, s2
	v_cmp_gt_u32_e64 s2, s19, v17
	v_or_b32_e32 v23, 1, v19
	s_and_b32 s4, s5, vcc_lo
	v_cmp_gt_u32_e32 vcc_lo, s19, v22
	v_cndmask_b32_e64 v17, 0, 1, s4
	s_and_b32 s2, s2, s3
	v_or_b32_e32 v25, 2, v19
	v_cndmask_b32_e64 v24, 0, 1, s2
	v_cmp_ne_u32_e64 s2, v13, v14
	v_cmp_gt_u32_e64 s3, s19, v23
	v_cmp_ne_u32_e64 s4, v15, v16
	v_cmp_gt_u32_e64 s5, s19, v25
	v_cmp_ne_u32_e64 s6, v16, v13
	s_and_b32 s2, vcc_lo, s2
	v_lshlrev_b16 v17, 8, v17
	v_cndmask_b32_e64 v22, 0, 1, s2
	s_and_b32 s2, s3, s4
	v_lshlrev_b16 v18, 8, v18
	v_cndmask_b32_e64 v23, 0, 1, s2
	s_and_b32 s2, s5, s6
	v_lshlrev_b16 v22, 8, v22
	v_cndmask_b32_e64 v25, 0, 1, s2
	v_or_b32_e32 v17, v24, v17
	v_lshlrev_b16 v23, 8, v23
	v_or_b32_e32 v18, v21, v18
	s_mov_b32 s3, exec_lo
	v_or_b32_e32 v21, v25, v22
	v_and_b32_e32 v17, 0xffff, v17
	v_or_b32_e32 v22, 1, v23
	v_lshlrev_b32_e32 v18, 16, v18
	s_waitcnt lgkmcnt(0)
	v_lshlrev_b32_e32 v21, 16, v21
	s_barrier
	v_and_b32_e32 v22, 0xffff, v22
	v_or_b32_e32 v18, v17, v18
	buffer_gl0_inv
                                        ; implicit-def: $sgpr2
	v_or_b32_e32 v17, v22, v21
	v_cmpx_ne_u32_e32 0, v0
	s_cbranch_execz .LBB635_58
; %bb.57:
	v_add_nc_u32_e32 v20, -4, v20
	v_cmp_gt_u32_e32 vcc_lo, s19, v19
	s_or_b32 s12, s12, exec_lo
	ds_load_b32 v20, v20
	s_waitcnt lgkmcnt(0)
	v_cmp_ne_u32_e64 s2, v20, v15
	s_delay_alu instid0(VALU_DEP_1) | instskip(NEXT) | instid1(SALU_CYCLE_1)
	s_and_b32 s2, vcc_lo, s2
	s_and_b32 s2, s2, exec_lo
.LBB635_58:
	s_or_b32 exec_lo, exec_lo, s3
.LBB635_59:
	s_and_saveexec_b32 s3, s12
	s_cbranch_execz .LBB635_61
; %bb.60:
	s_waitcnt vmcnt(0) lgkmcnt(1)
	v_and_b32_e32 v20, 0xffffff00, v17
	v_cndmask_b32_e64 v21, 0, 1, s2
	s_delay_alu instid0(VALU_DEP_1) | instskip(NEXT) | instid1(VALU_DEP_1)
	v_or_b32_e32 v20, v21, v20
	v_and_b32_e32 v20, 0xffff, v20
	s_delay_alu instid0(VALU_DEP_1)
	v_and_or_b32 v17, 0xffff0000, v17, v20
.LBB635_61:
	s_or_b32 exec_lo, exec_lo, s3
	s_load_b64 s[12:13], s[0:1], 0x60
	s_and_not1_b32 vcc_lo, exec_lo, s20
	s_cbranch_vccnz .LBB635_63
; %bb.62:
	v_cmp_gt_u32_e32 vcc_lo, s19, v19
	v_or_b32_e32 v21, 1, v19
	v_and_b32_e32 v22, 0xffffff00, v18
	v_or_b32_e32 v23, 2, v19
	s_waitcnt vmcnt(0) lgkmcnt(0)
	v_cndmask_b32_e32 v20, 0, v17, vcc_lo
	v_cmp_gt_u32_e32 vcc_lo, s19, v21
	v_or_b32_e32 v21, 4, v19
	v_cmp_gt_u32_e64 s2, s19, v23
	v_or_b32_e32 v23, 3, v19
	v_and_b32_e32 v20, 0xff, v20
	s_delay_alu instid0(VALU_DEP_2) | instskip(NEXT) | instid1(VALU_DEP_2)
	v_cmp_gt_u32_e64 s3, s19, v23
	v_cndmask_b32_e32 v20, v20, v17, vcc_lo
	v_cmp_gt_u32_e32 vcc_lo, s19, v21
	s_delay_alu instid0(VALU_DEP_2) | instskip(SKIP_1) | instid1(VALU_DEP_2)
	v_dual_cndmask_b32 v21, v22, v18 :: v_dual_and_b32 v20, 0xffff, v20
	v_or_b32_e32 v22, 5, v19
	v_cndmask_b32_e64 v20, v20, v17, s2
	s_delay_alu instid0(VALU_DEP_3) | instskip(NEXT) | instid1(VALU_DEP_3)
	v_and_b32_e32 v21, 0xffff00ff, v21
	v_cmp_gt_u32_e64 s2, s19, v22
	v_or_b32_e32 v22, 6, v19
	v_or_b32_e32 v19, 7, v19
	v_and_b32_e32 v20, 0xffffff, v20
	s_delay_alu instid0(VALU_DEP_4) | instskip(NEXT) | instid1(VALU_DEP_2)
	v_cndmask_b32_e64 v21, v21, v18, s2
	v_cndmask_b32_e64 v20, v20, v17, s3
	s_delay_alu instid0(VALU_DEP_2) | instskip(NEXT) | instid1(VALU_DEP_2)
	v_and_b32_e32 v21, 0xff00ffff, v21
	v_cndmask_b32_e32 v20, v20, v17, vcc_lo
	v_cmp_gt_u32_e32 vcc_lo, s19, v22
	s_delay_alu instid0(VALU_DEP_2) | instskip(NEXT) | instid1(VALU_DEP_1)
	v_cndmask_b32_e64 v20, v20, v17, s2
	v_dual_cndmask_b32 v21, v21, v18 :: v_dual_cndmask_b32 v20, v20, v17
	s_delay_alu instid0(VALU_DEP_1) | instskip(SKIP_1) | instid1(VALU_DEP_2)
	v_and_b32_e32 v21, 0xffffff, v21
	v_cmp_gt_u32_e32 vcc_lo, s19, v19
	v_dual_cndmask_b32 v18, v21, v18 :: v_dual_cndmask_b32 v17, v20, v17
.LBB635_63:
	s_delay_alu instid0(VALU_DEP_1) | instskip(NEXT) | instid1(VALU_DEP_2)
	v_and_b32_e32 v28, 0xff, v17
	v_alignbit_b32 v19, v18, v17, 24
	v_bfe_u32 v30, v17, 8, 8
	v_bfe_u32 v32, v17, 16, 8
	v_and_b32_e32 v36, 0xff, v18
	v_bfe_u32 v38, v18, 8, 8
	v_and_b32_e32 v34, 0xff, v19
	v_add_nc_u32_e32 v19, v30, v28
	s_waitcnt vmcnt(0) lgkmcnt(0)
	v_and_b32_e32 v20, 0x1e0, v0
	v_mbcnt_lo_u32_b32 v41, -1, 0
	v_bfe_u32 v40, v18, 16, 8
	v_lshrrev_b32_e32 v39, 24, v18
	v_add3_u32 v19, v19, v32, v34
	v_min_u32_e32 v20, 0x160, v20
	v_and_b32_e32 v21, 15, v41
	v_lshrrev_b32_e32 v42, 5, v0
	s_and_b32 vcc_lo, exec_lo, s9
	v_add3_u32 v19, v19, v36, v38
	v_or_b32_e32 v20, 31, v20
	v_cmp_eq_u32_e64 s4, 0, v21
	v_cmp_lt_u32_e64 s5, 1, v21
	v_cmp_lt_u32_e64 s3, 3, v21
	v_add3_u32 v43, v19, v40, v39
	v_and_b32_e32 v19, 16, v41
	v_cmp_lt_u32_e64 s2, 7, v21
	v_cmp_eq_u32_e64 s6, v20, v0
	s_mov_b32 s8, -1
	s_delay_alu instid0(VALU_DEP_3)
	v_cmp_eq_u32_e64 s7, 0, v19
	s_barrier
	buffer_gl0_inv
	s_cbranch_vccz .LBB635_89
; %bb.64:
	v_mov_b32_dpp v19, v43 row_shr:1 row_mask:0xf bank_mask:0xf
	s_delay_alu instid0(VALU_DEP_1) | instskip(NEXT) | instid1(VALU_DEP_1)
	v_cndmask_b32_e64 v19, v19, 0, s4
	v_add_nc_u32_e32 v19, v19, v43
	s_delay_alu instid0(VALU_DEP_1) | instskip(NEXT) | instid1(VALU_DEP_1)
	v_mov_b32_dpp v20, v19 row_shr:2 row_mask:0xf bank_mask:0xf
	v_cndmask_b32_e64 v20, 0, v20, s5
	s_delay_alu instid0(VALU_DEP_1) | instskip(NEXT) | instid1(VALU_DEP_1)
	v_add_nc_u32_e32 v19, v19, v20
	v_mov_b32_dpp v20, v19 row_shr:4 row_mask:0xf bank_mask:0xf
	s_delay_alu instid0(VALU_DEP_1) | instskip(NEXT) | instid1(VALU_DEP_1)
	v_cndmask_b32_e64 v20, 0, v20, s3
	v_add_nc_u32_e32 v19, v19, v20
	s_delay_alu instid0(VALU_DEP_1) | instskip(NEXT) | instid1(VALU_DEP_1)
	v_mov_b32_dpp v20, v19 row_shr:8 row_mask:0xf bank_mask:0xf
	v_cndmask_b32_e64 v20, 0, v20, s2
	s_delay_alu instid0(VALU_DEP_1) | instskip(SKIP_3) | instid1(VALU_DEP_1)
	v_add_nc_u32_e32 v19, v19, v20
	ds_swizzle_b32 v20, v19 offset:swizzle(BROADCAST,32,15)
	s_waitcnt lgkmcnt(0)
	v_cndmask_b32_e64 v20, v20, 0, s7
	v_add_nc_u32_e32 v19, v19, v20
	s_and_saveexec_b32 s8, s6
	s_cbranch_execz .LBB635_66
; %bb.65:
	v_lshlrev_b32_e32 v20, 2, v42
	ds_store_b32 v20, v19
.LBB635_66:
	s_or_b32 exec_lo, exec_lo, s8
	s_delay_alu instid0(SALU_CYCLE_1)
	s_mov_b32 s8, exec_lo
	s_waitcnt lgkmcnt(0)
	s_barrier
	buffer_gl0_inv
	v_cmpx_gt_u32_e32 12, v0
	s_cbranch_execz .LBB635_68
; %bb.67:
	v_lshlrev_b32_e32 v20, 2, v0
	ds_load_b32 v21, v20
	s_waitcnt lgkmcnt(0)
	v_mov_b32_dpp v22, v21 row_shr:1 row_mask:0xf bank_mask:0xf
	s_delay_alu instid0(VALU_DEP_1) | instskip(NEXT) | instid1(VALU_DEP_1)
	v_cndmask_b32_e64 v22, v22, 0, s4
	v_add_nc_u32_e32 v21, v22, v21
	s_delay_alu instid0(VALU_DEP_1) | instskip(NEXT) | instid1(VALU_DEP_1)
	v_mov_b32_dpp v22, v21 row_shr:2 row_mask:0xf bank_mask:0xf
	v_cndmask_b32_e64 v22, 0, v22, s5
	s_delay_alu instid0(VALU_DEP_1) | instskip(NEXT) | instid1(VALU_DEP_1)
	v_add_nc_u32_e32 v21, v21, v22
	v_mov_b32_dpp v22, v21 row_shr:4 row_mask:0xf bank_mask:0xf
	s_delay_alu instid0(VALU_DEP_1) | instskip(NEXT) | instid1(VALU_DEP_1)
	v_cndmask_b32_e64 v22, 0, v22, s3
	v_add_nc_u32_e32 v21, v21, v22
	s_delay_alu instid0(VALU_DEP_1) | instskip(NEXT) | instid1(VALU_DEP_1)
	v_mov_b32_dpp v22, v21 row_shr:8 row_mask:0xf bank_mask:0xf
	v_cndmask_b32_e64 v22, 0, v22, s2
	s_delay_alu instid0(VALU_DEP_1)
	v_add_nc_u32_e32 v21, v21, v22
	ds_store_b32 v20, v21
.LBB635_68:
	s_or_b32 exec_lo, exec_lo, s8
	v_cmp_gt_u32_e32 vcc_lo, 32, v0
	s_mov_b32 s9, exec_lo
	s_waitcnt lgkmcnt(0)
	s_barrier
	buffer_gl0_inv
                                        ; implicit-def: $vgpr27
	v_cmpx_lt_u32_e32 31, v0
	s_cbranch_execz .LBB635_70
; %bb.69:
	v_lshl_add_u32 v20, v42, 2, -4
	ds_load_b32 v27, v20
	s_waitcnt lgkmcnt(0)
	v_add_nc_u32_e32 v19, v27, v19
.LBB635_70:
	s_or_b32 exec_lo, exec_lo, s9
	v_add_nc_u32_e32 v20, -1, v41
	s_delay_alu instid0(VALU_DEP_1) | instskip(NEXT) | instid1(VALU_DEP_1)
	v_cmp_gt_i32_e64 s8, 0, v20
	v_cndmask_b32_e64 v20, v20, v41, s8
	v_cmp_eq_u32_e64 s8, 0, v41
	s_delay_alu instid0(VALU_DEP_2)
	v_lshlrev_b32_e32 v20, 2, v20
	ds_bpermute_b32 v29, v20, v19
	s_and_saveexec_b32 s9, vcc_lo
	s_cbranch_execz .LBB635_88
; %bb.71:
	v_mov_b32_e32 v23, 0
	ds_load_b32 v19, v23 offset:44
	s_and_saveexec_b32 s19, s8
	s_cbranch_execz .LBB635_73
; %bb.72:
	s_add_i32 s20, s15, 32
	s_mov_b32 s21, 0
	v_mov_b32_e32 v20, 1
	s_lshl_b64 s[20:21], s[20:21], 3
	s_delay_alu instid0(SALU_CYCLE_1)
	s_add_u32 s20, s12, s20
	s_addc_u32 s21, s13, s21
	s_waitcnt lgkmcnt(0)
	global_store_b64 v23, v[19:20], s[20:21]
.LBB635_73:
	s_or_b32 exec_lo, exec_lo, s19
	v_xad_u32 v21, v41, -1, s15
	s_mov_b32 s20, 0
	s_mov_b32 s19, exec_lo
	s_delay_alu instid0(VALU_DEP_1) | instskip(NEXT) | instid1(VALU_DEP_1)
	v_add_nc_u32_e32 v22, 32, v21
	v_lshlrev_b64 v[22:23], 3, v[22:23]
	s_delay_alu instid0(VALU_DEP_1) | instskip(NEXT) | instid1(VALU_DEP_2)
	v_add_co_u32 v25, vcc_lo, s12, v22
	v_add_co_ci_u32_e32 v26, vcc_lo, s13, v23, vcc_lo
	global_load_b64 v[23:24], v[25:26], off glc
	s_waitcnt vmcnt(0)
	v_and_b32_e32 v20, 0xff, v24
	s_delay_alu instid0(VALU_DEP_1)
	v_cmpx_eq_u16_e32 0, v20
	s_cbranch_execz .LBB635_76
.LBB635_74:                             ; =>This Inner Loop Header: Depth=1
	global_load_b64 v[23:24], v[25:26], off glc
	s_waitcnt vmcnt(0)
	v_and_b32_e32 v20, 0xff, v24
	s_delay_alu instid0(VALU_DEP_1) | instskip(SKIP_1) | instid1(SALU_CYCLE_1)
	v_cmp_ne_u16_e32 vcc_lo, 0, v20
	s_or_b32 s20, vcc_lo, s20
	s_and_not1_b32 exec_lo, exec_lo, s20
	s_cbranch_execnz .LBB635_74
; %bb.75:
	s_or_b32 exec_lo, exec_lo, s20
.LBB635_76:
	s_delay_alu instid0(SALU_CYCLE_1)
	s_or_b32 exec_lo, exec_lo, s19
	v_cmp_ne_u32_e32 vcc_lo, 31, v41
	v_lshlrev_b32_e64 v33, v41, -1
	v_add_nc_u32_e32 v37, 2, v41
	v_add_nc_u32_e32 v45, 4, v41
	;; [unrolled: 1-line block ×3, first 2 shown]
	v_add_co_ci_u32_e32 v20, vcc_lo, 0, v41, vcc_lo
	v_add_nc_u32_e32 v49, 16, v41
	s_delay_alu instid0(VALU_DEP_2)
	v_lshlrev_b32_e32 v31, 2, v20
	v_and_b32_e32 v20, 0xff, v24
	ds_bpermute_b32 v22, v31, v23
	v_cmp_eq_u16_e32 vcc_lo, 2, v20
	v_and_or_b32 v20, vcc_lo, v33, 0x80000000
	v_cmp_gt_u32_e32 vcc_lo, 30, v41
	s_delay_alu instid0(VALU_DEP_2) | instskip(SKIP_1) | instid1(VALU_DEP_2)
	v_ctz_i32_b32_e32 v20, v20
	v_cndmask_b32_e64 v25, 0, 1, vcc_lo
	v_cmp_lt_u32_e32 vcc_lo, v41, v20
	s_waitcnt lgkmcnt(0)
	s_delay_alu instid0(VALU_DEP_2) | instskip(NEXT) | instid1(VALU_DEP_1)
	v_dual_cndmask_b32 v22, 0, v22 :: v_dual_lshlrev_b32 v25, 1, v25
	v_add_lshl_u32 v35, v25, v41, 2
	v_cmp_gt_u32_e32 vcc_lo, 28, v41
	s_delay_alu instid0(VALU_DEP_3) | instskip(SKIP_4) | instid1(VALU_DEP_1)
	v_add_nc_u32_e32 v22, v22, v23
	v_cndmask_b32_e64 v25, 0, 1, vcc_lo
	v_cmp_le_u32_e32 vcc_lo, v37, v20
	ds_bpermute_b32 v23, v35, v22
	v_lshlrev_b32_e32 v25, 2, v25
	v_add_lshl_u32 v44, v25, v41, 2
	s_waitcnt lgkmcnt(0)
	v_cndmask_b32_e32 v23, 0, v23, vcc_lo
	v_cmp_gt_u32_e32 vcc_lo, 24, v41
	s_delay_alu instid0(VALU_DEP_2) | instskip(SKIP_4) | instid1(VALU_DEP_1)
	v_add_nc_u32_e32 v22, v22, v23
	v_cndmask_b32_e64 v25, 0, 1, vcc_lo
	v_cmp_le_u32_e32 vcc_lo, v45, v20
	ds_bpermute_b32 v23, v44, v22
	v_lshlrev_b32_e32 v25, 3, v25
	v_add_lshl_u32 v46, v25, v41, 2
	s_waitcnt lgkmcnt(0)
	v_cndmask_b32_e32 v23, 0, v23, vcc_lo
	v_cmp_gt_u32_e32 vcc_lo, 16, v41
	s_delay_alu instid0(VALU_DEP_2) | instskip(SKIP_4) | instid1(VALU_DEP_1)
	v_add_nc_u32_e32 v22, v22, v23
	v_cndmask_b32_e64 v25, 0, 1, vcc_lo
	v_cmp_le_u32_e32 vcc_lo, v47, v20
	ds_bpermute_b32 v23, v46, v22
	v_lshlrev_b32_e32 v25, 4, v25
	v_add_lshl_u32 v48, v25, v41, 2
	s_waitcnt lgkmcnt(0)
	v_cndmask_b32_e32 v23, 0, v23, vcc_lo
	v_cmp_le_u32_e32 vcc_lo, v49, v20
	s_delay_alu instid0(VALU_DEP_2) | instskip(SKIP_3) | instid1(VALU_DEP_1)
	v_add_nc_u32_e32 v22, v22, v23
	ds_bpermute_b32 v23, v48, v22
	s_waitcnt lgkmcnt(0)
	v_cndmask_b32_e32 v20, 0, v23, vcc_lo
	v_dual_mov_b32 v22, 0 :: v_dual_add_nc_u32 v23, v22, v20
	s_branch .LBB635_78
.LBB635_77:                             ;   in Loop: Header=BB635_78 Depth=1
	s_or_b32 exec_lo, exec_lo, s19
	ds_bpermute_b32 v26, v31, v23
	v_and_b32_e32 v25, 0xff, v24
	v_subrev_nc_u32_e32 v21, 32, v21
	s_delay_alu instid0(VALU_DEP_2) | instskip(SKIP_1) | instid1(VALU_DEP_1)
	v_cmp_eq_u16_e32 vcc_lo, 2, v25
	v_and_or_b32 v25, vcc_lo, v33, 0x80000000
	v_ctz_i32_b32_e32 v25, v25
	s_delay_alu instid0(VALU_DEP_1) | instskip(SKIP_3) | instid1(VALU_DEP_2)
	v_cmp_lt_u32_e32 vcc_lo, v41, v25
	s_waitcnt lgkmcnt(0)
	v_cndmask_b32_e32 v26, 0, v26, vcc_lo
	v_cmp_le_u32_e32 vcc_lo, v37, v25
	v_add_nc_u32_e32 v23, v26, v23
	ds_bpermute_b32 v26, v35, v23
	s_waitcnt lgkmcnt(0)
	v_cndmask_b32_e32 v26, 0, v26, vcc_lo
	v_cmp_le_u32_e32 vcc_lo, v45, v25
	s_delay_alu instid0(VALU_DEP_2) | instskip(SKIP_4) | instid1(VALU_DEP_2)
	v_add_nc_u32_e32 v23, v23, v26
	ds_bpermute_b32 v26, v44, v23
	s_waitcnt lgkmcnt(0)
	v_cndmask_b32_e32 v26, 0, v26, vcc_lo
	v_cmp_le_u32_e32 vcc_lo, v47, v25
	v_add_nc_u32_e32 v23, v23, v26
	ds_bpermute_b32 v26, v46, v23
	s_waitcnt lgkmcnt(0)
	v_cndmask_b32_e32 v26, 0, v26, vcc_lo
	v_cmp_le_u32_e32 vcc_lo, v49, v25
	s_delay_alu instid0(VALU_DEP_2) | instskip(SKIP_3) | instid1(VALU_DEP_1)
	v_add_nc_u32_e32 v23, v23, v26
	ds_bpermute_b32 v26, v48, v23
	s_waitcnt lgkmcnt(0)
	v_cndmask_b32_e32 v25, 0, v26, vcc_lo
	v_add3_u32 v23, v25, v20, v23
.LBB635_78:                             ; =>This Loop Header: Depth=1
                                        ;     Child Loop BB635_81 Depth 2
	v_and_b32_e32 v20, 0xff, v24
	s_delay_alu instid0(VALU_DEP_1) | instskip(SKIP_2) | instid1(VALU_DEP_1)
	v_cmp_ne_u16_e32 vcc_lo, 2, v20
	v_cndmask_b32_e64 v20, 0, 1, vcc_lo
	;;#ASMSTART
	;;#ASMEND
	v_cmp_ne_u32_e32 vcc_lo, 0, v20
	v_mov_b32_e32 v20, v23
	s_cmp_lg_u32 vcc_lo, exec_lo
	s_cbranch_scc1 .LBB635_83
; %bb.79:                               ;   in Loop: Header=BB635_78 Depth=1
	v_lshlrev_b64 v[23:24], 3, v[21:22]
	s_mov_b32 s19, exec_lo
	s_delay_alu instid0(VALU_DEP_1) | instskip(NEXT) | instid1(VALU_DEP_2)
	v_add_co_u32 v25, vcc_lo, s12, v23
	v_add_co_ci_u32_e32 v26, vcc_lo, s13, v24, vcc_lo
	global_load_b64 v[23:24], v[25:26], off glc
	s_waitcnt vmcnt(0)
	v_and_b32_e32 v50, 0xff, v24
	s_delay_alu instid0(VALU_DEP_1)
	v_cmpx_eq_u16_e32 0, v50
	s_cbranch_execz .LBB635_77
; %bb.80:                               ;   in Loop: Header=BB635_78 Depth=1
	s_mov_b32 s20, 0
.LBB635_81:                             ;   Parent Loop BB635_78 Depth=1
                                        ; =>  This Inner Loop Header: Depth=2
	global_load_b64 v[23:24], v[25:26], off glc
	s_waitcnt vmcnt(0)
	v_and_b32_e32 v50, 0xff, v24
	s_delay_alu instid0(VALU_DEP_1) | instskip(SKIP_1) | instid1(SALU_CYCLE_1)
	v_cmp_ne_u16_e32 vcc_lo, 0, v50
	s_or_b32 s20, vcc_lo, s20
	s_and_not1_b32 exec_lo, exec_lo, s20
	s_cbranch_execnz .LBB635_81
; %bb.82:                               ;   in Loop: Header=BB635_78 Depth=1
	s_or_b32 exec_lo, exec_lo, s20
	s_branch .LBB635_77
.LBB635_83:                             ;   in Loop: Header=BB635_78 Depth=1
                                        ; implicit-def: $vgpr23
                                        ; implicit-def: $vgpr24
	s_cbranch_execz .LBB635_78
; %bb.84:
	s_and_saveexec_b32 s19, s8
	s_cbranch_execz .LBB635_86
; %bb.85:
	s_add_i32 s20, s15, 32
	s_mov_b32 s21, 0
	v_dual_mov_b32 v22, 2 :: v_dual_add_nc_u32 v21, v20, v19
	s_lshl_b64 s[20:21], s[20:21], 3
	v_mov_b32_e32 v23, 0
	s_add_u32 s20, s12, s20
	s_addc_u32 s21, s13, s21
	global_store_b64 v23, v[21:22], s[20:21]
	ds_store_b64 v23, v[19:20] offset:12672
.LBB635_86:
	s_or_b32 exec_lo, exec_lo, s19
	v_cmp_eq_u32_e32 vcc_lo, 0, v0
	s_and_b32 exec_lo, exec_lo, vcc_lo
	s_cbranch_execz .LBB635_88
; %bb.87:
	v_mov_b32_e32 v19, 0
	ds_store_b32 v19, v20 offset:44
.LBB635_88:
	s_or_b32 exec_lo, exec_lo, s9
	v_mov_b32_e32 v19, 0
	s_waitcnt lgkmcnt(0)
	s_waitcnt_vscnt null, 0x0
	s_barrier
	buffer_gl0_inv
	v_cndmask_b32_e64 v21, v29, v27, s8
	ds_load_b32 v20, v19 offset:44
	v_cmp_ne_u32_e32 vcc_lo, 0, v0
	s_waitcnt lgkmcnt(0)
	s_barrier
	buffer_gl0_inv
	v_cndmask_b32_e32 v21, 0, v21, vcc_lo
	s_delay_alu instid0(VALU_DEP_1) | instskip(SKIP_2) | instid1(VALU_DEP_1)
	v_add_nc_u32_e32 v37, v20, v21
	ds_load_b64 v[19:20], v19 offset:12672
	v_add_nc_u32_e32 v35, v37, v28
	v_add_nc_u32_e32 v33, v35, v30
	s_delay_alu instid0(VALU_DEP_1) | instskip(NEXT) | instid1(VALU_DEP_1)
	v_add_nc_u32_e32 v31, v33, v32
	v_add_nc_u32_e32 v29, v31, v34
	s_delay_alu instid0(VALU_DEP_1) | instskip(NEXT) | instid1(VALU_DEP_1)
	v_add_nc_u32_e32 v27, v29, v36
	v_add_nc_u32_e32 v25, v27, v38
	s_delay_alu instid0(VALU_DEP_1)
	v_add_nc_u32_e32 v23, v25, v40
	v_lshrrev_b64 v[21:22], 24, v[17:18]
	s_branch .LBB635_99
.LBB635_89:
                                        ; implicit-def: $vgpr23
                                        ; implicit-def: $vgpr25
                                        ; implicit-def: $vgpr27
                                        ; implicit-def: $vgpr29
                                        ; implicit-def: $vgpr31
                                        ; implicit-def: $vgpr33
                                        ; implicit-def: $vgpr35
                                        ; implicit-def: $vgpr37
                                        ; implicit-def: $vgpr20
	v_lshrrev_b64 v[21:22], 24, v[17:18]
	s_and_b32 vcc_lo, exec_lo, s8
	s_cbranch_vccz .LBB635_99
; %bb.90:
	s_waitcnt lgkmcnt(0)
	v_mov_b32_dpp v19, v43 row_shr:1 row_mask:0xf bank_mask:0xf
	s_delay_alu instid0(VALU_DEP_1) | instskip(NEXT) | instid1(VALU_DEP_1)
	v_cndmask_b32_e64 v19, v19, 0, s4
	v_add_nc_u32_e32 v19, v19, v43
	s_delay_alu instid0(VALU_DEP_1) | instskip(NEXT) | instid1(VALU_DEP_1)
	v_mov_b32_dpp v20, v19 row_shr:2 row_mask:0xf bank_mask:0xf
	v_cndmask_b32_e64 v20, 0, v20, s5
	s_delay_alu instid0(VALU_DEP_1) | instskip(NEXT) | instid1(VALU_DEP_1)
	v_add_nc_u32_e32 v19, v19, v20
	v_mov_b32_dpp v20, v19 row_shr:4 row_mask:0xf bank_mask:0xf
	s_delay_alu instid0(VALU_DEP_1) | instskip(NEXT) | instid1(VALU_DEP_1)
	v_cndmask_b32_e64 v20, 0, v20, s3
	v_add_nc_u32_e32 v19, v19, v20
	s_delay_alu instid0(VALU_DEP_1) | instskip(NEXT) | instid1(VALU_DEP_1)
	v_mov_b32_dpp v20, v19 row_shr:8 row_mask:0xf bank_mask:0xf
	v_cndmask_b32_e64 v20, 0, v20, s2
	s_delay_alu instid0(VALU_DEP_1) | instskip(SKIP_3) | instid1(VALU_DEP_1)
	v_add_nc_u32_e32 v19, v19, v20
	ds_swizzle_b32 v20, v19 offset:swizzle(BROADCAST,32,15)
	s_waitcnt lgkmcnt(0)
	v_cndmask_b32_e64 v20, v20, 0, s7
	v_add_nc_u32_e32 v19, v19, v20
	s_and_saveexec_b32 s7, s6
	s_cbranch_execz .LBB635_92
; %bb.91:
	v_lshlrev_b32_e32 v20, 2, v42
	ds_store_b32 v20, v19
.LBB635_92:
	s_or_b32 exec_lo, exec_lo, s7
	s_delay_alu instid0(SALU_CYCLE_1)
	s_mov_b32 s6, exec_lo
	s_waitcnt lgkmcnt(0)
	s_barrier
	buffer_gl0_inv
	v_cmpx_gt_u32_e32 12, v0
	s_cbranch_execz .LBB635_94
; %bb.93:
	v_lshlrev_b32_e32 v20, 2, v0
	ds_load_b32 v22, v20
	s_waitcnt lgkmcnt(0)
	v_mov_b32_dpp v23, v22 row_shr:1 row_mask:0xf bank_mask:0xf
	s_delay_alu instid0(VALU_DEP_1) | instskip(NEXT) | instid1(VALU_DEP_1)
	v_cndmask_b32_e64 v23, v23, 0, s4
	v_add_nc_u32_e32 v22, v23, v22
	s_delay_alu instid0(VALU_DEP_1) | instskip(NEXT) | instid1(VALU_DEP_1)
	v_mov_b32_dpp v23, v22 row_shr:2 row_mask:0xf bank_mask:0xf
	v_cndmask_b32_e64 v23, 0, v23, s5
	s_delay_alu instid0(VALU_DEP_1) | instskip(NEXT) | instid1(VALU_DEP_1)
	v_add_nc_u32_e32 v22, v22, v23
	v_mov_b32_dpp v23, v22 row_shr:4 row_mask:0xf bank_mask:0xf
	s_delay_alu instid0(VALU_DEP_1) | instskip(NEXT) | instid1(VALU_DEP_1)
	v_cndmask_b32_e64 v23, 0, v23, s3
	v_add_nc_u32_e32 v22, v22, v23
	s_delay_alu instid0(VALU_DEP_1) | instskip(NEXT) | instid1(VALU_DEP_1)
	v_mov_b32_dpp v23, v22 row_shr:8 row_mask:0xf bank_mask:0xf
	v_cndmask_b32_e64 v23, 0, v23, s2
	s_delay_alu instid0(VALU_DEP_1)
	v_add_nc_u32_e32 v22, v22, v23
	ds_store_b32 v20, v22
.LBB635_94:
	s_or_b32 exec_lo, exec_lo, s6
	v_mov_b32_e32 v20, 0
	v_mov_b32_e32 v22, 0
	s_mov_b32 s2, exec_lo
	s_waitcnt lgkmcnt(0)
	s_barrier
	buffer_gl0_inv
	v_cmpx_lt_u32_e32 31, v0
	s_cbranch_execz .LBB635_96
; %bb.95:
	v_lshl_add_u32 v22, v42, 2, -4
	ds_load_b32 v22, v22
.LBB635_96:
	s_or_b32 exec_lo, exec_lo, s2
	v_add_nc_u32_e32 v23, -1, v41
	s_waitcnt lgkmcnt(0)
	v_add_nc_u32_e32 v19, v22, v19
	s_delay_alu instid0(VALU_DEP_2) | instskip(SKIP_2) | instid1(VALU_DEP_2)
	v_cmp_gt_i32_e32 vcc_lo, 0, v23
	v_cndmask_b32_e32 v23, v23, v41, vcc_lo
	v_cmp_eq_u32_e32 vcc_lo, 0, v0
	v_lshlrev_b32_e32 v23, 2, v23
	ds_bpermute_b32 v23, v23, v19
	ds_load_b32 v19, v20 offset:44
	s_and_saveexec_b32 s2, vcc_lo
	s_cbranch_execz .LBB635_98
; %bb.97:
	v_mov_b32_e32 v24, 0
	v_mov_b32_e32 v20, 2
	s_waitcnt lgkmcnt(0)
	global_store_b64 v24, v[19:20], s[12:13] offset:256
.LBB635_98:
	s_or_b32 exec_lo, exec_lo, s2
	v_cmp_eq_u32_e64 s2, 0, v41
	s_waitcnt lgkmcnt(0)
	s_waitcnt_vscnt null, 0x0
	s_barrier
	buffer_gl0_inv
	v_cndmask_b32_e64 v20, v23, v22, s2
	s_delay_alu instid0(VALU_DEP_1) | instskip(NEXT) | instid1(VALU_DEP_1)
	v_cndmask_b32_e64 v37, v20, 0, vcc_lo
	v_dual_mov_b32 v20, 0 :: v_dual_add_nc_u32 v35, v37, v28
	s_delay_alu instid0(VALU_DEP_1) | instskip(NEXT) | instid1(VALU_DEP_1)
	v_add_nc_u32_e32 v33, v35, v30
	v_add_nc_u32_e32 v31, v33, v32
	s_delay_alu instid0(VALU_DEP_1) | instskip(NEXT) | instid1(VALU_DEP_1)
	v_add_nc_u32_e32 v29, v31, v34
	v_add_nc_u32_e32 v27, v29, v36
	;; [unrolled: 3-line block ×3, first 2 shown]
.LBB635_99:
	s_load_b128 s[4:7], s[0:1], 0x28
	s_waitcnt lgkmcnt(0)
	v_add_nc_u32_e32 v43, v20, v19
	v_cmp_gt_u32_e64 s0, 0x181, v19
	v_lshrrev_b32_e32 v42, 8, v17
	v_lshrrev_b32_e32 v41, 16, v17
	;; [unrolled: 1-line block ×4, first 2 shown]
	v_cmp_lt_u32_e64 s1, v37, v43
	s_and_b32 vcc_lo, exec_lo, s0
	s_mov_b32 s2, -1
	s_cbranch_vccz .LBB635_125
; %bb.100:
	s_lshl_b64 s[2:3], s[10:11], 2
	s_delay_alu instid0(SALU_CYCLE_1) | instskip(SKIP_2) | instid1(SALU_CYCLE_1)
	s_add_u32 s2, s4, s2
	s_addc_u32 s3, s5, s3
	s_or_b32 s8, s18, s1
	s_and_saveexec_b32 s1, s8
	s_cbranch_execz .LBB635_103
; %bb.101:
	v_and_b32_e32 v24, 1, v17
	s_delay_alu instid0(VALU_DEP_1)
	v_cmp_eq_u32_e32 vcc_lo, 1, v24
	s_and_b32 exec_lo, exec_lo, vcc_lo
	s_cbranch_execz .LBB635_103
; %bb.102:
	v_mov_b32_e32 v38, 0
	s_delay_alu instid0(VALU_DEP_1) | instskip(NEXT) | instid1(VALU_DEP_1)
	v_lshlrev_b64 v[44:45], 2, v[37:38]
	v_add_co_u32 v44, vcc_lo, s2, v44
	s_delay_alu instid0(VALU_DEP_2)
	v_add_co_ci_u32_e32 v45, vcc_lo, s3, v45, vcc_lo
	global_store_b32 v[44:45], v15, off
.LBB635_103:
	s_or_b32 exec_lo, exec_lo, s1
	v_cmp_lt_u32_e32 vcc_lo, v35, v43
	s_or_b32 s8, s18, vcc_lo
	s_delay_alu instid0(SALU_CYCLE_1)
	s_and_saveexec_b32 s1, s8
	s_cbranch_execz .LBB635_106
; %bb.104:
	v_and_b32_e32 v24, 1, v42
	s_delay_alu instid0(VALU_DEP_1)
	v_cmp_eq_u32_e32 vcc_lo, 1, v24
	s_and_b32 exec_lo, exec_lo, vcc_lo
	s_cbranch_execz .LBB635_106
; %bb.105:
	v_mov_b32_e32 v36, 0
	s_delay_alu instid0(VALU_DEP_1) | instskip(NEXT) | instid1(VALU_DEP_1)
	v_lshlrev_b64 v[44:45], 2, v[35:36]
	v_add_co_u32 v44, vcc_lo, s2, v44
	s_delay_alu instid0(VALU_DEP_2)
	v_add_co_ci_u32_e32 v45, vcc_lo, s3, v45, vcc_lo
	global_store_b32 v[44:45], v16, off
.LBB635_106:
	s_or_b32 exec_lo, exec_lo, s1
	v_cmp_lt_u32_e32 vcc_lo, v33, v43
	s_or_b32 s8, s18, vcc_lo
	s_delay_alu instid0(SALU_CYCLE_1)
	;; [unrolled: 21-line block ×7, first 2 shown]
	s_and_saveexec_b32 s1, s8
	s_cbranch_execz .LBB635_124
; %bb.122:
	v_and_b32_e32 v24, 1, v39
	s_delay_alu instid0(VALU_DEP_1)
	v_cmp_eq_u32_e32 vcc_lo, 1, v24
	s_and_b32 exec_lo, exec_lo, vcc_lo
	s_cbranch_execz .LBB635_124
; %bb.123:
	v_mov_b32_e32 v24, 0
	s_delay_alu instid0(VALU_DEP_1) | instskip(NEXT) | instid1(VALU_DEP_1)
	v_lshlrev_b64 v[44:45], 2, v[23:24]
	v_add_co_u32 v44, vcc_lo, s2, v44
	s_delay_alu instid0(VALU_DEP_2)
	v_add_co_ci_u32_e32 v45, vcc_lo, s3, v45, vcc_lo
	global_store_b32 v[44:45], v10, off
.LBB635_124:
	s_or_b32 exec_lo, exec_lo, s1
	s_mov_b32 s2, 0
.LBB635_125:
	v_and_b32_e32 v17, 1, v17
	s_and_b32 vcc_lo, exec_lo, s2
	s_delay_alu instid0(VALU_DEP_1)
	v_cmp_eq_u32_e64 s1, 1, v17
	s_cbranch_vccz .LBB635_146
; %bb.126:
	s_delay_alu instid0(VALU_DEP_1)
	s_and_saveexec_b32 s2, s1
	s_cbranch_execz .LBB635_128
; %bb.127:
	v_sub_nc_u32_e32 v24, v37, v20
	s_delay_alu instid0(VALU_DEP_1)
	v_lshlrev_b32_e32 v24, 2, v24
	ds_store_b32 v24, v15
.LBB635_128:
	s_or_b32 exec_lo, exec_lo, s2
	v_and_b32_e32 v15, 1, v42
	s_mov_b32 s1, exec_lo
	s_delay_alu instid0(VALU_DEP_1)
	v_cmpx_eq_u32_e32 1, v15
	s_cbranch_execz .LBB635_130
; %bb.129:
	v_sub_nc_u32_e32 v15, v35, v20
	s_delay_alu instid0(VALU_DEP_1)
	v_lshlrev_b32_e32 v15, 2, v15
	ds_store_b32 v15, v16
.LBB635_130:
	s_or_b32 exec_lo, exec_lo, s1
	v_and_b32_e32 v15, 1, v41
	s_mov_b32 s1, exec_lo
	s_delay_alu instid0(VALU_DEP_1)
	v_cmpx_eq_u32_e32 1, v15
	s_cbranch_execz .LBB635_132
; %bb.131:
	v_sub_nc_u32_e32 v15, v33, v20
	s_delay_alu instid0(VALU_DEP_1)
	v_lshlrev_b32_e32 v15, 2, v15
	ds_store_b32 v15, v13
.LBB635_132:
	s_or_b32 exec_lo, exec_lo, s1
	v_and_b32_e32 v13, 1, v21
	s_mov_b32 s1, exec_lo
	s_delay_alu instid0(VALU_DEP_1)
	v_cmpx_eq_u32_e32 1, v13
	s_cbranch_execz .LBB635_134
; %bb.133:
	v_sub_nc_u32_e32 v13, v31, v20
	s_delay_alu instid0(VALU_DEP_1)
	v_lshlrev_b32_e32 v13, 2, v13
	ds_store_b32 v13, v14
.LBB635_134:
	s_or_b32 exec_lo, exec_lo, s1
	v_and_b32_e32 v13, 1, v18
	s_mov_b32 s1, exec_lo
	s_delay_alu instid0(VALU_DEP_1)
	v_cmpx_eq_u32_e32 1, v13
	s_cbranch_execz .LBB635_136
; %bb.135:
	v_sub_nc_u32_e32 v13, v29, v20
	s_delay_alu instid0(VALU_DEP_1)
	v_lshlrev_b32_e32 v13, 2, v13
	ds_store_b32 v13, v11
.LBB635_136:
	s_or_b32 exec_lo, exec_lo, s1
	v_and_b32_e32 v11, 1, v40
	s_mov_b32 s1, exec_lo
	s_delay_alu instid0(VALU_DEP_1)
	v_cmpx_eq_u32_e32 1, v11
	s_cbranch_execz .LBB635_138
; %bb.137:
	v_sub_nc_u32_e32 v11, v27, v20
	s_delay_alu instid0(VALU_DEP_1)
	v_lshlrev_b32_e32 v11, 2, v11
	ds_store_b32 v11, v12
.LBB635_138:
	s_or_b32 exec_lo, exec_lo, s1
	v_and_b32_e32 v11, 1, v22
	s_mov_b32 s1, exec_lo
	s_delay_alu instid0(VALU_DEP_1)
	v_cmpx_eq_u32_e32 1, v11
	s_cbranch_execz .LBB635_140
; %bb.139:
	v_sub_nc_u32_e32 v11, v25, v20
	s_delay_alu instid0(VALU_DEP_1)
	v_lshlrev_b32_e32 v11, 2, v11
	ds_store_b32 v11, v9
.LBB635_140:
	s_or_b32 exec_lo, exec_lo, s1
	v_and_b32_e32 v9, 1, v39
	s_mov_b32 s1, exec_lo
	s_delay_alu instid0(VALU_DEP_1)
	v_cmpx_eq_u32_e32 1, v9
	s_cbranch_execz .LBB635_142
; %bb.141:
	v_sub_nc_u32_e32 v9, v23, v20
	s_delay_alu instid0(VALU_DEP_1)
	v_lshlrev_b32_e32 v9, 2, v9
	ds_store_b32 v9, v10
.LBB635_142:
	s_or_b32 exec_lo, exec_lo, s1
	s_delay_alu instid0(SALU_CYCLE_1)
	s_mov_b32 s2, exec_lo
	s_waitcnt lgkmcnt(0)
	s_waitcnt_vscnt null, 0x0
	s_barrier
	buffer_gl0_inv
	v_cmpx_lt_u32_e64 v0, v19
	s_cbranch_execz .LBB635_145
; %bb.143:
	v_dual_mov_b32 v10, 0 :: v_dual_mov_b32 v9, v20
	s_lshl_b64 s[8:9], s[10:11], 2
	v_lshlrev_b32_e32 v11, 2, v0
	s_add_u32 s1, s4, s8
	s_addc_u32 s3, s5, s9
	v_lshlrev_b64 v[12:13], 2, v[9:10]
	v_mov_b32_e32 v9, v0
	s_delay_alu instid0(VALU_DEP_2) | instskip(NEXT) | instid1(VALU_DEP_3)
	v_add_co_u32 v12, vcc_lo, s1, v12
	v_add_co_ci_u32_e32 v13, vcc_lo, s3, v13, vcc_lo
	s_mov_b32 s3, 0
	.p2align	6
.LBB635_144:                            ; =>This Inner Loop Header: Depth=1
	ds_load_b32 v16, v11
	v_lshlrev_b64 v[14:15], 2, v[9:10]
	v_add_nc_u32_e32 v9, 0x180, v9
	v_add_nc_u32_e32 v11, 0x600, v11
	s_delay_alu instid0(VALU_DEP_2) | instskip(NEXT) | instid1(VALU_DEP_4)
	v_cmp_ge_u32_e32 vcc_lo, v9, v19
	v_add_co_u32 v14, s1, v12, v14
	s_delay_alu instid0(VALU_DEP_1)
	v_add_co_ci_u32_e64 v15, s1, v13, v15, s1
	s_or_b32 s3, vcc_lo, s3
	s_waitcnt lgkmcnt(0)
	global_store_b32 v[14:15], v16, off
	s_and_not1_b32 exec_lo, exec_lo, s3
	s_cbranch_execnz .LBB635_144
.LBB635_145:
	s_or_b32 exec_lo, exec_lo, s2
.LBB635_146:
	s_delay_alu instid0(SALU_CYCLE_1)
	s_and_b32 vcc_lo, exec_lo, s0
	s_mov_b32 s0, -1
	s_waitcnt_vscnt null, 0x0
	s_barrier
	buffer_gl0_inv
	s_cbranch_vccz .LBB635_174
; %bb.147:
	v_cmp_lt_u32_e32 vcc_lo, v37, v43
	s_lshl_b64 s[0:1], s[10:11], 2
	s_delay_alu instid0(SALU_CYCLE_1) | instskip(SKIP_2) | instid1(SALU_CYCLE_1)
	s_add_u32 s0, s6, s0
	s_addc_u32 s1, s7, s1
	s_or_b32 s3, s18, vcc_lo
	s_and_saveexec_b32 s2, s3
	s_cbranch_execz .LBB635_150
; %bb.148:
	v_cmp_eq_u32_e32 vcc_lo, 1, v17
	s_and_b32 exec_lo, exec_lo, vcc_lo
	s_cbranch_execz .LBB635_150
; %bb.149:
	v_mov_b32_e32 v38, 0
	s_delay_alu instid0(VALU_DEP_1) | instskip(NEXT) | instid1(VALU_DEP_1)
	v_lshlrev_b64 v[9:10], 2, v[37:38]
	v_add_co_u32 v9, vcc_lo, s0, v9
	s_delay_alu instid0(VALU_DEP_2)
	v_add_co_ci_u32_e32 v10, vcc_lo, s1, v10, vcc_lo
	global_store_b32 v[9:10], v7, off
.LBB635_150:
	s_or_b32 exec_lo, exec_lo, s2
	v_cmp_lt_u32_e32 vcc_lo, v35, v43
	s_or_b32 s3, s18, vcc_lo
	s_delay_alu instid0(SALU_CYCLE_1)
	s_and_saveexec_b32 s2, s3
	s_cbranch_execz .LBB635_153
; %bb.151:
	v_and_b32_e32 v9, 1, v42
	s_delay_alu instid0(VALU_DEP_1)
	v_cmp_eq_u32_e32 vcc_lo, 1, v9
	s_and_b32 exec_lo, exec_lo, vcc_lo
	s_cbranch_execz .LBB635_153
; %bb.152:
	v_mov_b32_e32 v36, 0
	s_delay_alu instid0(VALU_DEP_1) | instskip(NEXT) | instid1(VALU_DEP_1)
	v_lshlrev_b64 v[9:10], 2, v[35:36]
	v_add_co_u32 v9, vcc_lo, s0, v9
	s_delay_alu instid0(VALU_DEP_2)
	v_add_co_ci_u32_e32 v10, vcc_lo, s1, v10, vcc_lo
	global_store_b32 v[9:10], v8, off
.LBB635_153:
	s_or_b32 exec_lo, exec_lo, s2
	v_cmp_lt_u32_e32 vcc_lo, v33, v43
	s_or_b32 s3, s18, vcc_lo
	s_delay_alu instid0(SALU_CYCLE_1)
	s_and_saveexec_b32 s2, s3
	s_cbranch_execz .LBB635_156
; %bb.154:
	v_and_b32_e32 v9, 1, v41
	s_delay_alu instid0(VALU_DEP_1)
	v_cmp_eq_u32_e32 vcc_lo, 1, v9
	s_and_b32 exec_lo, exec_lo, vcc_lo
	s_cbranch_execz .LBB635_156
; %bb.155:
	v_mov_b32_e32 v34, 0
	s_delay_alu instid0(VALU_DEP_1) | instskip(NEXT) | instid1(VALU_DEP_1)
	v_lshlrev_b64 v[9:10], 2, v[33:34]
	v_add_co_u32 v9, vcc_lo, s0, v9
	s_delay_alu instid0(VALU_DEP_2)
	v_add_co_ci_u32_e32 v10, vcc_lo, s1, v10, vcc_lo
	global_store_b32 v[9:10], v5, off
.LBB635_156:
	;; [unrolled: 21-line block ×7, first 2 shown]
	s_or_b32 exec_lo, exec_lo, s2
.LBB635_172:
	v_cmp_eq_u32_e32 vcc_lo, 0, v0
	s_and_b32 s0, vcc_lo, s14
	s_delay_alu instid0(SALU_CYCLE_1)
	s_and_saveexec_b32 s1, s0
	s_cbranch_execz .LBB635_195
.LBB635_173:
	v_add_co_u32 v0, s0, s10, v19
	s_delay_alu instid0(VALU_DEP_1) | instskip(SKIP_1) | instid1(VALU_DEP_3)
	v_add_co_ci_u32_e64 v1, null, s11, 0, s0
	v_mov_b32_e32 v2, 0
	v_add_co_u32 v0, vcc_lo, v0, v20
	s_delay_alu instid0(VALU_DEP_3)
	v_add_co_ci_u32_e32 v1, vcc_lo, 0, v1, vcc_lo
	global_store_b64 v2, v[0:1], s[16:17]
	s_nop 0
	s_sendmsg sendmsg(MSG_DEALLOC_VGPRS)
	s_endpgm
.LBB635_174:
	s_and_b32 vcc_lo, exec_lo, s0
	s_cbranch_vccz .LBB635_172
; %bb.175:
	s_mov_b32 s0, exec_lo
	v_cmpx_eq_u32_e32 1, v17
	s_cbranch_execz .LBB635_177
; %bb.176:
	v_sub_nc_u32_e32 v9, v37, v20
	s_delay_alu instid0(VALU_DEP_1)
	v_lshlrev_b32_e32 v9, 2, v9
	ds_store_b32 v9, v7
.LBB635_177:
	s_or_b32 exec_lo, exec_lo, s0
	v_and_b32_e32 v7, 1, v42
	s_mov_b32 s0, exec_lo
	s_delay_alu instid0(VALU_DEP_1)
	v_cmpx_eq_u32_e32 1, v7
	s_cbranch_execz .LBB635_179
; %bb.178:
	v_sub_nc_u32_e32 v7, v35, v20
	s_delay_alu instid0(VALU_DEP_1)
	v_lshlrev_b32_e32 v7, 2, v7
	ds_store_b32 v7, v8
.LBB635_179:
	s_or_b32 exec_lo, exec_lo, s0
	v_and_b32_e32 v7, 1, v41
	s_mov_b32 s0, exec_lo
	s_delay_alu instid0(VALU_DEP_1)
	;; [unrolled: 12-line block ×7, first 2 shown]
	v_cmpx_eq_u32_e32 1, v1
	s_cbranch_execz .LBB635_191
; %bb.190:
	v_sub_nc_u32_e32 v1, v23, v20
	s_delay_alu instid0(VALU_DEP_1)
	v_lshlrev_b32_e32 v1, 2, v1
	ds_store_b32 v1, v2
.LBB635_191:
	s_or_b32 exec_lo, exec_lo, s0
	s_delay_alu instid0(SALU_CYCLE_1)
	s_mov_b32 s1, exec_lo
	s_waitcnt lgkmcnt(0)
	s_waitcnt_vscnt null, 0x0
	s_barrier
	buffer_gl0_inv
	v_cmpx_lt_u32_e64 v0, v19
	s_cbranch_execz .LBB635_194
; %bb.192:
	v_dual_mov_b32 v2, 0 :: v_dual_mov_b32 v1, v20
	s_lshl_b64 s[2:3], s[10:11], 2
	v_lshlrev_b32_e32 v3, 2, v0
	s_add_u32 s0, s6, s2
	s_addc_u32 s2, s7, s3
	v_lshlrev_b64 v[4:5], 2, v[1:2]
	v_mov_b32_e32 v1, v0
	s_delay_alu instid0(VALU_DEP_2) | instskip(NEXT) | instid1(VALU_DEP_3)
	v_add_co_u32 v4, vcc_lo, s0, v4
	v_add_co_ci_u32_e32 v5, vcc_lo, s2, v5, vcc_lo
	s_mov_b32 s2, 0
	.p2align	6
.LBB635_193:                            ; =>This Inner Loop Header: Depth=1
	ds_load_b32 v8, v3
	v_lshlrev_b64 v[6:7], 2, v[1:2]
	v_add_nc_u32_e32 v1, 0x180, v1
	v_add_nc_u32_e32 v3, 0x600, v3
	s_delay_alu instid0(VALU_DEP_2) | instskip(NEXT) | instid1(VALU_DEP_4)
	v_cmp_ge_u32_e32 vcc_lo, v1, v19
	v_add_co_u32 v6, s0, v4, v6
	s_delay_alu instid0(VALU_DEP_1)
	v_add_co_ci_u32_e64 v7, s0, v5, v7, s0
	s_or_b32 s2, vcc_lo, s2
	s_waitcnt lgkmcnt(0)
	global_store_b32 v[6:7], v8, off
	s_and_not1_b32 exec_lo, exec_lo, s2
	s_cbranch_execnz .LBB635_193
.LBB635_194:
	s_or_b32 exec_lo, exec_lo, s1
	v_cmp_eq_u32_e32 vcc_lo, 0, v0
	s_and_b32 s0, vcc_lo, s14
	s_delay_alu instid0(SALU_CYCLE_1)
	s_and_saveexec_b32 s1, s0
	s_cbranch_execnz .LBB635_173
.LBB635_195:
	s_nop 0
	s_sendmsg sendmsg(MSG_DEALLOC_VGPRS)
	s_endpgm
	.section	.rodata,"a",@progbits
	.p2align	6, 0x0
	.amdhsa_kernel _ZN7rocprim17ROCPRIM_400000_NS6detail17trampoline_kernelINS0_14default_configENS1_25partition_config_selectorILNS1_17partition_subalgoE9EijbEEZZNS1_14partition_implILS5_9ELb0ES3_jN6thrust23THRUST_200600_302600_NS6detail15normal_iteratorINS9_10device_ptrIiEEEENSB_INSC_IjEEEEPNS0_10empty_typeENS0_5tupleIJSE_SH_EEENSJ_IJSG_SI_EEENS0_18inequality_wrapperINS9_8equal_toIiEEEEPmJSH_EEE10hipError_tPvRmT3_T4_T5_T6_T7_T9_mT8_P12ihipStream_tbDpT10_ENKUlT_T0_E_clISt17integral_constantIbLb0EES1A_EEDaS15_S16_EUlS15_E_NS1_11comp_targetILNS1_3genE9ELNS1_11target_archE1100ELNS1_3gpuE3ELNS1_3repE0EEENS1_30default_config_static_selectorELNS0_4arch9wavefront6targetE0EEEvT1_
		.amdhsa_group_segment_fixed_size 12680
		.amdhsa_private_segment_fixed_size 0
		.amdhsa_kernarg_size 112
		.amdhsa_user_sgpr_count 15
		.amdhsa_user_sgpr_dispatch_ptr 0
		.amdhsa_user_sgpr_queue_ptr 0
		.amdhsa_user_sgpr_kernarg_segment_ptr 1
		.amdhsa_user_sgpr_dispatch_id 0
		.amdhsa_user_sgpr_private_segment_size 0
		.amdhsa_wavefront_size32 1
		.amdhsa_uses_dynamic_stack 0
		.amdhsa_enable_private_segment 0
		.amdhsa_system_sgpr_workgroup_id_x 1
		.amdhsa_system_sgpr_workgroup_id_y 0
		.amdhsa_system_sgpr_workgroup_id_z 0
		.amdhsa_system_sgpr_workgroup_info 0
		.amdhsa_system_vgpr_workitem_id 0
		.amdhsa_next_free_vgpr 51
		.amdhsa_next_free_sgpr 25
		.amdhsa_reserve_vcc 1
		.amdhsa_float_round_mode_32 0
		.amdhsa_float_round_mode_16_64 0
		.amdhsa_float_denorm_mode_32 3
		.amdhsa_float_denorm_mode_16_64 3
		.amdhsa_dx10_clamp 1
		.amdhsa_ieee_mode 1
		.amdhsa_fp16_overflow 0
		.amdhsa_workgroup_processor_mode 1
		.amdhsa_memory_ordered 1
		.amdhsa_forward_progress 0
		.amdhsa_shared_vgpr_count 0
		.amdhsa_exception_fp_ieee_invalid_op 0
		.amdhsa_exception_fp_denorm_src 0
		.amdhsa_exception_fp_ieee_div_zero 0
		.amdhsa_exception_fp_ieee_overflow 0
		.amdhsa_exception_fp_ieee_underflow 0
		.amdhsa_exception_fp_ieee_inexact 0
		.amdhsa_exception_int_div_zero 0
	.end_amdhsa_kernel
	.section	.text._ZN7rocprim17ROCPRIM_400000_NS6detail17trampoline_kernelINS0_14default_configENS1_25partition_config_selectorILNS1_17partition_subalgoE9EijbEEZZNS1_14partition_implILS5_9ELb0ES3_jN6thrust23THRUST_200600_302600_NS6detail15normal_iteratorINS9_10device_ptrIiEEEENSB_INSC_IjEEEEPNS0_10empty_typeENS0_5tupleIJSE_SH_EEENSJ_IJSG_SI_EEENS0_18inequality_wrapperINS9_8equal_toIiEEEEPmJSH_EEE10hipError_tPvRmT3_T4_T5_T6_T7_T9_mT8_P12ihipStream_tbDpT10_ENKUlT_T0_E_clISt17integral_constantIbLb0EES1A_EEDaS15_S16_EUlS15_E_NS1_11comp_targetILNS1_3genE9ELNS1_11target_archE1100ELNS1_3gpuE3ELNS1_3repE0EEENS1_30default_config_static_selectorELNS0_4arch9wavefront6targetE0EEEvT1_,"axG",@progbits,_ZN7rocprim17ROCPRIM_400000_NS6detail17trampoline_kernelINS0_14default_configENS1_25partition_config_selectorILNS1_17partition_subalgoE9EijbEEZZNS1_14partition_implILS5_9ELb0ES3_jN6thrust23THRUST_200600_302600_NS6detail15normal_iteratorINS9_10device_ptrIiEEEENSB_INSC_IjEEEEPNS0_10empty_typeENS0_5tupleIJSE_SH_EEENSJ_IJSG_SI_EEENS0_18inequality_wrapperINS9_8equal_toIiEEEEPmJSH_EEE10hipError_tPvRmT3_T4_T5_T6_T7_T9_mT8_P12ihipStream_tbDpT10_ENKUlT_T0_E_clISt17integral_constantIbLb0EES1A_EEDaS15_S16_EUlS15_E_NS1_11comp_targetILNS1_3genE9ELNS1_11target_archE1100ELNS1_3gpuE3ELNS1_3repE0EEENS1_30default_config_static_selectorELNS0_4arch9wavefront6targetE0EEEvT1_,comdat
.Lfunc_end635:
	.size	_ZN7rocprim17ROCPRIM_400000_NS6detail17trampoline_kernelINS0_14default_configENS1_25partition_config_selectorILNS1_17partition_subalgoE9EijbEEZZNS1_14partition_implILS5_9ELb0ES3_jN6thrust23THRUST_200600_302600_NS6detail15normal_iteratorINS9_10device_ptrIiEEEENSB_INSC_IjEEEEPNS0_10empty_typeENS0_5tupleIJSE_SH_EEENSJ_IJSG_SI_EEENS0_18inequality_wrapperINS9_8equal_toIiEEEEPmJSH_EEE10hipError_tPvRmT3_T4_T5_T6_T7_T9_mT8_P12ihipStream_tbDpT10_ENKUlT_T0_E_clISt17integral_constantIbLb0EES1A_EEDaS15_S16_EUlS15_E_NS1_11comp_targetILNS1_3genE9ELNS1_11target_archE1100ELNS1_3gpuE3ELNS1_3repE0EEENS1_30default_config_static_selectorELNS0_4arch9wavefront6targetE0EEEvT1_, .Lfunc_end635-_ZN7rocprim17ROCPRIM_400000_NS6detail17trampoline_kernelINS0_14default_configENS1_25partition_config_selectorILNS1_17partition_subalgoE9EijbEEZZNS1_14partition_implILS5_9ELb0ES3_jN6thrust23THRUST_200600_302600_NS6detail15normal_iteratorINS9_10device_ptrIiEEEENSB_INSC_IjEEEEPNS0_10empty_typeENS0_5tupleIJSE_SH_EEENSJ_IJSG_SI_EEENS0_18inequality_wrapperINS9_8equal_toIiEEEEPmJSH_EEE10hipError_tPvRmT3_T4_T5_T6_T7_T9_mT8_P12ihipStream_tbDpT10_ENKUlT_T0_E_clISt17integral_constantIbLb0EES1A_EEDaS15_S16_EUlS15_E_NS1_11comp_targetILNS1_3genE9ELNS1_11target_archE1100ELNS1_3gpuE3ELNS1_3repE0EEENS1_30default_config_static_selectorELNS0_4arch9wavefront6targetE0EEEvT1_
                                        ; -- End function
	.section	.AMDGPU.csdata,"",@progbits
; Kernel info:
; codeLenInByte = 9220
; NumSgprs: 27
; NumVgprs: 51
; ScratchSize: 0
; MemoryBound: 0
; FloatMode: 240
; IeeeMode: 1
; LDSByteSize: 12680 bytes/workgroup (compile time only)
; SGPRBlocks: 3
; VGPRBlocks: 6
; NumSGPRsForWavesPerEU: 27
; NumVGPRsForWavesPerEU: 51
; Occupancy: 15
; WaveLimiterHint : 1
; COMPUTE_PGM_RSRC2:SCRATCH_EN: 0
; COMPUTE_PGM_RSRC2:USER_SGPR: 15
; COMPUTE_PGM_RSRC2:TRAP_HANDLER: 0
; COMPUTE_PGM_RSRC2:TGID_X_EN: 1
; COMPUTE_PGM_RSRC2:TGID_Y_EN: 0
; COMPUTE_PGM_RSRC2:TGID_Z_EN: 0
; COMPUTE_PGM_RSRC2:TIDIG_COMP_CNT: 0
	.section	.text._ZN7rocprim17ROCPRIM_400000_NS6detail17trampoline_kernelINS0_14default_configENS1_25partition_config_selectorILNS1_17partition_subalgoE9EijbEEZZNS1_14partition_implILS5_9ELb0ES3_jN6thrust23THRUST_200600_302600_NS6detail15normal_iteratorINS9_10device_ptrIiEEEENSB_INSC_IjEEEEPNS0_10empty_typeENS0_5tupleIJSE_SH_EEENSJ_IJSG_SI_EEENS0_18inequality_wrapperINS9_8equal_toIiEEEEPmJSH_EEE10hipError_tPvRmT3_T4_T5_T6_T7_T9_mT8_P12ihipStream_tbDpT10_ENKUlT_T0_E_clISt17integral_constantIbLb0EES1A_EEDaS15_S16_EUlS15_E_NS1_11comp_targetILNS1_3genE8ELNS1_11target_archE1030ELNS1_3gpuE2ELNS1_3repE0EEENS1_30default_config_static_selectorELNS0_4arch9wavefront6targetE0EEEvT1_,"axG",@progbits,_ZN7rocprim17ROCPRIM_400000_NS6detail17trampoline_kernelINS0_14default_configENS1_25partition_config_selectorILNS1_17partition_subalgoE9EijbEEZZNS1_14partition_implILS5_9ELb0ES3_jN6thrust23THRUST_200600_302600_NS6detail15normal_iteratorINS9_10device_ptrIiEEEENSB_INSC_IjEEEEPNS0_10empty_typeENS0_5tupleIJSE_SH_EEENSJ_IJSG_SI_EEENS0_18inequality_wrapperINS9_8equal_toIiEEEEPmJSH_EEE10hipError_tPvRmT3_T4_T5_T6_T7_T9_mT8_P12ihipStream_tbDpT10_ENKUlT_T0_E_clISt17integral_constantIbLb0EES1A_EEDaS15_S16_EUlS15_E_NS1_11comp_targetILNS1_3genE8ELNS1_11target_archE1030ELNS1_3gpuE2ELNS1_3repE0EEENS1_30default_config_static_selectorELNS0_4arch9wavefront6targetE0EEEvT1_,comdat
	.protected	_ZN7rocprim17ROCPRIM_400000_NS6detail17trampoline_kernelINS0_14default_configENS1_25partition_config_selectorILNS1_17partition_subalgoE9EijbEEZZNS1_14partition_implILS5_9ELb0ES3_jN6thrust23THRUST_200600_302600_NS6detail15normal_iteratorINS9_10device_ptrIiEEEENSB_INSC_IjEEEEPNS0_10empty_typeENS0_5tupleIJSE_SH_EEENSJ_IJSG_SI_EEENS0_18inequality_wrapperINS9_8equal_toIiEEEEPmJSH_EEE10hipError_tPvRmT3_T4_T5_T6_T7_T9_mT8_P12ihipStream_tbDpT10_ENKUlT_T0_E_clISt17integral_constantIbLb0EES1A_EEDaS15_S16_EUlS15_E_NS1_11comp_targetILNS1_3genE8ELNS1_11target_archE1030ELNS1_3gpuE2ELNS1_3repE0EEENS1_30default_config_static_selectorELNS0_4arch9wavefront6targetE0EEEvT1_ ; -- Begin function _ZN7rocprim17ROCPRIM_400000_NS6detail17trampoline_kernelINS0_14default_configENS1_25partition_config_selectorILNS1_17partition_subalgoE9EijbEEZZNS1_14partition_implILS5_9ELb0ES3_jN6thrust23THRUST_200600_302600_NS6detail15normal_iteratorINS9_10device_ptrIiEEEENSB_INSC_IjEEEEPNS0_10empty_typeENS0_5tupleIJSE_SH_EEENSJ_IJSG_SI_EEENS0_18inequality_wrapperINS9_8equal_toIiEEEEPmJSH_EEE10hipError_tPvRmT3_T4_T5_T6_T7_T9_mT8_P12ihipStream_tbDpT10_ENKUlT_T0_E_clISt17integral_constantIbLb0EES1A_EEDaS15_S16_EUlS15_E_NS1_11comp_targetILNS1_3genE8ELNS1_11target_archE1030ELNS1_3gpuE2ELNS1_3repE0EEENS1_30default_config_static_selectorELNS0_4arch9wavefront6targetE0EEEvT1_
	.globl	_ZN7rocprim17ROCPRIM_400000_NS6detail17trampoline_kernelINS0_14default_configENS1_25partition_config_selectorILNS1_17partition_subalgoE9EijbEEZZNS1_14partition_implILS5_9ELb0ES3_jN6thrust23THRUST_200600_302600_NS6detail15normal_iteratorINS9_10device_ptrIiEEEENSB_INSC_IjEEEEPNS0_10empty_typeENS0_5tupleIJSE_SH_EEENSJ_IJSG_SI_EEENS0_18inequality_wrapperINS9_8equal_toIiEEEEPmJSH_EEE10hipError_tPvRmT3_T4_T5_T6_T7_T9_mT8_P12ihipStream_tbDpT10_ENKUlT_T0_E_clISt17integral_constantIbLb0EES1A_EEDaS15_S16_EUlS15_E_NS1_11comp_targetILNS1_3genE8ELNS1_11target_archE1030ELNS1_3gpuE2ELNS1_3repE0EEENS1_30default_config_static_selectorELNS0_4arch9wavefront6targetE0EEEvT1_
	.p2align	8
	.type	_ZN7rocprim17ROCPRIM_400000_NS6detail17trampoline_kernelINS0_14default_configENS1_25partition_config_selectorILNS1_17partition_subalgoE9EijbEEZZNS1_14partition_implILS5_9ELb0ES3_jN6thrust23THRUST_200600_302600_NS6detail15normal_iteratorINS9_10device_ptrIiEEEENSB_INSC_IjEEEEPNS0_10empty_typeENS0_5tupleIJSE_SH_EEENSJ_IJSG_SI_EEENS0_18inequality_wrapperINS9_8equal_toIiEEEEPmJSH_EEE10hipError_tPvRmT3_T4_T5_T6_T7_T9_mT8_P12ihipStream_tbDpT10_ENKUlT_T0_E_clISt17integral_constantIbLb0EES1A_EEDaS15_S16_EUlS15_E_NS1_11comp_targetILNS1_3genE8ELNS1_11target_archE1030ELNS1_3gpuE2ELNS1_3repE0EEENS1_30default_config_static_selectorELNS0_4arch9wavefront6targetE0EEEvT1_,@function
_ZN7rocprim17ROCPRIM_400000_NS6detail17trampoline_kernelINS0_14default_configENS1_25partition_config_selectorILNS1_17partition_subalgoE9EijbEEZZNS1_14partition_implILS5_9ELb0ES3_jN6thrust23THRUST_200600_302600_NS6detail15normal_iteratorINS9_10device_ptrIiEEEENSB_INSC_IjEEEEPNS0_10empty_typeENS0_5tupleIJSE_SH_EEENSJ_IJSG_SI_EEENS0_18inequality_wrapperINS9_8equal_toIiEEEEPmJSH_EEE10hipError_tPvRmT3_T4_T5_T6_T7_T9_mT8_P12ihipStream_tbDpT10_ENKUlT_T0_E_clISt17integral_constantIbLb0EES1A_EEDaS15_S16_EUlS15_E_NS1_11comp_targetILNS1_3genE8ELNS1_11target_archE1030ELNS1_3gpuE2ELNS1_3repE0EEENS1_30default_config_static_selectorELNS0_4arch9wavefront6targetE0EEEvT1_: ; @_ZN7rocprim17ROCPRIM_400000_NS6detail17trampoline_kernelINS0_14default_configENS1_25partition_config_selectorILNS1_17partition_subalgoE9EijbEEZZNS1_14partition_implILS5_9ELb0ES3_jN6thrust23THRUST_200600_302600_NS6detail15normal_iteratorINS9_10device_ptrIiEEEENSB_INSC_IjEEEEPNS0_10empty_typeENS0_5tupleIJSE_SH_EEENSJ_IJSG_SI_EEENS0_18inequality_wrapperINS9_8equal_toIiEEEEPmJSH_EEE10hipError_tPvRmT3_T4_T5_T6_T7_T9_mT8_P12ihipStream_tbDpT10_ENKUlT_T0_E_clISt17integral_constantIbLb0EES1A_EEDaS15_S16_EUlS15_E_NS1_11comp_targetILNS1_3genE8ELNS1_11target_archE1030ELNS1_3gpuE2ELNS1_3repE0EEENS1_30default_config_static_selectorELNS0_4arch9wavefront6targetE0EEEvT1_
; %bb.0:
	.section	.rodata,"a",@progbits
	.p2align	6, 0x0
	.amdhsa_kernel _ZN7rocprim17ROCPRIM_400000_NS6detail17trampoline_kernelINS0_14default_configENS1_25partition_config_selectorILNS1_17partition_subalgoE9EijbEEZZNS1_14partition_implILS5_9ELb0ES3_jN6thrust23THRUST_200600_302600_NS6detail15normal_iteratorINS9_10device_ptrIiEEEENSB_INSC_IjEEEEPNS0_10empty_typeENS0_5tupleIJSE_SH_EEENSJ_IJSG_SI_EEENS0_18inequality_wrapperINS9_8equal_toIiEEEEPmJSH_EEE10hipError_tPvRmT3_T4_T5_T6_T7_T9_mT8_P12ihipStream_tbDpT10_ENKUlT_T0_E_clISt17integral_constantIbLb0EES1A_EEDaS15_S16_EUlS15_E_NS1_11comp_targetILNS1_3genE8ELNS1_11target_archE1030ELNS1_3gpuE2ELNS1_3repE0EEENS1_30default_config_static_selectorELNS0_4arch9wavefront6targetE0EEEvT1_
		.amdhsa_group_segment_fixed_size 0
		.amdhsa_private_segment_fixed_size 0
		.amdhsa_kernarg_size 112
		.amdhsa_user_sgpr_count 15
		.amdhsa_user_sgpr_dispatch_ptr 0
		.amdhsa_user_sgpr_queue_ptr 0
		.amdhsa_user_sgpr_kernarg_segment_ptr 1
		.amdhsa_user_sgpr_dispatch_id 0
		.amdhsa_user_sgpr_private_segment_size 0
		.amdhsa_wavefront_size32 1
		.amdhsa_uses_dynamic_stack 0
		.amdhsa_enable_private_segment 0
		.amdhsa_system_sgpr_workgroup_id_x 1
		.amdhsa_system_sgpr_workgroup_id_y 0
		.amdhsa_system_sgpr_workgroup_id_z 0
		.amdhsa_system_sgpr_workgroup_info 0
		.amdhsa_system_vgpr_workitem_id 0
		.amdhsa_next_free_vgpr 1
		.amdhsa_next_free_sgpr 1
		.amdhsa_reserve_vcc 0
		.amdhsa_float_round_mode_32 0
		.amdhsa_float_round_mode_16_64 0
		.amdhsa_float_denorm_mode_32 3
		.amdhsa_float_denorm_mode_16_64 3
		.amdhsa_dx10_clamp 1
		.amdhsa_ieee_mode 1
		.amdhsa_fp16_overflow 0
		.amdhsa_workgroup_processor_mode 1
		.amdhsa_memory_ordered 1
		.amdhsa_forward_progress 0
		.amdhsa_shared_vgpr_count 0
		.amdhsa_exception_fp_ieee_invalid_op 0
		.amdhsa_exception_fp_denorm_src 0
		.amdhsa_exception_fp_ieee_div_zero 0
		.amdhsa_exception_fp_ieee_overflow 0
		.amdhsa_exception_fp_ieee_underflow 0
		.amdhsa_exception_fp_ieee_inexact 0
		.amdhsa_exception_int_div_zero 0
	.end_amdhsa_kernel
	.section	.text._ZN7rocprim17ROCPRIM_400000_NS6detail17trampoline_kernelINS0_14default_configENS1_25partition_config_selectorILNS1_17partition_subalgoE9EijbEEZZNS1_14partition_implILS5_9ELb0ES3_jN6thrust23THRUST_200600_302600_NS6detail15normal_iteratorINS9_10device_ptrIiEEEENSB_INSC_IjEEEEPNS0_10empty_typeENS0_5tupleIJSE_SH_EEENSJ_IJSG_SI_EEENS0_18inequality_wrapperINS9_8equal_toIiEEEEPmJSH_EEE10hipError_tPvRmT3_T4_T5_T6_T7_T9_mT8_P12ihipStream_tbDpT10_ENKUlT_T0_E_clISt17integral_constantIbLb0EES1A_EEDaS15_S16_EUlS15_E_NS1_11comp_targetILNS1_3genE8ELNS1_11target_archE1030ELNS1_3gpuE2ELNS1_3repE0EEENS1_30default_config_static_selectorELNS0_4arch9wavefront6targetE0EEEvT1_,"axG",@progbits,_ZN7rocprim17ROCPRIM_400000_NS6detail17trampoline_kernelINS0_14default_configENS1_25partition_config_selectorILNS1_17partition_subalgoE9EijbEEZZNS1_14partition_implILS5_9ELb0ES3_jN6thrust23THRUST_200600_302600_NS6detail15normal_iteratorINS9_10device_ptrIiEEEENSB_INSC_IjEEEEPNS0_10empty_typeENS0_5tupleIJSE_SH_EEENSJ_IJSG_SI_EEENS0_18inequality_wrapperINS9_8equal_toIiEEEEPmJSH_EEE10hipError_tPvRmT3_T4_T5_T6_T7_T9_mT8_P12ihipStream_tbDpT10_ENKUlT_T0_E_clISt17integral_constantIbLb0EES1A_EEDaS15_S16_EUlS15_E_NS1_11comp_targetILNS1_3genE8ELNS1_11target_archE1030ELNS1_3gpuE2ELNS1_3repE0EEENS1_30default_config_static_selectorELNS0_4arch9wavefront6targetE0EEEvT1_,comdat
.Lfunc_end636:
	.size	_ZN7rocprim17ROCPRIM_400000_NS6detail17trampoline_kernelINS0_14default_configENS1_25partition_config_selectorILNS1_17partition_subalgoE9EijbEEZZNS1_14partition_implILS5_9ELb0ES3_jN6thrust23THRUST_200600_302600_NS6detail15normal_iteratorINS9_10device_ptrIiEEEENSB_INSC_IjEEEEPNS0_10empty_typeENS0_5tupleIJSE_SH_EEENSJ_IJSG_SI_EEENS0_18inequality_wrapperINS9_8equal_toIiEEEEPmJSH_EEE10hipError_tPvRmT3_T4_T5_T6_T7_T9_mT8_P12ihipStream_tbDpT10_ENKUlT_T0_E_clISt17integral_constantIbLb0EES1A_EEDaS15_S16_EUlS15_E_NS1_11comp_targetILNS1_3genE8ELNS1_11target_archE1030ELNS1_3gpuE2ELNS1_3repE0EEENS1_30default_config_static_selectorELNS0_4arch9wavefront6targetE0EEEvT1_, .Lfunc_end636-_ZN7rocprim17ROCPRIM_400000_NS6detail17trampoline_kernelINS0_14default_configENS1_25partition_config_selectorILNS1_17partition_subalgoE9EijbEEZZNS1_14partition_implILS5_9ELb0ES3_jN6thrust23THRUST_200600_302600_NS6detail15normal_iteratorINS9_10device_ptrIiEEEENSB_INSC_IjEEEEPNS0_10empty_typeENS0_5tupleIJSE_SH_EEENSJ_IJSG_SI_EEENS0_18inequality_wrapperINS9_8equal_toIiEEEEPmJSH_EEE10hipError_tPvRmT3_T4_T5_T6_T7_T9_mT8_P12ihipStream_tbDpT10_ENKUlT_T0_E_clISt17integral_constantIbLb0EES1A_EEDaS15_S16_EUlS15_E_NS1_11comp_targetILNS1_3genE8ELNS1_11target_archE1030ELNS1_3gpuE2ELNS1_3repE0EEENS1_30default_config_static_selectorELNS0_4arch9wavefront6targetE0EEEvT1_
                                        ; -- End function
	.section	.AMDGPU.csdata,"",@progbits
; Kernel info:
; codeLenInByte = 0
; NumSgprs: 0
; NumVgprs: 0
; ScratchSize: 0
; MemoryBound: 0
; FloatMode: 240
; IeeeMode: 1
; LDSByteSize: 0 bytes/workgroup (compile time only)
; SGPRBlocks: 0
; VGPRBlocks: 0
; NumSGPRsForWavesPerEU: 1
; NumVGPRsForWavesPerEU: 1
; Occupancy: 16
; WaveLimiterHint : 0
; COMPUTE_PGM_RSRC2:SCRATCH_EN: 0
; COMPUTE_PGM_RSRC2:USER_SGPR: 15
; COMPUTE_PGM_RSRC2:TRAP_HANDLER: 0
; COMPUTE_PGM_RSRC2:TGID_X_EN: 1
; COMPUTE_PGM_RSRC2:TGID_Y_EN: 0
; COMPUTE_PGM_RSRC2:TGID_Z_EN: 0
; COMPUTE_PGM_RSRC2:TIDIG_COMP_CNT: 0
	.section	.text._ZN7rocprim17ROCPRIM_400000_NS6detail17trampoline_kernelINS0_14default_configENS1_25partition_config_selectorILNS1_17partition_subalgoE9EijbEEZZNS1_14partition_implILS5_9ELb0ES3_jN6thrust23THRUST_200600_302600_NS6detail15normal_iteratorINS9_10device_ptrIiEEEENSB_INSC_IjEEEEPNS0_10empty_typeENS0_5tupleIJSE_SH_EEENSJ_IJSG_SI_EEENS0_18inequality_wrapperINS9_8equal_toIiEEEEPmJSH_EEE10hipError_tPvRmT3_T4_T5_T6_T7_T9_mT8_P12ihipStream_tbDpT10_ENKUlT_T0_E_clISt17integral_constantIbLb1EES1A_EEDaS15_S16_EUlS15_E_NS1_11comp_targetILNS1_3genE0ELNS1_11target_archE4294967295ELNS1_3gpuE0ELNS1_3repE0EEENS1_30default_config_static_selectorELNS0_4arch9wavefront6targetE0EEEvT1_,"axG",@progbits,_ZN7rocprim17ROCPRIM_400000_NS6detail17trampoline_kernelINS0_14default_configENS1_25partition_config_selectorILNS1_17partition_subalgoE9EijbEEZZNS1_14partition_implILS5_9ELb0ES3_jN6thrust23THRUST_200600_302600_NS6detail15normal_iteratorINS9_10device_ptrIiEEEENSB_INSC_IjEEEEPNS0_10empty_typeENS0_5tupleIJSE_SH_EEENSJ_IJSG_SI_EEENS0_18inequality_wrapperINS9_8equal_toIiEEEEPmJSH_EEE10hipError_tPvRmT3_T4_T5_T6_T7_T9_mT8_P12ihipStream_tbDpT10_ENKUlT_T0_E_clISt17integral_constantIbLb1EES1A_EEDaS15_S16_EUlS15_E_NS1_11comp_targetILNS1_3genE0ELNS1_11target_archE4294967295ELNS1_3gpuE0ELNS1_3repE0EEENS1_30default_config_static_selectorELNS0_4arch9wavefront6targetE0EEEvT1_,comdat
	.protected	_ZN7rocprim17ROCPRIM_400000_NS6detail17trampoline_kernelINS0_14default_configENS1_25partition_config_selectorILNS1_17partition_subalgoE9EijbEEZZNS1_14partition_implILS5_9ELb0ES3_jN6thrust23THRUST_200600_302600_NS6detail15normal_iteratorINS9_10device_ptrIiEEEENSB_INSC_IjEEEEPNS0_10empty_typeENS0_5tupleIJSE_SH_EEENSJ_IJSG_SI_EEENS0_18inequality_wrapperINS9_8equal_toIiEEEEPmJSH_EEE10hipError_tPvRmT3_T4_T5_T6_T7_T9_mT8_P12ihipStream_tbDpT10_ENKUlT_T0_E_clISt17integral_constantIbLb1EES1A_EEDaS15_S16_EUlS15_E_NS1_11comp_targetILNS1_3genE0ELNS1_11target_archE4294967295ELNS1_3gpuE0ELNS1_3repE0EEENS1_30default_config_static_selectorELNS0_4arch9wavefront6targetE0EEEvT1_ ; -- Begin function _ZN7rocprim17ROCPRIM_400000_NS6detail17trampoline_kernelINS0_14default_configENS1_25partition_config_selectorILNS1_17partition_subalgoE9EijbEEZZNS1_14partition_implILS5_9ELb0ES3_jN6thrust23THRUST_200600_302600_NS6detail15normal_iteratorINS9_10device_ptrIiEEEENSB_INSC_IjEEEEPNS0_10empty_typeENS0_5tupleIJSE_SH_EEENSJ_IJSG_SI_EEENS0_18inequality_wrapperINS9_8equal_toIiEEEEPmJSH_EEE10hipError_tPvRmT3_T4_T5_T6_T7_T9_mT8_P12ihipStream_tbDpT10_ENKUlT_T0_E_clISt17integral_constantIbLb1EES1A_EEDaS15_S16_EUlS15_E_NS1_11comp_targetILNS1_3genE0ELNS1_11target_archE4294967295ELNS1_3gpuE0ELNS1_3repE0EEENS1_30default_config_static_selectorELNS0_4arch9wavefront6targetE0EEEvT1_
	.globl	_ZN7rocprim17ROCPRIM_400000_NS6detail17trampoline_kernelINS0_14default_configENS1_25partition_config_selectorILNS1_17partition_subalgoE9EijbEEZZNS1_14partition_implILS5_9ELb0ES3_jN6thrust23THRUST_200600_302600_NS6detail15normal_iteratorINS9_10device_ptrIiEEEENSB_INSC_IjEEEEPNS0_10empty_typeENS0_5tupleIJSE_SH_EEENSJ_IJSG_SI_EEENS0_18inequality_wrapperINS9_8equal_toIiEEEEPmJSH_EEE10hipError_tPvRmT3_T4_T5_T6_T7_T9_mT8_P12ihipStream_tbDpT10_ENKUlT_T0_E_clISt17integral_constantIbLb1EES1A_EEDaS15_S16_EUlS15_E_NS1_11comp_targetILNS1_3genE0ELNS1_11target_archE4294967295ELNS1_3gpuE0ELNS1_3repE0EEENS1_30default_config_static_selectorELNS0_4arch9wavefront6targetE0EEEvT1_
	.p2align	8
	.type	_ZN7rocprim17ROCPRIM_400000_NS6detail17trampoline_kernelINS0_14default_configENS1_25partition_config_selectorILNS1_17partition_subalgoE9EijbEEZZNS1_14partition_implILS5_9ELb0ES3_jN6thrust23THRUST_200600_302600_NS6detail15normal_iteratorINS9_10device_ptrIiEEEENSB_INSC_IjEEEEPNS0_10empty_typeENS0_5tupleIJSE_SH_EEENSJ_IJSG_SI_EEENS0_18inequality_wrapperINS9_8equal_toIiEEEEPmJSH_EEE10hipError_tPvRmT3_T4_T5_T6_T7_T9_mT8_P12ihipStream_tbDpT10_ENKUlT_T0_E_clISt17integral_constantIbLb1EES1A_EEDaS15_S16_EUlS15_E_NS1_11comp_targetILNS1_3genE0ELNS1_11target_archE4294967295ELNS1_3gpuE0ELNS1_3repE0EEENS1_30default_config_static_selectorELNS0_4arch9wavefront6targetE0EEEvT1_,@function
_ZN7rocprim17ROCPRIM_400000_NS6detail17trampoline_kernelINS0_14default_configENS1_25partition_config_selectorILNS1_17partition_subalgoE9EijbEEZZNS1_14partition_implILS5_9ELb0ES3_jN6thrust23THRUST_200600_302600_NS6detail15normal_iteratorINS9_10device_ptrIiEEEENSB_INSC_IjEEEEPNS0_10empty_typeENS0_5tupleIJSE_SH_EEENSJ_IJSG_SI_EEENS0_18inequality_wrapperINS9_8equal_toIiEEEEPmJSH_EEE10hipError_tPvRmT3_T4_T5_T6_T7_T9_mT8_P12ihipStream_tbDpT10_ENKUlT_T0_E_clISt17integral_constantIbLb1EES1A_EEDaS15_S16_EUlS15_E_NS1_11comp_targetILNS1_3genE0ELNS1_11target_archE4294967295ELNS1_3gpuE0ELNS1_3repE0EEENS1_30default_config_static_selectorELNS0_4arch9wavefront6targetE0EEEvT1_: ; @_ZN7rocprim17ROCPRIM_400000_NS6detail17trampoline_kernelINS0_14default_configENS1_25partition_config_selectorILNS1_17partition_subalgoE9EijbEEZZNS1_14partition_implILS5_9ELb0ES3_jN6thrust23THRUST_200600_302600_NS6detail15normal_iteratorINS9_10device_ptrIiEEEENSB_INSC_IjEEEEPNS0_10empty_typeENS0_5tupleIJSE_SH_EEENSJ_IJSG_SI_EEENS0_18inequality_wrapperINS9_8equal_toIiEEEEPmJSH_EEE10hipError_tPvRmT3_T4_T5_T6_T7_T9_mT8_P12ihipStream_tbDpT10_ENKUlT_T0_E_clISt17integral_constantIbLb1EES1A_EEDaS15_S16_EUlS15_E_NS1_11comp_targetILNS1_3genE0ELNS1_11target_archE4294967295ELNS1_3gpuE0ELNS1_3repE0EEENS1_30default_config_static_selectorELNS0_4arch9wavefront6targetE0EEEvT1_
; %bb.0:
	.section	.rodata,"a",@progbits
	.p2align	6, 0x0
	.amdhsa_kernel _ZN7rocprim17ROCPRIM_400000_NS6detail17trampoline_kernelINS0_14default_configENS1_25partition_config_selectorILNS1_17partition_subalgoE9EijbEEZZNS1_14partition_implILS5_9ELb0ES3_jN6thrust23THRUST_200600_302600_NS6detail15normal_iteratorINS9_10device_ptrIiEEEENSB_INSC_IjEEEEPNS0_10empty_typeENS0_5tupleIJSE_SH_EEENSJ_IJSG_SI_EEENS0_18inequality_wrapperINS9_8equal_toIiEEEEPmJSH_EEE10hipError_tPvRmT3_T4_T5_T6_T7_T9_mT8_P12ihipStream_tbDpT10_ENKUlT_T0_E_clISt17integral_constantIbLb1EES1A_EEDaS15_S16_EUlS15_E_NS1_11comp_targetILNS1_3genE0ELNS1_11target_archE4294967295ELNS1_3gpuE0ELNS1_3repE0EEENS1_30default_config_static_selectorELNS0_4arch9wavefront6targetE0EEEvT1_
		.amdhsa_group_segment_fixed_size 0
		.amdhsa_private_segment_fixed_size 0
		.amdhsa_kernarg_size 128
		.amdhsa_user_sgpr_count 15
		.amdhsa_user_sgpr_dispatch_ptr 0
		.amdhsa_user_sgpr_queue_ptr 0
		.amdhsa_user_sgpr_kernarg_segment_ptr 1
		.amdhsa_user_sgpr_dispatch_id 0
		.amdhsa_user_sgpr_private_segment_size 0
		.amdhsa_wavefront_size32 1
		.amdhsa_uses_dynamic_stack 0
		.amdhsa_enable_private_segment 0
		.amdhsa_system_sgpr_workgroup_id_x 1
		.amdhsa_system_sgpr_workgroup_id_y 0
		.amdhsa_system_sgpr_workgroup_id_z 0
		.amdhsa_system_sgpr_workgroup_info 0
		.amdhsa_system_vgpr_workitem_id 0
		.amdhsa_next_free_vgpr 1
		.amdhsa_next_free_sgpr 1
		.amdhsa_reserve_vcc 0
		.amdhsa_float_round_mode_32 0
		.amdhsa_float_round_mode_16_64 0
		.amdhsa_float_denorm_mode_32 3
		.amdhsa_float_denorm_mode_16_64 3
		.amdhsa_dx10_clamp 1
		.amdhsa_ieee_mode 1
		.amdhsa_fp16_overflow 0
		.amdhsa_workgroup_processor_mode 1
		.amdhsa_memory_ordered 1
		.amdhsa_forward_progress 0
		.amdhsa_shared_vgpr_count 0
		.amdhsa_exception_fp_ieee_invalid_op 0
		.amdhsa_exception_fp_denorm_src 0
		.amdhsa_exception_fp_ieee_div_zero 0
		.amdhsa_exception_fp_ieee_overflow 0
		.amdhsa_exception_fp_ieee_underflow 0
		.amdhsa_exception_fp_ieee_inexact 0
		.amdhsa_exception_int_div_zero 0
	.end_amdhsa_kernel
	.section	.text._ZN7rocprim17ROCPRIM_400000_NS6detail17trampoline_kernelINS0_14default_configENS1_25partition_config_selectorILNS1_17partition_subalgoE9EijbEEZZNS1_14partition_implILS5_9ELb0ES3_jN6thrust23THRUST_200600_302600_NS6detail15normal_iteratorINS9_10device_ptrIiEEEENSB_INSC_IjEEEEPNS0_10empty_typeENS0_5tupleIJSE_SH_EEENSJ_IJSG_SI_EEENS0_18inequality_wrapperINS9_8equal_toIiEEEEPmJSH_EEE10hipError_tPvRmT3_T4_T5_T6_T7_T9_mT8_P12ihipStream_tbDpT10_ENKUlT_T0_E_clISt17integral_constantIbLb1EES1A_EEDaS15_S16_EUlS15_E_NS1_11comp_targetILNS1_3genE0ELNS1_11target_archE4294967295ELNS1_3gpuE0ELNS1_3repE0EEENS1_30default_config_static_selectorELNS0_4arch9wavefront6targetE0EEEvT1_,"axG",@progbits,_ZN7rocprim17ROCPRIM_400000_NS6detail17trampoline_kernelINS0_14default_configENS1_25partition_config_selectorILNS1_17partition_subalgoE9EijbEEZZNS1_14partition_implILS5_9ELb0ES3_jN6thrust23THRUST_200600_302600_NS6detail15normal_iteratorINS9_10device_ptrIiEEEENSB_INSC_IjEEEEPNS0_10empty_typeENS0_5tupleIJSE_SH_EEENSJ_IJSG_SI_EEENS0_18inequality_wrapperINS9_8equal_toIiEEEEPmJSH_EEE10hipError_tPvRmT3_T4_T5_T6_T7_T9_mT8_P12ihipStream_tbDpT10_ENKUlT_T0_E_clISt17integral_constantIbLb1EES1A_EEDaS15_S16_EUlS15_E_NS1_11comp_targetILNS1_3genE0ELNS1_11target_archE4294967295ELNS1_3gpuE0ELNS1_3repE0EEENS1_30default_config_static_selectorELNS0_4arch9wavefront6targetE0EEEvT1_,comdat
.Lfunc_end637:
	.size	_ZN7rocprim17ROCPRIM_400000_NS6detail17trampoline_kernelINS0_14default_configENS1_25partition_config_selectorILNS1_17partition_subalgoE9EijbEEZZNS1_14partition_implILS5_9ELb0ES3_jN6thrust23THRUST_200600_302600_NS6detail15normal_iteratorINS9_10device_ptrIiEEEENSB_INSC_IjEEEEPNS0_10empty_typeENS0_5tupleIJSE_SH_EEENSJ_IJSG_SI_EEENS0_18inequality_wrapperINS9_8equal_toIiEEEEPmJSH_EEE10hipError_tPvRmT3_T4_T5_T6_T7_T9_mT8_P12ihipStream_tbDpT10_ENKUlT_T0_E_clISt17integral_constantIbLb1EES1A_EEDaS15_S16_EUlS15_E_NS1_11comp_targetILNS1_3genE0ELNS1_11target_archE4294967295ELNS1_3gpuE0ELNS1_3repE0EEENS1_30default_config_static_selectorELNS0_4arch9wavefront6targetE0EEEvT1_, .Lfunc_end637-_ZN7rocprim17ROCPRIM_400000_NS6detail17trampoline_kernelINS0_14default_configENS1_25partition_config_selectorILNS1_17partition_subalgoE9EijbEEZZNS1_14partition_implILS5_9ELb0ES3_jN6thrust23THRUST_200600_302600_NS6detail15normal_iteratorINS9_10device_ptrIiEEEENSB_INSC_IjEEEEPNS0_10empty_typeENS0_5tupleIJSE_SH_EEENSJ_IJSG_SI_EEENS0_18inequality_wrapperINS9_8equal_toIiEEEEPmJSH_EEE10hipError_tPvRmT3_T4_T5_T6_T7_T9_mT8_P12ihipStream_tbDpT10_ENKUlT_T0_E_clISt17integral_constantIbLb1EES1A_EEDaS15_S16_EUlS15_E_NS1_11comp_targetILNS1_3genE0ELNS1_11target_archE4294967295ELNS1_3gpuE0ELNS1_3repE0EEENS1_30default_config_static_selectorELNS0_4arch9wavefront6targetE0EEEvT1_
                                        ; -- End function
	.section	.AMDGPU.csdata,"",@progbits
; Kernel info:
; codeLenInByte = 0
; NumSgprs: 0
; NumVgprs: 0
; ScratchSize: 0
; MemoryBound: 0
; FloatMode: 240
; IeeeMode: 1
; LDSByteSize: 0 bytes/workgroup (compile time only)
; SGPRBlocks: 0
; VGPRBlocks: 0
; NumSGPRsForWavesPerEU: 1
; NumVGPRsForWavesPerEU: 1
; Occupancy: 16
; WaveLimiterHint : 0
; COMPUTE_PGM_RSRC2:SCRATCH_EN: 0
; COMPUTE_PGM_RSRC2:USER_SGPR: 15
; COMPUTE_PGM_RSRC2:TRAP_HANDLER: 0
; COMPUTE_PGM_RSRC2:TGID_X_EN: 1
; COMPUTE_PGM_RSRC2:TGID_Y_EN: 0
; COMPUTE_PGM_RSRC2:TGID_Z_EN: 0
; COMPUTE_PGM_RSRC2:TIDIG_COMP_CNT: 0
	.section	.text._ZN7rocprim17ROCPRIM_400000_NS6detail17trampoline_kernelINS0_14default_configENS1_25partition_config_selectorILNS1_17partition_subalgoE9EijbEEZZNS1_14partition_implILS5_9ELb0ES3_jN6thrust23THRUST_200600_302600_NS6detail15normal_iteratorINS9_10device_ptrIiEEEENSB_INSC_IjEEEEPNS0_10empty_typeENS0_5tupleIJSE_SH_EEENSJ_IJSG_SI_EEENS0_18inequality_wrapperINS9_8equal_toIiEEEEPmJSH_EEE10hipError_tPvRmT3_T4_T5_T6_T7_T9_mT8_P12ihipStream_tbDpT10_ENKUlT_T0_E_clISt17integral_constantIbLb1EES1A_EEDaS15_S16_EUlS15_E_NS1_11comp_targetILNS1_3genE5ELNS1_11target_archE942ELNS1_3gpuE9ELNS1_3repE0EEENS1_30default_config_static_selectorELNS0_4arch9wavefront6targetE0EEEvT1_,"axG",@progbits,_ZN7rocprim17ROCPRIM_400000_NS6detail17trampoline_kernelINS0_14default_configENS1_25partition_config_selectorILNS1_17partition_subalgoE9EijbEEZZNS1_14partition_implILS5_9ELb0ES3_jN6thrust23THRUST_200600_302600_NS6detail15normal_iteratorINS9_10device_ptrIiEEEENSB_INSC_IjEEEEPNS0_10empty_typeENS0_5tupleIJSE_SH_EEENSJ_IJSG_SI_EEENS0_18inequality_wrapperINS9_8equal_toIiEEEEPmJSH_EEE10hipError_tPvRmT3_T4_T5_T6_T7_T9_mT8_P12ihipStream_tbDpT10_ENKUlT_T0_E_clISt17integral_constantIbLb1EES1A_EEDaS15_S16_EUlS15_E_NS1_11comp_targetILNS1_3genE5ELNS1_11target_archE942ELNS1_3gpuE9ELNS1_3repE0EEENS1_30default_config_static_selectorELNS0_4arch9wavefront6targetE0EEEvT1_,comdat
	.protected	_ZN7rocprim17ROCPRIM_400000_NS6detail17trampoline_kernelINS0_14default_configENS1_25partition_config_selectorILNS1_17partition_subalgoE9EijbEEZZNS1_14partition_implILS5_9ELb0ES3_jN6thrust23THRUST_200600_302600_NS6detail15normal_iteratorINS9_10device_ptrIiEEEENSB_INSC_IjEEEEPNS0_10empty_typeENS0_5tupleIJSE_SH_EEENSJ_IJSG_SI_EEENS0_18inequality_wrapperINS9_8equal_toIiEEEEPmJSH_EEE10hipError_tPvRmT3_T4_T5_T6_T7_T9_mT8_P12ihipStream_tbDpT10_ENKUlT_T0_E_clISt17integral_constantIbLb1EES1A_EEDaS15_S16_EUlS15_E_NS1_11comp_targetILNS1_3genE5ELNS1_11target_archE942ELNS1_3gpuE9ELNS1_3repE0EEENS1_30default_config_static_selectorELNS0_4arch9wavefront6targetE0EEEvT1_ ; -- Begin function _ZN7rocprim17ROCPRIM_400000_NS6detail17trampoline_kernelINS0_14default_configENS1_25partition_config_selectorILNS1_17partition_subalgoE9EijbEEZZNS1_14partition_implILS5_9ELb0ES3_jN6thrust23THRUST_200600_302600_NS6detail15normal_iteratorINS9_10device_ptrIiEEEENSB_INSC_IjEEEEPNS0_10empty_typeENS0_5tupleIJSE_SH_EEENSJ_IJSG_SI_EEENS0_18inequality_wrapperINS9_8equal_toIiEEEEPmJSH_EEE10hipError_tPvRmT3_T4_T5_T6_T7_T9_mT8_P12ihipStream_tbDpT10_ENKUlT_T0_E_clISt17integral_constantIbLb1EES1A_EEDaS15_S16_EUlS15_E_NS1_11comp_targetILNS1_3genE5ELNS1_11target_archE942ELNS1_3gpuE9ELNS1_3repE0EEENS1_30default_config_static_selectorELNS0_4arch9wavefront6targetE0EEEvT1_
	.globl	_ZN7rocprim17ROCPRIM_400000_NS6detail17trampoline_kernelINS0_14default_configENS1_25partition_config_selectorILNS1_17partition_subalgoE9EijbEEZZNS1_14partition_implILS5_9ELb0ES3_jN6thrust23THRUST_200600_302600_NS6detail15normal_iteratorINS9_10device_ptrIiEEEENSB_INSC_IjEEEEPNS0_10empty_typeENS0_5tupleIJSE_SH_EEENSJ_IJSG_SI_EEENS0_18inequality_wrapperINS9_8equal_toIiEEEEPmJSH_EEE10hipError_tPvRmT3_T4_T5_T6_T7_T9_mT8_P12ihipStream_tbDpT10_ENKUlT_T0_E_clISt17integral_constantIbLb1EES1A_EEDaS15_S16_EUlS15_E_NS1_11comp_targetILNS1_3genE5ELNS1_11target_archE942ELNS1_3gpuE9ELNS1_3repE0EEENS1_30default_config_static_selectorELNS0_4arch9wavefront6targetE0EEEvT1_
	.p2align	8
	.type	_ZN7rocprim17ROCPRIM_400000_NS6detail17trampoline_kernelINS0_14default_configENS1_25partition_config_selectorILNS1_17partition_subalgoE9EijbEEZZNS1_14partition_implILS5_9ELb0ES3_jN6thrust23THRUST_200600_302600_NS6detail15normal_iteratorINS9_10device_ptrIiEEEENSB_INSC_IjEEEEPNS0_10empty_typeENS0_5tupleIJSE_SH_EEENSJ_IJSG_SI_EEENS0_18inequality_wrapperINS9_8equal_toIiEEEEPmJSH_EEE10hipError_tPvRmT3_T4_T5_T6_T7_T9_mT8_P12ihipStream_tbDpT10_ENKUlT_T0_E_clISt17integral_constantIbLb1EES1A_EEDaS15_S16_EUlS15_E_NS1_11comp_targetILNS1_3genE5ELNS1_11target_archE942ELNS1_3gpuE9ELNS1_3repE0EEENS1_30default_config_static_selectorELNS0_4arch9wavefront6targetE0EEEvT1_,@function
_ZN7rocprim17ROCPRIM_400000_NS6detail17trampoline_kernelINS0_14default_configENS1_25partition_config_selectorILNS1_17partition_subalgoE9EijbEEZZNS1_14partition_implILS5_9ELb0ES3_jN6thrust23THRUST_200600_302600_NS6detail15normal_iteratorINS9_10device_ptrIiEEEENSB_INSC_IjEEEEPNS0_10empty_typeENS0_5tupleIJSE_SH_EEENSJ_IJSG_SI_EEENS0_18inequality_wrapperINS9_8equal_toIiEEEEPmJSH_EEE10hipError_tPvRmT3_T4_T5_T6_T7_T9_mT8_P12ihipStream_tbDpT10_ENKUlT_T0_E_clISt17integral_constantIbLb1EES1A_EEDaS15_S16_EUlS15_E_NS1_11comp_targetILNS1_3genE5ELNS1_11target_archE942ELNS1_3gpuE9ELNS1_3repE0EEENS1_30default_config_static_selectorELNS0_4arch9wavefront6targetE0EEEvT1_: ; @_ZN7rocprim17ROCPRIM_400000_NS6detail17trampoline_kernelINS0_14default_configENS1_25partition_config_selectorILNS1_17partition_subalgoE9EijbEEZZNS1_14partition_implILS5_9ELb0ES3_jN6thrust23THRUST_200600_302600_NS6detail15normal_iteratorINS9_10device_ptrIiEEEENSB_INSC_IjEEEEPNS0_10empty_typeENS0_5tupleIJSE_SH_EEENSJ_IJSG_SI_EEENS0_18inequality_wrapperINS9_8equal_toIiEEEEPmJSH_EEE10hipError_tPvRmT3_T4_T5_T6_T7_T9_mT8_P12ihipStream_tbDpT10_ENKUlT_T0_E_clISt17integral_constantIbLb1EES1A_EEDaS15_S16_EUlS15_E_NS1_11comp_targetILNS1_3genE5ELNS1_11target_archE942ELNS1_3gpuE9ELNS1_3repE0EEENS1_30default_config_static_selectorELNS0_4arch9wavefront6targetE0EEEvT1_
; %bb.0:
	.section	.rodata,"a",@progbits
	.p2align	6, 0x0
	.amdhsa_kernel _ZN7rocprim17ROCPRIM_400000_NS6detail17trampoline_kernelINS0_14default_configENS1_25partition_config_selectorILNS1_17partition_subalgoE9EijbEEZZNS1_14partition_implILS5_9ELb0ES3_jN6thrust23THRUST_200600_302600_NS6detail15normal_iteratorINS9_10device_ptrIiEEEENSB_INSC_IjEEEEPNS0_10empty_typeENS0_5tupleIJSE_SH_EEENSJ_IJSG_SI_EEENS0_18inequality_wrapperINS9_8equal_toIiEEEEPmJSH_EEE10hipError_tPvRmT3_T4_T5_T6_T7_T9_mT8_P12ihipStream_tbDpT10_ENKUlT_T0_E_clISt17integral_constantIbLb1EES1A_EEDaS15_S16_EUlS15_E_NS1_11comp_targetILNS1_3genE5ELNS1_11target_archE942ELNS1_3gpuE9ELNS1_3repE0EEENS1_30default_config_static_selectorELNS0_4arch9wavefront6targetE0EEEvT1_
		.amdhsa_group_segment_fixed_size 0
		.amdhsa_private_segment_fixed_size 0
		.amdhsa_kernarg_size 128
		.amdhsa_user_sgpr_count 15
		.amdhsa_user_sgpr_dispatch_ptr 0
		.amdhsa_user_sgpr_queue_ptr 0
		.amdhsa_user_sgpr_kernarg_segment_ptr 1
		.amdhsa_user_sgpr_dispatch_id 0
		.amdhsa_user_sgpr_private_segment_size 0
		.amdhsa_wavefront_size32 1
		.amdhsa_uses_dynamic_stack 0
		.amdhsa_enable_private_segment 0
		.amdhsa_system_sgpr_workgroup_id_x 1
		.amdhsa_system_sgpr_workgroup_id_y 0
		.amdhsa_system_sgpr_workgroup_id_z 0
		.amdhsa_system_sgpr_workgroup_info 0
		.amdhsa_system_vgpr_workitem_id 0
		.amdhsa_next_free_vgpr 1
		.amdhsa_next_free_sgpr 1
		.amdhsa_reserve_vcc 0
		.amdhsa_float_round_mode_32 0
		.amdhsa_float_round_mode_16_64 0
		.amdhsa_float_denorm_mode_32 3
		.amdhsa_float_denorm_mode_16_64 3
		.amdhsa_dx10_clamp 1
		.amdhsa_ieee_mode 1
		.amdhsa_fp16_overflow 0
		.amdhsa_workgroup_processor_mode 1
		.amdhsa_memory_ordered 1
		.amdhsa_forward_progress 0
		.amdhsa_shared_vgpr_count 0
		.amdhsa_exception_fp_ieee_invalid_op 0
		.amdhsa_exception_fp_denorm_src 0
		.amdhsa_exception_fp_ieee_div_zero 0
		.amdhsa_exception_fp_ieee_overflow 0
		.amdhsa_exception_fp_ieee_underflow 0
		.amdhsa_exception_fp_ieee_inexact 0
		.amdhsa_exception_int_div_zero 0
	.end_amdhsa_kernel
	.section	.text._ZN7rocprim17ROCPRIM_400000_NS6detail17trampoline_kernelINS0_14default_configENS1_25partition_config_selectorILNS1_17partition_subalgoE9EijbEEZZNS1_14partition_implILS5_9ELb0ES3_jN6thrust23THRUST_200600_302600_NS6detail15normal_iteratorINS9_10device_ptrIiEEEENSB_INSC_IjEEEEPNS0_10empty_typeENS0_5tupleIJSE_SH_EEENSJ_IJSG_SI_EEENS0_18inequality_wrapperINS9_8equal_toIiEEEEPmJSH_EEE10hipError_tPvRmT3_T4_T5_T6_T7_T9_mT8_P12ihipStream_tbDpT10_ENKUlT_T0_E_clISt17integral_constantIbLb1EES1A_EEDaS15_S16_EUlS15_E_NS1_11comp_targetILNS1_3genE5ELNS1_11target_archE942ELNS1_3gpuE9ELNS1_3repE0EEENS1_30default_config_static_selectorELNS0_4arch9wavefront6targetE0EEEvT1_,"axG",@progbits,_ZN7rocprim17ROCPRIM_400000_NS6detail17trampoline_kernelINS0_14default_configENS1_25partition_config_selectorILNS1_17partition_subalgoE9EijbEEZZNS1_14partition_implILS5_9ELb0ES3_jN6thrust23THRUST_200600_302600_NS6detail15normal_iteratorINS9_10device_ptrIiEEEENSB_INSC_IjEEEEPNS0_10empty_typeENS0_5tupleIJSE_SH_EEENSJ_IJSG_SI_EEENS0_18inequality_wrapperINS9_8equal_toIiEEEEPmJSH_EEE10hipError_tPvRmT3_T4_T5_T6_T7_T9_mT8_P12ihipStream_tbDpT10_ENKUlT_T0_E_clISt17integral_constantIbLb1EES1A_EEDaS15_S16_EUlS15_E_NS1_11comp_targetILNS1_3genE5ELNS1_11target_archE942ELNS1_3gpuE9ELNS1_3repE0EEENS1_30default_config_static_selectorELNS0_4arch9wavefront6targetE0EEEvT1_,comdat
.Lfunc_end638:
	.size	_ZN7rocprim17ROCPRIM_400000_NS6detail17trampoline_kernelINS0_14default_configENS1_25partition_config_selectorILNS1_17partition_subalgoE9EijbEEZZNS1_14partition_implILS5_9ELb0ES3_jN6thrust23THRUST_200600_302600_NS6detail15normal_iteratorINS9_10device_ptrIiEEEENSB_INSC_IjEEEEPNS0_10empty_typeENS0_5tupleIJSE_SH_EEENSJ_IJSG_SI_EEENS0_18inequality_wrapperINS9_8equal_toIiEEEEPmJSH_EEE10hipError_tPvRmT3_T4_T5_T6_T7_T9_mT8_P12ihipStream_tbDpT10_ENKUlT_T0_E_clISt17integral_constantIbLb1EES1A_EEDaS15_S16_EUlS15_E_NS1_11comp_targetILNS1_3genE5ELNS1_11target_archE942ELNS1_3gpuE9ELNS1_3repE0EEENS1_30default_config_static_selectorELNS0_4arch9wavefront6targetE0EEEvT1_, .Lfunc_end638-_ZN7rocprim17ROCPRIM_400000_NS6detail17trampoline_kernelINS0_14default_configENS1_25partition_config_selectorILNS1_17partition_subalgoE9EijbEEZZNS1_14partition_implILS5_9ELb0ES3_jN6thrust23THRUST_200600_302600_NS6detail15normal_iteratorINS9_10device_ptrIiEEEENSB_INSC_IjEEEEPNS0_10empty_typeENS0_5tupleIJSE_SH_EEENSJ_IJSG_SI_EEENS0_18inequality_wrapperINS9_8equal_toIiEEEEPmJSH_EEE10hipError_tPvRmT3_T4_T5_T6_T7_T9_mT8_P12ihipStream_tbDpT10_ENKUlT_T0_E_clISt17integral_constantIbLb1EES1A_EEDaS15_S16_EUlS15_E_NS1_11comp_targetILNS1_3genE5ELNS1_11target_archE942ELNS1_3gpuE9ELNS1_3repE0EEENS1_30default_config_static_selectorELNS0_4arch9wavefront6targetE0EEEvT1_
                                        ; -- End function
	.section	.AMDGPU.csdata,"",@progbits
; Kernel info:
; codeLenInByte = 0
; NumSgprs: 0
; NumVgprs: 0
; ScratchSize: 0
; MemoryBound: 0
; FloatMode: 240
; IeeeMode: 1
; LDSByteSize: 0 bytes/workgroup (compile time only)
; SGPRBlocks: 0
; VGPRBlocks: 0
; NumSGPRsForWavesPerEU: 1
; NumVGPRsForWavesPerEU: 1
; Occupancy: 16
; WaveLimiterHint : 0
; COMPUTE_PGM_RSRC2:SCRATCH_EN: 0
; COMPUTE_PGM_RSRC2:USER_SGPR: 15
; COMPUTE_PGM_RSRC2:TRAP_HANDLER: 0
; COMPUTE_PGM_RSRC2:TGID_X_EN: 1
; COMPUTE_PGM_RSRC2:TGID_Y_EN: 0
; COMPUTE_PGM_RSRC2:TGID_Z_EN: 0
; COMPUTE_PGM_RSRC2:TIDIG_COMP_CNT: 0
	.section	.text._ZN7rocprim17ROCPRIM_400000_NS6detail17trampoline_kernelINS0_14default_configENS1_25partition_config_selectorILNS1_17partition_subalgoE9EijbEEZZNS1_14partition_implILS5_9ELb0ES3_jN6thrust23THRUST_200600_302600_NS6detail15normal_iteratorINS9_10device_ptrIiEEEENSB_INSC_IjEEEEPNS0_10empty_typeENS0_5tupleIJSE_SH_EEENSJ_IJSG_SI_EEENS0_18inequality_wrapperINS9_8equal_toIiEEEEPmJSH_EEE10hipError_tPvRmT3_T4_T5_T6_T7_T9_mT8_P12ihipStream_tbDpT10_ENKUlT_T0_E_clISt17integral_constantIbLb1EES1A_EEDaS15_S16_EUlS15_E_NS1_11comp_targetILNS1_3genE4ELNS1_11target_archE910ELNS1_3gpuE8ELNS1_3repE0EEENS1_30default_config_static_selectorELNS0_4arch9wavefront6targetE0EEEvT1_,"axG",@progbits,_ZN7rocprim17ROCPRIM_400000_NS6detail17trampoline_kernelINS0_14default_configENS1_25partition_config_selectorILNS1_17partition_subalgoE9EijbEEZZNS1_14partition_implILS5_9ELb0ES3_jN6thrust23THRUST_200600_302600_NS6detail15normal_iteratorINS9_10device_ptrIiEEEENSB_INSC_IjEEEEPNS0_10empty_typeENS0_5tupleIJSE_SH_EEENSJ_IJSG_SI_EEENS0_18inequality_wrapperINS9_8equal_toIiEEEEPmJSH_EEE10hipError_tPvRmT3_T4_T5_T6_T7_T9_mT8_P12ihipStream_tbDpT10_ENKUlT_T0_E_clISt17integral_constantIbLb1EES1A_EEDaS15_S16_EUlS15_E_NS1_11comp_targetILNS1_3genE4ELNS1_11target_archE910ELNS1_3gpuE8ELNS1_3repE0EEENS1_30default_config_static_selectorELNS0_4arch9wavefront6targetE0EEEvT1_,comdat
	.protected	_ZN7rocprim17ROCPRIM_400000_NS6detail17trampoline_kernelINS0_14default_configENS1_25partition_config_selectorILNS1_17partition_subalgoE9EijbEEZZNS1_14partition_implILS5_9ELb0ES3_jN6thrust23THRUST_200600_302600_NS6detail15normal_iteratorINS9_10device_ptrIiEEEENSB_INSC_IjEEEEPNS0_10empty_typeENS0_5tupleIJSE_SH_EEENSJ_IJSG_SI_EEENS0_18inequality_wrapperINS9_8equal_toIiEEEEPmJSH_EEE10hipError_tPvRmT3_T4_T5_T6_T7_T9_mT8_P12ihipStream_tbDpT10_ENKUlT_T0_E_clISt17integral_constantIbLb1EES1A_EEDaS15_S16_EUlS15_E_NS1_11comp_targetILNS1_3genE4ELNS1_11target_archE910ELNS1_3gpuE8ELNS1_3repE0EEENS1_30default_config_static_selectorELNS0_4arch9wavefront6targetE0EEEvT1_ ; -- Begin function _ZN7rocprim17ROCPRIM_400000_NS6detail17trampoline_kernelINS0_14default_configENS1_25partition_config_selectorILNS1_17partition_subalgoE9EijbEEZZNS1_14partition_implILS5_9ELb0ES3_jN6thrust23THRUST_200600_302600_NS6detail15normal_iteratorINS9_10device_ptrIiEEEENSB_INSC_IjEEEEPNS0_10empty_typeENS0_5tupleIJSE_SH_EEENSJ_IJSG_SI_EEENS0_18inequality_wrapperINS9_8equal_toIiEEEEPmJSH_EEE10hipError_tPvRmT3_T4_T5_T6_T7_T9_mT8_P12ihipStream_tbDpT10_ENKUlT_T0_E_clISt17integral_constantIbLb1EES1A_EEDaS15_S16_EUlS15_E_NS1_11comp_targetILNS1_3genE4ELNS1_11target_archE910ELNS1_3gpuE8ELNS1_3repE0EEENS1_30default_config_static_selectorELNS0_4arch9wavefront6targetE0EEEvT1_
	.globl	_ZN7rocprim17ROCPRIM_400000_NS6detail17trampoline_kernelINS0_14default_configENS1_25partition_config_selectorILNS1_17partition_subalgoE9EijbEEZZNS1_14partition_implILS5_9ELb0ES3_jN6thrust23THRUST_200600_302600_NS6detail15normal_iteratorINS9_10device_ptrIiEEEENSB_INSC_IjEEEEPNS0_10empty_typeENS0_5tupleIJSE_SH_EEENSJ_IJSG_SI_EEENS0_18inequality_wrapperINS9_8equal_toIiEEEEPmJSH_EEE10hipError_tPvRmT3_T4_T5_T6_T7_T9_mT8_P12ihipStream_tbDpT10_ENKUlT_T0_E_clISt17integral_constantIbLb1EES1A_EEDaS15_S16_EUlS15_E_NS1_11comp_targetILNS1_3genE4ELNS1_11target_archE910ELNS1_3gpuE8ELNS1_3repE0EEENS1_30default_config_static_selectorELNS0_4arch9wavefront6targetE0EEEvT1_
	.p2align	8
	.type	_ZN7rocprim17ROCPRIM_400000_NS6detail17trampoline_kernelINS0_14default_configENS1_25partition_config_selectorILNS1_17partition_subalgoE9EijbEEZZNS1_14partition_implILS5_9ELb0ES3_jN6thrust23THRUST_200600_302600_NS6detail15normal_iteratorINS9_10device_ptrIiEEEENSB_INSC_IjEEEEPNS0_10empty_typeENS0_5tupleIJSE_SH_EEENSJ_IJSG_SI_EEENS0_18inequality_wrapperINS9_8equal_toIiEEEEPmJSH_EEE10hipError_tPvRmT3_T4_T5_T6_T7_T9_mT8_P12ihipStream_tbDpT10_ENKUlT_T0_E_clISt17integral_constantIbLb1EES1A_EEDaS15_S16_EUlS15_E_NS1_11comp_targetILNS1_3genE4ELNS1_11target_archE910ELNS1_3gpuE8ELNS1_3repE0EEENS1_30default_config_static_selectorELNS0_4arch9wavefront6targetE0EEEvT1_,@function
_ZN7rocprim17ROCPRIM_400000_NS6detail17trampoline_kernelINS0_14default_configENS1_25partition_config_selectorILNS1_17partition_subalgoE9EijbEEZZNS1_14partition_implILS5_9ELb0ES3_jN6thrust23THRUST_200600_302600_NS6detail15normal_iteratorINS9_10device_ptrIiEEEENSB_INSC_IjEEEEPNS0_10empty_typeENS0_5tupleIJSE_SH_EEENSJ_IJSG_SI_EEENS0_18inequality_wrapperINS9_8equal_toIiEEEEPmJSH_EEE10hipError_tPvRmT3_T4_T5_T6_T7_T9_mT8_P12ihipStream_tbDpT10_ENKUlT_T0_E_clISt17integral_constantIbLb1EES1A_EEDaS15_S16_EUlS15_E_NS1_11comp_targetILNS1_3genE4ELNS1_11target_archE910ELNS1_3gpuE8ELNS1_3repE0EEENS1_30default_config_static_selectorELNS0_4arch9wavefront6targetE0EEEvT1_: ; @_ZN7rocprim17ROCPRIM_400000_NS6detail17trampoline_kernelINS0_14default_configENS1_25partition_config_selectorILNS1_17partition_subalgoE9EijbEEZZNS1_14partition_implILS5_9ELb0ES3_jN6thrust23THRUST_200600_302600_NS6detail15normal_iteratorINS9_10device_ptrIiEEEENSB_INSC_IjEEEEPNS0_10empty_typeENS0_5tupleIJSE_SH_EEENSJ_IJSG_SI_EEENS0_18inequality_wrapperINS9_8equal_toIiEEEEPmJSH_EEE10hipError_tPvRmT3_T4_T5_T6_T7_T9_mT8_P12ihipStream_tbDpT10_ENKUlT_T0_E_clISt17integral_constantIbLb1EES1A_EEDaS15_S16_EUlS15_E_NS1_11comp_targetILNS1_3genE4ELNS1_11target_archE910ELNS1_3gpuE8ELNS1_3repE0EEENS1_30default_config_static_selectorELNS0_4arch9wavefront6targetE0EEEvT1_
; %bb.0:
	.section	.rodata,"a",@progbits
	.p2align	6, 0x0
	.amdhsa_kernel _ZN7rocprim17ROCPRIM_400000_NS6detail17trampoline_kernelINS0_14default_configENS1_25partition_config_selectorILNS1_17partition_subalgoE9EijbEEZZNS1_14partition_implILS5_9ELb0ES3_jN6thrust23THRUST_200600_302600_NS6detail15normal_iteratorINS9_10device_ptrIiEEEENSB_INSC_IjEEEEPNS0_10empty_typeENS0_5tupleIJSE_SH_EEENSJ_IJSG_SI_EEENS0_18inequality_wrapperINS9_8equal_toIiEEEEPmJSH_EEE10hipError_tPvRmT3_T4_T5_T6_T7_T9_mT8_P12ihipStream_tbDpT10_ENKUlT_T0_E_clISt17integral_constantIbLb1EES1A_EEDaS15_S16_EUlS15_E_NS1_11comp_targetILNS1_3genE4ELNS1_11target_archE910ELNS1_3gpuE8ELNS1_3repE0EEENS1_30default_config_static_selectorELNS0_4arch9wavefront6targetE0EEEvT1_
		.amdhsa_group_segment_fixed_size 0
		.amdhsa_private_segment_fixed_size 0
		.amdhsa_kernarg_size 128
		.amdhsa_user_sgpr_count 15
		.amdhsa_user_sgpr_dispatch_ptr 0
		.amdhsa_user_sgpr_queue_ptr 0
		.amdhsa_user_sgpr_kernarg_segment_ptr 1
		.amdhsa_user_sgpr_dispatch_id 0
		.amdhsa_user_sgpr_private_segment_size 0
		.amdhsa_wavefront_size32 1
		.amdhsa_uses_dynamic_stack 0
		.amdhsa_enable_private_segment 0
		.amdhsa_system_sgpr_workgroup_id_x 1
		.amdhsa_system_sgpr_workgroup_id_y 0
		.amdhsa_system_sgpr_workgroup_id_z 0
		.amdhsa_system_sgpr_workgroup_info 0
		.amdhsa_system_vgpr_workitem_id 0
		.amdhsa_next_free_vgpr 1
		.amdhsa_next_free_sgpr 1
		.amdhsa_reserve_vcc 0
		.amdhsa_float_round_mode_32 0
		.amdhsa_float_round_mode_16_64 0
		.amdhsa_float_denorm_mode_32 3
		.amdhsa_float_denorm_mode_16_64 3
		.amdhsa_dx10_clamp 1
		.amdhsa_ieee_mode 1
		.amdhsa_fp16_overflow 0
		.amdhsa_workgroup_processor_mode 1
		.amdhsa_memory_ordered 1
		.amdhsa_forward_progress 0
		.amdhsa_shared_vgpr_count 0
		.amdhsa_exception_fp_ieee_invalid_op 0
		.amdhsa_exception_fp_denorm_src 0
		.amdhsa_exception_fp_ieee_div_zero 0
		.amdhsa_exception_fp_ieee_overflow 0
		.amdhsa_exception_fp_ieee_underflow 0
		.amdhsa_exception_fp_ieee_inexact 0
		.amdhsa_exception_int_div_zero 0
	.end_amdhsa_kernel
	.section	.text._ZN7rocprim17ROCPRIM_400000_NS6detail17trampoline_kernelINS0_14default_configENS1_25partition_config_selectorILNS1_17partition_subalgoE9EijbEEZZNS1_14partition_implILS5_9ELb0ES3_jN6thrust23THRUST_200600_302600_NS6detail15normal_iteratorINS9_10device_ptrIiEEEENSB_INSC_IjEEEEPNS0_10empty_typeENS0_5tupleIJSE_SH_EEENSJ_IJSG_SI_EEENS0_18inequality_wrapperINS9_8equal_toIiEEEEPmJSH_EEE10hipError_tPvRmT3_T4_T5_T6_T7_T9_mT8_P12ihipStream_tbDpT10_ENKUlT_T0_E_clISt17integral_constantIbLb1EES1A_EEDaS15_S16_EUlS15_E_NS1_11comp_targetILNS1_3genE4ELNS1_11target_archE910ELNS1_3gpuE8ELNS1_3repE0EEENS1_30default_config_static_selectorELNS0_4arch9wavefront6targetE0EEEvT1_,"axG",@progbits,_ZN7rocprim17ROCPRIM_400000_NS6detail17trampoline_kernelINS0_14default_configENS1_25partition_config_selectorILNS1_17partition_subalgoE9EijbEEZZNS1_14partition_implILS5_9ELb0ES3_jN6thrust23THRUST_200600_302600_NS6detail15normal_iteratorINS9_10device_ptrIiEEEENSB_INSC_IjEEEEPNS0_10empty_typeENS0_5tupleIJSE_SH_EEENSJ_IJSG_SI_EEENS0_18inequality_wrapperINS9_8equal_toIiEEEEPmJSH_EEE10hipError_tPvRmT3_T4_T5_T6_T7_T9_mT8_P12ihipStream_tbDpT10_ENKUlT_T0_E_clISt17integral_constantIbLb1EES1A_EEDaS15_S16_EUlS15_E_NS1_11comp_targetILNS1_3genE4ELNS1_11target_archE910ELNS1_3gpuE8ELNS1_3repE0EEENS1_30default_config_static_selectorELNS0_4arch9wavefront6targetE0EEEvT1_,comdat
.Lfunc_end639:
	.size	_ZN7rocprim17ROCPRIM_400000_NS6detail17trampoline_kernelINS0_14default_configENS1_25partition_config_selectorILNS1_17partition_subalgoE9EijbEEZZNS1_14partition_implILS5_9ELb0ES3_jN6thrust23THRUST_200600_302600_NS6detail15normal_iteratorINS9_10device_ptrIiEEEENSB_INSC_IjEEEEPNS0_10empty_typeENS0_5tupleIJSE_SH_EEENSJ_IJSG_SI_EEENS0_18inequality_wrapperINS9_8equal_toIiEEEEPmJSH_EEE10hipError_tPvRmT3_T4_T5_T6_T7_T9_mT8_P12ihipStream_tbDpT10_ENKUlT_T0_E_clISt17integral_constantIbLb1EES1A_EEDaS15_S16_EUlS15_E_NS1_11comp_targetILNS1_3genE4ELNS1_11target_archE910ELNS1_3gpuE8ELNS1_3repE0EEENS1_30default_config_static_selectorELNS0_4arch9wavefront6targetE0EEEvT1_, .Lfunc_end639-_ZN7rocprim17ROCPRIM_400000_NS6detail17trampoline_kernelINS0_14default_configENS1_25partition_config_selectorILNS1_17partition_subalgoE9EijbEEZZNS1_14partition_implILS5_9ELb0ES3_jN6thrust23THRUST_200600_302600_NS6detail15normal_iteratorINS9_10device_ptrIiEEEENSB_INSC_IjEEEEPNS0_10empty_typeENS0_5tupleIJSE_SH_EEENSJ_IJSG_SI_EEENS0_18inequality_wrapperINS9_8equal_toIiEEEEPmJSH_EEE10hipError_tPvRmT3_T4_T5_T6_T7_T9_mT8_P12ihipStream_tbDpT10_ENKUlT_T0_E_clISt17integral_constantIbLb1EES1A_EEDaS15_S16_EUlS15_E_NS1_11comp_targetILNS1_3genE4ELNS1_11target_archE910ELNS1_3gpuE8ELNS1_3repE0EEENS1_30default_config_static_selectorELNS0_4arch9wavefront6targetE0EEEvT1_
                                        ; -- End function
	.section	.AMDGPU.csdata,"",@progbits
; Kernel info:
; codeLenInByte = 0
; NumSgprs: 0
; NumVgprs: 0
; ScratchSize: 0
; MemoryBound: 0
; FloatMode: 240
; IeeeMode: 1
; LDSByteSize: 0 bytes/workgroup (compile time only)
; SGPRBlocks: 0
; VGPRBlocks: 0
; NumSGPRsForWavesPerEU: 1
; NumVGPRsForWavesPerEU: 1
; Occupancy: 15
; WaveLimiterHint : 0
; COMPUTE_PGM_RSRC2:SCRATCH_EN: 0
; COMPUTE_PGM_RSRC2:USER_SGPR: 15
; COMPUTE_PGM_RSRC2:TRAP_HANDLER: 0
; COMPUTE_PGM_RSRC2:TGID_X_EN: 1
; COMPUTE_PGM_RSRC2:TGID_Y_EN: 0
; COMPUTE_PGM_RSRC2:TGID_Z_EN: 0
; COMPUTE_PGM_RSRC2:TIDIG_COMP_CNT: 0
	.section	.text._ZN7rocprim17ROCPRIM_400000_NS6detail17trampoline_kernelINS0_14default_configENS1_25partition_config_selectorILNS1_17partition_subalgoE9EijbEEZZNS1_14partition_implILS5_9ELb0ES3_jN6thrust23THRUST_200600_302600_NS6detail15normal_iteratorINS9_10device_ptrIiEEEENSB_INSC_IjEEEEPNS0_10empty_typeENS0_5tupleIJSE_SH_EEENSJ_IJSG_SI_EEENS0_18inequality_wrapperINS9_8equal_toIiEEEEPmJSH_EEE10hipError_tPvRmT3_T4_T5_T6_T7_T9_mT8_P12ihipStream_tbDpT10_ENKUlT_T0_E_clISt17integral_constantIbLb1EES1A_EEDaS15_S16_EUlS15_E_NS1_11comp_targetILNS1_3genE3ELNS1_11target_archE908ELNS1_3gpuE7ELNS1_3repE0EEENS1_30default_config_static_selectorELNS0_4arch9wavefront6targetE0EEEvT1_,"axG",@progbits,_ZN7rocprim17ROCPRIM_400000_NS6detail17trampoline_kernelINS0_14default_configENS1_25partition_config_selectorILNS1_17partition_subalgoE9EijbEEZZNS1_14partition_implILS5_9ELb0ES3_jN6thrust23THRUST_200600_302600_NS6detail15normal_iteratorINS9_10device_ptrIiEEEENSB_INSC_IjEEEEPNS0_10empty_typeENS0_5tupleIJSE_SH_EEENSJ_IJSG_SI_EEENS0_18inequality_wrapperINS9_8equal_toIiEEEEPmJSH_EEE10hipError_tPvRmT3_T4_T5_T6_T7_T9_mT8_P12ihipStream_tbDpT10_ENKUlT_T0_E_clISt17integral_constantIbLb1EES1A_EEDaS15_S16_EUlS15_E_NS1_11comp_targetILNS1_3genE3ELNS1_11target_archE908ELNS1_3gpuE7ELNS1_3repE0EEENS1_30default_config_static_selectorELNS0_4arch9wavefront6targetE0EEEvT1_,comdat
	.protected	_ZN7rocprim17ROCPRIM_400000_NS6detail17trampoline_kernelINS0_14default_configENS1_25partition_config_selectorILNS1_17partition_subalgoE9EijbEEZZNS1_14partition_implILS5_9ELb0ES3_jN6thrust23THRUST_200600_302600_NS6detail15normal_iteratorINS9_10device_ptrIiEEEENSB_INSC_IjEEEEPNS0_10empty_typeENS0_5tupleIJSE_SH_EEENSJ_IJSG_SI_EEENS0_18inequality_wrapperINS9_8equal_toIiEEEEPmJSH_EEE10hipError_tPvRmT3_T4_T5_T6_T7_T9_mT8_P12ihipStream_tbDpT10_ENKUlT_T0_E_clISt17integral_constantIbLb1EES1A_EEDaS15_S16_EUlS15_E_NS1_11comp_targetILNS1_3genE3ELNS1_11target_archE908ELNS1_3gpuE7ELNS1_3repE0EEENS1_30default_config_static_selectorELNS0_4arch9wavefront6targetE0EEEvT1_ ; -- Begin function _ZN7rocprim17ROCPRIM_400000_NS6detail17trampoline_kernelINS0_14default_configENS1_25partition_config_selectorILNS1_17partition_subalgoE9EijbEEZZNS1_14partition_implILS5_9ELb0ES3_jN6thrust23THRUST_200600_302600_NS6detail15normal_iteratorINS9_10device_ptrIiEEEENSB_INSC_IjEEEEPNS0_10empty_typeENS0_5tupleIJSE_SH_EEENSJ_IJSG_SI_EEENS0_18inequality_wrapperINS9_8equal_toIiEEEEPmJSH_EEE10hipError_tPvRmT3_T4_T5_T6_T7_T9_mT8_P12ihipStream_tbDpT10_ENKUlT_T0_E_clISt17integral_constantIbLb1EES1A_EEDaS15_S16_EUlS15_E_NS1_11comp_targetILNS1_3genE3ELNS1_11target_archE908ELNS1_3gpuE7ELNS1_3repE0EEENS1_30default_config_static_selectorELNS0_4arch9wavefront6targetE0EEEvT1_
	.globl	_ZN7rocprim17ROCPRIM_400000_NS6detail17trampoline_kernelINS0_14default_configENS1_25partition_config_selectorILNS1_17partition_subalgoE9EijbEEZZNS1_14partition_implILS5_9ELb0ES3_jN6thrust23THRUST_200600_302600_NS6detail15normal_iteratorINS9_10device_ptrIiEEEENSB_INSC_IjEEEEPNS0_10empty_typeENS0_5tupleIJSE_SH_EEENSJ_IJSG_SI_EEENS0_18inequality_wrapperINS9_8equal_toIiEEEEPmJSH_EEE10hipError_tPvRmT3_T4_T5_T6_T7_T9_mT8_P12ihipStream_tbDpT10_ENKUlT_T0_E_clISt17integral_constantIbLb1EES1A_EEDaS15_S16_EUlS15_E_NS1_11comp_targetILNS1_3genE3ELNS1_11target_archE908ELNS1_3gpuE7ELNS1_3repE0EEENS1_30default_config_static_selectorELNS0_4arch9wavefront6targetE0EEEvT1_
	.p2align	8
	.type	_ZN7rocprim17ROCPRIM_400000_NS6detail17trampoline_kernelINS0_14default_configENS1_25partition_config_selectorILNS1_17partition_subalgoE9EijbEEZZNS1_14partition_implILS5_9ELb0ES3_jN6thrust23THRUST_200600_302600_NS6detail15normal_iteratorINS9_10device_ptrIiEEEENSB_INSC_IjEEEEPNS0_10empty_typeENS0_5tupleIJSE_SH_EEENSJ_IJSG_SI_EEENS0_18inequality_wrapperINS9_8equal_toIiEEEEPmJSH_EEE10hipError_tPvRmT3_T4_T5_T6_T7_T9_mT8_P12ihipStream_tbDpT10_ENKUlT_T0_E_clISt17integral_constantIbLb1EES1A_EEDaS15_S16_EUlS15_E_NS1_11comp_targetILNS1_3genE3ELNS1_11target_archE908ELNS1_3gpuE7ELNS1_3repE0EEENS1_30default_config_static_selectorELNS0_4arch9wavefront6targetE0EEEvT1_,@function
_ZN7rocprim17ROCPRIM_400000_NS6detail17trampoline_kernelINS0_14default_configENS1_25partition_config_selectorILNS1_17partition_subalgoE9EijbEEZZNS1_14partition_implILS5_9ELb0ES3_jN6thrust23THRUST_200600_302600_NS6detail15normal_iteratorINS9_10device_ptrIiEEEENSB_INSC_IjEEEEPNS0_10empty_typeENS0_5tupleIJSE_SH_EEENSJ_IJSG_SI_EEENS0_18inequality_wrapperINS9_8equal_toIiEEEEPmJSH_EEE10hipError_tPvRmT3_T4_T5_T6_T7_T9_mT8_P12ihipStream_tbDpT10_ENKUlT_T0_E_clISt17integral_constantIbLb1EES1A_EEDaS15_S16_EUlS15_E_NS1_11comp_targetILNS1_3genE3ELNS1_11target_archE908ELNS1_3gpuE7ELNS1_3repE0EEENS1_30default_config_static_selectorELNS0_4arch9wavefront6targetE0EEEvT1_: ; @_ZN7rocprim17ROCPRIM_400000_NS6detail17trampoline_kernelINS0_14default_configENS1_25partition_config_selectorILNS1_17partition_subalgoE9EijbEEZZNS1_14partition_implILS5_9ELb0ES3_jN6thrust23THRUST_200600_302600_NS6detail15normal_iteratorINS9_10device_ptrIiEEEENSB_INSC_IjEEEEPNS0_10empty_typeENS0_5tupleIJSE_SH_EEENSJ_IJSG_SI_EEENS0_18inequality_wrapperINS9_8equal_toIiEEEEPmJSH_EEE10hipError_tPvRmT3_T4_T5_T6_T7_T9_mT8_P12ihipStream_tbDpT10_ENKUlT_T0_E_clISt17integral_constantIbLb1EES1A_EEDaS15_S16_EUlS15_E_NS1_11comp_targetILNS1_3genE3ELNS1_11target_archE908ELNS1_3gpuE7ELNS1_3repE0EEENS1_30default_config_static_selectorELNS0_4arch9wavefront6targetE0EEEvT1_
; %bb.0:
	.section	.rodata,"a",@progbits
	.p2align	6, 0x0
	.amdhsa_kernel _ZN7rocprim17ROCPRIM_400000_NS6detail17trampoline_kernelINS0_14default_configENS1_25partition_config_selectorILNS1_17partition_subalgoE9EijbEEZZNS1_14partition_implILS5_9ELb0ES3_jN6thrust23THRUST_200600_302600_NS6detail15normal_iteratorINS9_10device_ptrIiEEEENSB_INSC_IjEEEEPNS0_10empty_typeENS0_5tupleIJSE_SH_EEENSJ_IJSG_SI_EEENS0_18inequality_wrapperINS9_8equal_toIiEEEEPmJSH_EEE10hipError_tPvRmT3_T4_T5_T6_T7_T9_mT8_P12ihipStream_tbDpT10_ENKUlT_T0_E_clISt17integral_constantIbLb1EES1A_EEDaS15_S16_EUlS15_E_NS1_11comp_targetILNS1_3genE3ELNS1_11target_archE908ELNS1_3gpuE7ELNS1_3repE0EEENS1_30default_config_static_selectorELNS0_4arch9wavefront6targetE0EEEvT1_
		.amdhsa_group_segment_fixed_size 0
		.amdhsa_private_segment_fixed_size 0
		.amdhsa_kernarg_size 128
		.amdhsa_user_sgpr_count 15
		.amdhsa_user_sgpr_dispatch_ptr 0
		.amdhsa_user_sgpr_queue_ptr 0
		.amdhsa_user_sgpr_kernarg_segment_ptr 1
		.amdhsa_user_sgpr_dispatch_id 0
		.amdhsa_user_sgpr_private_segment_size 0
		.amdhsa_wavefront_size32 1
		.amdhsa_uses_dynamic_stack 0
		.amdhsa_enable_private_segment 0
		.amdhsa_system_sgpr_workgroup_id_x 1
		.amdhsa_system_sgpr_workgroup_id_y 0
		.amdhsa_system_sgpr_workgroup_id_z 0
		.amdhsa_system_sgpr_workgroup_info 0
		.amdhsa_system_vgpr_workitem_id 0
		.amdhsa_next_free_vgpr 1
		.amdhsa_next_free_sgpr 1
		.amdhsa_reserve_vcc 0
		.amdhsa_float_round_mode_32 0
		.amdhsa_float_round_mode_16_64 0
		.amdhsa_float_denorm_mode_32 3
		.amdhsa_float_denorm_mode_16_64 3
		.amdhsa_dx10_clamp 1
		.amdhsa_ieee_mode 1
		.amdhsa_fp16_overflow 0
		.amdhsa_workgroup_processor_mode 1
		.amdhsa_memory_ordered 1
		.amdhsa_forward_progress 0
		.amdhsa_shared_vgpr_count 0
		.amdhsa_exception_fp_ieee_invalid_op 0
		.amdhsa_exception_fp_denorm_src 0
		.amdhsa_exception_fp_ieee_div_zero 0
		.amdhsa_exception_fp_ieee_overflow 0
		.amdhsa_exception_fp_ieee_underflow 0
		.amdhsa_exception_fp_ieee_inexact 0
		.amdhsa_exception_int_div_zero 0
	.end_amdhsa_kernel
	.section	.text._ZN7rocprim17ROCPRIM_400000_NS6detail17trampoline_kernelINS0_14default_configENS1_25partition_config_selectorILNS1_17partition_subalgoE9EijbEEZZNS1_14partition_implILS5_9ELb0ES3_jN6thrust23THRUST_200600_302600_NS6detail15normal_iteratorINS9_10device_ptrIiEEEENSB_INSC_IjEEEEPNS0_10empty_typeENS0_5tupleIJSE_SH_EEENSJ_IJSG_SI_EEENS0_18inequality_wrapperINS9_8equal_toIiEEEEPmJSH_EEE10hipError_tPvRmT3_T4_T5_T6_T7_T9_mT8_P12ihipStream_tbDpT10_ENKUlT_T0_E_clISt17integral_constantIbLb1EES1A_EEDaS15_S16_EUlS15_E_NS1_11comp_targetILNS1_3genE3ELNS1_11target_archE908ELNS1_3gpuE7ELNS1_3repE0EEENS1_30default_config_static_selectorELNS0_4arch9wavefront6targetE0EEEvT1_,"axG",@progbits,_ZN7rocprim17ROCPRIM_400000_NS6detail17trampoline_kernelINS0_14default_configENS1_25partition_config_selectorILNS1_17partition_subalgoE9EijbEEZZNS1_14partition_implILS5_9ELb0ES3_jN6thrust23THRUST_200600_302600_NS6detail15normal_iteratorINS9_10device_ptrIiEEEENSB_INSC_IjEEEEPNS0_10empty_typeENS0_5tupleIJSE_SH_EEENSJ_IJSG_SI_EEENS0_18inequality_wrapperINS9_8equal_toIiEEEEPmJSH_EEE10hipError_tPvRmT3_T4_T5_T6_T7_T9_mT8_P12ihipStream_tbDpT10_ENKUlT_T0_E_clISt17integral_constantIbLb1EES1A_EEDaS15_S16_EUlS15_E_NS1_11comp_targetILNS1_3genE3ELNS1_11target_archE908ELNS1_3gpuE7ELNS1_3repE0EEENS1_30default_config_static_selectorELNS0_4arch9wavefront6targetE0EEEvT1_,comdat
.Lfunc_end640:
	.size	_ZN7rocprim17ROCPRIM_400000_NS6detail17trampoline_kernelINS0_14default_configENS1_25partition_config_selectorILNS1_17partition_subalgoE9EijbEEZZNS1_14partition_implILS5_9ELb0ES3_jN6thrust23THRUST_200600_302600_NS6detail15normal_iteratorINS9_10device_ptrIiEEEENSB_INSC_IjEEEEPNS0_10empty_typeENS0_5tupleIJSE_SH_EEENSJ_IJSG_SI_EEENS0_18inequality_wrapperINS9_8equal_toIiEEEEPmJSH_EEE10hipError_tPvRmT3_T4_T5_T6_T7_T9_mT8_P12ihipStream_tbDpT10_ENKUlT_T0_E_clISt17integral_constantIbLb1EES1A_EEDaS15_S16_EUlS15_E_NS1_11comp_targetILNS1_3genE3ELNS1_11target_archE908ELNS1_3gpuE7ELNS1_3repE0EEENS1_30default_config_static_selectorELNS0_4arch9wavefront6targetE0EEEvT1_, .Lfunc_end640-_ZN7rocprim17ROCPRIM_400000_NS6detail17trampoline_kernelINS0_14default_configENS1_25partition_config_selectorILNS1_17partition_subalgoE9EijbEEZZNS1_14partition_implILS5_9ELb0ES3_jN6thrust23THRUST_200600_302600_NS6detail15normal_iteratorINS9_10device_ptrIiEEEENSB_INSC_IjEEEEPNS0_10empty_typeENS0_5tupleIJSE_SH_EEENSJ_IJSG_SI_EEENS0_18inequality_wrapperINS9_8equal_toIiEEEEPmJSH_EEE10hipError_tPvRmT3_T4_T5_T6_T7_T9_mT8_P12ihipStream_tbDpT10_ENKUlT_T0_E_clISt17integral_constantIbLb1EES1A_EEDaS15_S16_EUlS15_E_NS1_11comp_targetILNS1_3genE3ELNS1_11target_archE908ELNS1_3gpuE7ELNS1_3repE0EEENS1_30default_config_static_selectorELNS0_4arch9wavefront6targetE0EEEvT1_
                                        ; -- End function
	.section	.AMDGPU.csdata,"",@progbits
; Kernel info:
; codeLenInByte = 0
; NumSgprs: 0
; NumVgprs: 0
; ScratchSize: 0
; MemoryBound: 0
; FloatMode: 240
; IeeeMode: 1
; LDSByteSize: 0 bytes/workgroup (compile time only)
; SGPRBlocks: 0
; VGPRBlocks: 0
; NumSGPRsForWavesPerEU: 1
; NumVGPRsForWavesPerEU: 1
; Occupancy: 16
; WaveLimiterHint : 0
; COMPUTE_PGM_RSRC2:SCRATCH_EN: 0
; COMPUTE_PGM_RSRC2:USER_SGPR: 15
; COMPUTE_PGM_RSRC2:TRAP_HANDLER: 0
; COMPUTE_PGM_RSRC2:TGID_X_EN: 1
; COMPUTE_PGM_RSRC2:TGID_Y_EN: 0
; COMPUTE_PGM_RSRC2:TGID_Z_EN: 0
; COMPUTE_PGM_RSRC2:TIDIG_COMP_CNT: 0
	.section	.text._ZN7rocprim17ROCPRIM_400000_NS6detail17trampoline_kernelINS0_14default_configENS1_25partition_config_selectorILNS1_17partition_subalgoE9EijbEEZZNS1_14partition_implILS5_9ELb0ES3_jN6thrust23THRUST_200600_302600_NS6detail15normal_iteratorINS9_10device_ptrIiEEEENSB_INSC_IjEEEEPNS0_10empty_typeENS0_5tupleIJSE_SH_EEENSJ_IJSG_SI_EEENS0_18inequality_wrapperINS9_8equal_toIiEEEEPmJSH_EEE10hipError_tPvRmT3_T4_T5_T6_T7_T9_mT8_P12ihipStream_tbDpT10_ENKUlT_T0_E_clISt17integral_constantIbLb1EES1A_EEDaS15_S16_EUlS15_E_NS1_11comp_targetILNS1_3genE2ELNS1_11target_archE906ELNS1_3gpuE6ELNS1_3repE0EEENS1_30default_config_static_selectorELNS0_4arch9wavefront6targetE0EEEvT1_,"axG",@progbits,_ZN7rocprim17ROCPRIM_400000_NS6detail17trampoline_kernelINS0_14default_configENS1_25partition_config_selectorILNS1_17partition_subalgoE9EijbEEZZNS1_14partition_implILS5_9ELb0ES3_jN6thrust23THRUST_200600_302600_NS6detail15normal_iteratorINS9_10device_ptrIiEEEENSB_INSC_IjEEEEPNS0_10empty_typeENS0_5tupleIJSE_SH_EEENSJ_IJSG_SI_EEENS0_18inequality_wrapperINS9_8equal_toIiEEEEPmJSH_EEE10hipError_tPvRmT3_T4_T5_T6_T7_T9_mT8_P12ihipStream_tbDpT10_ENKUlT_T0_E_clISt17integral_constantIbLb1EES1A_EEDaS15_S16_EUlS15_E_NS1_11comp_targetILNS1_3genE2ELNS1_11target_archE906ELNS1_3gpuE6ELNS1_3repE0EEENS1_30default_config_static_selectorELNS0_4arch9wavefront6targetE0EEEvT1_,comdat
	.protected	_ZN7rocprim17ROCPRIM_400000_NS6detail17trampoline_kernelINS0_14default_configENS1_25partition_config_selectorILNS1_17partition_subalgoE9EijbEEZZNS1_14partition_implILS5_9ELb0ES3_jN6thrust23THRUST_200600_302600_NS6detail15normal_iteratorINS9_10device_ptrIiEEEENSB_INSC_IjEEEEPNS0_10empty_typeENS0_5tupleIJSE_SH_EEENSJ_IJSG_SI_EEENS0_18inequality_wrapperINS9_8equal_toIiEEEEPmJSH_EEE10hipError_tPvRmT3_T4_T5_T6_T7_T9_mT8_P12ihipStream_tbDpT10_ENKUlT_T0_E_clISt17integral_constantIbLb1EES1A_EEDaS15_S16_EUlS15_E_NS1_11comp_targetILNS1_3genE2ELNS1_11target_archE906ELNS1_3gpuE6ELNS1_3repE0EEENS1_30default_config_static_selectorELNS0_4arch9wavefront6targetE0EEEvT1_ ; -- Begin function _ZN7rocprim17ROCPRIM_400000_NS6detail17trampoline_kernelINS0_14default_configENS1_25partition_config_selectorILNS1_17partition_subalgoE9EijbEEZZNS1_14partition_implILS5_9ELb0ES3_jN6thrust23THRUST_200600_302600_NS6detail15normal_iteratorINS9_10device_ptrIiEEEENSB_INSC_IjEEEEPNS0_10empty_typeENS0_5tupleIJSE_SH_EEENSJ_IJSG_SI_EEENS0_18inequality_wrapperINS9_8equal_toIiEEEEPmJSH_EEE10hipError_tPvRmT3_T4_T5_T6_T7_T9_mT8_P12ihipStream_tbDpT10_ENKUlT_T0_E_clISt17integral_constantIbLb1EES1A_EEDaS15_S16_EUlS15_E_NS1_11comp_targetILNS1_3genE2ELNS1_11target_archE906ELNS1_3gpuE6ELNS1_3repE0EEENS1_30default_config_static_selectorELNS0_4arch9wavefront6targetE0EEEvT1_
	.globl	_ZN7rocprim17ROCPRIM_400000_NS6detail17trampoline_kernelINS0_14default_configENS1_25partition_config_selectorILNS1_17partition_subalgoE9EijbEEZZNS1_14partition_implILS5_9ELb0ES3_jN6thrust23THRUST_200600_302600_NS6detail15normal_iteratorINS9_10device_ptrIiEEEENSB_INSC_IjEEEEPNS0_10empty_typeENS0_5tupleIJSE_SH_EEENSJ_IJSG_SI_EEENS0_18inequality_wrapperINS9_8equal_toIiEEEEPmJSH_EEE10hipError_tPvRmT3_T4_T5_T6_T7_T9_mT8_P12ihipStream_tbDpT10_ENKUlT_T0_E_clISt17integral_constantIbLb1EES1A_EEDaS15_S16_EUlS15_E_NS1_11comp_targetILNS1_3genE2ELNS1_11target_archE906ELNS1_3gpuE6ELNS1_3repE0EEENS1_30default_config_static_selectorELNS0_4arch9wavefront6targetE0EEEvT1_
	.p2align	8
	.type	_ZN7rocprim17ROCPRIM_400000_NS6detail17trampoline_kernelINS0_14default_configENS1_25partition_config_selectorILNS1_17partition_subalgoE9EijbEEZZNS1_14partition_implILS5_9ELb0ES3_jN6thrust23THRUST_200600_302600_NS6detail15normal_iteratorINS9_10device_ptrIiEEEENSB_INSC_IjEEEEPNS0_10empty_typeENS0_5tupleIJSE_SH_EEENSJ_IJSG_SI_EEENS0_18inequality_wrapperINS9_8equal_toIiEEEEPmJSH_EEE10hipError_tPvRmT3_T4_T5_T6_T7_T9_mT8_P12ihipStream_tbDpT10_ENKUlT_T0_E_clISt17integral_constantIbLb1EES1A_EEDaS15_S16_EUlS15_E_NS1_11comp_targetILNS1_3genE2ELNS1_11target_archE906ELNS1_3gpuE6ELNS1_3repE0EEENS1_30default_config_static_selectorELNS0_4arch9wavefront6targetE0EEEvT1_,@function
_ZN7rocprim17ROCPRIM_400000_NS6detail17trampoline_kernelINS0_14default_configENS1_25partition_config_selectorILNS1_17partition_subalgoE9EijbEEZZNS1_14partition_implILS5_9ELb0ES3_jN6thrust23THRUST_200600_302600_NS6detail15normal_iteratorINS9_10device_ptrIiEEEENSB_INSC_IjEEEEPNS0_10empty_typeENS0_5tupleIJSE_SH_EEENSJ_IJSG_SI_EEENS0_18inequality_wrapperINS9_8equal_toIiEEEEPmJSH_EEE10hipError_tPvRmT3_T4_T5_T6_T7_T9_mT8_P12ihipStream_tbDpT10_ENKUlT_T0_E_clISt17integral_constantIbLb1EES1A_EEDaS15_S16_EUlS15_E_NS1_11comp_targetILNS1_3genE2ELNS1_11target_archE906ELNS1_3gpuE6ELNS1_3repE0EEENS1_30default_config_static_selectorELNS0_4arch9wavefront6targetE0EEEvT1_: ; @_ZN7rocprim17ROCPRIM_400000_NS6detail17trampoline_kernelINS0_14default_configENS1_25partition_config_selectorILNS1_17partition_subalgoE9EijbEEZZNS1_14partition_implILS5_9ELb0ES3_jN6thrust23THRUST_200600_302600_NS6detail15normal_iteratorINS9_10device_ptrIiEEEENSB_INSC_IjEEEEPNS0_10empty_typeENS0_5tupleIJSE_SH_EEENSJ_IJSG_SI_EEENS0_18inequality_wrapperINS9_8equal_toIiEEEEPmJSH_EEE10hipError_tPvRmT3_T4_T5_T6_T7_T9_mT8_P12ihipStream_tbDpT10_ENKUlT_T0_E_clISt17integral_constantIbLb1EES1A_EEDaS15_S16_EUlS15_E_NS1_11comp_targetILNS1_3genE2ELNS1_11target_archE906ELNS1_3gpuE6ELNS1_3repE0EEENS1_30default_config_static_selectorELNS0_4arch9wavefront6targetE0EEEvT1_
; %bb.0:
	.section	.rodata,"a",@progbits
	.p2align	6, 0x0
	.amdhsa_kernel _ZN7rocprim17ROCPRIM_400000_NS6detail17trampoline_kernelINS0_14default_configENS1_25partition_config_selectorILNS1_17partition_subalgoE9EijbEEZZNS1_14partition_implILS5_9ELb0ES3_jN6thrust23THRUST_200600_302600_NS6detail15normal_iteratorINS9_10device_ptrIiEEEENSB_INSC_IjEEEEPNS0_10empty_typeENS0_5tupleIJSE_SH_EEENSJ_IJSG_SI_EEENS0_18inequality_wrapperINS9_8equal_toIiEEEEPmJSH_EEE10hipError_tPvRmT3_T4_T5_T6_T7_T9_mT8_P12ihipStream_tbDpT10_ENKUlT_T0_E_clISt17integral_constantIbLb1EES1A_EEDaS15_S16_EUlS15_E_NS1_11comp_targetILNS1_3genE2ELNS1_11target_archE906ELNS1_3gpuE6ELNS1_3repE0EEENS1_30default_config_static_selectorELNS0_4arch9wavefront6targetE0EEEvT1_
		.amdhsa_group_segment_fixed_size 0
		.amdhsa_private_segment_fixed_size 0
		.amdhsa_kernarg_size 128
		.amdhsa_user_sgpr_count 15
		.amdhsa_user_sgpr_dispatch_ptr 0
		.amdhsa_user_sgpr_queue_ptr 0
		.amdhsa_user_sgpr_kernarg_segment_ptr 1
		.amdhsa_user_sgpr_dispatch_id 0
		.amdhsa_user_sgpr_private_segment_size 0
		.amdhsa_wavefront_size32 1
		.amdhsa_uses_dynamic_stack 0
		.amdhsa_enable_private_segment 0
		.amdhsa_system_sgpr_workgroup_id_x 1
		.amdhsa_system_sgpr_workgroup_id_y 0
		.amdhsa_system_sgpr_workgroup_id_z 0
		.amdhsa_system_sgpr_workgroup_info 0
		.amdhsa_system_vgpr_workitem_id 0
		.amdhsa_next_free_vgpr 1
		.amdhsa_next_free_sgpr 1
		.amdhsa_reserve_vcc 0
		.amdhsa_float_round_mode_32 0
		.amdhsa_float_round_mode_16_64 0
		.amdhsa_float_denorm_mode_32 3
		.amdhsa_float_denorm_mode_16_64 3
		.amdhsa_dx10_clamp 1
		.amdhsa_ieee_mode 1
		.amdhsa_fp16_overflow 0
		.amdhsa_workgroup_processor_mode 1
		.amdhsa_memory_ordered 1
		.amdhsa_forward_progress 0
		.amdhsa_shared_vgpr_count 0
		.amdhsa_exception_fp_ieee_invalid_op 0
		.amdhsa_exception_fp_denorm_src 0
		.amdhsa_exception_fp_ieee_div_zero 0
		.amdhsa_exception_fp_ieee_overflow 0
		.amdhsa_exception_fp_ieee_underflow 0
		.amdhsa_exception_fp_ieee_inexact 0
		.amdhsa_exception_int_div_zero 0
	.end_amdhsa_kernel
	.section	.text._ZN7rocprim17ROCPRIM_400000_NS6detail17trampoline_kernelINS0_14default_configENS1_25partition_config_selectorILNS1_17partition_subalgoE9EijbEEZZNS1_14partition_implILS5_9ELb0ES3_jN6thrust23THRUST_200600_302600_NS6detail15normal_iteratorINS9_10device_ptrIiEEEENSB_INSC_IjEEEEPNS0_10empty_typeENS0_5tupleIJSE_SH_EEENSJ_IJSG_SI_EEENS0_18inequality_wrapperINS9_8equal_toIiEEEEPmJSH_EEE10hipError_tPvRmT3_T4_T5_T6_T7_T9_mT8_P12ihipStream_tbDpT10_ENKUlT_T0_E_clISt17integral_constantIbLb1EES1A_EEDaS15_S16_EUlS15_E_NS1_11comp_targetILNS1_3genE2ELNS1_11target_archE906ELNS1_3gpuE6ELNS1_3repE0EEENS1_30default_config_static_selectorELNS0_4arch9wavefront6targetE0EEEvT1_,"axG",@progbits,_ZN7rocprim17ROCPRIM_400000_NS6detail17trampoline_kernelINS0_14default_configENS1_25partition_config_selectorILNS1_17partition_subalgoE9EijbEEZZNS1_14partition_implILS5_9ELb0ES3_jN6thrust23THRUST_200600_302600_NS6detail15normal_iteratorINS9_10device_ptrIiEEEENSB_INSC_IjEEEEPNS0_10empty_typeENS0_5tupleIJSE_SH_EEENSJ_IJSG_SI_EEENS0_18inequality_wrapperINS9_8equal_toIiEEEEPmJSH_EEE10hipError_tPvRmT3_T4_T5_T6_T7_T9_mT8_P12ihipStream_tbDpT10_ENKUlT_T0_E_clISt17integral_constantIbLb1EES1A_EEDaS15_S16_EUlS15_E_NS1_11comp_targetILNS1_3genE2ELNS1_11target_archE906ELNS1_3gpuE6ELNS1_3repE0EEENS1_30default_config_static_selectorELNS0_4arch9wavefront6targetE0EEEvT1_,comdat
.Lfunc_end641:
	.size	_ZN7rocprim17ROCPRIM_400000_NS6detail17trampoline_kernelINS0_14default_configENS1_25partition_config_selectorILNS1_17partition_subalgoE9EijbEEZZNS1_14partition_implILS5_9ELb0ES3_jN6thrust23THRUST_200600_302600_NS6detail15normal_iteratorINS9_10device_ptrIiEEEENSB_INSC_IjEEEEPNS0_10empty_typeENS0_5tupleIJSE_SH_EEENSJ_IJSG_SI_EEENS0_18inequality_wrapperINS9_8equal_toIiEEEEPmJSH_EEE10hipError_tPvRmT3_T4_T5_T6_T7_T9_mT8_P12ihipStream_tbDpT10_ENKUlT_T0_E_clISt17integral_constantIbLb1EES1A_EEDaS15_S16_EUlS15_E_NS1_11comp_targetILNS1_3genE2ELNS1_11target_archE906ELNS1_3gpuE6ELNS1_3repE0EEENS1_30default_config_static_selectorELNS0_4arch9wavefront6targetE0EEEvT1_, .Lfunc_end641-_ZN7rocprim17ROCPRIM_400000_NS6detail17trampoline_kernelINS0_14default_configENS1_25partition_config_selectorILNS1_17partition_subalgoE9EijbEEZZNS1_14partition_implILS5_9ELb0ES3_jN6thrust23THRUST_200600_302600_NS6detail15normal_iteratorINS9_10device_ptrIiEEEENSB_INSC_IjEEEEPNS0_10empty_typeENS0_5tupleIJSE_SH_EEENSJ_IJSG_SI_EEENS0_18inequality_wrapperINS9_8equal_toIiEEEEPmJSH_EEE10hipError_tPvRmT3_T4_T5_T6_T7_T9_mT8_P12ihipStream_tbDpT10_ENKUlT_T0_E_clISt17integral_constantIbLb1EES1A_EEDaS15_S16_EUlS15_E_NS1_11comp_targetILNS1_3genE2ELNS1_11target_archE906ELNS1_3gpuE6ELNS1_3repE0EEENS1_30default_config_static_selectorELNS0_4arch9wavefront6targetE0EEEvT1_
                                        ; -- End function
	.section	.AMDGPU.csdata,"",@progbits
; Kernel info:
; codeLenInByte = 0
; NumSgprs: 0
; NumVgprs: 0
; ScratchSize: 0
; MemoryBound: 0
; FloatMode: 240
; IeeeMode: 1
; LDSByteSize: 0 bytes/workgroup (compile time only)
; SGPRBlocks: 0
; VGPRBlocks: 0
; NumSGPRsForWavesPerEU: 1
; NumVGPRsForWavesPerEU: 1
; Occupancy: 16
; WaveLimiterHint : 0
; COMPUTE_PGM_RSRC2:SCRATCH_EN: 0
; COMPUTE_PGM_RSRC2:USER_SGPR: 15
; COMPUTE_PGM_RSRC2:TRAP_HANDLER: 0
; COMPUTE_PGM_RSRC2:TGID_X_EN: 1
; COMPUTE_PGM_RSRC2:TGID_Y_EN: 0
; COMPUTE_PGM_RSRC2:TGID_Z_EN: 0
; COMPUTE_PGM_RSRC2:TIDIG_COMP_CNT: 0
	.section	.text._ZN7rocprim17ROCPRIM_400000_NS6detail17trampoline_kernelINS0_14default_configENS1_25partition_config_selectorILNS1_17partition_subalgoE9EijbEEZZNS1_14partition_implILS5_9ELb0ES3_jN6thrust23THRUST_200600_302600_NS6detail15normal_iteratorINS9_10device_ptrIiEEEENSB_INSC_IjEEEEPNS0_10empty_typeENS0_5tupleIJSE_SH_EEENSJ_IJSG_SI_EEENS0_18inequality_wrapperINS9_8equal_toIiEEEEPmJSH_EEE10hipError_tPvRmT3_T4_T5_T6_T7_T9_mT8_P12ihipStream_tbDpT10_ENKUlT_T0_E_clISt17integral_constantIbLb1EES1A_EEDaS15_S16_EUlS15_E_NS1_11comp_targetILNS1_3genE10ELNS1_11target_archE1200ELNS1_3gpuE4ELNS1_3repE0EEENS1_30default_config_static_selectorELNS0_4arch9wavefront6targetE0EEEvT1_,"axG",@progbits,_ZN7rocprim17ROCPRIM_400000_NS6detail17trampoline_kernelINS0_14default_configENS1_25partition_config_selectorILNS1_17partition_subalgoE9EijbEEZZNS1_14partition_implILS5_9ELb0ES3_jN6thrust23THRUST_200600_302600_NS6detail15normal_iteratorINS9_10device_ptrIiEEEENSB_INSC_IjEEEEPNS0_10empty_typeENS0_5tupleIJSE_SH_EEENSJ_IJSG_SI_EEENS0_18inequality_wrapperINS9_8equal_toIiEEEEPmJSH_EEE10hipError_tPvRmT3_T4_T5_T6_T7_T9_mT8_P12ihipStream_tbDpT10_ENKUlT_T0_E_clISt17integral_constantIbLb1EES1A_EEDaS15_S16_EUlS15_E_NS1_11comp_targetILNS1_3genE10ELNS1_11target_archE1200ELNS1_3gpuE4ELNS1_3repE0EEENS1_30default_config_static_selectorELNS0_4arch9wavefront6targetE0EEEvT1_,comdat
	.protected	_ZN7rocprim17ROCPRIM_400000_NS6detail17trampoline_kernelINS0_14default_configENS1_25partition_config_selectorILNS1_17partition_subalgoE9EijbEEZZNS1_14partition_implILS5_9ELb0ES3_jN6thrust23THRUST_200600_302600_NS6detail15normal_iteratorINS9_10device_ptrIiEEEENSB_INSC_IjEEEEPNS0_10empty_typeENS0_5tupleIJSE_SH_EEENSJ_IJSG_SI_EEENS0_18inequality_wrapperINS9_8equal_toIiEEEEPmJSH_EEE10hipError_tPvRmT3_T4_T5_T6_T7_T9_mT8_P12ihipStream_tbDpT10_ENKUlT_T0_E_clISt17integral_constantIbLb1EES1A_EEDaS15_S16_EUlS15_E_NS1_11comp_targetILNS1_3genE10ELNS1_11target_archE1200ELNS1_3gpuE4ELNS1_3repE0EEENS1_30default_config_static_selectorELNS0_4arch9wavefront6targetE0EEEvT1_ ; -- Begin function _ZN7rocprim17ROCPRIM_400000_NS6detail17trampoline_kernelINS0_14default_configENS1_25partition_config_selectorILNS1_17partition_subalgoE9EijbEEZZNS1_14partition_implILS5_9ELb0ES3_jN6thrust23THRUST_200600_302600_NS6detail15normal_iteratorINS9_10device_ptrIiEEEENSB_INSC_IjEEEEPNS0_10empty_typeENS0_5tupleIJSE_SH_EEENSJ_IJSG_SI_EEENS0_18inequality_wrapperINS9_8equal_toIiEEEEPmJSH_EEE10hipError_tPvRmT3_T4_T5_T6_T7_T9_mT8_P12ihipStream_tbDpT10_ENKUlT_T0_E_clISt17integral_constantIbLb1EES1A_EEDaS15_S16_EUlS15_E_NS1_11comp_targetILNS1_3genE10ELNS1_11target_archE1200ELNS1_3gpuE4ELNS1_3repE0EEENS1_30default_config_static_selectorELNS0_4arch9wavefront6targetE0EEEvT1_
	.globl	_ZN7rocprim17ROCPRIM_400000_NS6detail17trampoline_kernelINS0_14default_configENS1_25partition_config_selectorILNS1_17partition_subalgoE9EijbEEZZNS1_14partition_implILS5_9ELb0ES3_jN6thrust23THRUST_200600_302600_NS6detail15normal_iteratorINS9_10device_ptrIiEEEENSB_INSC_IjEEEEPNS0_10empty_typeENS0_5tupleIJSE_SH_EEENSJ_IJSG_SI_EEENS0_18inequality_wrapperINS9_8equal_toIiEEEEPmJSH_EEE10hipError_tPvRmT3_T4_T5_T6_T7_T9_mT8_P12ihipStream_tbDpT10_ENKUlT_T0_E_clISt17integral_constantIbLb1EES1A_EEDaS15_S16_EUlS15_E_NS1_11comp_targetILNS1_3genE10ELNS1_11target_archE1200ELNS1_3gpuE4ELNS1_3repE0EEENS1_30default_config_static_selectorELNS0_4arch9wavefront6targetE0EEEvT1_
	.p2align	8
	.type	_ZN7rocprim17ROCPRIM_400000_NS6detail17trampoline_kernelINS0_14default_configENS1_25partition_config_selectorILNS1_17partition_subalgoE9EijbEEZZNS1_14partition_implILS5_9ELb0ES3_jN6thrust23THRUST_200600_302600_NS6detail15normal_iteratorINS9_10device_ptrIiEEEENSB_INSC_IjEEEEPNS0_10empty_typeENS0_5tupleIJSE_SH_EEENSJ_IJSG_SI_EEENS0_18inequality_wrapperINS9_8equal_toIiEEEEPmJSH_EEE10hipError_tPvRmT3_T4_T5_T6_T7_T9_mT8_P12ihipStream_tbDpT10_ENKUlT_T0_E_clISt17integral_constantIbLb1EES1A_EEDaS15_S16_EUlS15_E_NS1_11comp_targetILNS1_3genE10ELNS1_11target_archE1200ELNS1_3gpuE4ELNS1_3repE0EEENS1_30default_config_static_selectorELNS0_4arch9wavefront6targetE0EEEvT1_,@function
_ZN7rocprim17ROCPRIM_400000_NS6detail17trampoline_kernelINS0_14default_configENS1_25partition_config_selectorILNS1_17partition_subalgoE9EijbEEZZNS1_14partition_implILS5_9ELb0ES3_jN6thrust23THRUST_200600_302600_NS6detail15normal_iteratorINS9_10device_ptrIiEEEENSB_INSC_IjEEEEPNS0_10empty_typeENS0_5tupleIJSE_SH_EEENSJ_IJSG_SI_EEENS0_18inequality_wrapperINS9_8equal_toIiEEEEPmJSH_EEE10hipError_tPvRmT3_T4_T5_T6_T7_T9_mT8_P12ihipStream_tbDpT10_ENKUlT_T0_E_clISt17integral_constantIbLb1EES1A_EEDaS15_S16_EUlS15_E_NS1_11comp_targetILNS1_3genE10ELNS1_11target_archE1200ELNS1_3gpuE4ELNS1_3repE0EEENS1_30default_config_static_selectorELNS0_4arch9wavefront6targetE0EEEvT1_: ; @_ZN7rocprim17ROCPRIM_400000_NS6detail17trampoline_kernelINS0_14default_configENS1_25partition_config_selectorILNS1_17partition_subalgoE9EijbEEZZNS1_14partition_implILS5_9ELb0ES3_jN6thrust23THRUST_200600_302600_NS6detail15normal_iteratorINS9_10device_ptrIiEEEENSB_INSC_IjEEEEPNS0_10empty_typeENS0_5tupleIJSE_SH_EEENSJ_IJSG_SI_EEENS0_18inequality_wrapperINS9_8equal_toIiEEEEPmJSH_EEE10hipError_tPvRmT3_T4_T5_T6_T7_T9_mT8_P12ihipStream_tbDpT10_ENKUlT_T0_E_clISt17integral_constantIbLb1EES1A_EEDaS15_S16_EUlS15_E_NS1_11comp_targetILNS1_3genE10ELNS1_11target_archE1200ELNS1_3gpuE4ELNS1_3repE0EEENS1_30default_config_static_selectorELNS0_4arch9wavefront6targetE0EEEvT1_
; %bb.0:
	.section	.rodata,"a",@progbits
	.p2align	6, 0x0
	.amdhsa_kernel _ZN7rocprim17ROCPRIM_400000_NS6detail17trampoline_kernelINS0_14default_configENS1_25partition_config_selectorILNS1_17partition_subalgoE9EijbEEZZNS1_14partition_implILS5_9ELb0ES3_jN6thrust23THRUST_200600_302600_NS6detail15normal_iteratorINS9_10device_ptrIiEEEENSB_INSC_IjEEEEPNS0_10empty_typeENS0_5tupleIJSE_SH_EEENSJ_IJSG_SI_EEENS0_18inequality_wrapperINS9_8equal_toIiEEEEPmJSH_EEE10hipError_tPvRmT3_T4_T5_T6_T7_T9_mT8_P12ihipStream_tbDpT10_ENKUlT_T0_E_clISt17integral_constantIbLb1EES1A_EEDaS15_S16_EUlS15_E_NS1_11comp_targetILNS1_3genE10ELNS1_11target_archE1200ELNS1_3gpuE4ELNS1_3repE0EEENS1_30default_config_static_selectorELNS0_4arch9wavefront6targetE0EEEvT1_
		.amdhsa_group_segment_fixed_size 0
		.amdhsa_private_segment_fixed_size 0
		.amdhsa_kernarg_size 128
		.amdhsa_user_sgpr_count 15
		.amdhsa_user_sgpr_dispatch_ptr 0
		.amdhsa_user_sgpr_queue_ptr 0
		.amdhsa_user_sgpr_kernarg_segment_ptr 1
		.amdhsa_user_sgpr_dispatch_id 0
		.amdhsa_user_sgpr_private_segment_size 0
		.amdhsa_wavefront_size32 1
		.amdhsa_uses_dynamic_stack 0
		.amdhsa_enable_private_segment 0
		.amdhsa_system_sgpr_workgroup_id_x 1
		.amdhsa_system_sgpr_workgroup_id_y 0
		.amdhsa_system_sgpr_workgroup_id_z 0
		.amdhsa_system_sgpr_workgroup_info 0
		.amdhsa_system_vgpr_workitem_id 0
		.amdhsa_next_free_vgpr 1
		.amdhsa_next_free_sgpr 1
		.amdhsa_reserve_vcc 0
		.amdhsa_float_round_mode_32 0
		.amdhsa_float_round_mode_16_64 0
		.amdhsa_float_denorm_mode_32 3
		.amdhsa_float_denorm_mode_16_64 3
		.amdhsa_dx10_clamp 1
		.amdhsa_ieee_mode 1
		.amdhsa_fp16_overflow 0
		.amdhsa_workgroup_processor_mode 1
		.amdhsa_memory_ordered 1
		.amdhsa_forward_progress 0
		.amdhsa_shared_vgpr_count 0
		.amdhsa_exception_fp_ieee_invalid_op 0
		.amdhsa_exception_fp_denorm_src 0
		.amdhsa_exception_fp_ieee_div_zero 0
		.amdhsa_exception_fp_ieee_overflow 0
		.amdhsa_exception_fp_ieee_underflow 0
		.amdhsa_exception_fp_ieee_inexact 0
		.amdhsa_exception_int_div_zero 0
	.end_amdhsa_kernel
	.section	.text._ZN7rocprim17ROCPRIM_400000_NS6detail17trampoline_kernelINS0_14default_configENS1_25partition_config_selectorILNS1_17partition_subalgoE9EijbEEZZNS1_14partition_implILS5_9ELb0ES3_jN6thrust23THRUST_200600_302600_NS6detail15normal_iteratorINS9_10device_ptrIiEEEENSB_INSC_IjEEEEPNS0_10empty_typeENS0_5tupleIJSE_SH_EEENSJ_IJSG_SI_EEENS0_18inequality_wrapperINS9_8equal_toIiEEEEPmJSH_EEE10hipError_tPvRmT3_T4_T5_T6_T7_T9_mT8_P12ihipStream_tbDpT10_ENKUlT_T0_E_clISt17integral_constantIbLb1EES1A_EEDaS15_S16_EUlS15_E_NS1_11comp_targetILNS1_3genE10ELNS1_11target_archE1200ELNS1_3gpuE4ELNS1_3repE0EEENS1_30default_config_static_selectorELNS0_4arch9wavefront6targetE0EEEvT1_,"axG",@progbits,_ZN7rocprim17ROCPRIM_400000_NS6detail17trampoline_kernelINS0_14default_configENS1_25partition_config_selectorILNS1_17partition_subalgoE9EijbEEZZNS1_14partition_implILS5_9ELb0ES3_jN6thrust23THRUST_200600_302600_NS6detail15normal_iteratorINS9_10device_ptrIiEEEENSB_INSC_IjEEEEPNS0_10empty_typeENS0_5tupleIJSE_SH_EEENSJ_IJSG_SI_EEENS0_18inequality_wrapperINS9_8equal_toIiEEEEPmJSH_EEE10hipError_tPvRmT3_T4_T5_T6_T7_T9_mT8_P12ihipStream_tbDpT10_ENKUlT_T0_E_clISt17integral_constantIbLb1EES1A_EEDaS15_S16_EUlS15_E_NS1_11comp_targetILNS1_3genE10ELNS1_11target_archE1200ELNS1_3gpuE4ELNS1_3repE0EEENS1_30default_config_static_selectorELNS0_4arch9wavefront6targetE0EEEvT1_,comdat
.Lfunc_end642:
	.size	_ZN7rocprim17ROCPRIM_400000_NS6detail17trampoline_kernelINS0_14default_configENS1_25partition_config_selectorILNS1_17partition_subalgoE9EijbEEZZNS1_14partition_implILS5_9ELb0ES3_jN6thrust23THRUST_200600_302600_NS6detail15normal_iteratorINS9_10device_ptrIiEEEENSB_INSC_IjEEEEPNS0_10empty_typeENS0_5tupleIJSE_SH_EEENSJ_IJSG_SI_EEENS0_18inequality_wrapperINS9_8equal_toIiEEEEPmJSH_EEE10hipError_tPvRmT3_T4_T5_T6_T7_T9_mT8_P12ihipStream_tbDpT10_ENKUlT_T0_E_clISt17integral_constantIbLb1EES1A_EEDaS15_S16_EUlS15_E_NS1_11comp_targetILNS1_3genE10ELNS1_11target_archE1200ELNS1_3gpuE4ELNS1_3repE0EEENS1_30default_config_static_selectorELNS0_4arch9wavefront6targetE0EEEvT1_, .Lfunc_end642-_ZN7rocprim17ROCPRIM_400000_NS6detail17trampoline_kernelINS0_14default_configENS1_25partition_config_selectorILNS1_17partition_subalgoE9EijbEEZZNS1_14partition_implILS5_9ELb0ES3_jN6thrust23THRUST_200600_302600_NS6detail15normal_iteratorINS9_10device_ptrIiEEEENSB_INSC_IjEEEEPNS0_10empty_typeENS0_5tupleIJSE_SH_EEENSJ_IJSG_SI_EEENS0_18inequality_wrapperINS9_8equal_toIiEEEEPmJSH_EEE10hipError_tPvRmT3_T4_T5_T6_T7_T9_mT8_P12ihipStream_tbDpT10_ENKUlT_T0_E_clISt17integral_constantIbLb1EES1A_EEDaS15_S16_EUlS15_E_NS1_11comp_targetILNS1_3genE10ELNS1_11target_archE1200ELNS1_3gpuE4ELNS1_3repE0EEENS1_30default_config_static_selectorELNS0_4arch9wavefront6targetE0EEEvT1_
                                        ; -- End function
	.section	.AMDGPU.csdata,"",@progbits
; Kernel info:
; codeLenInByte = 0
; NumSgprs: 0
; NumVgprs: 0
; ScratchSize: 0
; MemoryBound: 0
; FloatMode: 240
; IeeeMode: 1
; LDSByteSize: 0 bytes/workgroup (compile time only)
; SGPRBlocks: 0
; VGPRBlocks: 0
; NumSGPRsForWavesPerEU: 1
; NumVGPRsForWavesPerEU: 1
; Occupancy: 15
; WaveLimiterHint : 0
; COMPUTE_PGM_RSRC2:SCRATCH_EN: 0
; COMPUTE_PGM_RSRC2:USER_SGPR: 15
; COMPUTE_PGM_RSRC2:TRAP_HANDLER: 0
; COMPUTE_PGM_RSRC2:TGID_X_EN: 1
; COMPUTE_PGM_RSRC2:TGID_Y_EN: 0
; COMPUTE_PGM_RSRC2:TGID_Z_EN: 0
; COMPUTE_PGM_RSRC2:TIDIG_COMP_CNT: 0
	.section	.text._ZN7rocprim17ROCPRIM_400000_NS6detail17trampoline_kernelINS0_14default_configENS1_25partition_config_selectorILNS1_17partition_subalgoE9EijbEEZZNS1_14partition_implILS5_9ELb0ES3_jN6thrust23THRUST_200600_302600_NS6detail15normal_iteratorINS9_10device_ptrIiEEEENSB_INSC_IjEEEEPNS0_10empty_typeENS0_5tupleIJSE_SH_EEENSJ_IJSG_SI_EEENS0_18inequality_wrapperINS9_8equal_toIiEEEEPmJSH_EEE10hipError_tPvRmT3_T4_T5_T6_T7_T9_mT8_P12ihipStream_tbDpT10_ENKUlT_T0_E_clISt17integral_constantIbLb1EES1A_EEDaS15_S16_EUlS15_E_NS1_11comp_targetILNS1_3genE9ELNS1_11target_archE1100ELNS1_3gpuE3ELNS1_3repE0EEENS1_30default_config_static_selectorELNS0_4arch9wavefront6targetE0EEEvT1_,"axG",@progbits,_ZN7rocprim17ROCPRIM_400000_NS6detail17trampoline_kernelINS0_14default_configENS1_25partition_config_selectorILNS1_17partition_subalgoE9EijbEEZZNS1_14partition_implILS5_9ELb0ES3_jN6thrust23THRUST_200600_302600_NS6detail15normal_iteratorINS9_10device_ptrIiEEEENSB_INSC_IjEEEEPNS0_10empty_typeENS0_5tupleIJSE_SH_EEENSJ_IJSG_SI_EEENS0_18inequality_wrapperINS9_8equal_toIiEEEEPmJSH_EEE10hipError_tPvRmT3_T4_T5_T6_T7_T9_mT8_P12ihipStream_tbDpT10_ENKUlT_T0_E_clISt17integral_constantIbLb1EES1A_EEDaS15_S16_EUlS15_E_NS1_11comp_targetILNS1_3genE9ELNS1_11target_archE1100ELNS1_3gpuE3ELNS1_3repE0EEENS1_30default_config_static_selectorELNS0_4arch9wavefront6targetE0EEEvT1_,comdat
	.protected	_ZN7rocprim17ROCPRIM_400000_NS6detail17trampoline_kernelINS0_14default_configENS1_25partition_config_selectorILNS1_17partition_subalgoE9EijbEEZZNS1_14partition_implILS5_9ELb0ES3_jN6thrust23THRUST_200600_302600_NS6detail15normal_iteratorINS9_10device_ptrIiEEEENSB_INSC_IjEEEEPNS0_10empty_typeENS0_5tupleIJSE_SH_EEENSJ_IJSG_SI_EEENS0_18inequality_wrapperINS9_8equal_toIiEEEEPmJSH_EEE10hipError_tPvRmT3_T4_T5_T6_T7_T9_mT8_P12ihipStream_tbDpT10_ENKUlT_T0_E_clISt17integral_constantIbLb1EES1A_EEDaS15_S16_EUlS15_E_NS1_11comp_targetILNS1_3genE9ELNS1_11target_archE1100ELNS1_3gpuE3ELNS1_3repE0EEENS1_30default_config_static_selectorELNS0_4arch9wavefront6targetE0EEEvT1_ ; -- Begin function _ZN7rocprim17ROCPRIM_400000_NS6detail17trampoline_kernelINS0_14default_configENS1_25partition_config_selectorILNS1_17partition_subalgoE9EijbEEZZNS1_14partition_implILS5_9ELb0ES3_jN6thrust23THRUST_200600_302600_NS6detail15normal_iteratorINS9_10device_ptrIiEEEENSB_INSC_IjEEEEPNS0_10empty_typeENS0_5tupleIJSE_SH_EEENSJ_IJSG_SI_EEENS0_18inequality_wrapperINS9_8equal_toIiEEEEPmJSH_EEE10hipError_tPvRmT3_T4_T5_T6_T7_T9_mT8_P12ihipStream_tbDpT10_ENKUlT_T0_E_clISt17integral_constantIbLb1EES1A_EEDaS15_S16_EUlS15_E_NS1_11comp_targetILNS1_3genE9ELNS1_11target_archE1100ELNS1_3gpuE3ELNS1_3repE0EEENS1_30default_config_static_selectorELNS0_4arch9wavefront6targetE0EEEvT1_
	.globl	_ZN7rocprim17ROCPRIM_400000_NS6detail17trampoline_kernelINS0_14default_configENS1_25partition_config_selectorILNS1_17partition_subalgoE9EijbEEZZNS1_14partition_implILS5_9ELb0ES3_jN6thrust23THRUST_200600_302600_NS6detail15normal_iteratorINS9_10device_ptrIiEEEENSB_INSC_IjEEEEPNS0_10empty_typeENS0_5tupleIJSE_SH_EEENSJ_IJSG_SI_EEENS0_18inequality_wrapperINS9_8equal_toIiEEEEPmJSH_EEE10hipError_tPvRmT3_T4_T5_T6_T7_T9_mT8_P12ihipStream_tbDpT10_ENKUlT_T0_E_clISt17integral_constantIbLb1EES1A_EEDaS15_S16_EUlS15_E_NS1_11comp_targetILNS1_3genE9ELNS1_11target_archE1100ELNS1_3gpuE3ELNS1_3repE0EEENS1_30default_config_static_selectorELNS0_4arch9wavefront6targetE0EEEvT1_
	.p2align	8
	.type	_ZN7rocprim17ROCPRIM_400000_NS6detail17trampoline_kernelINS0_14default_configENS1_25partition_config_selectorILNS1_17partition_subalgoE9EijbEEZZNS1_14partition_implILS5_9ELb0ES3_jN6thrust23THRUST_200600_302600_NS6detail15normal_iteratorINS9_10device_ptrIiEEEENSB_INSC_IjEEEEPNS0_10empty_typeENS0_5tupleIJSE_SH_EEENSJ_IJSG_SI_EEENS0_18inequality_wrapperINS9_8equal_toIiEEEEPmJSH_EEE10hipError_tPvRmT3_T4_T5_T6_T7_T9_mT8_P12ihipStream_tbDpT10_ENKUlT_T0_E_clISt17integral_constantIbLb1EES1A_EEDaS15_S16_EUlS15_E_NS1_11comp_targetILNS1_3genE9ELNS1_11target_archE1100ELNS1_3gpuE3ELNS1_3repE0EEENS1_30default_config_static_selectorELNS0_4arch9wavefront6targetE0EEEvT1_,@function
_ZN7rocprim17ROCPRIM_400000_NS6detail17trampoline_kernelINS0_14default_configENS1_25partition_config_selectorILNS1_17partition_subalgoE9EijbEEZZNS1_14partition_implILS5_9ELb0ES3_jN6thrust23THRUST_200600_302600_NS6detail15normal_iteratorINS9_10device_ptrIiEEEENSB_INSC_IjEEEEPNS0_10empty_typeENS0_5tupleIJSE_SH_EEENSJ_IJSG_SI_EEENS0_18inequality_wrapperINS9_8equal_toIiEEEEPmJSH_EEE10hipError_tPvRmT3_T4_T5_T6_T7_T9_mT8_P12ihipStream_tbDpT10_ENKUlT_T0_E_clISt17integral_constantIbLb1EES1A_EEDaS15_S16_EUlS15_E_NS1_11comp_targetILNS1_3genE9ELNS1_11target_archE1100ELNS1_3gpuE3ELNS1_3repE0EEENS1_30default_config_static_selectorELNS0_4arch9wavefront6targetE0EEEvT1_: ; @_ZN7rocprim17ROCPRIM_400000_NS6detail17trampoline_kernelINS0_14default_configENS1_25partition_config_selectorILNS1_17partition_subalgoE9EijbEEZZNS1_14partition_implILS5_9ELb0ES3_jN6thrust23THRUST_200600_302600_NS6detail15normal_iteratorINS9_10device_ptrIiEEEENSB_INSC_IjEEEEPNS0_10empty_typeENS0_5tupleIJSE_SH_EEENSJ_IJSG_SI_EEENS0_18inequality_wrapperINS9_8equal_toIiEEEEPmJSH_EEE10hipError_tPvRmT3_T4_T5_T6_T7_T9_mT8_P12ihipStream_tbDpT10_ENKUlT_T0_E_clISt17integral_constantIbLb1EES1A_EEDaS15_S16_EUlS15_E_NS1_11comp_targetILNS1_3genE9ELNS1_11target_archE1100ELNS1_3gpuE3ELNS1_3repE0EEENS1_30default_config_static_selectorELNS0_4arch9wavefront6targetE0EEEvT1_
; %bb.0:
	s_clause 0x4
	s_load_b128 s[4:7], s[0:1], 0x8
	s_load_b64 s[8:9], s[0:1], 0x18
	s_load_b128 s[12:15], s[0:1], 0x40
	s_load_b64 s[10:11], s[0:1], 0x50
	s_load_b64 s[20:21], s[0:1], 0x60
	v_cmp_ne_u32_e64 s3, 0, v0
	v_cmp_eq_u32_e64 s2, 0, v0
	s_delay_alu instid0(VALU_DEP_1)
	s_and_saveexec_b32 s16, s2
	s_cbranch_execz .LBB643_4
; %bb.1:
	s_mov_b32 s18, exec_lo
	s_mov_b32 s17, exec_lo
	v_mbcnt_lo_u32_b32 v1, s18, 0
                                        ; implicit-def: $vgpr2
	s_delay_alu instid0(VALU_DEP_1)
	v_cmpx_eq_u32_e32 0, v1
	s_cbranch_execz .LBB643_3
; %bb.2:
	s_load_b64 s[22:23], s[0:1], 0x70
	s_bcnt1_i32_b32 s18, s18
	s_delay_alu instid0(SALU_CYCLE_1)
	v_dual_mov_b32 v2, 0 :: v_dual_mov_b32 v3, s18
	s_waitcnt lgkmcnt(0)
	global_atomic_add_u32 v2, v2, v3, s[22:23] glc
.LBB643_3:
	s_or_b32 exec_lo, exec_lo, s17
	s_waitcnt vmcnt(0)
	v_readfirstlane_b32 s17, v2
	s_delay_alu instid0(VALU_DEP_1)
	v_dual_mov_b32 v2, 0 :: v_dual_add_nc_u32 v1, s17, v1
	ds_store_b32 v2, v1
.LBB643_4:
	s_or_b32 exec_lo, exec_lo, s16
	v_dual_mov_b32 v1, 0 :: v_dual_add_nc_u32 v22, 0x300, v0
	s_clause 0x1
	s_load_b128 s[16:19], s[0:1], 0x28
	s_load_b32 s0, s[0:1], 0x68
	s_waitcnt lgkmcnt(0)
	s_barrier
	buffer_gl0_inv
	ds_load_b32 v3, v1
	s_waitcnt lgkmcnt(0)
	s_barrier
	buffer_gl0_inv
	global_load_b64 v[1:2], v1, s[14:15]
	s_lshl_b64 s[14:15], s[6:7], 2
	s_mov_b32 s1, 0
	s_add_u32 s27, s4, s14
	s_addc_u32 s28, s5, s15
	v_lshrrev_b32_e32 v20, 3, v0
	v_add_nc_u32_e32 v25, 0x180, v0
	v_add_nc_u32_e32 v21, 0x480, v0
	v_or_b32_e32 v23, 0x600, v0
	v_add_nc_u32_e32 v18, 0x780, v0
	v_add_nc_u32_e32 v17, 0x900, v0
	;; [unrolled: 1-line block ×3, first 2 shown]
	s_mul_i32 s22, s0, 0xc00
	s_add_i32 s0, s0, -1
	s_add_i32 s4, s22, s6
	s_delay_alu instid0(SALU_CYCLE_1) | instskip(SKIP_4) | instid1(SALU_CYCLE_1)
	s_sub_i32 s25, s10, s4
	v_readfirstlane_b32 s24, v3
	s_addk_i32 s25, 0xc00
	s_add_u32 s4, s6, s22
	s_addc_u32 s5, s7, 0
	v_cmp_ge_u64_e64 s4, s[4:5], s[10:11]
	s_cmp_eq_u32 s24, s0
	s_mul_i32 s0, s24, 0xc00
	s_cselect_b32 s22, -1, 0
	s_delay_alu instid0(VALU_DEP_1) | instid1(SALU_CYCLE_1)
	s_and_b32 s26, s4, s22
	s_lshl_b64 s[4:5], s[0:1], 2
	s_xor_b32 s23, s26, -1
	s_add_u32 s27, s27, s4
	s_addc_u32 s1, s28, s5
	s_and_b32 vcc_lo, exec_lo, s23
	s_mov_b32 s28, -1
	s_waitcnt vmcnt(0)
	v_readfirstlane_b32 s10, v1
	v_readfirstlane_b32 s11, v2
	s_cbranch_vccz .LBB643_6
; %bb.5:
	v_lshlrev_b32_e32 v7, 2, v0
	v_lshrrev_b32_e32 v11, 3, v25
	v_lshrrev_b32_e32 v12, 3, v22
	;; [unrolled: 1-line block ×4, first 2 shown]
	v_add_co_u32 v1, s0, s27, v7
	s_delay_alu instid0(VALU_DEP_1) | instskip(SKIP_1) | instid1(VALU_DEP_3)
	v_add_co_ci_u32_e64 v2, null, s1, 0, s0
	v_lshrrev_b32_e32 v15, 3, v18
	v_add_co_u32 v3, vcc_lo, 0x1000, v1
	s_delay_alu instid0(VALU_DEP_3)
	v_add_co_ci_u32_e32 v4, vcc_lo, 0, v2, vcc_lo
	v_add_co_u32 v5, vcc_lo, 0x2000, v1
	v_add_co_ci_u32_e32 v6, vcc_lo, 0, v2, vcc_lo
	s_clause 0x7
	flat_load_b32 v8, v[1:2]
	flat_load_b32 v9, v[1:2] offset:1536
	flat_load_b32 v1, v[1:2] offset:3072
	;; [unrolled: 1-line block ×7, first 2 shown]
	v_and_b32_e32 v6, 60, v20
	v_lshrrev_b32_e32 v16, 3, v17
	v_lshrrev_b32_e32 v19, 3, v24
	v_and_b32_e32 v11, 0x7c, v11
	v_and_b32_e32 v12, 0xfc, v12
	;; [unrolled: 1-line block ×4, first 2 shown]
	v_add_nc_u32_e32 v6, v6, v7
	v_and_b32_e32 v15, 0x1fc, v15
	v_and_b32_e32 v16, 0x17c, v16
	;; [unrolled: 1-line block ×3, first 2 shown]
	v_add_nc_u32_e32 v11, v11, v7
	v_add_nc_u32_e32 v12, v12, v7
	v_add_nc_u32_e32 v13, v13, v7
	v_add_nc_u32_e32 v14, v14, v7
	s_mov_b32 s28, 0
	v_add_nc_u32_e32 v15, v15, v7
	v_add_nc_u32_e32 v16, v16, v7
	;; [unrolled: 1-line block ×3, first 2 shown]
	s_waitcnt vmcnt(7) lgkmcnt(7)
	ds_store_b32 v6, v8
	s_waitcnt vmcnt(6) lgkmcnt(7)
	ds_store_b32 v11, v9 offset:1536
	s_waitcnt vmcnt(5) lgkmcnt(7)
	ds_store_b32 v12, v1 offset:3072
	;; [unrolled: 2-line block ×7, first 2 shown]
	s_waitcnt lgkmcnt(0)
	s_barrier
.LBB643_6:
	v_cmp_gt_u32_e64 s0, s25, v0
	s_and_not1_b32 vcc_lo, exec_lo, s28
	s_cbranch_vccnz .LBB643_24
; %bb.7:
                                        ; implicit-def: $vgpr1_vgpr2_vgpr3_vgpr4_vgpr5_vgpr6_vgpr7_vgpr8
	s_delay_alu instid0(VALU_DEP_1)
	s_and_saveexec_b32 s28, s0
	s_cbranch_execz .LBB643_15
; %bb.8:
	v_lshlrev_b32_e32 v1, 2, v0
	s_delay_alu instid0(VALU_DEP_1) | instskip(NEXT) | instid1(VALU_DEP_1)
	v_add_co_u32 v1, s0, s27, v1
	v_add_co_ci_u32_e64 v2, null, s1, 0, s0
	flat_load_b32 v1, v[1:2]
	s_or_b32 exec_lo, exec_lo, s28
	s_delay_alu instid0(SALU_CYCLE_1)
	s_mov_b32 s0, exec_lo
	v_cmpx_gt_u32_e64 s25, v25
	s_cbranch_execnz .LBB643_16
.LBB643_9:
	s_or_b32 exec_lo, exec_lo, s0
	s_delay_alu instid0(SALU_CYCLE_1)
	s_mov_b32 s0, exec_lo
	v_cmpx_gt_u32_e64 s25, v22
	s_cbranch_execz .LBB643_17
.LBB643_10:
	v_lshlrev_b32_e32 v3, 2, v0
	s_delay_alu instid0(VALU_DEP_1) | instskip(NEXT) | instid1(VALU_DEP_1)
	v_add_co_u32 v9, s28, s27, v3
	v_add_co_ci_u32_e64 v10, null, s1, 0, s28
	flat_load_b32 v3, v[9:10] offset:3072
	s_or_b32 exec_lo, exec_lo, s0
	s_delay_alu instid0(SALU_CYCLE_1)
	s_mov_b32 s0, exec_lo
	v_cmpx_gt_u32_e64 s25, v21
	s_cbranch_execnz .LBB643_18
.LBB643_11:
	s_or_b32 exec_lo, exec_lo, s0
	s_delay_alu instid0(SALU_CYCLE_1)
	s_mov_b32 s0, exec_lo
	v_cmpx_gt_u32_e64 s25, v23
	s_cbranch_execz .LBB643_19
.LBB643_12:
	v_lshlrev_b32_e32 v5, 2, v23
	s_delay_alu instid0(VALU_DEP_1) | instskip(NEXT) | instid1(VALU_DEP_1)
	v_add_co_u32 v9, s28, s27, v5
	v_add_co_ci_u32_e64 v10, null, s1, 0, s28
	flat_load_b32 v5, v[9:10]
	s_or_b32 exec_lo, exec_lo, s0
	s_delay_alu instid0(SALU_CYCLE_1)
	s_mov_b32 s0, exec_lo
	v_cmpx_gt_u32_e64 s25, v18
	s_cbranch_execnz .LBB643_20
.LBB643_13:
	s_or_b32 exec_lo, exec_lo, s0
	s_delay_alu instid0(SALU_CYCLE_1)
	s_mov_b32 s0, exec_lo
	v_cmpx_gt_u32_e64 s25, v17
	s_cbranch_execz .LBB643_21
.LBB643_14:
	v_lshlrev_b32_e32 v7, 2, v17
	s_delay_alu instid0(VALU_DEP_1) | instskip(NEXT) | instid1(VALU_DEP_1)
	v_add_co_u32 v9, s28, s27, v7
	v_add_co_ci_u32_e64 v10, null, s1, 0, s28
	flat_load_b32 v7, v[9:10]
	s_or_b32 exec_lo, exec_lo, s0
	s_delay_alu instid0(SALU_CYCLE_1)
	s_mov_b32 s0, exec_lo
	v_cmpx_gt_u32_e64 s25, v24
	s_cbranch_execnz .LBB643_22
	s_branch .LBB643_23
.LBB643_15:
	s_or_b32 exec_lo, exec_lo, s28
	s_delay_alu instid0(SALU_CYCLE_1)
	s_mov_b32 s0, exec_lo
	v_cmpx_gt_u32_e64 s25, v25
	s_cbranch_execz .LBB643_9
.LBB643_16:
	v_lshlrev_b32_e32 v2, 2, v0
	s_delay_alu instid0(VALU_DEP_1) | instskip(NEXT) | instid1(VALU_DEP_1)
	v_add_co_u32 v9, s28, s27, v2
	v_add_co_ci_u32_e64 v10, null, s1, 0, s28
	flat_load_b32 v2, v[9:10] offset:1536
	s_or_b32 exec_lo, exec_lo, s0
	s_delay_alu instid0(SALU_CYCLE_1)
	s_mov_b32 s0, exec_lo
	v_cmpx_gt_u32_e64 s25, v22
	s_cbranch_execnz .LBB643_10
.LBB643_17:
	s_or_b32 exec_lo, exec_lo, s0
	s_delay_alu instid0(SALU_CYCLE_1)
	s_mov_b32 s0, exec_lo
	v_cmpx_gt_u32_e64 s25, v21
	s_cbranch_execz .LBB643_11
.LBB643_18:
	v_lshlrev_b32_e32 v4, 2, v21
	s_delay_alu instid0(VALU_DEP_1) | instskip(NEXT) | instid1(VALU_DEP_1)
	v_add_co_u32 v9, s28, s27, v4
	v_add_co_ci_u32_e64 v10, null, s1, 0, s28
	flat_load_b32 v4, v[9:10]
	s_or_b32 exec_lo, exec_lo, s0
	s_delay_alu instid0(SALU_CYCLE_1)
	s_mov_b32 s0, exec_lo
	v_cmpx_gt_u32_e64 s25, v23
	s_cbranch_execnz .LBB643_12
.LBB643_19:
	s_or_b32 exec_lo, exec_lo, s0
	s_delay_alu instid0(SALU_CYCLE_1)
	s_mov_b32 s0, exec_lo
	v_cmpx_gt_u32_e64 s25, v18
	s_cbranch_execz .LBB643_13
.LBB643_20:
	v_lshlrev_b32_e32 v6, 2, v18
	s_delay_alu instid0(VALU_DEP_1) | instskip(NEXT) | instid1(VALU_DEP_1)
	v_add_co_u32 v9, s28, s27, v6
	v_add_co_ci_u32_e64 v10, null, s1, 0, s28
	flat_load_b32 v6, v[9:10]
	s_or_b32 exec_lo, exec_lo, s0
	s_delay_alu instid0(SALU_CYCLE_1)
	s_mov_b32 s0, exec_lo
	v_cmpx_gt_u32_e64 s25, v17
	s_cbranch_execnz .LBB643_14
.LBB643_21:
	s_or_b32 exec_lo, exec_lo, s0
	s_delay_alu instid0(SALU_CYCLE_1)
	s_mov_b32 s0, exec_lo
	v_cmpx_gt_u32_e64 s25, v24
	s_cbranch_execz .LBB643_23
.LBB643_22:
	v_lshlrev_b32_e32 v8, 2, v24
	s_delay_alu instid0(VALU_DEP_1) | instskip(NEXT) | instid1(VALU_DEP_1)
	v_add_co_u32 v8, s28, s27, v8
	v_add_co_ci_u32_e64 v9, null, s1, 0, s28
	flat_load_b32 v8, v[8:9]
.LBB643_23:
	s_or_b32 exec_lo, exec_lo, s0
	v_lshrrev_b32_e32 v9, 3, v25
	v_lshrrev_b32_e32 v10, 3, v22
	;; [unrolled: 1-line block ×4, first 2 shown]
	v_and_b32_e32 v11, 60, v20
	v_lshlrev_b32_e32 v12, 2, v0
	v_lshrrev_b32_e32 v15, 3, v18
	v_lshrrev_b32_e32 v16, 3, v17
	;; [unrolled: 1-line block ×3, first 2 shown]
	v_and_b32_e32 v9, 0x7c, v9
	v_and_b32_e32 v10, 0xfc, v10
	v_and_b32_e32 v13, 0xfc, v13
	v_and_b32_e32 v14, 0xfc, v14
	v_add_nc_u32_e32 v11, v11, v12
	v_and_b32_e32 v15, 0x1fc, v15
	v_and_b32_e32 v16, 0x1fc, v16
	;; [unrolled: 1-line block ×3, first 2 shown]
	v_add_nc_u32_e32 v9, v9, v12
	v_add_nc_u32_e32 v10, v10, v12
	;; [unrolled: 1-line block ×7, first 2 shown]
	s_waitcnt vmcnt(0) lgkmcnt(0)
	ds_store_b32 v11, v1
	ds_store_b32 v9, v2 offset:1536
	ds_store_b32 v10, v3 offset:3072
	;; [unrolled: 1-line block ×7, first 2 shown]
	s_waitcnt lgkmcnt(0)
	s_barrier
.LBB643_24:
	v_lshlrev_b32_e32 v19, 3, v0
	v_lshrrev_b32_e32 v1, 2, v0
	buffer_gl0_inv
	s_add_u32 s0, s8, s14
	s_addc_u32 s8, s9, s15
	s_add_u32 s0, s0, s4
	v_add_lshl_u32 v1, v1, v19, 2
	s_addc_u32 s4, s8, s5
	s_and_b32 vcc_lo, exec_lo, s23
	s_mov_b32 s5, -1
	ds_load_2addr_b32 v[15:16], v1 offset1:1
	ds_load_2addr_b32 v[13:14], v1 offset0:2 offset1:3
	ds_load_2addr_b32 v[11:12], v1 offset0:4 offset1:5
	;; [unrolled: 1-line block ×3, first 2 shown]
	s_waitcnt lgkmcnt(0)
	s_barrier
	buffer_gl0_inv
	s_cbranch_vccz .LBB643_26
; %bb.25:
	v_lshlrev_b32_e32 v8, 2, v0
	v_lshrrev_b32_e32 v29, 3, v25
	v_lshrrev_b32_e32 v30, 3, v22
	;; [unrolled: 1-line block ×4, first 2 shown]
	v_add_co_u32 v2, s5, s0, v8
	s_delay_alu instid0(VALU_DEP_1) | instskip(SKIP_1) | instid1(VALU_DEP_3)
	v_add_co_ci_u32_e64 v3, null, s4, 0, s5
	v_lshrrev_b32_e32 v33, 3, v18
	v_add_co_u32 v4, vcc_lo, 0x1000, v2
	s_delay_alu instid0(VALU_DEP_3)
	v_add_co_ci_u32_e32 v5, vcc_lo, 0, v3, vcc_lo
	v_add_co_u32 v6, vcc_lo, 0x2000, v2
	v_add_co_ci_u32_e32 v7, vcc_lo, 0, v3, vcc_lo
	s_clause 0x7
	flat_load_b32 v26, v[2:3]
	flat_load_b32 v27, v[2:3] offset:1536
	flat_load_b32 v2, v[2:3] offset:3072
	;; [unrolled: 1-line block ×7, first 2 shown]
	v_and_b32_e32 v7, 60, v20
	v_lshrrev_b32_e32 v34, 3, v17
	v_lshrrev_b32_e32 v35, 3, v24
	v_and_b32_e32 v29, 0x7c, v29
	v_and_b32_e32 v30, 0xfc, v30
	;; [unrolled: 1-line block ×4, first 2 shown]
	v_add_nc_u32_e32 v7, v7, v8
	v_and_b32_e32 v33, 0x1fc, v33
	v_and_b32_e32 v34, 0x17c, v34
	;; [unrolled: 1-line block ×3, first 2 shown]
	v_add_nc_u32_e32 v29, v29, v8
	v_add_nc_u32_e32 v30, v30, v8
	;; [unrolled: 1-line block ×4, first 2 shown]
	s_mov_b32 s5, 0
	v_add_nc_u32_e32 v33, v33, v8
	v_add_nc_u32_e32 v34, v34, v8
	;; [unrolled: 1-line block ×3, first 2 shown]
	s_waitcnt vmcnt(7) lgkmcnt(7)
	ds_store_b32 v7, v26
	s_waitcnt vmcnt(6) lgkmcnt(7)
	ds_store_b32 v29, v27 offset:1536
	s_waitcnt vmcnt(5) lgkmcnt(7)
	ds_store_b32 v30, v2 offset:3072
	;; [unrolled: 2-line block ×7, first 2 shown]
	s_waitcnt lgkmcnt(0)
	s_barrier
.LBB643_26:
	s_and_not1_b32 vcc_lo, exec_lo, s5
	s_cbranch_vccnz .LBB643_44
; %bb.27:
	s_mov_b32 s5, exec_lo
                                        ; implicit-def: $vgpr2
	v_cmpx_gt_u32_e64 s25, v0
	s_cbranch_execz .LBB643_29
; %bb.28:
	v_lshlrev_b32_e32 v2, 2, v0
	s_delay_alu instid0(VALU_DEP_1) | instskip(NEXT) | instid1(VALU_DEP_1)
	v_add_co_u32 v2, s8, s0, v2
	v_add_co_ci_u32_e64 v3, null, s4, 0, s8
	flat_load_b32 v2, v[2:3]
.LBB643_29:
	s_or_b32 exec_lo, exec_lo, s5
	s_delay_alu instid0(SALU_CYCLE_1)
	s_mov_b32 s5, exec_lo
                                        ; implicit-def: $vgpr3
	v_cmpx_gt_u32_e64 s25, v25
	s_cbranch_execz .LBB643_31
; %bb.30:
	v_lshlrev_b32_e32 v3, 2, v0
	s_delay_alu instid0(VALU_DEP_1) | instskip(NEXT) | instid1(VALU_DEP_1)
	v_add_co_u32 v3, s8, s0, v3
	v_add_co_ci_u32_e64 v4, null, s4, 0, s8
	flat_load_b32 v3, v[3:4] offset:1536
.LBB643_31:
	s_or_b32 exec_lo, exec_lo, s5
	s_delay_alu instid0(SALU_CYCLE_1)
	s_mov_b32 s5, exec_lo
                                        ; implicit-def: $vgpr4
	v_cmpx_gt_u32_e64 s25, v22
	s_cbranch_execz .LBB643_33
; %bb.32:
	v_lshlrev_b32_e32 v4, 2, v0
	s_delay_alu instid0(VALU_DEP_1) | instskip(NEXT) | instid1(VALU_DEP_1)
	v_add_co_u32 v4, s8, s0, v4
	v_add_co_ci_u32_e64 v5, null, s4, 0, s8
	flat_load_b32 v4, v[4:5] offset:3072
.LBB643_33:
	s_or_b32 exec_lo, exec_lo, s5
	s_delay_alu instid0(SALU_CYCLE_1)
	s_mov_b32 s5, exec_lo
                                        ; implicit-def: $vgpr5
	v_cmpx_gt_u32_e64 s25, v21
	s_cbranch_execz .LBB643_35
; %bb.34:
	v_lshlrev_b32_e32 v5, 2, v21
	s_delay_alu instid0(VALU_DEP_1) | instskip(NEXT) | instid1(VALU_DEP_1)
	v_add_co_u32 v5, s8, s0, v5
	v_add_co_ci_u32_e64 v6, null, s4, 0, s8
	flat_load_b32 v5, v[5:6]
.LBB643_35:
	s_or_b32 exec_lo, exec_lo, s5
	s_delay_alu instid0(SALU_CYCLE_1)
	s_mov_b32 s5, exec_lo
                                        ; implicit-def: $vgpr6
	v_cmpx_gt_u32_e64 s25, v23
	s_cbranch_execz .LBB643_37
; %bb.36:
	v_lshlrev_b32_e32 v6, 2, v23
	s_delay_alu instid0(VALU_DEP_1) | instskip(NEXT) | instid1(VALU_DEP_1)
	v_add_co_u32 v6, s8, s0, v6
	v_add_co_ci_u32_e64 v7, null, s4, 0, s8
	flat_load_b32 v6, v[6:7]
.LBB643_37:
	s_or_b32 exec_lo, exec_lo, s5
	s_delay_alu instid0(SALU_CYCLE_1)
	s_mov_b32 s5, exec_lo
                                        ; implicit-def: $vgpr7
	v_cmpx_gt_u32_e64 s25, v18
	s_cbranch_execz .LBB643_39
; %bb.38:
	v_lshlrev_b32_e32 v7, 2, v18
	s_delay_alu instid0(VALU_DEP_1) | instskip(NEXT) | instid1(VALU_DEP_1)
	v_add_co_u32 v7, s8, s0, v7
	v_add_co_ci_u32_e64 v8, null, s4, 0, s8
	flat_load_b32 v7, v[7:8]
.LBB643_39:
	s_or_b32 exec_lo, exec_lo, s5
	s_delay_alu instid0(SALU_CYCLE_1)
	s_mov_b32 s5, exec_lo
                                        ; implicit-def: $vgpr8
	v_cmpx_gt_u32_e64 s25, v17
	s_cbranch_execz .LBB643_41
; %bb.40:
	v_lshlrev_b32_e32 v8, 2, v17
	s_delay_alu instid0(VALU_DEP_1) | instskip(NEXT) | instid1(VALU_DEP_1)
	v_add_co_u32 v26, s8, s0, v8
	v_add_co_ci_u32_e64 v27, null, s4, 0, s8
	flat_load_b32 v8, v[26:27]
.LBB643_41:
	s_or_b32 exec_lo, exec_lo, s5
	s_delay_alu instid0(SALU_CYCLE_1)
	s_mov_b32 s5, exec_lo
                                        ; implicit-def: $vgpr26
	v_cmpx_gt_u32_e64 s25, v24
	s_cbranch_execz .LBB643_43
; %bb.42:
	v_lshlrev_b32_e32 v26, 2, v24
	s_delay_alu instid0(VALU_DEP_1) | instskip(NEXT) | instid1(VALU_DEP_1)
	v_add_co_u32 v26, s0, s0, v26
	v_add_co_ci_u32_e64 v27, null, s4, 0, s0
	flat_load_b32 v26, v[26:27]
.LBB643_43:
	s_or_b32 exec_lo, exec_lo, s5
	v_lshrrev_b32_e32 v25, 3, v25
	v_lshrrev_b32_e32 v22, 3, v22
	;; [unrolled: 1-line block ×4, first 2 shown]
	v_and_b32_e32 v20, 60, v20
	v_lshlrev_b32_e32 v27, 2, v0
	v_lshrrev_b32_e32 v18, 3, v18
	v_lshrrev_b32_e32 v17, 3, v17
	;; [unrolled: 1-line block ×3, first 2 shown]
	v_and_b32_e32 v25, 0x7c, v25
	v_and_b32_e32 v22, 0xfc, v22
	;; [unrolled: 1-line block ×4, first 2 shown]
	v_add_nc_u32_e32 v20, v20, v27
	v_and_b32_e32 v18, 0x1fc, v18
	v_and_b32_e32 v17, 0x1fc, v17
	;; [unrolled: 1-line block ×3, first 2 shown]
	v_add_nc_u32_e32 v25, v25, v27
	v_add_nc_u32_e32 v22, v22, v27
	;; [unrolled: 1-line block ×7, first 2 shown]
	s_waitcnt vmcnt(0) lgkmcnt(0)
	ds_store_b32 v20, v2
	ds_store_b32 v25, v3 offset:1536
	ds_store_b32 v22, v4 offset:3072
	;; [unrolled: 1-line block ×7, first 2 shown]
	s_waitcnt lgkmcnt(0)
	s_barrier
.LBB643_44:
	buffer_gl0_inv
	ds_load_2addr_b32 v[7:8], v1 offset1:1
	ds_load_2addr_b32 v[5:6], v1 offset0:2 offset1:3
	ds_load_2addr_b32 v[3:4], v1 offset0:4 offset1:5
	;; [unrolled: 1-line block ×3, first 2 shown]
	s_cmp_lg_u32 s24, 0
	s_mov_b32 s14, 0
	s_cselect_b32 s9, -1, 0
	s_cmp_lg_u64 s[6:7], 0
	s_waitcnt lgkmcnt(0)
	s_cselect_b32 s0, -1, 0
	s_barrier
	s_or_b32 s0, s0, s9
	buffer_gl0_inv
	s_and_b32 vcc_lo, exec_lo, s0
	s_cbranch_vccz .LBB643_49
; %bb.45:
	v_add_co_u32 v17, s0, -4, s27
	s_delay_alu instid0(VALU_DEP_1)
	v_add_co_ci_u32_e64 v18, null, -1, s1, s0
	v_lshlrev_b32_e32 v21, 2, v0
	s_mov_b32 s1, -1
	s_and_b32 vcc_lo, exec_lo, s23
	flat_load_b32 v20, v[17:18]
	ds_store_b32 v21, v10
	s_cbranch_vccz .LBB643_50
; %bb.46:
	s_waitcnt vmcnt(0) lgkmcnt(1)
	v_mov_b32_e32 v17, v20
	s_waitcnt lgkmcnt(0)
	s_barrier
	buffer_gl0_inv
	s_and_saveexec_b32 s0, s3
	s_cbranch_execz .LBB643_48
; %bb.47:
	v_add_nc_u32_e32 v17, -4, v21
	ds_load_b32 v17, v17
.LBB643_48:
	s_or_b32 exec_lo, exec_lo, s0
	v_cmp_ne_u32_e32 vcc_lo, v9, v10
	s_waitcnt lgkmcnt(0)
	v_cmp_ne_u32_e64 s0, v17, v15
	v_cndmask_b32_e64 v18, 0, 1, vcc_lo
	v_cmp_ne_u32_e32 vcc_lo, v12, v9
	s_delay_alu instid0(VALU_DEP_2) | instskip(SKIP_2) | instid1(VALU_DEP_2)
	v_lshlrev_b16 v18, 8, v18
	v_cndmask_b32_e64 v22, 0, 1, vcc_lo
	v_cmp_ne_u32_e32 vcc_lo, v11, v12
	v_or_b32_e32 v18, v22, v18
	v_cndmask_b32_e64 v23, 0, 1, vcc_lo
	v_cmp_ne_u32_e32 vcc_lo, v13, v14
	s_delay_alu instid0(VALU_DEP_3) | instskip(NEXT) | instid1(VALU_DEP_3)
	v_lshlrev_b32_e32 v18, 16, v18
	v_lshlrev_b16 v23, 8, v23
	v_cndmask_b32_e64 v24, 0, 1, vcc_lo
	v_cmp_ne_u32_e32 vcc_lo, v14, v11
	s_delay_alu instid0(VALU_DEP_2) | instskip(SKIP_2) | instid1(VALU_DEP_2)
	v_lshlrev_b16 v24, 8, v24
	v_cndmask_b32_e64 v25, 0, 1, vcc_lo
	v_cmp_ne_u32_e32 vcc_lo, v16, v13
	v_or_b32_e32 v23, v25, v23
	v_cndmask_b32_e64 v26, 0, 1, vcc_lo
	v_cmp_ne_u32_e32 vcc_lo, v15, v16
	s_delay_alu instid0(VALU_DEP_3) | instskip(NEXT) | instid1(VALU_DEP_3)
	v_and_b32_e32 v23, 0xffff, v23
	v_or_b32_e32 v24, v26, v24
	v_cndmask_b32_e64 v27, 0, 1, vcc_lo
	s_delay_alu instid0(VALU_DEP_3) | instskip(NEXT) | instid1(VALU_DEP_3)
	v_or_b32_e32 v18, v23, v18
	v_lshlrev_b32_e32 v22, 16, v24
	s_delay_alu instid0(VALU_DEP_3) | instskip(NEXT) | instid1(VALU_DEP_1)
	v_lshlrev_b16 v26, 8, v27
	v_and_b32_e32 v24, 0xffff, v26
	s_delay_alu instid0(VALU_DEP_1)
	v_or_b32_e32 v17, v24, v22
	s_branch .LBB643_54
.LBB643_49:
                                        ; implicit-def: $sgpr0
                                        ; implicit-def: $vgpr18
	s_branch .LBB643_55
.LBB643_50:
                                        ; implicit-def: $sgpr0
                                        ; implicit-def: $vgpr18
	s_and_b32 vcc_lo, exec_lo, s1
	s_cbranch_vccz .LBB643_54
; %bb.51:
	s_waitcnt vmcnt(0) lgkmcnt(0)
	s_barrier
	buffer_gl0_inv
	s_and_saveexec_b32 s0, s3
	s_cbranch_execz .LBB643_53
; %bb.52:
	v_add_nc_u32_e32 v17, -4, v21
	ds_load_b32 v20, v17
.LBB643_53:
	s_or_b32 exec_lo, exec_lo, s0
	v_or_b32_e32 v17, 7, v19
	v_or_b32_e32 v18, 6, v19
	;; [unrolled: 1-line block ×3, first 2 shown]
	v_cmp_ne_u32_e32 vcc_lo, v9, v10
	v_cmp_ne_u32_e64 s1, v12, v9
	v_cmp_gt_u32_e64 s0, s25, v17
	v_cmp_gt_u32_e64 s5, s25, v18
	v_cmp_ne_u32_e64 s4, v11, v12
	v_cmp_gt_u32_e64 s6, s25, v21
	v_or_b32_e32 v18, 3, v19
	s_and_b32 s0, s0, vcc_lo
	v_or_b32_e32 v22, 4, v19
	v_cndmask_b32_e64 v17, 0, 1, s0
	s_and_b32 s0, s5, s1
	v_cmp_gt_u32_e32 vcc_lo, s25, v18
	v_cndmask_b32_e64 v21, 0, 1, s0
	s_and_b32 s0, s6, s4
	v_or_b32_e32 v18, 2, v19
	v_cndmask_b32_e64 v23, 0, 1, s0
	v_cmp_ne_u32_e64 s0, v13, v14
	v_cmp_gt_u32_e64 s1, s25, v22
	v_or_b32_e32 v22, 1, v19
	v_cmp_ne_u32_e64 s4, v14, v11
	v_cmp_ne_u32_e64 s6, v15, v16
	s_and_b32 s0, vcc_lo, s0
	v_cmp_gt_u32_e32 vcc_lo, s25, v18
	v_cndmask_b32_e64 v24, 0, 1, s0
	v_cmp_ne_u32_e64 s0, v16, v13
	v_cmp_gt_u32_e64 s5, s25, v22
	s_and_b32 s1, s1, s4
	v_lshlrev_b16 v23, 8, v23
	v_cndmask_b32_e64 v18, 0, 1, s1
	s_and_b32 s0, vcc_lo, s0
	v_lshlrev_b16 v24, 8, v24
	v_cndmask_b32_e64 v22, 0, 1, s0
	s_and_b32 s0, s5, s6
	v_lshlrev_b16 v17, 8, v17
	v_cndmask_b32_e64 v25, 0, 1, s0
	v_or_b32_e32 v18, v18, v23
	v_or_b32_e32 v22, v22, v24
	v_cmp_gt_u32_e32 vcc_lo, s25, v19
	v_or_b32_e32 v17, v21, v17
	v_lshlrev_b16 v24, 8, v25
	v_and_b32_e32 v18, 0xffff, v18
	v_lshlrev_b32_e32 v21, 16, v22
	s_waitcnt lgkmcnt(0)
	v_cmp_ne_u32_e64 s0, v20, v15
	v_lshlrev_b32_e32 v23, 16, v17
	v_and_b32_e32 v22, 0xffff, v24
	s_delay_alu instid0(VALU_DEP_3) | instskip(NEXT) | instid1(VALU_DEP_2)
	s_and_b32 s0, vcc_lo, s0
	v_or_b32_e32 v18, v18, v23
	s_delay_alu instid0(VALU_DEP_2)
	v_or_b32_e32 v17, v22, v21
.LBB643_54:
	s_mov_b32 s14, -1
	s_cbranch_execnz .LBB643_63
.LBB643_55:
	s_waitcnt vmcnt(0) lgkmcnt(1)
	v_lshlrev_b32_e32 v20, 2, v0
	v_cmp_ne_u32_e64 s1, v9, v10
	v_cmp_ne_u32_e64 s4, v12, v9
	;; [unrolled: 1-line block ×7, first 2 shown]
	s_and_b32 vcc_lo, exec_lo, s23
	ds_store_b32 v20, v10
	s_cbranch_vccz .LBB643_59
; %bb.56:
	v_cndmask_b32_e64 v17, 0, 1, s1
	v_cndmask_b32_e64 v21, 0, 1, s5
	v_cndmask_b32_e64 v23, 0, 1, s7
	v_cndmask_b32_e64 v24, 0, 1, s8
	v_cndmask_b32_e64 v18, 0, 1, s4
	v_cndmask_b32_e64 v22, 0, 1, s6
	v_cndmask_b32_e64 v25, 0, 1, s0
	v_lshlrev_b16 v21, 8, v21
	v_lshlrev_b16 v17, 8, v17
	;; [unrolled: 1-line block ×4, first 2 shown]
	s_waitcnt lgkmcnt(0)
	v_or_b32_e32 v21, v22, v21
	v_or_b32_e32 v17, v18, v17
	;; [unrolled: 1-line block ×4, first 2 shown]
	s_barrier
	v_and_b32_e32 v21, 0xffff, v21
	v_lshlrev_b32_e32 v17, 16, v17
	v_lshlrev_b32_e32 v23, 16, v18
	v_and_b32_e32 v22, 0xffff, v22
	buffer_gl0_inv
                                        ; implicit-def: $sgpr0
	v_or_b32_e32 v18, v21, v17
	v_or_b32_e32 v17, v22, v23
	s_and_saveexec_b32 s1, s3
	s_delay_alu instid0(SALU_CYCLE_1)
	s_xor_b32 s1, exec_lo, s1
	s_cbranch_execz .LBB643_58
; %bb.57:
	v_add_nc_u32_e32 v21, -4, v20
	s_or_b32 s14, s14, exec_lo
	ds_load_b32 v21, v21
	s_waitcnt lgkmcnt(0)
	v_cmp_ne_u32_e32 vcc_lo, v21, v15
	s_and_b32 s0, vcc_lo, exec_lo
.LBB643_58:
	s_or_b32 exec_lo, exec_lo, s1
	s_branch .LBB643_63
.LBB643_59:
                                        ; implicit-def: $sgpr0
                                        ; implicit-def: $vgpr18
	s_cbranch_execz .LBB643_63
; %bb.60:
	v_or_b32_e32 v17, 7, v19
	v_or_b32_e32 v18, 6, v19
	v_cmp_ne_u32_e32 vcc_lo, v9, v10
	v_cmp_ne_u32_e64 s1, v12, v9
	v_or_b32_e32 v21, 5, v19
	v_cmp_gt_u32_e64 s0, s25, v17
	v_cmp_gt_u32_e64 s4, s25, v18
	v_or_b32_e32 v17, 4, v19
	v_or_b32_e32 v22, 3, v19
	v_cmp_gt_u32_e64 s5, s25, v21
	s_and_b32 s0, s0, vcc_lo
	v_cmp_ne_u32_e32 vcc_lo, v11, v12
	v_cndmask_b32_e64 v18, 0, 1, s0
	s_and_b32 s0, s4, s1
	v_cmp_ne_u32_e64 s1, v14, v11
	v_cndmask_b32_e64 v21, 0, 1, s0
	v_cmp_gt_u32_e64 s0, s25, v17
	v_or_b32_e32 v23, 1, v19
	s_and_b32 s4, s5, vcc_lo
	v_cmp_gt_u32_e32 vcc_lo, s25, v22
	v_cndmask_b32_e64 v17, 0, 1, s4
	s_and_b32 s0, s0, s1
	v_or_b32_e32 v25, 2, v19
	v_cndmask_b32_e64 v24, 0, 1, s0
	v_cmp_ne_u32_e64 s0, v13, v14
	v_cmp_gt_u32_e64 s1, s25, v23
	v_cmp_ne_u32_e64 s4, v15, v16
	v_cmp_gt_u32_e64 s5, s25, v25
	v_cmp_ne_u32_e64 s6, v16, v13
	s_and_b32 s0, vcc_lo, s0
	v_lshlrev_b16 v17, 8, v17
	v_cndmask_b32_e64 v22, 0, 1, s0
	s_and_b32 s0, s1, s4
	v_lshlrev_b16 v18, 8, v18
	v_cndmask_b32_e64 v23, 0, 1, s0
	s_and_b32 s0, s5, s6
	v_lshlrev_b16 v22, 8, v22
	v_cndmask_b32_e64 v25, 0, 1, s0
	v_or_b32_e32 v17, v24, v17
	v_lshlrev_b16 v23, 8, v23
	v_or_b32_e32 v18, v21, v18
	s_waitcnt lgkmcnt(0)
	v_or_b32_e32 v21, v25, v22
	v_and_b32_e32 v17, 0xffff, v17
	v_or_b32_e32 v22, 1, v23
	v_lshlrev_b32_e32 v18, 16, v18
	s_barrier
	v_lshlrev_b32_e32 v21, 16, v21
	buffer_gl0_inv
	v_and_b32_e32 v22, 0xffff, v22
	v_or_b32_e32 v18, v17, v18
                                        ; implicit-def: $sgpr0
	s_delay_alu instid0(VALU_DEP_2)
	v_or_b32_e32 v17, v22, v21
	s_and_saveexec_b32 s1, s3
	s_cbranch_execz .LBB643_62
; %bb.61:
	v_add_nc_u32_e32 v20, -4, v20
	v_cmp_gt_u32_e32 vcc_lo, s25, v19
	s_or_b32 s14, s14, exec_lo
	ds_load_b32 v20, v20
	s_waitcnt lgkmcnt(0)
	v_cmp_ne_u32_e64 s0, v20, v15
	s_delay_alu instid0(VALU_DEP_1) | instskip(NEXT) | instid1(SALU_CYCLE_1)
	s_and_b32 s0, vcc_lo, s0
	s_and_b32 s0, s0, exec_lo
.LBB643_62:
	s_or_b32 exec_lo, exec_lo, s1
.LBB643_63:
	s_and_saveexec_b32 s1, s14
	s_cbranch_execz .LBB643_65
; %bb.64:
	s_waitcnt vmcnt(0) lgkmcnt(1)
	v_and_b32_e32 v20, 0xffffff00, v17
	v_cndmask_b32_e64 v21, 0, 1, s0
	s_delay_alu instid0(VALU_DEP_1) | instskip(NEXT) | instid1(VALU_DEP_1)
	v_or_b32_e32 v20, v21, v20
	v_and_b32_e32 v20, 0xffff, v20
	s_delay_alu instid0(VALU_DEP_1)
	v_and_or_b32 v17, 0xffff0000, v17, v20
.LBB643_65:
	s_or_b32 exec_lo, exec_lo, s1
	s_delay_alu instid0(SALU_CYCLE_1)
	s_and_not1_b32 vcc_lo, exec_lo, s26
	s_cbranch_vccnz .LBB643_67
; %bb.66:
	v_cmp_gt_u32_e32 vcc_lo, s25, v19
	v_or_b32_e32 v21, 1, v19
	v_and_b32_e32 v22, 0xffffff00, v18
	v_or_b32_e32 v23, 2, v19
	s_waitcnt vmcnt(0) lgkmcnt(1)
	v_cndmask_b32_e32 v20, 0, v17, vcc_lo
	v_cmp_gt_u32_e32 vcc_lo, s25, v21
	v_or_b32_e32 v21, 4, v19
	v_cmp_gt_u32_e64 s0, s25, v23
	v_or_b32_e32 v23, 3, v19
	v_and_b32_e32 v20, 0xff, v20
	s_delay_alu instid0(VALU_DEP_2) | instskip(NEXT) | instid1(VALU_DEP_2)
	v_cmp_gt_u32_e64 s1, s25, v23
	v_cndmask_b32_e32 v20, v20, v17, vcc_lo
	v_cmp_gt_u32_e32 vcc_lo, s25, v21
	s_delay_alu instid0(VALU_DEP_2) | instskip(SKIP_1) | instid1(VALU_DEP_2)
	v_dual_cndmask_b32 v21, v22, v18 :: v_dual_and_b32 v20, 0xffff, v20
	v_or_b32_e32 v22, 5, v19
	v_cndmask_b32_e64 v20, v20, v17, s0
	s_delay_alu instid0(VALU_DEP_3) | instskip(NEXT) | instid1(VALU_DEP_3)
	v_and_b32_e32 v21, 0xffff00ff, v21
	v_cmp_gt_u32_e64 s0, s25, v22
	v_or_b32_e32 v22, 6, v19
	v_or_b32_e32 v19, 7, v19
	v_and_b32_e32 v20, 0xffffff, v20
	s_delay_alu instid0(VALU_DEP_4) | instskip(NEXT) | instid1(VALU_DEP_2)
	v_cndmask_b32_e64 v21, v21, v18, s0
	v_cndmask_b32_e64 v20, v20, v17, s1
	s_delay_alu instid0(VALU_DEP_2) | instskip(NEXT) | instid1(VALU_DEP_2)
	v_and_b32_e32 v21, 0xff00ffff, v21
	v_cndmask_b32_e32 v20, v20, v17, vcc_lo
	v_cmp_gt_u32_e32 vcc_lo, s25, v22
	s_delay_alu instid0(VALU_DEP_2) | instskip(NEXT) | instid1(VALU_DEP_1)
	v_cndmask_b32_e64 v20, v20, v17, s0
	v_dual_cndmask_b32 v21, v21, v18 :: v_dual_cndmask_b32 v20, v20, v17
	s_delay_alu instid0(VALU_DEP_1) | instskip(SKIP_1) | instid1(VALU_DEP_2)
	v_and_b32_e32 v21, 0xffffff, v21
	v_cmp_gt_u32_e32 vcc_lo, s25, v19
	v_dual_cndmask_b32 v18, v21, v18 :: v_dual_cndmask_b32 v17, v20, v17
.LBB643_67:
	s_delay_alu instid0(VALU_DEP_1) | instskip(NEXT) | instid1(VALU_DEP_2)
	v_and_b32_e32 v28, 0xff, v17
	v_alignbit_b32 v19, v18, v17, 24
	v_bfe_u32 v30, v17, 8, 8
	v_bfe_u32 v32, v17, 16, 8
	v_and_b32_e32 v36, 0xff, v18
	v_bfe_u32 v38, v18, 8, 8
	v_and_b32_e32 v34, 0xff, v19
	v_add_nc_u32_e32 v19, v30, v28
	s_waitcnt vmcnt(0) lgkmcnt(1)
	v_and_b32_e32 v20, 0x1e0, v0
	v_mbcnt_lo_u32_b32 v41, -1, 0
	v_bfe_u32 v40, v18, 16, 8
	v_lshrrev_b32_e32 v39, 24, v18
	v_add3_u32 v19, v19, v32, v34
	v_min_u32_e32 v20, 0x160, v20
	v_and_b32_e32 v21, 15, v41
	v_lshrrev_b32_e32 v42, 5, v0
	s_and_b32 vcc_lo, exec_lo, s9
	v_add3_u32 v19, v19, v36, v38
	v_or_b32_e32 v20, 31, v20
	v_cmp_eq_u32_e64 s3, 0, v21
	v_cmp_lt_u32_e64 s4, 1, v21
	v_cmp_lt_u32_e64 s1, 3, v21
	v_add3_u32 v43, v19, v40, v39
	v_and_b32_e32 v19, 16, v41
	v_cmp_lt_u32_e64 s0, 7, v21
	v_cmp_eq_u32_e64 s5, v20, v0
	s_mov_b32 s7, -1
	s_waitcnt lgkmcnt(0)
	v_cmp_eq_u32_e64 s6, 0, v19
	s_barrier
	buffer_gl0_inv
	s_cbranch_vccz .LBB643_98
; %bb.68:
	v_mov_b32_dpp v19, v43 row_shr:1 row_mask:0xf bank_mask:0xf
	s_delay_alu instid0(VALU_DEP_1) | instskip(NEXT) | instid1(VALU_DEP_1)
	v_cndmask_b32_e64 v19, v19, 0, s3
	v_add_nc_u32_e32 v19, v19, v43
	s_delay_alu instid0(VALU_DEP_1) | instskip(NEXT) | instid1(VALU_DEP_1)
	v_mov_b32_dpp v20, v19 row_shr:2 row_mask:0xf bank_mask:0xf
	v_cndmask_b32_e64 v20, 0, v20, s4
	s_delay_alu instid0(VALU_DEP_1) | instskip(NEXT) | instid1(VALU_DEP_1)
	v_add_nc_u32_e32 v19, v19, v20
	v_mov_b32_dpp v20, v19 row_shr:4 row_mask:0xf bank_mask:0xf
	s_delay_alu instid0(VALU_DEP_1) | instskip(NEXT) | instid1(VALU_DEP_1)
	v_cndmask_b32_e64 v20, 0, v20, s1
	v_add_nc_u32_e32 v19, v19, v20
	s_delay_alu instid0(VALU_DEP_1) | instskip(NEXT) | instid1(VALU_DEP_1)
	v_mov_b32_dpp v20, v19 row_shr:8 row_mask:0xf bank_mask:0xf
	v_cndmask_b32_e64 v20, 0, v20, s0
	s_delay_alu instid0(VALU_DEP_1) | instskip(SKIP_3) | instid1(VALU_DEP_1)
	v_add_nc_u32_e32 v19, v19, v20
	ds_swizzle_b32 v20, v19 offset:swizzle(BROADCAST,32,15)
	s_waitcnt lgkmcnt(0)
	v_cndmask_b32_e64 v20, v20, 0, s6
	v_add_nc_u32_e32 v19, v19, v20
	s_and_saveexec_b32 s7, s5
	s_cbranch_execz .LBB643_70
; %bb.69:
	v_lshlrev_b32_e32 v20, 2, v42
	ds_store_b32 v20, v19
.LBB643_70:
	s_or_b32 exec_lo, exec_lo, s7
	s_delay_alu instid0(SALU_CYCLE_1)
	s_mov_b32 s7, exec_lo
	s_waitcnt lgkmcnt(0)
	s_barrier
	buffer_gl0_inv
	v_cmpx_gt_u32_e32 12, v0
	s_cbranch_execz .LBB643_72
; %bb.71:
	v_lshlrev_b32_e32 v20, 2, v0
	ds_load_b32 v21, v20
	s_waitcnt lgkmcnt(0)
	v_mov_b32_dpp v22, v21 row_shr:1 row_mask:0xf bank_mask:0xf
	s_delay_alu instid0(VALU_DEP_1) | instskip(NEXT) | instid1(VALU_DEP_1)
	v_cndmask_b32_e64 v22, v22, 0, s3
	v_add_nc_u32_e32 v21, v22, v21
	s_delay_alu instid0(VALU_DEP_1) | instskip(NEXT) | instid1(VALU_DEP_1)
	v_mov_b32_dpp v22, v21 row_shr:2 row_mask:0xf bank_mask:0xf
	v_cndmask_b32_e64 v22, 0, v22, s4
	s_delay_alu instid0(VALU_DEP_1) | instskip(NEXT) | instid1(VALU_DEP_1)
	v_add_nc_u32_e32 v21, v21, v22
	v_mov_b32_dpp v22, v21 row_shr:4 row_mask:0xf bank_mask:0xf
	s_delay_alu instid0(VALU_DEP_1) | instskip(NEXT) | instid1(VALU_DEP_1)
	v_cndmask_b32_e64 v22, 0, v22, s1
	v_add_nc_u32_e32 v21, v21, v22
	s_delay_alu instid0(VALU_DEP_1) | instskip(NEXT) | instid1(VALU_DEP_1)
	v_mov_b32_dpp v22, v21 row_shr:8 row_mask:0xf bank_mask:0xf
	v_cndmask_b32_e64 v22, 0, v22, s0
	s_delay_alu instid0(VALU_DEP_1)
	v_add_nc_u32_e32 v21, v21, v22
	ds_store_b32 v20, v21
.LBB643_72:
	s_or_b32 exec_lo, exec_lo, s7
	v_cmp_gt_u32_e32 vcc_lo, 32, v0
	s_mov_b32 s8, exec_lo
	s_waitcnt lgkmcnt(0)
	s_barrier
	buffer_gl0_inv
                                        ; implicit-def: $vgpr27
	v_cmpx_lt_u32_e32 31, v0
	s_cbranch_execz .LBB643_74
; %bb.73:
	v_lshl_add_u32 v20, v42, 2, -4
	ds_load_b32 v27, v20
	s_waitcnt lgkmcnt(0)
	v_add_nc_u32_e32 v19, v27, v19
.LBB643_74:
	s_or_b32 exec_lo, exec_lo, s8
	v_add_nc_u32_e32 v20, -1, v41
	s_delay_alu instid0(VALU_DEP_1) | instskip(NEXT) | instid1(VALU_DEP_1)
	v_cmp_gt_i32_e64 s7, 0, v20
	v_cndmask_b32_e64 v20, v20, v41, s7
	v_cmp_eq_u32_e64 s7, 0, v41
	s_delay_alu instid0(VALU_DEP_2)
	v_lshlrev_b32_e32 v20, 2, v20
	ds_bpermute_b32 v29, v20, v19
	s_and_saveexec_b32 s8, vcc_lo
	s_cbranch_execz .LBB643_97
; %bb.75:
	v_mov_b32_e32 v23, 0
	ds_load_b32 v19, v23 offset:44
	s_and_saveexec_b32 s9, s7
	s_cbranch_execz .LBB643_77
; %bb.76:
	s_add_i32 s14, s24, 32
	s_mov_b32 s15, 0
	v_mov_b32_e32 v20, 1
	s_lshl_b64 s[14:15], s[14:15], 3
	s_delay_alu instid0(SALU_CYCLE_1)
	s_add_u32 s14, s20, s14
	s_addc_u32 s15, s21, s15
	s_waitcnt lgkmcnt(0)
	global_store_b64 v23, v[19:20], s[14:15]
.LBB643_77:
	s_or_b32 exec_lo, exec_lo, s9
	v_xad_u32 v21, v41, -1, s24
	s_mov_b32 s14, 0
	s_mov_b32 s9, exec_lo
	s_delay_alu instid0(VALU_DEP_1) | instskip(NEXT) | instid1(VALU_DEP_1)
	v_add_nc_u32_e32 v22, 32, v21
	v_lshlrev_b64 v[22:23], 3, v[22:23]
	s_delay_alu instid0(VALU_DEP_1) | instskip(NEXT) | instid1(VALU_DEP_2)
	v_add_co_u32 v25, vcc_lo, s20, v22
	v_add_co_ci_u32_e32 v26, vcc_lo, s21, v23, vcc_lo
	global_load_b64 v[23:24], v[25:26], off glc
	s_waitcnt vmcnt(0)
	v_and_b32_e32 v20, 0xff, v24
	s_delay_alu instid0(VALU_DEP_1)
	v_cmpx_eq_u16_e32 0, v20
	s_cbranch_execz .LBB643_83
; %bb.78:
	s_mov_b32 s15, 1
	.p2align	6
.LBB643_79:                             ; =>This Loop Header: Depth=1
                                        ;     Child Loop BB643_80 Depth 2
	s_delay_alu instid0(SALU_CYCLE_1)
	s_max_u32 s25, s15, 1
.LBB643_80:                             ;   Parent Loop BB643_79 Depth=1
                                        ; =>  This Inner Loop Header: Depth=2
	s_delay_alu instid0(SALU_CYCLE_1)
	s_add_i32 s25, s25, -1
	s_sleep 1
	s_cmp_eq_u32 s25, 0
	s_cbranch_scc0 .LBB643_80
; %bb.81:                               ;   in Loop: Header=BB643_79 Depth=1
	global_load_b64 v[23:24], v[25:26], off glc
	s_cmp_lt_u32 s15, 32
	s_cselect_b32 s25, -1, 0
	s_delay_alu instid0(SALU_CYCLE_1) | instskip(SKIP_3) | instid1(VALU_DEP_1)
	s_cmp_lg_u32 s25, 0
	s_addc_u32 s15, s15, 0
	s_waitcnt vmcnt(0)
	v_and_b32_e32 v20, 0xff, v24
	v_cmp_ne_u16_e32 vcc_lo, 0, v20
	s_or_b32 s14, vcc_lo, s14
	s_delay_alu instid0(SALU_CYCLE_1)
	s_and_not1_b32 exec_lo, exec_lo, s14
	s_cbranch_execnz .LBB643_79
; %bb.82:
	s_or_b32 exec_lo, exec_lo, s14
.LBB643_83:
	s_delay_alu instid0(SALU_CYCLE_1)
	s_or_b32 exec_lo, exec_lo, s9
	v_cmp_ne_u32_e32 vcc_lo, 31, v41
	v_lshlrev_b32_e64 v33, v41, -1
	v_add_nc_u32_e32 v37, 2, v41
	v_add_nc_u32_e32 v45, 4, v41
	;; [unrolled: 1-line block ×3, first 2 shown]
	v_add_co_ci_u32_e32 v20, vcc_lo, 0, v41, vcc_lo
	v_add_nc_u32_e32 v49, 16, v41
	s_delay_alu instid0(VALU_DEP_2)
	v_lshlrev_b32_e32 v31, 2, v20
	v_and_b32_e32 v20, 0xff, v24
	ds_bpermute_b32 v22, v31, v23
	v_cmp_eq_u16_e32 vcc_lo, 2, v20
	v_and_or_b32 v20, vcc_lo, v33, 0x80000000
	v_cmp_gt_u32_e32 vcc_lo, 30, v41
	s_delay_alu instid0(VALU_DEP_2) | instskip(SKIP_1) | instid1(VALU_DEP_2)
	v_ctz_i32_b32_e32 v20, v20
	v_cndmask_b32_e64 v25, 0, 1, vcc_lo
	v_cmp_lt_u32_e32 vcc_lo, v41, v20
	s_waitcnt lgkmcnt(0)
	s_delay_alu instid0(VALU_DEP_2) | instskip(NEXT) | instid1(VALU_DEP_1)
	v_dual_cndmask_b32 v22, 0, v22 :: v_dual_lshlrev_b32 v25, 1, v25
	v_add_lshl_u32 v35, v25, v41, 2
	v_cmp_gt_u32_e32 vcc_lo, 28, v41
	s_delay_alu instid0(VALU_DEP_3) | instskip(SKIP_4) | instid1(VALU_DEP_1)
	v_add_nc_u32_e32 v22, v22, v23
	v_cndmask_b32_e64 v25, 0, 1, vcc_lo
	v_cmp_le_u32_e32 vcc_lo, v37, v20
	ds_bpermute_b32 v23, v35, v22
	v_lshlrev_b32_e32 v25, 2, v25
	v_add_lshl_u32 v44, v25, v41, 2
	s_waitcnt lgkmcnt(0)
	v_cndmask_b32_e32 v23, 0, v23, vcc_lo
	v_cmp_gt_u32_e32 vcc_lo, 24, v41
	s_delay_alu instid0(VALU_DEP_2) | instskip(SKIP_4) | instid1(VALU_DEP_1)
	v_add_nc_u32_e32 v22, v22, v23
	v_cndmask_b32_e64 v25, 0, 1, vcc_lo
	v_cmp_le_u32_e32 vcc_lo, v45, v20
	ds_bpermute_b32 v23, v44, v22
	v_lshlrev_b32_e32 v25, 3, v25
	v_add_lshl_u32 v46, v25, v41, 2
	s_waitcnt lgkmcnt(0)
	v_cndmask_b32_e32 v23, 0, v23, vcc_lo
	v_cmp_gt_u32_e32 vcc_lo, 16, v41
	s_delay_alu instid0(VALU_DEP_2) | instskip(SKIP_4) | instid1(VALU_DEP_1)
	v_add_nc_u32_e32 v22, v22, v23
	v_cndmask_b32_e64 v25, 0, 1, vcc_lo
	v_cmp_le_u32_e32 vcc_lo, v47, v20
	ds_bpermute_b32 v23, v46, v22
	v_lshlrev_b32_e32 v25, 4, v25
	v_add_lshl_u32 v48, v25, v41, 2
	s_waitcnt lgkmcnt(0)
	v_cndmask_b32_e32 v23, 0, v23, vcc_lo
	v_cmp_le_u32_e32 vcc_lo, v49, v20
	s_delay_alu instid0(VALU_DEP_2) | instskip(SKIP_3) | instid1(VALU_DEP_1)
	v_add_nc_u32_e32 v22, v22, v23
	ds_bpermute_b32 v23, v48, v22
	s_waitcnt lgkmcnt(0)
	v_cndmask_b32_e32 v20, 0, v23, vcc_lo
	v_dual_mov_b32 v22, 0 :: v_dual_add_nc_u32 v23, v22, v20
	s_branch .LBB643_85
.LBB643_84:                             ;   in Loop: Header=BB643_85 Depth=1
	s_or_b32 exec_lo, exec_lo, s9
	ds_bpermute_b32 v26, v31, v23
	v_and_b32_e32 v25, 0xff, v24
	v_subrev_nc_u32_e32 v21, 32, v21
	s_delay_alu instid0(VALU_DEP_2) | instskip(SKIP_1) | instid1(VALU_DEP_1)
	v_cmp_eq_u16_e32 vcc_lo, 2, v25
	v_and_or_b32 v25, vcc_lo, v33, 0x80000000
	v_ctz_i32_b32_e32 v25, v25
	s_delay_alu instid0(VALU_DEP_1) | instskip(SKIP_3) | instid1(VALU_DEP_2)
	v_cmp_lt_u32_e32 vcc_lo, v41, v25
	s_waitcnt lgkmcnt(0)
	v_cndmask_b32_e32 v26, 0, v26, vcc_lo
	v_cmp_le_u32_e32 vcc_lo, v37, v25
	v_add_nc_u32_e32 v23, v26, v23
	ds_bpermute_b32 v26, v35, v23
	s_waitcnt lgkmcnt(0)
	v_cndmask_b32_e32 v26, 0, v26, vcc_lo
	v_cmp_le_u32_e32 vcc_lo, v45, v25
	s_delay_alu instid0(VALU_DEP_2) | instskip(SKIP_4) | instid1(VALU_DEP_2)
	v_add_nc_u32_e32 v23, v23, v26
	ds_bpermute_b32 v26, v44, v23
	s_waitcnt lgkmcnt(0)
	v_cndmask_b32_e32 v26, 0, v26, vcc_lo
	v_cmp_le_u32_e32 vcc_lo, v47, v25
	v_add_nc_u32_e32 v23, v23, v26
	ds_bpermute_b32 v26, v46, v23
	s_waitcnt lgkmcnt(0)
	v_cndmask_b32_e32 v26, 0, v26, vcc_lo
	v_cmp_le_u32_e32 vcc_lo, v49, v25
	s_delay_alu instid0(VALU_DEP_2) | instskip(SKIP_3) | instid1(VALU_DEP_1)
	v_add_nc_u32_e32 v23, v23, v26
	ds_bpermute_b32 v26, v48, v23
	s_waitcnt lgkmcnt(0)
	v_cndmask_b32_e32 v25, 0, v26, vcc_lo
	v_add3_u32 v23, v25, v20, v23
.LBB643_85:                             ; =>This Loop Header: Depth=1
                                        ;     Child Loop BB643_88 Depth 2
                                        ;       Child Loop BB643_89 Depth 3
	v_and_b32_e32 v20, 0xff, v24
	s_delay_alu instid0(VALU_DEP_1) | instskip(SKIP_2) | instid1(VALU_DEP_1)
	v_cmp_ne_u16_e32 vcc_lo, 2, v20
	v_cndmask_b32_e64 v20, 0, 1, vcc_lo
	;;#ASMSTART
	;;#ASMEND
	v_cmp_ne_u32_e32 vcc_lo, 0, v20
	v_mov_b32_e32 v20, v23
	s_cmp_lg_u32 vcc_lo, exec_lo
	s_cbranch_scc1 .LBB643_92
; %bb.86:                               ;   in Loop: Header=BB643_85 Depth=1
	v_lshlrev_b64 v[23:24], 3, v[21:22]
	s_mov_b32 s9, exec_lo
	s_delay_alu instid0(VALU_DEP_1) | instskip(NEXT) | instid1(VALU_DEP_2)
	v_add_co_u32 v25, vcc_lo, s20, v23
	v_add_co_ci_u32_e32 v26, vcc_lo, s21, v24, vcc_lo
	global_load_b64 v[23:24], v[25:26], off glc
	s_waitcnt vmcnt(0)
	v_and_b32_e32 v50, 0xff, v24
	s_delay_alu instid0(VALU_DEP_1)
	v_cmpx_eq_u16_e32 0, v50
	s_cbranch_execz .LBB643_84
; %bb.87:                               ;   in Loop: Header=BB643_85 Depth=1
	s_mov_b32 s15, 1
	s_mov_b32 s14, 0
	.p2align	6
.LBB643_88:                             ;   Parent Loop BB643_85 Depth=1
                                        ; =>  This Loop Header: Depth=2
                                        ;       Child Loop BB643_89 Depth 3
	s_max_u32 s25, s15, 1
.LBB643_89:                             ;   Parent Loop BB643_85 Depth=1
                                        ;     Parent Loop BB643_88 Depth=2
                                        ; =>    This Inner Loop Header: Depth=3
	s_delay_alu instid0(SALU_CYCLE_1)
	s_add_i32 s25, s25, -1
	s_sleep 1
	s_cmp_eq_u32 s25, 0
	s_cbranch_scc0 .LBB643_89
; %bb.90:                               ;   in Loop: Header=BB643_88 Depth=2
	global_load_b64 v[23:24], v[25:26], off glc
	s_cmp_lt_u32 s15, 32
	s_cselect_b32 s25, -1, 0
	s_delay_alu instid0(SALU_CYCLE_1) | instskip(SKIP_3) | instid1(VALU_DEP_1)
	s_cmp_lg_u32 s25, 0
	s_addc_u32 s15, s15, 0
	s_waitcnt vmcnt(0)
	v_and_b32_e32 v50, 0xff, v24
	v_cmp_ne_u16_e32 vcc_lo, 0, v50
	s_or_b32 s14, vcc_lo, s14
	s_delay_alu instid0(SALU_CYCLE_1)
	s_and_not1_b32 exec_lo, exec_lo, s14
	s_cbranch_execnz .LBB643_88
; %bb.91:                               ;   in Loop: Header=BB643_85 Depth=1
	s_or_b32 exec_lo, exec_lo, s14
	s_branch .LBB643_84
.LBB643_92:                             ;   in Loop: Header=BB643_85 Depth=1
                                        ; implicit-def: $vgpr23
                                        ; implicit-def: $vgpr24
	s_cbranch_execz .LBB643_85
; %bb.93:
	s_and_saveexec_b32 s9, s7
	s_cbranch_execz .LBB643_95
; %bb.94:
	s_add_i32 s14, s24, 32
	s_mov_b32 s15, 0
	v_dual_mov_b32 v22, 2 :: v_dual_add_nc_u32 v21, v20, v19
	s_lshl_b64 s[14:15], s[14:15], 3
	v_mov_b32_e32 v23, 0
	s_add_u32 s14, s20, s14
	s_addc_u32 s15, s21, s15
	global_store_b64 v23, v[21:22], s[14:15]
	ds_store_b64 v23, v[19:20] offset:12672
.LBB643_95:
	s_or_b32 exec_lo, exec_lo, s9
	s_delay_alu instid0(SALU_CYCLE_1)
	s_and_b32 exec_lo, exec_lo, s2
	s_cbranch_execz .LBB643_97
; %bb.96:
	v_mov_b32_e32 v19, 0
	ds_store_b32 v19, v20 offset:44
.LBB643_97:
	s_or_b32 exec_lo, exec_lo, s8
	v_mov_b32_e32 v19, 0
	s_waitcnt lgkmcnt(0)
	s_waitcnt_vscnt null, 0x0
	s_barrier
	buffer_gl0_inv
	v_cndmask_b32_e64 v21, v29, v27, s7
	ds_load_b32 v20, v19 offset:44
	s_waitcnt lgkmcnt(0)
	s_barrier
	buffer_gl0_inv
	v_cndmask_b32_e64 v21, v21, 0, s2
	s_delay_alu instid0(VALU_DEP_1) | instskip(SKIP_2) | instid1(VALU_DEP_1)
	v_add_nc_u32_e32 v37, v20, v21
	ds_load_b64 v[19:20], v19 offset:12672
	v_add_nc_u32_e32 v35, v37, v28
	v_add_nc_u32_e32 v33, v35, v30
	s_delay_alu instid0(VALU_DEP_1) | instskip(NEXT) | instid1(VALU_DEP_1)
	v_add_nc_u32_e32 v31, v33, v32
	v_add_nc_u32_e32 v29, v31, v34
	s_delay_alu instid0(VALU_DEP_1) | instskip(NEXT) | instid1(VALU_DEP_1)
	v_add_nc_u32_e32 v27, v29, v36
	v_add_nc_u32_e32 v25, v27, v38
	s_delay_alu instid0(VALU_DEP_1)
	v_add_nc_u32_e32 v23, v25, v40
	v_lshrrev_b64 v[21:22], 24, v[17:18]
	s_branch .LBB643_108
.LBB643_98:
                                        ; implicit-def: $vgpr23
                                        ; implicit-def: $vgpr25
                                        ; implicit-def: $vgpr27
                                        ; implicit-def: $vgpr29
                                        ; implicit-def: $vgpr31
                                        ; implicit-def: $vgpr33
                                        ; implicit-def: $vgpr35
                                        ; implicit-def: $vgpr37
                                        ; implicit-def: $vgpr20
	v_lshrrev_b64 v[21:22], 24, v[17:18]
	s_and_b32 vcc_lo, exec_lo, s7
	s_cbranch_vccz .LBB643_108
; %bb.99:
	s_waitcnt lgkmcnt(0)
	v_mov_b32_dpp v19, v43 row_shr:1 row_mask:0xf bank_mask:0xf
	s_delay_alu instid0(VALU_DEP_1) | instskip(NEXT) | instid1(VALU_DEP_1)
	v_cndmask_b32_e64 v19, v19, 0, s3
	v_add_nc_u32_e32 v19, v19, v43
	s_delay_alu instid0(VALU_DEP_1) | instskip(NEXT) | instid1(VALU_DEP_1)
	v_mov_b32_dpp v20, v19 row_shr:2 row_mask:0xf bank_mask:0xf
	v_cndmask_b32_e64 v20, 0, v20, s4
	s_delay_alu instid0(VALU_DEP_1) | instskip(NEXT) | instid1(VALU_DEP_1)
	v_add_nc_u32_e32 v19, v19, v20
	v_mov_b32_dpp v20, v19 row_shr:4 row_mask:0xf bank_mask:0xf
	s_delay_alu instid0(VALU_DEP_1) | instskip(NEXT) | instid1(VALU_DEP_1)
	v_cndmask_b32_e64 v20, 0, v20, s1
	v_add_nc_u32_e32 v19, v19, v20
	s_delay_alu instid0(VALU_DEP_1) | instskip(NEXT) | instid1(VALU_DEP_1)
	v_mov_b32_dpp v20, v19 row_shr:8 row_mask:0xf bank_mask:0xf
	v_cndmask_b32_e64 v20, 0, v20, s0
	s_delay_alu instid0(VALU_DEP_1) | instskip(SKIP_3) | instid1(VALU_DEP_1)
	v_add_nc_u32_e32 v19, v19, v20
	ds_swizzle_b32 v20, v19 offset:swizzle(BROADCAST,32,15)
	s_waitcnt lgkmcnt(0)
	v_cndmask_b32_e64 v20, v20, 0, s6
	v_add_nc_u32_e32 v19, v19, v20
	s_and_saveexec_b32 s6, s5
	s_cbranch_execz .LBB643_101
; %bb.100:
	v_lshlrev_b32_e32 v20, 2, v42
	ds_store_b32 v20, v19
.LBB643_101:
	s_or_b32 exec_lo, exec_lo, s6
	s_delay_alu instid0(SALU_CYCLE_1)
	s_mov_b32 s5, exec_lo
	s_waitcnt lgkmcnt(0)
	s_barrier
	buffer_gl0_inv
	v_cmpx_gt_u32_e32 12, v0
	s_cbranch_execz .LBB643_103
; %bb.102:
	v_lshlrev_b32_e32 v20, 2, v0
	ds_load_b32 v22, v20
	s_waitcnt lgkmcnt(0)
	v_mov_b32_dpp v23, v22 row_shr:1 row_mask:0xf bank_mask:0xf
	s_delay_alu instid0(VALU_DEP_1) | instskip(NEXT) | instid1(VALU_DEP_1)
	v_cndmask_b32_e64 v23, v23, 0, s3
	v_add_nc_u32_e32 v22, v23, v22
	s_delay_alu instid0(VALU_DEP_1) | instskip(NEXT) | instid1(VALU_DEP_1)
	v_mov_b32_dpp v23, v22 row_shr:2 row_mask:0xf bank_mask:0xf
	v_cndmask_b32_e64 v23, 0, v23, s4
	s_delay_alu instid0(VALU_DEP_1) | instskip(NEXT) | instid1(VALU_DEP_1)
	v_add_nc_u32_e32 v22, v22, v23
	v_mov_b32_dpp v23, v22 row_shr:4 row_mask:0xf bank_mask:0xf
	s_delay_alu instid0(VALU_DEP_1) | instskip(NEXT) | instid1(VALU_DEP_1)
	v_cndmask_b32_e64 v23, 0, v23, s1
	v_add_nc_u32_e32 v22, v22, v23
	s_delay_alu instid0(VALU_DEP_1) | instskip(NEXT) | instid1(VALU_DEP_1)
	v_mov_b32_dpp v23, v22 row_shr:8 row_mask:0xf bank_mask:0xf
	v_cndmask_b32_e64 v23, 0, v23, s0
	s_delay_alu instid0(VALU_DEP_1)
	v_add_nc_u32_e32 v22, v22, v23
	ds_store_b32 v20, v22
.LBB643_103:
	s_or_b32 exec_lo, exec_lo, s5
	v_mov_b32_e32 v20, 0
	v_mov_b32_e32 v22, 0
	s_mov_b32 s0, exec_lo
	s_waitcnt lgkmcnt(0)
	s_barrier
	buffer_gl0_inv
	v_cmpx_lt_u32_e32 31, v0
	s_cbranch_execz .LBB643_105
; %bb.104:
	v_lshl_add_u32 v22, v42, 2, -4
	ds_load_b32 v22, v22
.LBB643_105:
	s_or_b32 exec_lo, exec_lo, s0
	v_add_nc_u32_e32 v23, -1, v41
	s_waitcnt lgkmcnt(0)
	v_add_nc_u32_e32 v19, v22, v19
	s_delay_alu instid0(VALU_DEP_2) | instskip(SKIP_1) | instid1(VALU_DEP_1)
	v_cmp_gt_i32_e32 vcc_lo, 0, v23
	v_cndmask_b32_e32 v23, v23, v41, vcc_lo
	v_lshlrev_b32_e32 v23, 2, v23
	ds_bpermute_b32 v23, v23, v19
	ds_load_b32 v19, v20 offset:44
	s_and_saveexec_b32 s0, s2
	s_cbranch_execz .LBB643_107
; %bb.106:
	v_mov_b32_e32 v24, 0
	v_mov_b32_e32 v20, 2
	s_waitcnt lgkmcnt(0)
	global_store_b64 v24, v[19:20], s[20:21] offset:256
.LBB643_107:
	s_or_b32 exec_lo, exec_lo, s0
	v_cmp_eq_u32_e32 vcc_lo, 0, v41
	s_waitcnt lgkmcnt(0)
	s_waitcnt_vscnt null, 0x0
	s_barrier
	buffer_gl0_inv
	v_cndmask_b32_e32 v20, v23, v22, vcc_lo
	s_delay_alu instid0(VALU_DEP_1) | instskip(NEXT) | instid1(VALU_DEP_1)
	v_cndmask_b32_e64 v37, v20, 0, s2
	v_dual_mov_b32 v20, 0 :: v_dual_add_nc_u32 v35, v37, v28
	s_delay_alu instid0(VALU_DEP_1) | instskip(NEXT) | instid1(VALU_DEP_1)
	v_add_nc_u32_e32 v33, v35, v30
	v_add_nc_u32_e32 v31, v33, v32
	s_delay_alu instid0(VALU_DEP_1) | instskip(NEXT) | instid1(VALU_DEP_1)
	v_add_nc_u32_e32 v29, v31, v34
	v_add_nc_u32_e32 v27, v29, v36
	;; [unrolled: 3-line block ×3, first 2 shown]
.LBB643_108:
	s_waitcnt lgkmcnt(0)
	v_add_nc_u32_e32 v43, v20, v19
	v_cmp_gt_u32_e64 s0, 0x181, v19
	v_lshrrev_b32_e32 v42, 8, v17
	v_lshrrev_b32_e32 v41, 16, v17
	v_lshrrev_b32_e32 v40, 8, v18
	v_lshrrev_b32_e32 v22, 16, v18
	v_cmp_lt_u32_e64 s1, v37, v43
	s_and_b32 vcc_lo, exec_lo, s0
	s_mov_b32 s3, -1
	s_cbranch_vccz .LBB643_134
; %bb.109:
	s_lshl_b64 s[4:5], s[10:11], 2
	s_delay_alu instid0(SALU_CYCLE_1) | instskip(SKIP_2) | instid1(SALU_CYCLE_1)
	s_add_u32 s3, s16, s4
	s_addc_u32 s4, s17, s5
	s_or_b32 s5, s23, s1
	s_and_saveexec_b32 s1, s5
	s_cbranch_execz .LBB643_112
; %bb.110:
	v_and_b32_e32 v24, 1, v17
	s_delay_alu instid0(VALU_DEP_1)
	v_cmp_eq_u32_e32 vcc_lo, 1, v24
	s_and_b32 exec_lo, exec_lo, vcc_lo
	s_cbranch_execz .LBB643_112
; %bb.111:
	v_mov_b32_e32 v38, 0
	s_delay_alu instid0(VALU_DEP_1) | instskip(NEXT) | instid1(VALU_DEP_1)
	v_lshlrev_b64 v[44:45], 2, v[37:38]
	v_add_co_u32 v44, vcc_lo, s3, v44
	s_delay_alu instid0(VALU_DEP_2)
	v_add_co_ci_u32_e32 v45, vcc_lo, s4, v45, vcc_lo
	global_store_b32 v[44:45], v15, off
.LBB643_112:
	s_or_b32 exec_lo, exec_lo, s1
	v_cmp_lt_u32_e32 vcc_lo, v35, v43
	s_or_b32 s5, s23, vcc_lo
	s_delay_alu instid0(SALU_CYCLE_1)
	s_and_saveexec_b32 s1, s5
	s_cbranch_execz .LBB643_115
; %bb.113:
	v_and_b32_e32 v24, 1, v42
	s_delay_alu instid0(VALU_DEP_1)
	v_cmp_eq_u32_e32 vcc_lo, 1, v24
	s_and_b32 exec_lo, exec_lo, vcc_lo
	s_cbranch_execz .LBB643_115
; %bb.114:
	v_mov_b32_e32 v36, 0
	s_delay_alu instid0(VALU_DEP_1) | instskip(NEXT) | instid1(VALU_DEP_1)
	v_lshlrev_b64 v[44:45], 2, v[35:36]
	v_add_co_u32 v44, vcc_lo, s3, v44
	s_delay_alu instid0(VALU_DEP_2)
	v_add_co_ci_u32_e32 v45, vcc_lo, s4, v45, vcc_lo
	global_store_b32 v[44:45], v16, off
.LBB643_115:
	s_or_b32 exec_lo, exec_lo, s1
	v_cmp_lt_u32_e32 vcc_lo, v33, v43
	s_or_b32 s5, s23, vcc_lo
	s_delay_alu instid0(SALU_CYCLE_1)
	;; [unrolled: 21-line block ×7, first 2 shown]
	s_and_saveexec_b32 s1, s5
	s_cbranch_execz .LBB643_133
; %bb.131:
	v_and_b32_e32 v24, 1, v39
	s_delay_alu instid0(VALU_DEP_1)
	v_cmp_eq_u32_e32 vcc_lo, 1, v24
	s_and_b32 exec_lo, exec_lo, vcc_lo
	s_cbranch_execz .LBB643_133
; %bb.132:
	v_mov_b32_e32 v24, 0
	s_delay_alu instid0(VALU_DEP_1) | instskip(NEXT) | instid1(VALU_DEP_1)
	v_lshlrev_b64 v[44:45], 2, v[23:24]
	v_add_co_u32 v44, vcc_lo, s3, v44
	s_delay_alu instid0(VALU_DEP_2)
	v_add_co_ci_u32_e32 v45, vcc_lo, s4, v45, vcc_lo
	global_store_b32 v[44:45], v10, off
.LBB643_133:
	s_or_b32 exec_lo, exec_lo, s1
	s_mov_b32 s3, 0
.LBB643_134:
	v_and_b32_e32 v17, 1, v17
	s_and_b32 vcc_lo, exec_lo, s3
	s_delay_alu instid0(VALU_DEP_1)
	v_cmp_eq_u32_e64 s1, 1, v17
	s_cbranch_vccz .LBB643_155
; %bb.135:
	s_delay_alu instid0(VALU_DEP_1)
	s_and_saveexec_b32 s3, s1
	s_cbranch_execz .LBB643_137
; %bb.136:
	v_sub_nc_u32_e32 v24, v37, v20
	s_delay_alu instid0(VALU_DEP_1)
	v_lshlrev_b32_e32 v24, 2, v24
	ds_store_b32 v24, v15
.LBB643_137:
	s_or_b32 exec_lo, exec_lo, s3
	v_and_b32_e32 v15, 1, v42
	s_mov_b32 s1, exec_lo
	s_delay_alu instid0(VALU_DEP_1)
	v_cmpx_eq_u32_e32 1, v15
	s_cbranch_execz .LBB643_139
; %bb.138:
	v_sub_nc_u32_e32 v15, v35, v20
	s_delay_alu instid0(VALU_DEP_1)
	v_lshlrev_b32_e32 v15, 2, v15
	ds_store_b32 v15, v16
.LBB643_139:
	s_or_b32 exec_lo, exec_lo, s1
	v_and_b32_e32 v15, 1, v41
	s_mov_b32 s1, exec_lo
	s_delay_alu instid0(VALU_DEP_1)
	v_cmpx_eq_u32_e32 1, v15
	;; [unrolled: 12-line block ×7, first 2 shown]
	s_cbranch_execz .LBB643_151
; %bb.150:
	v_sub_nc_u32_e32 v9, v23, v20
	s_delay_alu instid0(VALU_DEP_1)
	v_lshlrev_b32_e32 v9, 2, v9
	ds_store_b32 v9, v10
.LBB643_151:
	s_or_b32 exec_lo, exec_lo, s1
	s_delay_alu instid0(SALU_CYCLE_1)
	s_mov_b32 s3, exec_lo
	s_waitcnt lgkmcnt(0)
	s_waitcnt_vscnt null, 0x0
	s_barrier
	buffer_gl0_inv
	v_cmpx_lt_u32_e64 v0, v19
	s_cbranch_execz .LBB643_154
; %bb.152:
	v_dual_mov_b32 v10, 0 :: v_dual_mov_b32 v9, v20
	s_lshl_b64 s[4:5], s[10:11], 2
	v_lshlrev_b32_e32 v11, 2, v0
	s_add_u32 s1, s16, s4
	s_addc_u32 s4, s17, s5
	v_lshlrev_b64 v[12:13], 2, v[9:10]
	v_mov_b32_e32 v9, v0
	s_delay_alu instid0(VALU_DEP_2) | instskip(NEXT) | instid1(VALU_DEP_3)
	v_add_co_u32 v12, vcc_lo, s1, v12
	v_add_co_ci_u32_e32 v13, vcc_lo, s4, v13, vcc_lo
	s_mov_b32 s4, 0
	.p2align	6
.LBB643_153:                            ; =>This Inner Loop Header: Depth=1
	ds_load_b32 v16, v11
	v_lshlrev_b64 v[14:15], 2, v[9:10]
	v_add_nc_u32_e32 v9, 0x180, v9
	v_add_nc_u32_e32 v11, 0x600, v11
	s_delay_alu instid0(VALU_DEP_2) | instskip(NEXT) | instid1(VALU_DEP_4)
	v_cmp_ge_u32_e32 vcc_lo, v9, v19
	v_add_co_u32 v14, s1, v12, v14
	s_delay_alu instid0(VALU_DEP_1)
	v_add_co_ci_u32_e64 v15, s1, v13, v15, s1
	s_or_b32 s4, vcc_lo, s4
	s_waitcnt lgkmcnt(0)
	global_store_b32 v[14:15], v16, off
	s_and_not1_b32 exec_lo, exec_lo, s4
	s_cbranch_execnz .LBB643_153
.LBB643_154:
	s_or_b32 exec_lo, exec_lo, s3
.LBB643_155:
	s_delay_alu instid0(SALU_CYCLE_1)
	s_and_b32 vcc_lo, exec_lo, s0
	s_mov_b32 s0, -1
	s_waitcnt_vscnt null, 0x0
	s_barrier
	buffer_gl0_inv
	s_cbranch_vccz .LBB643_183
; %bb.156:
	v_cmp_lt_u32_e32 vcc_lo, v37, v43
	s_lshl_b64 s[0:1], s[10:11], 2
	s_delay_alu instid0(SALU_CYCLE_1) | instskip(SKIP_2) | instid1(SALU_CYCLE_1)
	s_add_u32 s0, s18, s0
	s_addc_u32 s1, s19, s1
	s_or_b32 s4, s23, vcc_lo
	s_and_saveexec_b32 s3, s4
	s_cbranch_execz .LBB643_159
; %bb.157:
	v_cmp_eq_u32_e32 vcc_lo, 1, v17
	s_and_b32 exec_lo, exec_lo, vcc_lo
	s_cbranch_execz .LBB643_159
; %bb.158:
	v_mov_b32_e32 v38, 0
	s_delay_alu instid0(VALU_DEP_1) | instskip(NEXT) | instid1(VALU_DEP_1)
	v_lshlrev_b64 v[9:10], 2, v[37:38]
	v_add_co_u32 v9, vcc_lo, s0, v9
	s_delay_alu instid0(VALU_DEP_2)
	v_add_co_ci_u32_e32 v10, vcc_lo, s1, v10, vcc_lo
	global_store_b32 v[9:10], v7, off
.LBB643_159:
	s_or_b32 exec_lo, exec_lo, s3
	v_cmp_lt_u32_e32 vcc_lo, v35, v43
	s_or_b32 s4, s23, vcc_lo
	s_delay_alu instid0(SALU_CYCLE_1)
	s_and_saveexec_b32 s3, s4
	s_cbranch_execz .LBB643_162
; %bb.160:
	v_and_b32_e32 v9, 1, v42
	s_delay_alu instid0(VALU_DEP_1)
	v_cmp_eq_u32_e32 vcc_lo, 1, v9
	s_and_b32 exec_lo, exec_lo, vcc_lo
	s_cbranch_execz .LBB643_162
; %bb.161:
	v_mov_b32_e32 v36, 0
	s_delay_alu instid0(VALU_DEP_1) | instskip(NEXT) | instid1(VALU_DEP_1)
	v_lshlrev_b64 v[9:10], 2, v[35:36]
	v_add_co_u32 v9, vcc_lo, s0, v9
	s_delay_alu instid0(VALU_DEP_2)
	v_add_co_ci_u32_e32 v10, vcc_lo, s1, v10, vcc_lo
	global_store_b32 v[9:10], v8, off
.LBB643_162:
	s_or_b32 exec_lo, exec_lo, s3
	v_cmp_lt_u32_e32 vcc_lo, v33, v43
	s_or_b32 s4, s23, vcc_lo
	s_delay_alu instid0(SALU_CYCLE_1)
	s_and_saveexec_b32 s3, s4
	s_cbranch_execz .LBB643_165
; %bb.163:
	v_and_b32_e32 v9, 1, v41
	s_delay_alu instid0(VALU_DEP_1)
	v_cmp_eq_u32_e32 vcc_lo, 1, v9
	s_and_b32 exec_lo, exec_lo, vcc_lo
	s_cbranch_execz .LBB643_165
; %bb.164:
	v_mov_b32_e32 v34, 0
	s_delay_alu instid0(VALU_DEP_1) | instskip(NEXT) | instid1(VALU_DEP_1)
	v_lshlrev_b64 v[9:10], 2, v[33:34]
	v_add_co_u32 v9, vcc_lo, s0, v9
	s_delay_alu instid0(VALU_DEP_2)
	v_add_co_ci_u32_e32 v10, vcc_lo, s1, v10, vcc_lo
	global_store_b32 v[9:10], v5, off
.LBB643_165:
	;; [unrolled: 21-line block ×7, first 2 shown]
	s_or_b32 exec_lo, exec_lo, s3
.LBB643_181:
	s_and_b32 s0, s2, s22
	s_delay_alu instid0(SALU_CYCLE_1)
	s_and_saveexec_b32 s1, s0
	s_cbranch_execz .LBB643_204
.LBB643_182:
	v_add_co_u32 v0, s0, s10, v19
	s_delay_alu instid0(VALU_DEP_1) | instskip(SKIP_1) | instid1(VALU_DEP_3)
	v_add_co_ci_u32_e64 v1, null, s11, 0, s0
	v_mov_b32_e32 v2, 0
	v_add_co_u32 v0, vcc_lo, v0, v20
	s_delay_alu instid0(VALU_DEP_3)
	v_add_co_ci_u32_e32 v1, vcc_lo, 0, v1, vcc_lo
	global_store_b64 v2, v[0:1], s[12:13]
	s_nop 0
	s_sendmsg sendmsg(MSG_DEALLOC_VGPRS)
	s_endpgm
.LBB643_183:
	s_and_b32 vcc_lo, exec_lo, s0
	s_cbranch_vccz .LBB643_181
; %bb.184:
	s_mov_b32 s0, exec_lo
	v_cmpx_eq_u32_e32 1, v17
	s_cbranch_execz .LBB643_186
; %bb.185:
	v_sub_nc_u32_e32 v9, v37, v20
	s_delay_alu instid0(VALU_DEP_1)
	v_lshlrev_b32_e32 v9, 2, v9
	ds_store_b32 v9, v7
.LBB643_186:
	s_or_b32 exec_lo, exec_lo, s0
	v_and_b32_e32 v7, 1, v42
	s_mov_b32 s0, exec_lo
	s_delay_alu instid0(VALU_DEP_1)
	v_cmpx_eq_u32_e32 1, v7
	s_cbranch_execz .LBB643_188
; %bb.187:
	v_sub_nc_u32_e32 v7, v35, v20
	s_delay_alu instid0(VALU_DEP_1)
	v_lshlrev_b32_e32 v7, 2, v7
	ds_store_b32 v7, v8
.LBB643_188:
	s_or_b32 exec_lo, exec_lo, s0
	v_and_b32_e32 v7, 1, v41
	s_mov_b32 s0, exec_lo
	s_delay_alu instid0(VALU_DEP_1)
	;; [unrolled: 12-line block ×7, first 2 shown]
	v_cmpx_eq_u32_e32 1, v1
	s_cbranch_execz .LBB643_200
; %bb.199:
	v_sub_nc_u32_e32 v1, v23, v20
	s_delay_alu instid0(VALU_DEP_1)
	v_lshlrev_b32_e32 v1, 2, v1
	ds_store_b32 v1, v2
.LBB643_200:
	s_or_b32 exec_lo, exec_lo, s0
	s_delay_alu instid0(SALU_CYCLE_1)
	s_mov_b32 s1, exec_lo
	s_waitcnt lgkmcnt(0)
	s_waitcnt_vscnt null, 0x0
	s_barrier
	buffer_gl0_inv
	v_cmpx_lt_u32_e64 v0, v19
	s_cbranch_execz .LBB643_203
; %bb.201:
	v_dual_mov_b32 v1, 0 :: v_dual_mov_b32 v2, v20
	s_lshl_b64 s[4:5], s[10:11], 2
	v_lshlrev_b32_e32 v4, 2, v0
	s_add_u32 s0, s18, s4
	s_delay_alu instid0(VALU_DEP_2) | instskip(SKIP_1) | instid1(VALU_DEP_1)
	v_mov_b32_e32 v3, v1
	s_addc_u32 s3, s19, s5
	v_lshlrev_b64 v[2:3], 2, v[2:3]
	s_delay_alu instid0(VALU_DEP_1) | instskip(NEXT) | instid1(VALU_DEP_2)
	v_add_co_u32 v2, vcc_lo, s0, v2
	v_add_co_ci_u32_e32 v3, vcc_lo, s3, v3, vcc_lo
	s_mov_b32 s3, 0
	.p2align	6
.LBB643_202:                            ; =>This Inner Loop Header: Depth=1
	ds_load_b32 v7, v4
	v_lshlrev_b64 v[5:6], 2, v[0:1]
	v_add_nc_u32_e32 v0, 0x180, v0
	v_add_nc_u32_e32 v4, 0x600, v4
	s_delay_alu instid0(VALU_DEP_2) | instskip(NEXT) | instid1(VALU_DEP_4)
	v_cmp_ge_u32_e32 vcc_lo, v0, v19
	v_add_co_u32 v5, s0, v2, v5
	s_delay_alu instid0(VALU_DEP_1)
	v_add_co_ci_u32_e64 v6, s0, v3, v6, s0
	s_or_b32 s3, vcc_lo, s3
	s_waitcnt lgkmcnt(0)
	global_store_b32 v[5:6], v7, off
	s_and_not1_b32 exec_lo, exec_lo, s3
	s_cbranch_execnz .LBB643_202
.LBB643_203:
	s_or_b32 exec_lo, exec_lo, s1
	s_and_b32 s0, s2, s22
	s_delay_alu instid0(SALU_CYCLE_1)
	s_and_saveexec_b32 s1, s0
	s_cbranch_execnz .LBB643_182
.LBB643_204:
	s_nop 0
	s_sendmsg sendmsg(MSG_DEALLOC_VGPRS)
	s_endpgm
	.section	.rodata,"a",@progbits
	.p2align	6, 0x0
	.amdhsa_kernel _ZN7rocprim17ROCPRIM_400000_NS6detail17trampoline_kernelINS0_14default_configENS1_25partition_config_selectorILNS1_17partition_subalgoE9EijbEEZZNS1_14partition_implILS5_9ELb0ES3_jN6thrust23THRUST_200600_302600_NS6detail15normal_iteratorINS9_10device_ptrIiEEEENSB_INSC_IjEEEEPNS0_10empty_typeENS0_5tupleIJSE_SH_EEENSJ_IJSG_SI_EEENS0_18inequality_wrapperINS9_8equal_toIiEEEEPmJSH_EEE10hipError_tPvRmT3_T4_T5_T6_T7_T9_mT8_P12ihipStream_tbDpT10_ENKUlT_T0_E_clISt17integral_constantIbLb1EES1A_EEDaS15_S16_EUlS15_E_NS1_11comp_targetILNS1_3genE9ELNS1_11target_archE1100ELNS1_3gpuE3ELNS1_3repE0EEENS1_30default_config_static_selectorELNS0_4arch9wavefront6targetE0EEEvT1_
		.amdhsa_group_segment_fixed_size 12680
		.amdhsa_private_segment_fixed_size 0
		.amdhsa_kernarg_size 128
		.amdhsa_user_sgpr_count 15
		.amdhsa_user_sgpr_dispatch_ptr 0
		.amdhsa_user_sgpr_queue_ptr 0
		.amdhsa_user_sgpr_kernarg_segment_ptr 1
		.amdhsa_user_sgpr_dispatch_id 0
		.amdhsa_user_sgpr_private_segment_size 0
		.amdhsa_wavefront_size32 1
		.amdhsa_uses_dynamic_stack 0
		.amdhsa_enable_private_segment 0
		.amdhsa_system_sgpr_workgroup_id_x 1
		.amdhsa_system_sgpr_workgroup_id_y 0
		.amdhsa_system_sgpr_workgroup_id_z 0
		.amdhsa_system_sgpr_workgroup_info 0
		.amdhsa_system_vgpr_workitem_id 0
		.amdhsa_next_free_vgpr 51
		.amdhsa_next_free_sgpr 29
		.amdhsa_reserve_vcc 1
		.amdhsa_float_round_mode_32 0
		.amdhsa_float_round_mode_16_64 0
		.amdhsa_float_denorm_mode_32 3
		.amdhsa_float_denorm_mode_16_64 3
		.amdhsa_dx10_clamp 1
		.amdhsa_ieee_mode 1
		.amdhsa_fp16_overflow 0
		.amdhsa_workgroup_processor_mode 1
		.amdhsa_memory_ordered 1
		.amdhsa_forward_progress 0
		.amdhsa_shared_vgpr_count 0
		.amdhsa_exception_fp_ieee_invalid_op 0
		.amdhsa_exception_fp_denorm_src 0
		.amdhsa_exception_fp_ieee_div_zero 0
		.amdhsa_exception_fp_ieee_overflow 0
		.amdhsa_exception_fp_ieee_underflow 0
		.amdhsa_exception_fp_ieee_inexact 0
		.amdhsa_exception_int_div_zero 0
	.end_amdhsa_kernel
	.section	.text._ZN7rocprim17ROCPRIM_400000_NS6detail17trampoline_kernelINS0_14default_configENS1_25partition_config_selectorILNS1_17partition_subalgoE9EijbEEZZNS1_14partition_implILS5_9ELb0ES3_jN6thrust23THRUST_200600_302600_NS6detail15normal_iteratorINS9_10device_ptrIiEEEENSB_INSC_IjEEEEPNS0_10empty_typeENS0_5tupleIJSE_SH_EEENSJ_IJSG_SI_EEENS0_18inequality_wrapperINS9_8equal_toIiEEEEPmJSH_EEE10hipError_tPvRmT3_T4_T5_T6_T7_T9_mT8_P12ihipStream_tbDpT10_ENKUlT_T0_E_clISt17integral_constantIbLb1EES1A_EEDaS15_S16_EUlS15_E_NS1_11comp_targetILNS1_3genE9ELNS1_11target_archE1100ELNS1_3gpuE3ELNS1_3repE0EEENS1_30default_config_static_selectorELNS0_4arch9wavefront6targetE0EEEvT1_,"axG",@progbits,_ZN7rocprim17ROCPRIM_400000_NS6detail17trampoline_kernelINS0_14default_configENS1_25partition_config_selectorILNS1_17partition_subalgoE9EijbEEZZNS1_14partition_implILS5_9ELb0ES3_jN6thrust23THRUST_200600_302600_NS6detail15normal_iteratorINS9_10device_ptrIiEEEENSB_INSC_IjEEEEPNS0_10empty_typeENS0_5tupleIJSE_SH_EEENSJ_IJSG_SI_EEENS0_18inequality_wrapperINS9_8equal_toIiEEEEPmJSH_EEE10hipError_tPvRmT3_T4_T5_T6_T7_T9_mT8_P12ihipStream_tbDpT10_ENKUlT_T0_E_clISt17integral_constantIbLb1EES1A_EEDaS15_S16_EUlS15_E_NS1_11comp_targetILNS1_3genE9ELNS1_11target_archE1100ELNS1_3gpuE3ELNS1_3repE0EEENS1_30default_config_static_selectorELNS0_4arch9wavefront6targetE0EEEvT1_,comdat
.Lfunc_end643:
	.size	_ZN7rocprim17ROCPRIM_400000_NS6detail17trampoline_kernelINS0_14default_configENS1_25partition_config_selectorILNS1_17partition_subalgoE9EijbEEZZNS1_14partition_implILS5_9ELb0ES3_jN6thrust23THRUST_200600_302600_NS6detail15normal_iteratorINS9_10device_ptrIiEEEENSB_INSC_IjEEEEPNS0_10empty_typeENS0_5tupleIJSE_SH_EEENSJ_IJSG_SI_EEENS0_18inequality_wrapperINS9_8equal_toIiEEEEPmJSH_EEE10hipError_tPvRmT3_T4_T5_T6_T7_T9_mT8_P12ihipStream_tbDpT10_ENKUlT_T0_E_clISt17integral_constantIbLb1EES1A_EEDaS15_S16_EUlS15_E_NS1_11comp_targetILNS1_3genE9ELNS1_11target_archE1100ELNS1_3gpuE3ELNS1_3repE0EEENS1_30default_config_static_selectorELNS0_4arch9wavefront6targetE0EEEvT1_, .Lfunc_end643-_ZN7rocprim17ROCPRIM_400000_NS6detail17trampoline_kernelINS0_14default_configENS1_25partition_config_selectorILNS1_17partition_subalgoE9EijbEEZZNS1_14partition_implILS5_9ELb0ES3_jN6thrust23THRUST_200600_302600_NS6detail15normal_iteratorINS9_10device_ptrIiEEEENSB_INSC_IjEEEEPNS0_10empty_typeENS0_5tupleIJSE_SH_EEENSJ_IJSG_SI_EEENS0_18inequality_wrapperINS9_8equal_toIiEEEEPmJSH_EEE10hipError_tPvRmT3_T4_T5_T6_T7_T9_mT8_P12ihipStream_tbDpT10_ENKUlT_T0_E_clISt17integral_constantIbLb1EES1A_EEDaS15_S16_EUlS15_E_NS1_11comp_targetILNS1_3genE9ELNS1_11target_archE1100ELNS1_3gpuE3ELNS1_3repE0EEENS1_30default_config_static_selectorELNS0_4arch9wavefront6targetE0EEEvT1_
                                        ; -- End function
	.section	.AMDGPU.csdata,"",@progbits
; Kernel info:
; codeLenInByte = 9460
; NumSgprs: 31
; NumVgprs: 51
; ScratchSize: 0
; MemoryBound: 0
; FloatMode: 240
; IeeeMode: 1
; LDSByteSize: 12680 bytes/workgroup (compile time only)
; SGPRBlocks: 3
; VGPRBlocks: 6
; NumSGPRsForWavesPerEU: 31
; NumVGPRsForWavesPerEU: 51
; Occupancy: 15
; WaveLimiterHint : 1
; COMPUTE_PGM_RSRC2:SCRATCH_EN: 0
; COMPUTE_PGM_RSRC2:USER_SGPR: 15
; COMPUTE_PGM_RSRC2:TRAP_HANDLER: 0
; COMPUTE_PGM_RSRC2:TGID_X_EN: 1
; COMPUTE_PGM_RSRC2:TGID_Y_EN: 0
; COMPUTE_PGM_RSRC2:TGID_Z_EN: 0
; COMPUTE_PGM_RSRC2:TIDIG_COMP_CNT: 0
	.section	.text._ZN7rocprim17ROCPRIM_400000_NS6detail17trampoline_kernelINS0_14default_configENS1_25partition_config_selectorILNS1_17partition_subalgoE9EijbEEZZNS1_14partition_implILS5_9ELb0ES3_jN6thrust23THRUST_200600_302600_NS6detail15normal_iteratorINS9_10device_ptrIiEEEENSB_INSC_IjEEEEPNS0_10empty_typeENS0_5tupleIJSE_SH_EEENSJ_IJSG_SI_EEENS0_18inequality_wrapperINS9_8equal_toIiEEEEPmJSH_EEE10hipError_tPvRmT3_T4_T5_T6_T7_T9_mT8_P12ihipStream_tbDpT10_ENKUlT_T0_E_clISt17integral_constantIbLb1EES1A_EEDaS15_S16_EUlS15_E_NS1_11comp_targetILNS1_3genE8ELNS1_11target_archE1030ELNS1_3gpuE2ELNS1_3repE0EEENS1_30default_config_static_selectorELNS0_4arch9wavefront6targetE0EEEvT1_,"axG",@progbits,_ZN7rocprim17ROCPRIM_400000_NS6detail17trampoline_kernelINS0_14default_configENS1_25partition_config_selectorILNS1_17partition_subalgoE9EijbEEZZNS1_14partition_implILS5_9ELb0ES3_jN6thrust23THRUST_200600_302600_NS6detail15normal_iteratorINS9_10device_ptrIiEEEENSB_INSC_IjEEEEPNS0_10empty_typeENS0_5tupleIJSE_SH_EEENSJ_IJSG_SI_EEENS0_18inequality_wrapperINS9_8equal_toIiEEEEPmJSH_EEE10hipError_tPvRmT3_T4_T5_T6_T7_T9_mT8_P12ihipStream_tbDpT10_ENKUlT_T0_E_clISt17integral_constantIbLb1EES1A_EEDaS15_S16_EUlS15_E_NS1_11comp_targetILNS1_3genE8ELNS1_11target_archE1030ELNS1_3gpuE2ELNS1_3repE0EEENS1_30default_config_static_selectorELNS0_4arch9wavefront6targetE0EEEvT1_,comdat
	.protected	_ZN7rocprim17ROCPRIM_400000_NS6detail17trampoline_kernelINS0_14default_configENS1_25partition_config_selectorILNS1_17partition_subalgoE9EijbEEZZNS1_14partition_implILS5_9ELb0ES3_jN6thrust23THRUST_200600_302600_NS6detail15normal_iteratorINS9_10device_ptrIiEEEENSB_INSC_IjEEEEPNS0_10empty_typeENS0_5tupleIJSE_SH_EEENSJ_IJSG_SI_EEENS0_18inequality_wrapperINS9_8equal_toIiEEEEPmJSH_EEE10hipError_tPvRmT3_T4_T5_T6_T7_T9_mT8_P12ihipStream_tbDpT10_ENKUlT_T0_E_clISt17integral_constantIbLb1EES1A_EEDaS15_S16_EUlS15_E_NS1_11comp_targetILNS1_3genE8ELNS1_11target_archE1030ELNS1_3gpuE2ELNS1_3repE0EEENS1_30default_config_static_selectorELNS0_4arch9wavefront6targetE0EEEvT1_ ; -- Begin function _ZN7rocprim17ROCPRIM_400000_NS6detail17trampoline_kernelINS0_14default_configENS1_25partition_config_selectorILNS1_17partition_subalgoE9EijbEEZZNS1_14partition_implILS5_9ELb0ES3_jN6thrust23THRUST_200600_302600_NS6detail15normal_iteratorINS9_10device_ptrIiEEEENSB_INSC_IjEEEEPNS0_10empty_typeENS0_5tupleIJSE_SH_EEENSJ_IJSG_SI_EEENS0_18inequality_wrapperINS9_8equal_toIiEEEEPmJSH_EEE10hipError_tPvRmT3_T4_T5_T6_T7_T9_mT8_P12ihipStream_tbDpT10_ENKUlT_T0_E_clISt17integral_constantIbLb1EES1A_EEDaS15_S16_EUlS15_E_NS1_11comp_targetILNS1_3genE8ELNS1_11target_archE1030ELNS1_3gpuE2ELNS1_3repE0EEENS1_30default_config_static_selectorELNS0_4arch9wavefront6targetE0EEEvT1_
	.globl	_ZN7rocprim17ROCPRIM_400000_NS6detail17trampoline_kernelINS0_14default_configENS1_25partition_config_selectorILNS1_17partition_subalgoE9EijbEEZZNS1_14partition_implILS5_9ELb0ES3_jN6thrust23THRUST_200600_302600_NS6detail15normal_iteratorINS9_10device_ptrIiEEEENSB_INSC_IjEEEEPNS0_10empty_typeENS0_5tupleIJSE_SH_EEENSJ_IJSG_SI_EEENS0_18inequality_wrapperINS9_8equal_toIiEEEEPmJSH_EEE10hipError_tPvRmT3_T4_T5_T6_T7_T9_mT8_P12ihipStream_tbDpT10_ENKUlT_T0_E_clISt17integral_constantIbLb1EES1A_EEDaS15_S16_EUlS15_E_NS1_11comp_targetILNS1_3genE8ELNS1_11target_archE1030ELNS1_3gpuE2ELNS1_3repE0EEENS1_30default_config_static_selectorELNS0_4arch9wavefront6targetE0EEEvT1_
	.p2align	8
	.type	_ZN7rocprim17ROCPRIM_400000_NS6detail17trampoline_kernelINS0_14default_configENS1_25partition_config_selectorILNS1_17partition_subalgoE9EijbEEZZNS1_14partition_implILS5_9ELb0ES3_jN6thrust23THRUST_200600_302600_NS6detail15normal_iteratorINS9_10device_ptrIiEEEENSB_INSC_IjEEEEPNS0_10empty_typeENS0_5tupleIJSE_SH_EEENSJ_IJSG_SI_EEENS0_18inequality_wrapperINS9_8equal_toIiEEEEPmJSH_EEE10hipError_tPvRmT3_T4_T5_T6_T7_T9_mT8_P12ihipStream_tbDpT10_ENKUlT_T0_E_clISt17integral_constantIbLb1EES1A_EEDaS15_S16_EUlS15_E_NS1_11comp_targetILNS1_3genE8ELNS1_11target_archE1030ELNS1_3gpuE2ELNS1_3repE0EEENS1_30default_config_static_selectorELNS0_4arch9wavefront6targetE0EEEvT1_,@function
_ZN7rocprim17ROCPRIM_400000_NS6detail17trampoline_kernelINS0_14default_configENS1_25partition_config_selectorILNS1_17partition_subalgoE9EijbEEZZNS1_14partition_implILS5_9ELb0ES3_jN6thrust23THRUST_200600_302600_NS6detail15normal_iteratorINS9_10device_ptrIiEEEENSB_INSC_IjEEEEPNS0_10empty_typeENS0_5tupleIJSE_SH_EEENSJ_IJSG_SI_EEENS0_18inequality_wrapperINS9_8equal_toIiEEEEPmJSH_EEE10hipError_tPvRmT3_T4_T5_T6_T7_T9_mT8_P12ihipStream_tbDpT10_ENKUlT_T0_E_clISt17integral_constantIbLb1EES1A_EEDaS15_S16_EUlS15_E_NS1_11comp_targetILNS1_3genE8ELNS1_11target_archE1030ELNS1_3gpuE2ELNS1_3repE0EEENS1_30default_config_static_selectorELNS0_4arch9wavefront6targetE0EEEvT1_: ; @_ZN7rocprim17ROCPRIM_400000_NS6detail17trampoline_kernelINS0_14default_configENS1_25partition_config_selectorILNS1_17partition_subalgoE9EijbEEZZNS1_14partition_implILS5_9ELb0ES3_jN6thrust23THRUST_200600_302600_NS6detail15normal_iteratorINS9_10device_ptrIiEEEENSB_INSC_IjEEEEPNS0_10empty_typeENS0_5tupleIJSE_SH_EEENSJ_IJSG_SI_EEENS0_18inequality_wrapperINS9_8equal_toIiEEEEPmJSH_EEE10hipError_tPvRmT3_T4_T5_T6_T7_T9_mT8_P12ihipStream_tbDpT10_ENKUlT_T0_E_clISt17integral_constantIbLb1EES1A_EEDaS15_S16_EUlS15_E_NS1_11comp_targetILNS1_3genE8ELNS1_11target_archE1030ELNS1_3gpuE2ELNS1_3repE0EEENS1_30default_config_static_selectorELNS0_4arch9wavefront6targetE0EEEvT1_
; %bb.0:
	.section	.rodata,"a",@progbits
	.p2align	6, 0x0
	.amdhsa_kernel _ZN7rocprim17ROCPRIM_400000_NS6detail17trampoline_kernelINS0_14default_configENS1_25partition_config_selectorILNS1_17partition_subalgoE9EijbEEZZNS1_14partition_implILS5_9ELb0ES3_jN6thrust23THRUST_200600_302600_NS6detail15normal_iteratorINS9_10device_ptrIiEEEENSB_INSC_IjEEEEPNS0_10empty_typeENS0_5tupleIJSE_SH_EEENSJ_IJSG_SI_EEENS0_18inequality_wrapperINS9_8equal_toIiEEEEPmJSH_EEE10hipError_tPvRmT3_T4_T5_T6_T7_T9_mT8_P12ihipStream_tbDpT10_ENKUlT_T0_E_clISt17integral_constantIbLb1EES1A_EEDaS15_S16_EUlS15_E_NS1_11comp_targetILNS1_3genE8ELNS1_11target_archE1030ELNS1_3gpuE2ELNS1_3repE0EEENS1_30default_config_static_selectorELNS0_4arch9wavefront6targetE0EEEvT1_
		.amdhsa_group_segment_fixed_size 0
		.amdhsa_private_segment_fixed_size 0
		.amdhsa_kernarg_size 128
		.amdhsa_user_sgpr_count 15
		.amdhsa_user_sgpr_dispatch_ptr 0
		.amdhsa_user_sgpr_queue_ptr 0
		.amdhsa_user_sgpr_kernarg_segment_ptr 1
		.amdhsa_user_sgpr_dispatch_id 0
		.amdhsa_user_sgpr_private_segment_size 0
		.amdhsa_wavefront_size32 1
		.amdhsa_uses_dynamic_stack 0
		.amdhsa_enable_private_segment 0
		.amdhsa_system_sgpr_workgroup_id_x 1
		.amdhsa_system_sgpr_workgroup_id_y 0
		.amdhsa_system_sgpr_workgroup_id_z 0
		.amdhsa_system_sgpr_workgroup_info 0
		.amdhsa_system_vgpr_workitem_id 0
		.amdhsa_next_free_vgpr 1
		.amdhsa_next_free_sgpr 1
		.amdhsa_reserve_vcc 0
		.amdhsa_float_round_mode_32 0
		.amdhsa_float_round_mode_16_64 0
		.amdhsa_float_denorm_mode_32 3
		.amdhsa_float_denorm_mode_16_64 3
		.amdhsa_dx10_clamp 1
		.amdhsa_ieee_mode 1
		.amdhsa_fp16_overflow 0
		.amdhsa_workgroup_processor_mode 1
		.amdhsa_memory_ordered 1
		.amdhsa_forward_progress 0
		.amdhsa_shared_vgpr_count 0
		.amdhsa_exception_fp_ieee_invalid_op 0
		.amdhsa_exception_fp_denorm_src 0
		.amdhsa_exception_fp_ieee_div_zero 0
		.amdhsa_exception_fp_ieee_overflow 0
		.amdhsa_exception_fp_ieee_underflow 0
		.amdhsa_exception_fp_ieee_inexact 0
		.amdhsa_exception_int_div_zero 0
	.end_amdhsa_kernel
	.section	.text._ZN7rocprim17ROCPRIM_400000_NS6detail17trampoline_kernelINS0_14default_configENS1_25partition_config_selectorILNS1_17partition_subalgoE9EijbEEZZNS1_14partition_implILS5_9ELb0ES3_jN6thrust23THRUST_200600_302600_NS6detail15normal_iteratorINS9_10device_ptrIiEEEENSB_INSC_IjEEEEPNS0_10empty_typeENS0_5tupleIJSE_SH_EEENSJ_IJSG_SI_EEENS0_18inequality_wrapperINS9_8equal_toIiEEEEPmJSH_EEE10hipError_tPvRmT3_T4_T5_T6_T7_T9_mT8_P12ihipStream_tbDpT10_ENKUlT_T0_E_clISt17integral_constantIbLb1EES1A_EEDaS15_S16_EUlS15_E_NS1_11comp_targetILNS1_3genE8ELNS1_11target_archE1030ELNS1_3gpuE2ELNS1_3repE0EEENS1_30default_config_static_selectorELNS0_4arch9wavefront6targetE0EEEvT1_,"axG",@progbits,_ZN7rocprim17ROCPRIM_400000_NS6detail17trampoline_kernelINS0_14default_configENS1_25partition_config_selectorILNS1_17partition_subalgoE9EijbEEZZNS1_14partition_implILS5_9ELb0ES3_jN6thrust23THRUST_200600_302600_NS6detail15normal_iteratorINS9_10device_ptrIiEEEENSB_INSC_IjEEEEPNS0_10empty_typeENS0_5tupleIJSE_SH_EEENSJ_IJSG_SI_EEENS0_18inequality_wrapperINS9_8equal_toIiEEEEPmJSH_EEE10hipError_tPvRmT3_T4_T5_T6_T7_T9_mT8_P12ihipStream_tbDpT10_ENKUlT_T0_E_clISt17integral_constantIbLb1EES1A_EEDaS15_S16_EUlS15_E_NS1_11comp_targetILNS1_3genE8ELNS1_11target_archE1030ELNS1_3gpuE2ELNS1_3repE0EEENS1_30default_config_static_selectorELNS0_4arch9wavefront6targetE0EEEvT1_,comdat
.Lfunc_end644:
	.size	_ZN7rocprim17ROCPRIM_400000_NS6detail17trampoline_kernelINS0_14default_configENS1_25partition_config_selectorILNS1_17partition_subalgoE9EijbEEZZNS1_14partition_implILS5_9ELb0ES3_jN6thrust23THRUST_200600_302600_NS6detail15normal_iteratorINS9_10device_ptrIiEEEENSB_INSC_IjEEEEPNS0_10empty_typeENS0_5tupleIJSE_SH_EEENSJ_IJSG_SI_EEENS0_18inequality_wrapperINS9_8equal_toIiEEEEPmJSH_EEE10hipError_tPvRmT3_T4_T5_T6_T7_T9_mT8_P12ihipStream_tbDpT10_ENKUlT_T0_E_clISt17integral_constantIbLb1EES1A_EEDaS15_S16_EUlS15_E_NS1_11comp_targetILNS1_3genE8ELNS1_11target_archE1030ELNS1_3gpuE2ELNS1_3repE0EEENS1_30default_config_static_selectorELNS0_4arch9wavefront6targetE0EEEvT1_, .Lfunc_end644-_ZN7rocprim17ROCPRIM_400000_NS6detail17trampoline_kernelINS0_14default_configENS1_25partition_config_selectorILNS1_17partition_subalgoE9EijbEEZZNS1_14partition_implILS5_9ELb0ES3_jN6thrust23THRUST_200600_302600_NS6detail15normal_iteratorINS9_10device_ptrIiEEEENSB_INSC_IjEEEEPNS0_10empty_typeENS0_5tupleIJSE_SH_EEENSJ_IJSG_SI_EEENS0_18inequality_wrapperINS9_8equal_toIiEEEEPmJSH_EEE10hipError_tPvRmT3_T4_T5_T6_T7_T9_mT8_P12ihipStream_tbDpT10_ENKUlT_T0_E_clISt17integral_constantIbLb1EES1A_EEDaS15_S16_EUlS15_E_NS1_11comp_targetILNS1_3genE8ELNS1_11target_archE1030ELNS1_3gpuE2ELNS1_3repE0EEENS1_30default_config_static_selectorELNS0_4arch9wavefront6targetE0EEEvT1_
                                        ; -- End function
	.section	.AMDGPU.csdata,"",@progbits
; Kernel info:
; codeLenInByte = 0
; NumSgprs: 0
; NumVgprs: 0
; ScratchSize: 0
; MemoryBound: 0
; FloatMode: 240
; IeeeMode: 1
; LDSByteSize: 0 bytes/workgroup (compile time only)
; SGPRBlocks: 0
; VGPRBlocks: 0
; NumSGPRsForWavesPerEU: 1
; NumVGPRsForWavesPerEU: 1
; Occupancy: 16
; WaveLimiterHint : 0
; COMPUTE_PGM_RSRC2:SCRATCH_EN: 0
; COMPUTE_PGM_RSRC2:USER_SGPR: 15
; COMPUTE_PGM_RSRC2:TRAP_HANDLER: 0
; COMPUTE_PGM_RSRC2:TGID_X_EN: 1
; COMPUTE_PGM_RSRC2:TGID_Y_EN: 0
; COMPUTE_PGM_RSRC2:TGID_Z_EN: 0
; COMPUTE_PGM_RSRC2:TIDIG_COMP_CNT: 0
	.section	.text._ZN7rocprim17ROCPRIM_400000_NS6detail17trampoline_kernelINS0_14default_configENS1_25partition_config_selectorILNS1_17partition_subalgoE9EijbEEZZNS1_14partition_implILS5_9ELb0ES3_jN6thrust23THRUST_200600_302600_NS6detail15normal_iteratorINS9_10device_ptrIiEEEENSB_INSC_IjEEEEPNS0_10empty_typeENS0_5tupleIJSE_SH_EEENSJ_IJSG_SI_EEENS0_18inequality_wrapperINS9_8equal_toIiEEEEPmJSH_EEE10hipError_tPvRmT3_T4_T5_T6_T7_T9_mT8_P12ihipStream_tbDpT10_ENKUlT_T0_E_clISt17integral_constantIbLb1EES19_IbLb0EEEEDaS15_S16_EUlS15_E_NS1_11comp_targetILNS1_3genE0ELNS1_11target_archE4294967295ELNS1_3gpuE0ELNS1_3repE0EEENS1_30default_config_static_selectorELNS0_4arch9wavefront6targetE0EEEvT1_,"axG",@progbits,_ZN7rocprim17ROCPRIM_400000_NS6detail17trampoline_kernelINS0_14default_configENS1_25partition_config_selectorILNS1_17partition_subalgoE9EijbEEZZNS1_14partition_implILS5_9ELb0ES3_jN6thrust23THRUST_200600_302600_NS6detail15normal_iteratorINS9_10device_ptrIiEEEENSB_INSC_IjEEEEPNS0_10empty_typeENS0_5tupleIJSE_SH_EEENSJ_IJSG_SI_EEENS0_18inequality_wrapperINS9_8equal_toIiEEEEPmJSH_EEE10hipError_tPvRmT3_T4_T5_T6_T7_T9_mT8_P12ihipStream_tbDpT10_ENKUlT_T0_E_clISt17integral_constantIbLb1EES19_IbLb0EEEEDaS15_S16_EUlS15_E_NS1_11comp_targetILNS1_3genE0ELNS1_11target_archE4294967295ELNS1_3gpuE0ELNS1_3repE0EEENS1_30default_config_static_selectorELNS0_4arch9wavefront6targetE0EEEvT1_,comdat
	.protected	_ZN7rocprim17ROCPRIM_400000_NS6detail17trampoline_kernelINS0_14default_configENS1_25partition_config_selectorILNS1_17partition_subalgoE9EijbEEZZNS1_14partition_implILS5_9ELb0ES3_jN6thrust23THRUST_200600_302600_NS6detail15normal_iteratorINS9_10device_ptrIiEEEENSB_INSC_IjEEEEPNS0_10empty_typeENS0_5tupleIJSE_SH_EEENSJ_IJSG_SI_EEENS0_18inequality_wrapperINS9_8equal_toIiEEEEPmJSH_EEE10hipError_tPvRmT3_T4_T5_T6_T7_T9_mT8_P12ihipStream_tbDpT10_ENKUlT_T0_E_clISt17integral_constantIbLb1EES19_IbLb0EEEEDaS15_S16_EUlS15_E_NS1_11comp_targetILNS1_3genE0ELNS1_11target_archE4294967295ELNS1_3gpuE0ELNS1_3repE0EEENS1_30default_config_static_selectorELNS0_4arch9wavefront6targetE0EEEvT1_ ; -- Begin function _ZN7rocprim17ROCPRIM_400000_NS6detail17trampoline_kernelINS0_14default_configENS1_25partition_config_selectorILNS1_17partition_subalgoE9EijbEEZZNS1_14partition_implILS5_9ELb0ES3_jN6thrust23THRUST_200600_302600_NS6detail15normal_iteratorINS9_10device_ptrIiEEEENSB_INSC_IjEEEEPNS0_10empty_typeENS0_5tupleIJSE_SH_EEENSJ_IJSG_SI_EEENS0_18inequality_wrapperINS9_8equal_toIiEEEEPmJSH_EEE10hipError_tPvRmT3_T4_T5_T6_T7_T9_mT8_P12ihipStream_tbDpT10_ENKUlT_T0_E_clISt17integral_constantIbLb1EES19_IbLb0EEEEDaS15_S16_EUlS15_E_NS1_11comp_targetILNS1_3genE0ELNS1_11target_archE4294967295ELNS1_3gpuE0ELNS1_3repE0EEENS1_30default_config_static_selectorELNS0_4arch9wavefront6targetE0EEEvT1_
	.globl	_ZN7rocprim17ROCPRIM_400000_NS6detail17trampoline_kernelINS0_14default_configENS1_25partition_config_selectorILNS1_17partition_subalgoE9EijbEEZZNS1_14partition_implILS5_9ELb0ES3_jN6thrust23THRUST_200600_302600_NS6detail15normal_iteratorINS9_10device_ptrIiEEEENSB_INSC_IjEEEEPNS0_10empty_typeENS0_5tupleIJSE_SH_EEENSJ_IJSG_SI_EEENS0_18inequality_wrapperINS9_8equal_toIiEEEEPmJSH_EEE10hipError_tPvRmT3_T4_T5_T6_T7_T9_mT8_P12ihipStream_tbDpT10_ENKUlT_T0_E_clISt17integral_constantIbLb1EES19_IbLb0EEEEDaS15_S16_EUlS15_E_NS1_11comp_targetILNS1_3genE0ELNS1_11target_archE4294967295ELNS1_3gpuE0ELNS1_3repE0EEENS1_30default_config_static_selectorELNS0_4arch9wavefront6targetE0EEEvT1_
	.p2align	8
	.type	_ZN7rocprim17ROCPRIM_400000_NS6detail17trampoline_kernelINS0_14default_configENS1_25partition_config_selectorILNS1_17partition_subalgoE9EijbEEZZNS1_14partition_implILS5_9ELb0ES3_jN6thrust23THRUST_200600_302600_NS6detail15normal_iteratorINS9_10device_ptrIiEEEENSB_INSC_IjEEEEPNS0_10empty_typeENS0_5tupleIJSE_SH_EEENSJ_IJSG_SI_EEENS0_18inequality_wrapperINS9_8equal_toIiEEEEPmJSH_EEE10hipError_tPvRmT3_T4_T5_T6_T7_T9_mT8_P12ihipStream_tbDpT10_ENKUlT_T0_E_clISt17integral_constantIbLb1EES19_IbLb0EEEEDaS15_S16_EUlS15_E_NS1_11comp_targetILNS1_3genE0ELNS1_11target_archE4294967295ELNS1_3gpuE0ELNS1_3repE0EEENS1_30default_config_static_selectorELNS0_4arch9wavefront6targetE0EEEvT1_,@function
_ZN7rocprim17ROCPRIM_400000_NS6detail17trampoline_kernelINS0_14default_configENS1_25partition_config_selectorILNS1_17partition_subalgoE9EijbEEZZNS1_14partition_implILS5_9ELb0ES3_jN6thrust23THRUST_200600_302600_NS6detail15normal_iteratorINS9_10device_ptrIiEEEENSB_INSC_IjEEEEPNS0_10empty_typeENS0_5tupleIJSE_SH_EEENSJ_IJSG_SI_EEENS0_18inequality_wrapperINS9_8equal_toIiEEEEPmJSH_EEE10hipError_tPvRmT3_T4_T5_T6_T7_T9_mT8_P12ihipStream_tbDpT10_ENKUlT_T0_E_clISt17integral_constantIbLb1EES19_IbLb0EEEEDaS15_S16_EUlS15_E_NS1_11comp_targetILNS1_3genE0ELNS1_11target_archE4294967295ELNS1_3gpuE0ELNS1_3repE0EEENS1_30default_config_static_selectorELNS0_4arch9wavefront6targetE0EEEvT1_: ; @_ZN7rocprim17ROCPRIM_400000_NS6detail17trampoline_kernelINS0_14default_configENS1_25partition_config_selectorILNS1_17partition_subalgoE9EijbEEZZNS1_14partition_implILS5_9ELb0ES3_jN6thrust23THRUST_200600_302600_NS6detail15normal_iteratorINS9_10device_ptrIiEEEENSB_INSC_IjEEEEPNS0_10empty_typeENS0_5tupleIJSE_SH_EEENSJ_IJSG_SI_EEENS0_18inequality_wrapperINS9_8equal_toIiEEEEPmJSH_EEE10hipError_tPvRmT3_T4_T5_T6_T7_T9_mT8_P12ihipStream_tbDpT10_ENKUlT_T0_E_clISt17integral_constantIbLb1EES19_IbLb0EEEEDaS15_S16_EUlS15_E_NS1_11comp_targetILNS1_3genE0ELNS1_11target_archE4294967295ELNS1_3gpuE0ELNS1_3repE0EEENS1_30default_config_static_selectorELNS0_4arch9wavefront6targetE0EEEvT1_
; %bb.0:
	.section	.rodata,"a",@progbits
	.p2align	6, 0x0
	.amdhsa_kernel _ZN7rocprim17ROCPRIM_400000_NS6detail17trampoline_kernelINS0_14default_configENS1_25partition_config_selectorILNS1_17partition_subalgoE9EijbEEZZNS1_14partition_implILS5_9ELb0ES3_jN6thrust23THRUST_200600_302600_NS6detail15normal_iteratorINS9_10device_ptrIiEEEENSB_INSC_IjEEEEPNS0_10empty_typeENS0_5tupleIJSE_SH_EEENSJ_IJSG_SI_EEENS0_18inequality_wrapperINS9_8equal_toIiEEEEPmJSH_EEE10hipError_tPvRmT3_T4_T5_T6_T7_T9_mT8_P12ihipStream_tbDpT10_ENKUlT_T0_E_clISt17integral_constantIbLb1EES19_IbLb0EEEEDaS15_S16_EUlS15_E_NS1_11comp_targetILNS1_3genE0ELNS1_11target_archE4294967295ELNS1_3gpuE0ELNS1_3repE0EEENS1_30default_config_static_selectorELNS0_4arch9wavefront6targetE0EEEvT1_
		.amdhsa_group_segment_fixed_size 0
		.amdhsa_private_segment_fixed_size 0
		.amdhsa_kernarg_size 112
		.amdhsa_user_sgpr_count 15
		.amdhsa_user_sgpr_dispatch_ptr 0
		.amdhsa_user_sgpr_queue_ptr 0
		.amdhsa_user_sgpr_kernarg_segment_ptr 1
		.amdhsa_user_sgpr_dispatch_id 0
		.amdhsa_user_sgpr_private_segment_size 0
		.amdhsa_wavefront_size32 1
		.amdhsa_uses_dynamic_stack 0
		.amdhsa_enable_private_segment 0
		.amdhsa_system_sgpr_workgroup_id_x 1
		.amdhsa_system_sgpr_workgroup_id_y 0
		.amdhsa_system_sgpr_workgroup_id_z 0
		.amdhsa_system_sgpr_workgroup_info 0
		.amdhsa_system_vgpr_workitem_id 0
		.amdhsa_next_free_vgpr 1
		.amdhsa_next_free_sgpr 1
		.amdhsa_reserve_vcc 0
		.amdhsa_float_round_mode_32 0
		.amdhsa_float_round_mode_16_64 0
		.amdhsa_float_denorm_mode_32 3
		.amdhsa_float_denorm_mode_16_64 3
		.amdhsa_dx10_clamp 1
		.amdhsa_ieee_mode 1
		.amdhsa_fp16_overflow 0
		.amdhsa_workgroup_processor_mode 1
		.amdhsa_memory_ordered 1
		.amdhsa_forward_progress 0
		.amdhsa_shared_vgpr_count 0
		.amdhsa_exception_fp_ieee_invalid_op 0
		.amdhsa_exception_fp_denorm_src 0
		.amdhsa_exception_fp_ieee_div_zero 0
		.amdhsa_exception_fp_ieee_overflow 0
		.amdhsa_exception_fp_ieee_underflow 0
		.amdhsa_exception_fp_ieee_inexact 0
		.amdhsa_exception_int_div_zero 0
	.end_amdhsa_kernel
	.section	.text._ZN7rocprim17ROCPRIM_400000_NS6detail17trampoline_kernelINS0_14default_configENS1_25partition_config_selectorILNS1_17partition_subalgoE9EijbEEZZNS1_14partition_implILS5_9ELb0ES3_jN6thrust23THRUST_200600_302600_NS6detail15normal_iteratorINS9_10device_ptrIiEEEENSB_INSC_IjEEEEPNS0_10empty_typeENS0_5tupleIJSE_SH_EEENSJ_IJSG_SI_EEENS0_18inequality_wrapperINS9_8equal_toIiEEEEPmJSH_EEE10hipError_tPvRmT3_T4_T5_T6_T7_T9_mT8_P12ihipStream_tbDpT10_ENKUlT_T0_E_clISt17integral_constantIbLb1EES19_IbLb0EEEEDaS15_S16_EUlS15_E_NS1_11comp_targetILNS1_3genE0ELNS1_11target_archE4294967295ELNS1_3gpuE0ELNS1_3repE0EEENS1_30default_config_static_selectorELNS0_4arch9wavefront6targetE0EEEvT1_,"axG",@progbits,_ZN7rocprim17ROCPRIM_400000_NS6detail17trampoline_kernelINS0_14default_configENS1_25partition_config_selectorILNS1_17partition_subalgoE9EijbEEZZNS1_14partition_implILS5_9ELb0ES3_jN6thrust23THRUST_200600_302600_NS6detail15normal_iteratorINS9_10device_ptrIiEEEENSB_INSC_IjEEEEPNS0_10empty_typeENS0_5tupleIJSE_SH_EEENSJ_IJSG_SI_EEENS0_18inequality_wrapperINS9_8equal_toIiEEEEPmJSH_EEE10hipError_tPvRmT3_T4_T5_T6_T7_T9_mT8_P12ihipStream_tbDpT10_ENKUlT_T0_E_clISt17integral_constantIbLb1EES19_IbLb0EEEEDaS15_S16_EUlS15_E_NS1_11comp_targetILNS1_3genE0ELNS1_11target_archE4294967295ELNS1_3gpuE0ELNS1_3repE0EEENS1_30default_config_static_selectorELNS0_4arch9wavefront6targetE0EEEvT1_,comdat
.Lfunc_end645:
	.size	_ZN7rocprim17ROCPRIM_400000_NS6detail17trampoline_kernelINS0_14default_configENS1_25partition_config_selectorILNS1_17partition_subalgoE9EijbEEZZNS1_14partition_implILS5_9ELb0ES3_jN6thrust23THRUST_200600_302600_NS6detail15normal_iteratorINS9_10device_ptrIiEEEENSB_INSC_IjEEEEPNS0_10empty_typeENS0_5tupleIJSE_SH_EEENSJ_IJSG_SI_EEENS0_18inequality_wrapperINS9_8equal_toIiEEEEPmJSH_EEE10hipError_tPvRmT3_T4_T5_T6_T7_T9_mT8_P12ihipStream_tbDpT10_ENKUlT_T0_E_clISt17integral_constantIbLb1EES19_IbLb0EEEEDaS15_S16_EUlS15_E_NS1_11comp_targetILNS1_3genE0ELNS1_11target_archE4294967295ELNS1_3gpuE0ELNS1_3repE0EEENS1_30default_config_static_selectorELNS0_4arch9wavefront6targetE0EEEvT1_, .Lfunc_end645-_ZN7rocprim17ROCPRIM_400000_NS6detail17trampoline_kernelINS0_14default_configENS1_25partition_config_selectorILNS1_17partition_subalgoE9EijbEEZZNS1_14partition_implILS5_9ELb0ES3_jN6thrust23THRUST_200600_302600_NS6detail15normal_iteratorINS9_10device_ptrIiEEEENSB_INSC_IjEEEEPNS0_10empty_typeENS0_5tupleIJSE_SH_EEENSJ_IJSG_SI_EEENS0_18inequality_wrapperINS9_8equal_toIiEEEEPmJSH_EEE10hipError_tPvRmT3_T4_T5_T6_T7_T9_mT8_P12ihipStream_tbDpT10_ENKUlT_T0_E_clISt17integral_constantIbLb1EES19_IbLb0EEEEDaS15_S16_EUlS15_E_NS1_11comp_targetILNS1_3genE0ELNS1_11target_archE4294967295ELNS1_3gpuE0ELNS1_3repE0EEENS1_30default_config_static_selectorELNS0_4arch9wavefront6targetE0EEEvT1_
                                        ; -- End function
	.section	.AMDGPU.csdata,"",@progbits
; Kernel info:
; codeLenInByte = 0
; NumSgprs: 0
; NumVgprs: 0
; ScratchSize: 0
; MemoryBound: 0
; FloatMode: 240
; IeeeMode: 1
; LDSByteSize: 0 bytes/workgroup (compile time only)
; SGPRBlocks: 0
; VGPRBlocks: 0
; NumSGPRsForWavesPerEU: 1
; NumVGPRsForWavesPerEU: 1
; Occupancy: 16
; WaveLimiterHint : 0
; COMPUTE_PGM_RSRC2:SCRATCH_EN: 0
; COMPUTE_PGM_RSRC2:USER_SGPR: 15
; COMPUTE_PGM_RSRC2:TRAP_HANDLER: 0
; COMPUTE_PGM_RSRC2:TGID_X_EN: 1
; COMPUTE_PGM_RSRC2:TGID_Y_EN: 0
; COMPUTE_PGM_RSRC2:TGID_Z_EN: 0
; COMPUTE_PGM_RSRC2:TIDIG_COMP_CNT: 0
	.section	.text._ZN7rocprim17ROCPRIM_400000_NS6detail17trampoline_kernelINS0_14default_configENS1_25partition_config_selectorILNS1_17partition_subalgoE9EijbEEZZNS1_14partition_implILS5_9ELb0ES3_jN6thrust23THRUST_200600_302600_NS6detail15normal_iteratorINS9_10device_ptrIiEEEENSB_INSC_IjEEEEPNS0_10empty_typeENS0_5tupleIJSE_SH_EEENSJ_IJSG_SI_EEENS0_18inequality_wrapperINS9_8equal_toIiEEEEPmJSH_EEE10hipError_tPvRmT3_T4_T5_T6_T7_T9_mT8_P12ihipStream_tbDpT10_ENKUlT_T0_E_clISt17integral_constantIbLb1EES19_IbLb0EEEEDaS15_S16_EUlS15_E_NS1_11comp_targetILNS1_3genE5ELNS1_11target_archE942ELNS1_3gpuE9ELNS1_3repE0EEENS1_30default_config_static_selectorELNS0_4arch9wavefront6targetE0EEEvT1_,"axG",@progbits,_ZN7rocprim17ROCPRIM_400000_NS6detail17trampoline_kernelINS0_14default_configENS1_25partition_config_selectorILNS1_17partition_subalgoE9EijbEEZZNS1_14partition_implILS5_9ELb0ES3_jN6thrust23THRUST_200600_302600_NS6detail15normal_iteratorINS9_10device_ptrIiEEEENSB_INSC_IjEEEEPNS0_10empty_typeENS0_5tupleIJSE_SH_EEENSJ_IJSG_SI_EEENS0_18inequality_wrapperINS9_8equal_toIiEEEEPmJSH_EEE10hipError_tPvRmT3_T4_T5_T6_T7_T9_mT8_P12ihipStream_tbDpT10_ENKUlT_T0_E_clISt17integral_constantIbLb1EES19_IbLb0EEEEDaS15_S16_EUlS15_E_NS1_11comp_targetILNS1_3genE5ELNS1_11target_archE942ELNS1_3gpuE9ELNS1_3repE0EEENS1_30default_config_static_selectorELNS0_4arch9wavefront6targetE0EEEvT1_,comdat
	.protected	_ZN7rocprim17ROCPRIM_400000_NS6detail17trampoline_kernelINS0_14default_configENS1_25partition_config_selectorILNS1_17partition_subalgoE9EijbEEZZNS1_14partition_implILS5_9ELb0ES3_jN6thrust23THRUST_200600_302600_NS6detail15normal_iteratorINS9_10device_ptrIiEEEENSB_INSC_IjEEEEPNS0_10empty_typeENS0_5tupleIJSE_SH_EEENSJ_IJSG_SI_EEENS0_18inequality_wrapperINS9_8equal_toIiEEEEPmJSH_EEE10hipError_tPvRmT3_T4_T5_T6_T7_T9_mT8_P12ihipStream_tbDpT10_ENKUlT_T0_E_clISt17integral_constantIbLb1EES19_IbLb0EEEEDaS15_S16_EUlS15_E_NS1_11comp_targetILNS1_3genE5ELNS1_11target_archE942ELNS1_3gpuE9ELNS1_3repE0EEENS1_30default_config_static_selectorELNS0_4arch9wavefront6targetE0EEEvT1_ ; -- Begin function _ZN7rocprim17ROCPRIM_400000_NS6detail17trampoline_kernelINS0_14default_configENS1_25partition_config_selectorILNS1_17partition_subalgoE9EijbEEZZNS1_14partition_implILS5_9ELb0ES3_jN6thrust23THRUST_200600_302600_NS6detail15normal_iteratorINS9_10device_ptrIiEEEENSB_INSC_IjEEEEPNS0_10empty_typeENS0_5tupleIJSE_SH_EEENSJ_IJSG_SI_EEENS0_18inequality_wrapperINS9_8equal_toIiEEEEPmJSH_EEE10hipError_tPvRmT3_T4_T5_T6_T7_T9_mT8_P12ihipStream_tbDpT10_ENKUlT_T0_E_clISt17integral_constantIbLb1EES19_IbLb0EEEEDaS15_S16_EUlS15_E_NS1_11comp_targetILNS1_3genE5ELNS1_11target_archE942ELNS1_3gpuE9ELNS1_3repE0EEENS1_30default_config_static_selectorELNS0_4arch9wavefront6targetE0EEEvT1_
	.globl	_ZN7rocprim17ROCPRIM_400000_NS6detail17trampoline_kernelINS0_14default_configENS1_25partition_config_selectorILNS1_17partition_subalgoE9EijbEEZZNS1_14partition_implILS5_9ELb0ES3_jN6thrust23THRUST_200600_302600_NS6detail15normal_iteratorINS9_10device_ptrIiEEEENSB_INSC_IjEEEEPNS0_10empty_typeENS0_5tupleIJSE_SH_EEENSJ_IJSG_SI_EEENS0_18inequality_wrapperINS9_8equal_toIiEEEEPmJSH_EEE10hipError_tPvRmT3_T4_T5_T6_T7_T9_mT8_P12ihipStream_tbDpT10_ENKUlT_T0_E_clISt17integral_constantIbLb1EES19_IbLb0EEEEDaS15_S16_EUlS15_E_NS1_11comp_targetILNS1_3genE5ELNS1_11target_archE942ELNS1_3gpuE9ELNS1_3repE0EEENS1_30default_config_static_selectorELNS0_4arch9wavefront6targetE0EEEvT1_
	.p2align	8
	.type	_ZN7rocprim17ROCPRIM_400000_NS6detail17trampoline_kernelINS0_14default_configENS1_25partition_config_selectorILNS1_17partition_subalgoE9EijbEEZZNS1_14partition_implILS5_9ELb0ES3_jN6thrust23THRUST_200600_302600_NS6detail15normal_iteratorINS9_10device_ptrIiEEEENSB_INSC_IjEEEEPNS0_10empty_typeENS0_5tupleIJSE_SH_EEENSJ_IJSG_SI_EEENS0_18inequality_wrapperINS9_8equal_toIiEEEEPmJSH_EEE10hipError_tPvRmT3_T4_T5_T6_T7_T9_mT8_P12ihipStream_tbDpT10_ENKUlT_T0_E_clISt17integral_constantIbLb1EES19_IbLb0EEEEDaS15_S16_EUlS15_E_NS1_11comp_targetILNS1_3genE5ELNS1_11target_archE942ELNS1_3gpuE9ELNS1_3repE0EEENS1_30default_config_static_selectorELNS0_4arch9wavefront6targetE0EEEvT1_,@function
_ZN7rocprim17ROCPRIM_400000_NS6detail17trampoline_kernelINS0_14default_configENS1_25partition_config_selectorILNS1_17partition_subalgoE9EijbEEZZNS1_14partition_implILS5_9ELb0ES3_jN6thrust23THRUST_200600_302600_NS6detail15normal_iteratorINS9_10device_ptrIiEEEENSB_INSC_IjEEEEPNS0_10empty_typeENS0_5tupleIJSE_SH_EEENSJ_IJSG_SI_EEENS0_18inequality_wrapperINS9_8equal_toIiEEEEPmJSH_EEE10hipError_tPvRmT3_T4_T5_T6_T7_T9_mT8_P12ihipStream_tbDpT10_ENKUlT_T0_E_clISt17integral_constantIbLb1EES19_IbLb0EEEEDaS15_S16_EUlS15_E_NS1_11comp_targetILNS1_3genE5ELNS1_11target_archE942ELNS1_3gpuE9ELNS1_3repE0EEENS1_30default_config_static_selectorELNS0_4arch9wavefront6targetE0EEEvT1_: ; @_ZN7rocprim17ROCPRIM_400000_NS6detail17trampoline_kernelINS0_14default_configENS1_25partition_config_selectorILNS1_17partition_subalgoE9EijbEEZZNS1_14partition_implILS5_9ELb0ES3_jN6thrust23THRUST_200600_302600_NS6detail15normal_iteratorINS9_10device_ptrIiEEEENSB_INSC_IjEEEEPNS0_10empty_typeENS0_5tupleIJSE_SH_EEENSJ_IJSG_SI_EEENS0_18inequality_wrapperINS9_8equal_toIiEEEEPmJSH_EEE10hipError_tPvRmT3_T4_T5_T6_T7_T9_mT8_P12ihipStream_tbDpT10_ENKUlT_T0_E_clISt17integral_constantIbLb1EES19_IbLb0EEEEDaS15_S16_EUlS15_E_NS1_11comp_targetILNS1_3genE5ELNS1_11target_archE942ELNS1_3gpuE9ELNS1_3repE0EEENS1_30default_config_static_selectorELNS0_4arch9wavefront6targetE0EEEvT1_
; %bb.0:
	.section	.rodata,"a",@progbits
	.p2align	6, 0x0
	.amdhsa_kernel _ZN7rocprim17ROCPRIM_400000_NS6detail17trampoline_kernelINS0_14default_configENS1_25partition_config_selectorILNS1_17partition_subalgoE9EijbEEZZNS1_14partition_implILS5_9ELb0ES3_jN6thrust23THRUST_200600_302600_NS6detail15normal_iteratorINS9_10device_ptrIiEEEENSB_INSC_IjEEEEPNS0_10empty_typeENS0_5tupleIJSE_SH_EEENSJ_IJSG_SI_EEENS0_18inequality_wrapperINS9_8equal_toIiEEEEPmJSH_EEE10hipError_tPvRmT3_T4_T5_T6_T7_T9_mT8_P12ihipStream_tbDpT10_ENKUlT_T0_E_clISt17integral_constantIbLb1EES19_IbLb0EEEEDaS15_S16_EUlS15_E_NS1_11comp_targetILNS1_3genE5ELNS1_11target_archE942ELNS1_3gpuE9ELNS1_3repE0EEENS1_30default_config_static_selectorELNS0_4arch9wavefront6targetE0EEEvT1_
		.amdhsa_group_segment_fixed_size 0
		.amdhsa_private_segment_fixed_size 0
		.amdhsa_kernarg_size 112
		.amdhsa_user_sgpr_count 15
		.amdhsa_user_sgpr_dispatch_ptr 0
		.amdhsa_user_sgpr_queue_ptr 0
		.amdhsa_user_sgpr_kernarg_segment_ptr 1
		.amdhsa_user_sgpr_dispatch_id 0
		.amdhsa_user_sgpr_private_segment_size 0
		.amdhsa_wavefront_size32 1
		.amdhsa_uses_dynamic_stack 0
		.amdhsa_enable_private_segment 0
		.amdhsa_system_sgpr_workgroup_id_x 1
		.amdhsa_system_sgpr_workgroup_id_y 0
		.amdhsa_system_sgpr_workgroup_id_z 0
		.amdhsa_system_sgpr_workgroup_info 0
		.amdhsa_system_vgpr_workitem_id 0
		.amdhsa_next_free_vgpr 1
		.amdhsa_next_free_sgpr 1
		.amdhsa_reserve_vcc 0
		.amdhsa_float_round_mode_32 0
		.amdhsa_float_round_mode_16_64 0
		.amdhsa_float_denorm_mode_32 3
		.amdhsa_float_denorm_mode_16_64 3
		.amdhsa_dx10_clamp 1
		.amdhsa_ieee_mode 1
		.amdhsa_fp16_overflow 0
		.amdhsa_workgroup_processor_mode 1
		.amdhsa_memory_ordered 1
		.amdhsa_forward_progress 0
		.amdhsa_shared_vgpr_count 0
		.amdhsa_exception_fp_ieee_invalid_op 0
		.amdhsa_exception_fp_denorm_src 0
		.amdhsa_exception_fp_ieee_div_zero 0
		.amdhsa_exception_fp_ieee_overflow 0
		.amdhsa_exception_fp_ieee_underflow 0
		.amdhsa_exception_fp_ieee_inexact 0
		.amdhsa_exception_int_div_zero 0
	.end_amdhsa_kernel
	.section	.text._ZN7rocprim17ROCPRIM_400000_NS6detail17trampoline_kernelINS0_14default_configENS1_25partition_config_selectorILNS1_17partition_subalgoE9EijbEEZZNS1_14partition_implILS5_9ELb0ES3_jN6thrust23THRUST_200600_302600_NS6detail15normal_iteratorINS9_10device_ptrIiEEEENSB_INSC_IjEEEEPNS0_10empty_typeENS0_5tupleIJSE_SH_EEENSJ_IJSG_SI_EEENS0_18inequality_wrapperINS9_8equal_toIiEEEEPmJSH_EEE10hipError_tPvRmT3_T4_T5_T6_T7_T9_mT8_P12ihipStream_tbDpT10_ENKUlT_T0_E_clISt17integral_constantIbLb1EES19_IbLb0EEEEDaS15_S16_EUlS15_E_NS1_11comp_targetILNS1_3genE5ELNS1_11target_archE942ELNS1_3gpuE9ELNS1_3repE0EEENS1_30default_config_static_selectorELNS0_4arch9wavefront6targetE0EEEvT1_,"axG",@progbits,_ZN7rocprim17ROCPRIM_400000_NS6detail17trampoline_kernelINS0_14default_configENS1_25partition_config_selectorILNS1_17partition_subalgoE9EijbEEZZNS1_14partition_implILS5_9ELb0ES3_jN6thrust23THRUST_200600_302600_NS6detail15normal_iteratorINS9_10device_ptrIiEEEENSB_INSC_IjEEEEPNS0_10empty_typeENS0_5tupleIJSE_SH_EEENSJ_IJSG_SI_EEENS0_18inequality_wrapperINS9_8equal_toIiEEEEPmJSH_EEE10hipError_tPvRmT3_T4_T5_T6_T7_T9_mT8_P12ihipStream_tbDpT10_ENKUlT_T0_E_clISt17integral_constantIbLb1EES19_IbLb0EEEEDaS15_S16_EUlS15_E_NS1_11comp_targetILNS1_3genE5ELNS1_11target_archE942ELNS1_3gpuE9ELNS1_3repE0EEENS1_30default_config_static_selectorELNS0_4arch9wavefront6targetE0EEEvT1_,comdat
.Lfunc_end646:
	.size	_ZN7rocprim17ROCPRIM_400000_NS6detail17trampoline_kernelINS0_14default_configENS1_25partition_config_selectorILNS1_17partition_subalgoE9EijbEEZZNS1_14partition_implILS5_9ELb0ES3_jN6thrust23THRUST_200600_302600_NS6detail15normal_iteratorINS9_10device_ptrIiEEEENSB_INSC_IjEEEEPNS0_10empty_typeENS0_5tupleIJSE_SH_EEENSJ_IJSG_SI_EEENS0_18inequality_wrapperINS9_8equal_toIiEEEEPmJSH_EEE10hipError_tPvRmT3_T4_T5_T6_T7_T9_mT8_P12ihipStream_tbDpT10_ENKUlT_T0_E_clISt17integral_constantIbLb1EES19_IbLb0EEEEDaS15_S16_EUlS15_E_NS1_11comp_targetILNS1_3genE5ELNS1_11target_archE942ELNS1_3gpuE9ELNS1_3repE0EEENS1_30default_config_static_selectorELNS0_4arch9wavefront6targetE0EEEvT1_, .Lfunc_end646-_ZN7rocprim17ROCPRIM_400000_NS6detail17trampoline_kernelINS0_14default_configENS1_25partition_config_selectorILNS1_17partition_subalgoE9EijbEEZZNS1_14partition_implILS5_9ELb0ES3_jN6thrust23THRUST_200600_302600_NS6detail15normal_iteratorINS9_10device_ptrIiEEEENSB_INSC_IjEEEEPNS0_10empty_typeENS0_5tupleIJSE_SH_EEENSJ_IJSG_SI_EEENS0_18inequality_wrapperINS9_8equal_toIiEEEEPmJSH_EEE10hipError_tPvRmT3_T4_T5_T6_T7_T9_mT8_P12ihipStream_tbDpT10_ENKUlT_T0_E_clISt17integral_constantIbLb1EES19_IbLb0EEEEDaS15_S16_EUlS15_E_NS1_11comp_targetILNS1_3genE5ELNS1_11target_archE942ELNS1_3gpuE9ELNS1_3repE0EEENS1_30default_config_static_selectorELNS0_4arch9wavefront6targetE0EEEvT1_
                                        ; -- End function
	.section	.AMDGPU.csdata,"",@progbits
; Kernel info:
; codeLenInByte = 0
; NumSgprs: 0
; NumVgprs: 0
; ScratchSize: 0
; MemoryBound: 0
; FloatMode: 240
; IeeeMode: 1
; LDSByteSize: 0 bytes/workgroup (compile time only)
; SGPRBlocks: 0
; VGPRBlocks: 0
; NumSGPRsForWavesPerEU: 1
; NumVGPRsForWavesPerEU: 1
; Occupancy: 16
; WaveLimiterHint : 0
; COMPUTE_PGM_RSRC2:SCRATCH_EN: 0
; COMPUTE_PGM_RSRC2:USER_SGPR: 15
; COMPUTE_PGM_RSRC2:TRAP_HANDLER: 0
; COMPUTE_PGM_RSRC2:TGID_X_EN: 1
; COMPUTE_PGM_RSRC2:TGID_Y_EN: 0
; COMPUTE_PGM_RSRC2:TGID_Z_EN: 0
; COMPUTE_PGM_RSRC2:TIDIG_COMP_CNT: 0
	.section	.text._ZN7rocprim17ROCPRIM_400000_NS6detail17trampoline_kernelINS0_14default_configENS1_25partition_config_selectorILNS1_17partition_subalgoE9EijbEEZZNS1_14partition_implILS5_9ELb0ES3_jN6thrust23THRUST_200600_302600_NS6detail15normal_iteratorINS9_10device_ptrIiEEEENSB_INSC_IjEEEEPNS0_10empty_typeENS0_5tupleIJSE_SH_EEENSJ_IJSG_SI_EEENS0_18inequality_wrapperINS9_8equal_toIiEEEEPmJSH_EEE10hipError_tPvRmT3_T4_T5_T6_T7_T9_mT8_P12ihipStream_tbDpT10_ENKUlT_T0_E_clISt17integral_constantIbLb1EES19_IbLb0EEEEDaS15_S16_EUlS15_E_NS1_11comp_targetILNS1_3genE4ELNS1_11target_archE910ELNS1_3gpuE8ELNS1_3repE0EEENS1_30default_config_static_selectorELNS0_4arch9wavefront6targetE0EEEvT1_,"axG",@progbits,_ZN7rocprim17ROCPRIM_400000_NS6detail17trampoline_kernelINS0_14default_configENS1_25partition_config_selectorILNS1_17partition_subalgoE9EijbEEZZNS1_14partition_implILS5_9ELb0ES3_jN6thrust23THRUST_200600_302600_NS6detail15normal_iteratorINS9_10device_ptrIiEEEENSB_INSC_IjEEEEPNS0_10empty_typeENS0_5tupleIJSE_SH_EEENSJ_IJSG_SI_EEENS0_18inequality_wrapperINS9_8equal_toIiEEEEPmJSH_EEE10hipError_tPvRmT3_T4_T5_T6_T7_T9_mT8_P12ihipStream_tbDpT10_ENKUlT_T0_E_clISt17integral_constantIbLb1EES19_IbLb0EEEEDaS15_S16_EUlS15_E_NS1_11comp_targetILNS1_3genE4ELNS1_11target_archE910ELNS1_3gpuE8ELNS1_3repE0EEENS1_30default_config_static_selectorELNS0_4arch9wavefront6targetE0EEEvT1_,comdat
	.protected	_ZN7rocprim17ROCPRIM_400000_NS6detail17trampoline_kernelINS0_14default_configENS1_25partition_config_selectorILNS1_17partition_subalgoE9EijbEEZZNS1_14partition_implILS5_9ELb0ES3_jN6thrust23THRUST_200600_302600_NS6detail15normal_iteratorINS9_10device_ptrIiEEEENSB_INSC_IjEEEEPNS0_10empty_typeENS0_5tupleIJSE_SH_EEENSJ_IJSG_SI_EEENS0_18inequality_wrapperINS9_8equal_toIiEEEEPmJSH_EEE10hipError_tPvRmT3_T4_T5_T6_T7_T9_mT8_P12ihipStream_tbDpT10_ENKUlT_T0_E_clISt17integral_constantIbLb1EES19_IbLb0EEEEDaS15_S16_EUlS15_E_NS1_11comp_targetILNS1_3genE4ELNS1_11target_archE910ELNS1_3gpuE8ELNS1_3repE0EEENS1_30default_config_static_selectorELNS0_4arch9wavefront6targetE0EEEvT1_ ; -- Begin function _ZN7rocprim17ROCPRIM_400000_NS6detail17trampoline_kernelINS0_14default_configENS1_25partition_config_selectorILNS1_17partition_subalgoE9EijbEEZZNS1_14partition_implILS5_9ELb0ES3_jN6thrust23THRUST_200600_302600_NS6detail15normal_iteratorINS9_10device_ptrIiEEEENSB_INSC_IjEEEEPNS0_10empty_typeENS0_5tupleIJSE_SH_EEENSJ_IJSG_SI_EEENS0_18inequality_wrapperINS9_8equal_toIiEEEEPmJSH_EEE10hipError_tPvRmT3_T4_T5_T6_T7_T9_mT8_P12ihipStream_tbDpT10_ENKUlT_T0_E_clISt17integral_constantIbLb1EES19_IbLb0EEEEDaS15_S16_EUlS15_E_NS1_11comp_targetILNS1_3genE4ELNS1_11target_archE910ELNS1_3gpuE8ELNS1_3repE0EEENS1_30default_config_static_selectorELNS0_4arch9wavefront6targetE0EEEvT1_
	.globl	_ZN7rocprim17ROCPRIM_400000_NS6detail17trampoline_kernelINS0_14default_configENS1_25partition_config_selectorILNS1_17partition_subalgoE9EijbEEZZNS1_14partition_implILS5_9ELb0ES3_jN6thrust23THRUST_200600_302600_NS6detail15normal_iteratorINS9_10device_ptrIiEEEENSB_INSC_IjEEEEPNS0_10empty_typeENS0_5tupleIJSE_SH_EEENSJ_IJSG_SI_EEENS0_18inequality_wrapperINS9_8equal_toIiEEEEPmJSH_EEE10hipError_tPvRmT3_T4_T5_T6_T7_T9_mT8_P12ihipStream_tbDpT10_ENKUlT_T0_E_clISt17integral_constantIbLb1EES19_IbLb0EEEEDaS15_S16_EUlS15_E_NS1_11comp_targetILNS1_3genE4ELNS1_11target_archE910ELNS1_3gpuE8ELNS1_3repE0EEENS1_30default_config_static_selectorELNS0_4arch9wavefront6targetE0EEEvT1_
	.p2align	8
	.type	_ZN7rocprim17ROCPRIM_400000_NS6detail17trampoline_kernelINS0_14default_configENS1_25partition_config_selectorILNS1_17partition_subalgoE9EijbEEZZNS1_14partition_implILS5_9ELb0ES3_jN6thrust23THRUST_200600_302600_NS6detail15normal_iteratorINS9_10device_ptrIiEEEENSB_INSC_IjEEEEPNS0_10empty_typeENS0_5tupleIJSE_SH_EEENSJ_IJSG_SI_EEENS0_18inequality_wrapperINS9_8equal_toIiEEEEPmJSH_EEE10hipError_tPvRmT3_T4_T5_T6_T7_T9_mT8_P12ihipStream_tbDpT10_ENKUlT_T0_E_clISt17integral_constantIbLb1EES19_IbLb0EEEEDaS15_S16_EUlS15_E_NS1_11comp_targetILNS1_3genE4ELNS1_11target_archE910ELNS1_3gpuE8ELNS1_3repE0EEENS1_30default_config_static_selectorELNS0_4arch9wavefront6targetE0EEEvT1_,@function
_ZN7rocprim17ROCPRIM_400000_NS6detail17trampoline_kernelINS0_14default_configENS1_25partition_config_selectorILNS1_17partition_subalgoE9EijbEEZZNS1_14partition_implILS5_9ELb0ES3_jN6thrust23THRUST_200600_302600_NS6detail15normal_iteratorINS9_10device_ptrIiEEEENSB_INSC_IjEEEEPNS0_10empty_typeENS0_5tupleIJSE_SH_EEENSJ_IJSG_SI_EEENS0_18inequality_wrapperINS9_8equal_toIiEEEEPmJSH_EEE10hipError_tPvRmT3_T4_T5_T6_T7_T9_mT8_P12ihipStream_tbDpT10_ENKUlT_T0_E_clISt17integral_constantIbLb1EES19_IbLb0EEEEDaS15_S16_EUlS15_E_NS1_11comp_targetILNS1_3genE4ELNS1_11target_archE910ELNS1_3gpuE8ELNS1_3repE0EEENS1_30default_config_static_selectorELNS0_4arch9wavefront6targetE0EEEvT1_: ; @_ZN7rocprim17ROCPRIM_400000_NS6detail17trampoline_kernelINS0_14default_configENS1_25partition_config_selectorILNS1_17partition_subalgoE9EijbEEZZNS1_14partition_implILS5_9ELb0ES3_jN6thrust23THRUST_200600_302600_NS6detail15normal_iteratorINS9_10device_ptrIiEEEENSB_INSC_IjEEEEPNS0_10empty_typeENS0_5tupleIJSE_SH_EEENSJ_IJSG_SI_EEENS0_18inequality_wrapperINS9_8equal_toIiEEEEPmJSH_EEE10hipError_tPvRmT3_T4_T5_T6_T7_T9_mT8_P12ihipStream_tbDpT10_ENKUlT_T0_E_clISt17integral_constantIbLb1EES19_IbLb0EEEEDaS15_S16_EUlS15_E_NS1_11comp_targetILNS1_3genE4ELNS1_11target_archE910ELNS1_3gpuE8ELNS1_3repE0EEENS1_30default_config_static_selectorELNS0_4arch9wavefront6targetE0EEEvT1_
; %bb.0:
	.section	.rodata,"a",@progbits
	.p2align	6, 0x0
	.amdhsa_kernel _ZN7rocprim17ROCPRIM_400000_NS6detail17trampoline_kernelINS0_14default_configENS1_25partition_config_selectorILNS1_17partition_subalgoE9EijbEEZZNS1_14partition_implILS5_9ELb0ES3_jN6thrust23THRUST_200600_302600_NS6detail15normal_iteratorINS9_10device_ptrIiEEEENSB_INSC_IjEEEEPNS0_10empty_typeENS0_5tupleIJSE_SH_EEENSJ_IJSG_SI_EEENS0_18inequality_wrapperINS9_8equal_toIiEEEEPmJSH_EEE10hipError_tPvRmT3_T4_T5_T6_T7_T9_mT8_P12ihipStream_tbDpT10_ENKUlT_T0_E_clISt17integral_constantIbLb1EES19_IbLb0EEEEDaS15_S16_EUlS15_E_NS1_11comp_targetILNS1_3genE4ELNS1_11target_archE910ELNS1_3gpuE8ELNS1_3repE0EEENS1_30default_config_static_selectorELNS0_4arch9wavefront6targetE0EEEvT1_
		.amdhsa_group_segment_fixed_size 0
		.amdhsa_private_segment_fixed_size 0
		.amdhsa_kernarg_size 112
		.amdhsa_user_sgpr_count 15
		.amdhsa_user_sgpr_dispatch_ptr 0
		.amdhsa_user_sgpr_queue_ptr 0
		.amdhsa_user_sgpr_kernarg_segment_ptr 1
		.amdhsa_user_sgpr_dispatch_id 0
		.amdhsa_user_sgpr_private_segment_size 0
		.amdhsa_wavefront_size32 1
		.amdhsa_uses_dynamic_stack 0
		.amdhsa_enable_private_segment 0
		.amdhsa_system_sgpr_workgroup_id_x 1
		.amdhsa_system_sgpr_workgroup_id_y 0
		.amdhsa_system_sgpr_workgroup_id_z 0
		.amdhsa_system_sgpr_workgroup_info 0
		.amdhsa_system_vgpr_workitem_id 0
		.amdhsa_next_free_vgpr 1
		.amdhsa_next_free_sgpr 1
		.amdhsa_reserve_vcc 0
		.amdhsa_float_round_mode_32 0
		.amdhsa_float_round_mode_16_64 0
		.amdhsa_float_denorm_mode_32 3
		.amdhsa_float_denorm_mode_16_64 3
		.amdhsa_dx10_clamp 1
		.amdhsa_ieee_mode 1
		.amdhsa_fp16_overflow 0
		.amdhsa_workgroup_processor_mode 1
		.amdhsa_memory_ordered 1
		.amdhsa_forward_progress 0
		.amdhsa_shared_vgpr_count 0
		.amdhsa_exception_fp_ieee_invalid_op 0
		.amdhsa_exception_fp_denorm_src 0
		.amdhsa_exception_fp_ieee_div_zero 0
		.amdhsa_exception_fp_ieee_overflow 0
		.amdhsa_exception_fp_ieee_underflow 0
		.amdhsa_exception_fp_ieee_inexact 0
		.amdhsa_exception_int_div_zero 0
	.end_amdhsa_kernel
	.section	.text._ZN7rocprim17ROCPRIM_400000_NS6detail17trampoline_kernelINS0_14default_configENS1_25partition_config_selectorILNS1_17partition_subalgoE9EijbEEZZNS1_14partition_implILS5_9ELb0ES3_jN6thrust23THRUST_200600_302600_NS6detail15normal_iteratorINS9_10device_ptrIiEEEENSB_INSC_IjEEEEPNS0_10empty_typeENS0_5tupleIJSE_SH_EEENSJ_IJSG_SI_EEENS0_18inequality_wrapperINS9_8equal_toIiEEEEPmJSH_EEE10hipError_tPvRmT3_T4_T5_T6_T7_T9_mT8_P12ihipStream_tbDpT10_ENKUlT_T0_E_clISt17integral_constantIbLb1EES19_IbLb0EEEEDaS15_S16_EUlS15_E_NS1_11comp_targetILNS1_3genE4ELNS1_11target_archE910ELNS1_3gpuE8ELNS1_3repE0EEENS1_30default_config_static_selectorELNS0_4arch9wavefront6targetE0EEEvT1_,"axG",@progbits,_ZN7rocprim17ROCPRIM_400000_NS6detail17trampoline_kernelINS0_14default_configENS1_25partition_config_selectorILNS1_17partition_subalgoE9EijbEEZZNS1_14partition_implILS5_9ELb0ES3_jN6thrust23THRUST_200600_302600_NS6detail15normal_iteratorINS9_10device_ptrIiEEEENSB_INSC_IjEEEEPNS0_10empty_typeENS0_5tupleIJSE_SH_EEENSJ_IJSG_SI_EEENS0_18inequality_wrapperINS9_8equal_toIiEEEEPmJSH_EEE10hipError_tPvRmT3_T4_T5_T6_T7_T9_mT8_P12ihipStream_tbDpT10_ENKUlT_T0_E_clISt17integral_constantIbLb1EES19_IbLb0EEEEDaS15_S16_EUlS15_E_NS1_11comp_targetILNS1_3genE4ELNS1_11target_archE910ELNS1_3gpuE8ELNS1_3repE0EEENS1_30default_config_static_selectorELNS0_4arch9wavefront6targetE0EEEvT1_,comdat
.Lfunc_end647:
	.size	_ZN7rocprim17ROCPRIM_400000_NS6detail17trampoline_kernelINS0_14default_configENS1_25partition_config_selectorILNS1_17partition_subalgoE9EijbEEZZNS1_14partition_implILS5_9ELb0ES3_jN6thrust23THRUST_200600_302600_NS6detail15normal_iteratorINS9_10device_ptrIiEEEENSB_INSC_IjEEEEPNS0_10empty_typeENS0_5tupleIJSE_SH_EEENSJ_IJSG_SI_EEENS0_18inequality_wrapperINS9_8equal_toIiEEEEPmJSH_EEE10hipError_tPvRmT3_T4_T5_T6_T7_T9_mT8_P12ihipStream_tbDpT10_ENKUlT_T0_E_clISt17integral_constantIbLb1EES19_IbLb0EEEEDaS15_S16_EUlS15_E_NS1_11comp_targetILNS1_3genE4ELNS1_11target_archE910ELNS1_3gpuE8ELNS1_3repE0EEENS1_30default_config_static_selectorELNS0_4arch9wavefront6targetE0EEEvT1_, .Lfunc_end647-_ZN7rocprim17ROCPRIM_400000_NS6detail17trampoline_kernelINS0_14default_configENS1_25partition_config_selectorILNS1_17partition_subalgoE9EijbEEZZNS1_14partition_implILS5_9ELb0ES3_jN6thrust23THRUST_200600_302600_NS6detail15normal_iteratorINS9_10device_ptrIiEEEENSB_INSC_IjEEEEPNS0_10empty_typeENS0_5tupleIJSE_SH_EEENSJ_IJSG_SI_EEENS0_18inequality_wrapperINS9_8equal_toIiEEEEPmJSH_EEE10hipError_tPvRmT3_T4_T5_T6_T7_T9_mT8_P12ihipStream_tbDpT10_ENKUlT_T0_E_clISt17integral_constantIbLb1EES19_IbLb0EEEEDaS15_S16_EUlS15_E_NS1_11comp_targetILNS1_3genE4ELNS1_11target_archE910ELNS1_3gpuE8ELNS1_3repE0EEENS1_30default_config_static_selectorELNS0_4arch9wavefront6targetE0EEEvT1_
                                        ; -- End function
	.section	.AMDGPU.csdata,"",@progbits
; Kernel info:
; codeLenInByte = 0
; NumSgprs: 0
; NumVgprs: 0
; ScratchSize: 0
; MemoryBound: 0
; FloatMode: 240
; IeeeMode: 1
; LDSByteSize: 0 bytes/workgroup (compile time only)
; SGPRBlocks: 0
; VGPRBlocks: 0
; NumSGPRsForWavesPerEU: 1
; NumVGPRsForWavesPerEU: 1
; Occupancy: 15
; WaveLimiterHint : 0
; COMPUTE_PGM_RSRC2:SCRATCH_EN: 0
; COMPUTE_PGM_RSRC2:USER_SGPR: 15
; COMPUTE_PGM_RSRC2:TRAP_HANDLER: 0
; COMPUTE_PGM_RSRC2:TGID_X_EN: 1
; COMPUTE_PGM_RSRC2:TGID_Y_EN: 0
; COMPUTE_PGM_RSRC2:TGID_Z_EN: 0
; COMPUTE_PGM_RSRC2:TIDIG_COMP_CNT: 0
	.section	.text._ZN7rocprim17ROCPRIM_400000_NS6detail17trampoline_kernelINS0_14default_configENS1_25partition_config_selectorILNS1_17partition_subalgoE9EijbEEZZNS1_14partition_implILS5_9ELb0ES3_jN6thrust23THRUST_200600_302600_NS6detail15normal_iteratorINS9_10device_ptrIiEEEENSB_INSC_IjEEEEPNS0_10empty_typeENS0_5tupleIJSE_SH_EEENSJ_IJSG_SI_EEENS0_18inequality_wrapperINS9_8equal_toIiEEEEPmJSH_EEE10hipError_tPvRmT3_T4_T5_T6_T7_T9_mT8_P12ihipStream_tbDpT10_ENKUlT_T0_E_clISt17integral_constantIbLb1EES19_IbLb0EEEEDaS15_S16_EUlS15_E_NS1_11comp_targetILNS1_3genE3ELNS1_11target_archE908ELNS1_3gpuE7ELNS1_3repE0EEENS1_30default_config_static_selectorELNS0_4arch9wavefront6targetE0EEEvT1_,"axG",@progbits,_ZN7rocprim17ROCPRIM_400000_NS6detail17trampoline_kernelINS0_14default_configENS1_25partition_config_selectorILNS1_17partition_subalgoE9EijbEEZZNS1_14partition_implILS5_9ELb0ES3_jN6thrust23THRUST_200600_302600_NS6detail15normal_iteratorINS9_10device_ptrIiEEEENSB_INSC_IjEEEEPNS0_10empty_typeENS0_5tupleIJSE_SH_EEENSJ_IJSG_SI_EEENS0_18inequality_wrapperINS9_8equal_toIiEEEEPmJSH_EEE10hipError_tPvRmT3_T4_T5_T6_T7_T9_mT8_P12ihipStream_tbDpT10_ENKUlT_T0_E_clISt17integral_constantIbLb1EES19_IbLb0EEEEDaS15_S16_EUlS15_E_NS1_11comp_targetILNS1_3genE3ELNS1_11target_archE908ELNS1_3gpuE7ELNS1_3repE0EEENS1_30default_config_static_selectorELNS0_4arch9wavefront6targetE0EEEvT1_,comdat
	.protected	_ZN7rocprim17ROCPRIM_400000_NS6detail17trampoline_kernelINS0_14default_configENS1_25partition_config_selectorILNS1_17partition_subalgoE9EijbEEZZNS1_14partition_implILS5_9ELb0ES3_jN6thrust23THRUST_200600_302600_NS6detail15normal_iteratorINS9_10device_ptrIiEEEENSB_INSC_IjEEEEPNS0_10empty_typeENS0_5tupleIJSE_SH_EEENSJ_IJSG_SI_EEENS0_18inequality_wrapperINS9_8equal_toIiEEEEPmJSH_EEE10hipError_tPvRmT3_T4_T5_T6_T7_T9_mT8_P12ihipStream_tbDpT10_ENKUlT_T0_E_clISt17integral_constantIbLb1EES19_IbLb0EEEEDaS15_S16_EUlS15_E_NS1_11comp_targetILNS1_3genE3ELNS1_11target_archE908ELNS1_3gpuE7ELNS1_3repE0EEENS1_30default_config_static_selectorELNS0_4arch9wavefront6targetE0EEEvT1_ ; -- Begin function _ZN7rocprim17ROCPRIM_400000_NS6detail17trampoline_kernelINS0_14default_configENS1_25partition_config_selectorILNS1_17partition_subalgoE9EijbEEZZNS1_14partition_implILS5_9ELb0ES3_jN6thrust23THRUST_200600_302600_NS6detail15normal_iteratorINS9_10device_ptrIiEEEENSB_INSC_IjEEEEPNS0_10empty_typeENS0_5tupleIJSE_SH_EEENSJ_IJSG_SI_EEENS0_18inequality_wrapperINS9_8equal_toIiEEEEPmJSH_EEE10hipError_tPvRmT3_T4_T5_T6_T7_T9_mT8_P12ihipStream_tbDpT10_ENKUlT_T0_E_clISt17integral_constantIbLb1EES19_IbLb0EEEEDaS15_S16_EUlS15_E_NS1_11comp_targetILNS1_3genE3ELNS1_11target_archE908ELNS1_3gpuE7ELNS1_3repE0EEENS1_30default_config_static_selectorELNS0_4arch9wavefront6targetE0EEEvT1_
	.globl	_ZN7rocprim17ROCPRIM_400000_NS6detail17trampoline_kernelINS0_14default_configENS1_25partition_config_selectorILNS1_17partition_subalgoE9EijbEEZZNS1_14partition_implILS5_9ELb0ES3_jN6thrust23THRUST_200600_302600_NS6detail15normal_iteratorINS9_10device_ptrIiEEEENSB_INSC_IjEEEEPNS0_10empty_typeENS0_5tupleIJSE_SH_EEENSJ_IJSG_SI_EEENS0_18inequality_wrapperINS9_8equal_toIiEEEEPmJSH_EEE10hipError_tPvRmT3_T4_T5_T6_T7_T9_mT8_P12ihipStream_tbDpT10_ENKUlT_T0_E_clISt17integral_constantIbLb1EES19_IbLb0EEEEDaS15_S16_EUlS15_E_NS1_11comp_targetILNS1_3genE3ELNS1_11target_archE908ELNS1_3gpuE7ELNS1_3repE0EEENS1_30default_config_static_selectorELNS0_4arch9wavefront6targetE0EEEvT1_
	.p2align	8
	.type	_ZN7rocprim17ROCPRIM_400000_NS6detail17trampoline_kernelINS0_14default_configENS1_25partition_config_selectorILNS1_17partition_subalgoE9EijbEEZZNS1_14partition_implILS5_9ELb0ES3_jN6thrust23THRUST_200600_302600_NS6detail15normal_iteratorINS9_10device_ptrIiEEEENSB_INSC_IjEEEEPNS0_10empty_typeENS0_5tupleIJSE_SH_EEENSJ_IJSG_SI_EEENS0_18inequality_wrapperINS9_8equal_toIiEEEEPmJSH_EEE10hipError_tPvRmT3_T4_T5_T6_T7_T9_mT8_P12ihipStream_tbDpT10_ENKUlT_T0_E_clISt17integral_constantIbLb1EES19_IbLb0EEEEDaS15_S16_EUlS15_E_NS1_11comp_targetILNS1_3genE3ELNS1_11target_archE908ELNS1_3gpuE7ELNS1_3repE0EEENS1_30default_config_static_selectorELNS0_4arch9wavefront6targetE0EEEvT1_,@function
_ZN7rocprim17ROCPRIM_400000_NS6detail17trampoline_kernelINS0_14default_configENS1_25partition_config_selectorILNS1_17partition_subalgoE9EijbEEZZNS1_14partition_implILS5_9ELb0ES3_jN6thrust23THRUST_200600_302600_NS6detail15normal_iteratorINS9_10device_ptrIiEEEENSB_INSC_IjEEEEPNS0_10empty_typeENS0_5tupleIJSE_SH_EEENSJ_IJSG_SI_EEENS0_18inequality_wrapperINS9_8equal_toIiEEEEPmJSH_EEE10hipError_tPvRmT3_T4_T5_T6_T7_T9_mT8_P12ihipStream_tbDpT10_ENKUlT_T0_E_clISt17integral_constantIbLb1EES19_IbLb0EEEEDaS15_S16_EUlS15_E_NS1_11comp_targetILNS1_3genE3ELNS1_11target_archE908ELNS1_3gpuE7ELNS1_3repE0EEENS1_30default_config_static_selectorELNS0_4arch9wavefront6targetE0EEEvT1_: ; @_ZN7rocprim17ROCPRIM_400000_NS6detail17trampoline_kernelINS0_14default_configENS1_25partition_config_selectorILNS1_17partition_subalgoE9EijbEEZZNS1_14partition_implILS5_9ELb0ES3_jN6thrust23THRUST_200600_302600_NS6detail15normal_iteratorINS9_10device_ptrIiEEEENSB_INSC_IjEEEEPNS0_10empty_typeENS0_5tupleIJSE_SH_EEENSJ_IJSG_SI_EEENS0_18inequality_wrapperINS9_8equal_toIiEEEEPmJSH_EEE10hipError_tPvRmT3_T4_T5_T6_T7_T9_mT8_P12ihipStream_tbDpT10_ENKUlT_T0_E_clISt17integral_constantIbLb1EES19_IbLb0EEEEDaS15_S16_EUlS15_E_NS1_11comp_targetILNS1_3genE3ELNS1_11target_archE908ELNS1_3gpuE7ELNS1_3repE0EEENS1_30default_config_static_selectorELNS0_4arch9wavefront6targetE0EEEvT1_
; %bb.0:
	.section	.rodata,"a",@progbits
	.p2align	6, 0x0
	.amdhsa_kernel _ZN7rocprim17ROCPRIM_400000_NS6detail17trampoline_kernelINS0_14default_configENS1_25partition_config_selectorILNS1_17partition_subalgoE9EijbEEZZNS1_14partition_implILS5_9ELb0ES3_jN6thrust23THRUST_200600_302600_NS6detail15normal_iteratorINS9_10device_ptrIiEEEENSB_INSC_IjEEEEPNS0_10empty_typeENS0_5tupleIJSE_SH_EEENSJ_IJSG_SI_EEENS0_18inequality_wrapperINS9_8equal_toIiEEEEPmJSH_EEE10hipError_tPvRmT3_T4_T5_T6_T7_T9_mT8_P12ihipStream_tbDpT10_ENKUlT_T0_E_clISt17integral_constantIbLb1EES19_IbLb0EEEEDaS15_S16_EUlS15_E_NS1_11comp_targetILNS1_3genE3ELNS1_11target_archE908ELNS1_3gpuE7ELNS1_3repE0EEENS1_30default_config_static_selectorELNS0_4arch9wavefront6targetE0EEEvT1_
		.amdhsa_group_segment_fixed_size 0
		.amdhsa_private_segment_fixed_size 0
		.amdhsa_kernarg_size 112
		.amdhsa_user_sgpr_count 15
		.amdhsa_user_sgpr_dispatch_ptr 0
		.amdhsa_user_sgpr_queue_ptr 0
		.amdhsa_user_sgpr_kernarg_segment_ptr 1
		.amdhsa_user_sgpr_dispatch_id 0
		.amdhsa_user_sgpr_private_segment_size 0
		.amdhsa_wavefront_size32 1
		.amdhsa_uses_dynamic_stack 0
		.amdhsa_enable_private_segment 0
		.amdhsa_system_sgpr_workgroup_id_x 1
		.amdhsa_system_sgpr_workgroup_id_y 0
		.amdhsa_system_sgpr_workgroup_id_z 0
		.amdhsa_system_sgpr_workgroup_info 0
		.amdhsa_system_vgpr_workitem_id 0
		.amdhsa_next_free_vgpr 1
		.amdhsa_next_free_sgpr 1
		.amdhsa_reserve_vcc 0
		.amdhsa_float_round_mode_32 0
		.amdhsa_float_round_mode_16_64 0
		.amdhsa_float_denorm_mode_32 3
		.amdhsa_float_denorm_mode_16_64 3
		.amdhsa_dx10_clamp 1
		.amdhsa_ieee_mode 1
		.amdhsa_fp16_overflow 0
		.amdhsa_workgroup_processor_mode 1
		.amdhsa_memory_ordered 1
		.amdhsa_forward_progress 0
		.amdhsa_shared_vgpr_count 0
		.amdhsa_exception_fp_ieee_invalid_op 0
		.amdhsa_exception_fp_denorm_src 0
		.amdhsa_exception_fp_ieee_div_zero 0
		.amdhsa_exception_fp_ieee_overflow 0
		.amdhsa_exception_fp_ieee_underflow 0
		.amdhsa_exception_fp_ieee_inexact 0
		.amdhsa_exception_int_div_zero 0
	.end_amdhsa_kernel
	.section	.text._ZN7rocprim17ROCPRIM_400000_NS6detail17trampoline_kernelINS0_14default_configENS1_25partition_config_selectorILNS1_17partition_subalgoE9EijbEEZZNS1_14partition_implILS5_9ELb0ES3_jN6thrust23THRUST_200600_302600_NS6detail15normal_iteratorINS9_10device_ptrIiEEEENSB_INSC_IjEEEEPNS0_10empty_typeENS0_5tupleIJSE_SH_EEENSJ_IJSG_SI_EEENS0_18inequality_wrapperINS9_8equal_toIiEEEEPmJSH_EEE10hipError_tPvRmT3_T4_T5_T6_T7_T9_mT8_P12ihipStream_tbDpT10_ENKUlT_T0_E_clISt17integral_constantIbLb1EES19_IbLb0EEEEDaS15_S16_EUlS15_E_NS1_11comp_targetILNS1_3genE3ELNS1_11target_archE908ELNS1_3gpuE7ELNS1_3repE0EEENS1_30default_config_static_selectorELNS0_4arch9wavefront6targetE0EEEvT1_,"axG",@progbits,_ZN7rocprim17ROCPRIM_400000_NS6detail17trampoline_kernelINS0_14default_configENS1_25partition_config_selectorILNS1_17partition_subalgoE9EijbEEZZNS1_14partition_implILS5_9ELb0ES3_jN6thrust23THRUST_200600_302600_NS6detail15normal_iteratorINS9_10device_ptrIiEEEENSB_INSC_IjEEEEPNS0_10empty_typeENS0_5tupleIJSE_SH_EEENSJ_IJSG_SI_EEENS0_18inequality_wrapperINS9_8equal_toIiEEEEPmJSH_EEE10hipError_tPvRmT3_T4_T5_T6_T7_T9_mT8_P12ihipStream_tbDpT10_ENKUlT_T0_E_clISt17integral_constantIbLb1EES19_IbLb0EEEEDaS15_S16_EUlS15_E_NS1_11comp_targetILNS1_3genE3ELNS1_11target_archE908ELNS1_3gpuE7ELNS1_3repE0EEENS1_30default_config_static_selectorELNS0_4arch9wavefront6targetE0EEEvT1_,comdat
.Lfunc_end648:
	.size	_ZN7rocprim17ROCPRIM_400000_NS6detail17trampoline_kernelINS0_14default_configENS1_25partition_config_selectorILNS1_17partition_subalgoE9EijbEEZZNS1_14partition_implILS5_9ELb0ES3_jN6thrust23THRUST_200600_302600_NS6detail15normal_iteratorINS9_10device_ptrIiEEEENSB_INSC_IjEEEEPNS0_10empty_typeENS0_5tupleIJSE_SH_EEENSJ_IJSG_SI_EEENS0_18inequality_wrapperINS9_8equal_toIiEEEEPmJSH_EEE10hipError_tPvRmT3_T4_T5_T6_T7_T9_mT8_P12ihipStream_tbDpT10_ENKUlT_T0_E_clISt17integral_constantIbLb1EES19_IbLb0EEEEDaS15_S16_EUlS15_E_NS1_11comp_targetILNS1_3genE3ELNS1_11target_archE908ELNS1_3gpuE7ELNS1_3repE0EEENS1_30default_config_static_selectorELNS0_4arch9wavefront6targetE0EEEvT1_, .Lfunc_end648-_ZN7rocprim17ROCPRIM_400000_NS6detail17trampoline_kernelINS0_14default_configENS1_25partition_config_selectorILNS1_17partition_subalgoE9EijbEEZZNS1_14partition_implILS5_9ELb0ES3_jN6thrust23THRUST_200600_302600_NS6detail15normal_iteratorINS9_10device_ptrIiEEEENSB_INSC_IjEEEEPNS0_10empty_typeENS0_5tupleIJSE_SH_EEENSJ_IJSG_SI_EEENS0_18inequality_wrapperINS9_8equal_toIiEEEEPmJSH_EEE10hipError_tPvRmT3_T4_T5_T6_T7_T9_mT8_P12ihipStream_tbDpT10_ENKUlT_T0_E_clISt17integral_constantIbLb1EES19_IbLb0EEEEDaS15_S16_EUlS15_E_NS1_11comp_targetILNS1_3genE3ELNS1_11target_archE908ELNS1_3gpuE7ELNS1_3repE0EEENS1_30default_config_static_selectorELNS0_4arch9wavefront6targetE0EEEvT1_
                                        ; -- End function
	.section	.AMDGPU.csdata,"",@progbits
; Kernel info:
; codeLenInByte = 0
; NumSgprs: 0
; NumVgprs: 0
; ScratchSize: 0
; MemoryBound: 0
; FloatMode: 240
; IeeeMode: 1
; LDSByteSize: 0 bytes/workgroup (compile time only)
; SGPRBlocks: 0
; VGPRBlocks: 0
; NumSGPRsForWavesPerEU: 1
; NumVGPRsForWavesPerEU: 1
; Occupancy: 16
; WaveLimiterHint : 0
; COMPUTE_PGM_RSRC2:SCRATCH_EN: 0
; COMPUTE_PGM_RSRC2:USER_SGPR: 15
; COMPUTE_PGM_RSRC2:TRAP_HANDLER: 0
; COMPUTE_PGM_RSRC2:TGID_X_EN: 1
; COMPUTE_PGM_RSRC2:TGID_Y_EN: 0
; COMPUTE_PGM_RSRC2:TGID_Z_EN: 0
; COMPUTE_PGM_RSRC2:TIDIG_COMP_CNT: 0
	.section	.text._ZN7rocprim17ROCPRIM_400000_NS6detail17trampoline_kernelINS0_14default_configENS1_25partition_config_selectorILNS1_17partition_subalgoE9EijbEEZZNS1_14partition_implILS5_9ELb0ES3_jN6thrust23THRUST_200600_302600_NS6detail15normal_iteratorINS9_10device_ptrIiEEEENSB_INSC_IjEEEEPNS0_10empty_typeENS0_5tupleIJSE_SH_EEENSJ_IJSG_SI_EEENS0_18inequality_wrapperINS9_8equal_toIiEEEEPmJSH_EEE10hipError_tPvRmT3_T4_T5_T6_T7_T9_mT8_P12ihipStream_tbDpT10_ENKUlT_T0_E_clISt17integral_constantIbLb1EES19_IbLb0EEEEDaS15_S16_EUlS15_E_NS1_11comp_targetILNS1_3genE2ELNS1_11target_archE906ELNS1_3gpuE6ELNS1_3repE0EEENS1_30default_config_static_selectorELNS0_4arch9wavefront6targetE0EEEvT1_,"axG",@progbits,_ZN7rocprim17ROCPRIM_400000_NS6detail17trampoline_kernelINS0_14default_configENS1_25partition_config_selectorILNS1_17partition_subalgoE9EijbEEZZNS1_14partition_implILS5_9ELb0ES3_jN6thrust23THRUST_200600_302600_NS6detail15normal_iteratorINS9_10device_ptrIiEEEENSB_INSC_IjEEEEPNS0_10empty_typeENS0_5tupleIJSE_SH_EEENSJ_IJSG_SI_EEENS0_18inequality_wrapperINS9_8equal_toIiEEEEPmJSH_EEE10hipError_tPvRmT3_T4_T5_T6_T7_T9_mT8_P12ihipStream_tbDpT10_ENKUlT_T0_E_clISt17integral_constantIbLb1EES19_IbLb0EEEEDaS15_S16_EUlS15_E_NS1_11comp_targetILNS1_3genE2ELNS1_11target_archE906ELNS1_3gpuE6ELNS1_3repE0EEENS1_30default_config_static_selectorELNS0_4arch9wavefront6targetE0EEEvT1_,comdat
	.protected	_ZN7rocprim17ROCPRIM_400000_NS6detail17trampoline_kernelINS0_14default_configENS1_25partition_config_selectorILNS1_17partition_subalgoE9EijbEEZZNS1_14partition_implILS5_9ELb0ES3_jN6thrust23THRUST_200600_302600_NS6detail15normal_iteratorINS9_10device_ptrIiEEEENSB_INSC_IjEEEEPNS0_10empty_typeENS0_5tupleIJSE_SH_EEENSJ_IJSG_SI_EEENS0_18inequality_wrapperINS9_8equal_toIiEEEEPmJSH_EEE10hipError_tPvRmT3_T4_T5_T6_T7_T9_mT8_P12ihipStream_tbDpT10_ENKUlT_T0_E_clISt17integral_constantIbLb1EES19_IbLb0EEEEDaS15_S16_EUlS15_E_NS1_11comp_targetILNS1_3genE2ELNS1_11target_archE906ELNS1_3gpuE6ELNS1_3repE0EEENS1_30default_config_static_selectorELNS0_4arch9wavefront6targetE0EEEvT1_ ; -- Begin function _ZN7rocprim17ROCPRIM_400000_NS6detail17trampoline_kernelINS0_14default_configENS1_25partition_config_selectorILNS1_17partition_subalgoE9EijbEEZZNS1_14partition_implILS5_9ELb0ES3_jN6thrust23THRUST_200600_302600_NS6detail15normal_iteratorINS9_10device_ptrIiEEEENSB_INSC_IjEEEEPNS0_10empty_typeENS0_5tupleIJSE_SH_EEENSJ_IJSG_SI_EEENS0_18inequality_wrapperINS9_8equal_toIiEEEEPmJSH_EEE10hipError_tPvRmT3_T4_T5_T6_T7_T9_mT8_P12ihipStream_tbDpT10_ENKUlT_T0_E_clISt17integral_constantIbLb1EES19_IbLb0EEEEDaS15_S16_EUlS15_E_NS1_11comp_targetILNS1_3genE2ELNS1_11target_archE906ELNS1_3gpuE6ELNS1_3repE0EEENS1_30default_config_static_selectorELNS0_4arch9wavefront6targetE0EEEvT1_
	.globl	_ZN7rocprim17ROCPRIM_400000_NS6detail17trampoline_kernelINS0_14default_configENS1_25partition_config_selectorILNS1_17partition_subalgoE9EijbEEZZNS1_14partition_implILS5_9ELb0ES3_jN6thrust23THRUST_200600_302600_NS6detail15normal_iteratorINS9_10device_ptrIiEEEENSB_INSC_IjEEEEPNS0_10empty_typeENS0_5tupleIJSE_SH_EEENSJ_IJSG_SI_EEENS0_18inequality_wrapperINS9_8equal_toIiEEEEPmJSH_EEE10hipError_tPvRmT3_T4_T5_T6_T7_T9_mT8_P12ihipStream_tbDpT10_ENKUlT_T0_E_clISt17integral_constantIbLb1EES19_IbLb0EEEEDaS15_S16_EUlS15_E_NS1_11comp_targetILNS1_3genE2ELNS1_11target_archE906ELNS1_3gpuE6ELNS1_3repE0EEENS1_30default_config_static_selectorELNS0_4arch9wavefront6targetE0EEEvT1_
	.p2align	8
	.type	_ZN7rocprim17ROCPRIM_400000_NS6detail17trampoline_kernelINS0_14default_configENS1_25partition_config_selectorILNS1_17partition_subalgoE9EijbEEZZNS1_14partition_implILS5_9ELb0ES3_jN6thrust23THRUST_200600_302600_NS6detail15normal_iteratorINS9_10device_ptrIiEEEENSB_INSC_IjEEEEPNS0_10empty_typeENS0_5tupleIJSE_SH_EEENSJ_IJSG_SI_EEENS0_18inequality_wrapperINS9_8equal_toIiEEEEPmJSH_EEE10hipError_tPvRmT3_T4_T5_T6_T7_T9_mT8_P12ihipStream_tbDpT10_ENKUlT_T0_E_clISt17integral_constantIbLb1EES19_IbLb0EEEEDaS15_S16_EUlS15_E_NS1_11comp_targetILNS1_3genE2ELNS1_11target_archE906ELNS1_3gpuE6ELNS1_3repE0EEENS1_30default_config_static_selectorELNS0_4arch9wavefront6targetE0EEEvT1_,@function
_ZN7rocprim17ROCPRIM_400000_NS6detail17trampoline_kernelINS0_14default_configENS1_25partition_config_selectorILNS1_17partition_subalgoE9EijbEEZZNS1_14partition_implILS5_9ELb0ES3_jN6thrust23THRUST_200600_302600_NS6detail15normal_iteratorINS9_10device_ptrIiEEEENSB_INSC_IjEEEEPNS0_10empty_typeENS0_5tupleIJSE_SH_EEENSJ_IJSG_SI_EEENS0_18inequality_wrapperINS9_8equal_toIiEEEEPmJSH_EEE10hipError_tPvRmT3_T4_T5_T6_T7_T9_mT8_P12ihipStream_tbDpT10_ENKUlT_T0_E_clISt17integral_constantIbLb1EES19_IbLb0EEEEDaS15_S16_EUlS15_E_NS1_11comp_targetILNS1_3genE2ELNS1_11target_archE906ELNS1_3gpuE6ELNS1_3repE0EEENS1_30default_config_static_selectorELNS0_4arch9wavefront6targetE0EEEvT1_: ; @_ZN7rocprim17ROCPRIM_400000_NS6detail17trampoline_kernelINS0_14default_configENS1_25partition_config_selectorILNS1_17partition_subalgoE9EijbEEZZNS1_14partition_implILS5_9ELb0ES3_jN6thrust23THRUST_200600_302600_NS6detail15normal_iteratorINS9_10device_ptrIiEEEENSB_INSC_IjEEEEPNS0_10empty_typeENS0_5tupleIJSE_SH_EEENSJ_IJSG_SI_EEENS0_18inequality_wrapperINS9_8equal_toIiEEEEPmJSH_EEE10hipError_tPvRmT3_T4_T5_T6_T7_T9_mT8_P12ihipStream_tbDpT10_ENKUlT_T0_E_clISt17integral_constantIbLb1EES19_IbLb0EEEEDaS15_S16_EUlS15_E_NS1_11comp_targetILNS1_3genE2ELNS1_11target_archE906ELNS1_3gpuE6ELNS1_3repE0EEENS1_30default_config_static_selectorELNS0_4arch9wavefront6targetE0EEEvT1_
; %bb.0:
	.section	.rodata,"a",@progbits
	.p2align	6, 0x0
	.amdhsa_kernel _ZN7rocprim17ROCPRIM_400000_NS6detail17trampoline_kernelINS0_14default_configENS1_25partition_config_selectorILNS1_17partition_subalgoE9EijbEEZZNS1_14partition_implILS5_9ELb0ES3_jN6thrust23THRUST_200600_302600_NS6detail15normal_iteratorINS9_10device_ptrIiEEEENSB_INSC_IjEEEEPNS0_10empty_typeENS0_5tupleIJSE_SH_EEENSJ_IJSG_SI_EEENS0_18inequality_wrapperINS9_8equal_toIiEEEEPmJSH_EEE10hipError_tPvRmT3_T4_T5_T6_T7_T9_mT8_P12ihipStream_tbDpT10_ENKUlT_T0_E_clISt17integral_constantIbLb1EES19_IbLb0EEEEDaS15_S16_EUlS15_E_NS1_11comp_targetILNS1_3genE2ELNS1_11target_archE906ELNS1_3gpuE6ELNS1_3repE0EEENS1_30default_config_static_selectorELNS0_4arch9wavefront6targetE0EEEvT1_
		.amdhsa_group_segment_fixed_size 0
		.amdhsa_private_segment_fixed_size 0
		.amdhsa_kernarg_size 112
		.amdhsa_user_sgpr_count 15
		.amdhsa_user_sgpr_dispatch_ptr 0
		.amdhsa_user_sgpr_queue_ptr 0
		.amdhsa_user_sgpr_kernarg_segment_ptr 1
		.amdhsa_user_sgpr_dispatch_id 0
		.amdhsa_user_sgpr_private_segment_size 0
		.amdhsa_wavefront_size32 1
		.amdhsa_uses_dynamic_stack 0
		.amdhsa_enable_private_segment 0
		.amdhsa_system_sgpr_workgroup_id_x 1
		.amdhsa_system_sgpr_workgroup_id_y 0
		.amdhsa_system_sgpr_workgroup_id_z 0
		.amdhsa_system_sgpr_workgroup_info 0
		.amdhsa_system_vgpr_workitem_id 0
		.amdhsa_next_free_vgpr 1
		.amdhsa_next_free_sgpr 1
		.amdhsa_reserve_vcc 0
		.amdhsa_float_round_mode_32 0
		.amdhsa_float_round_mode_16_64 0
		.amdhsa_float_denorm_mode_32 3
		.amdhsa_float_denorm_mode_16_64 3
		.amdhsa_dx10_clamp 1
		.amdhsa_ieee_mode 1
		.amdhsa_fp16_overflow 0
		.amdhsa_workgroup_processor_mode 1
		.amdhsa_memory_ordered 1
		.amdhsa_forward_progress 0
		.amdhsa_shared_vgpr_count 0
		.amdhsa_exception_fp_ieee_invalid_op 0
		.amdhsa_exception_fp_denorm_src 0
		.amdhsa_exception_fp_ieee_div_zero 0
		.amdhsa_exception_fp_ieee_overflow 0
		.amdhsa_exception_fp_ieee_underflow 0
		.amdhsa_exception_fp_ieee_inexact 0
		.amdhsa_exception_int_div_zero 0
	.end_amdhsa_kernel
	.section	.text._ZN7rocprim17ROCPRIM_400000_NS6detail17trampoline_kernelINS0_14default_configENS1_25partition_config_selectorILNS1_17partition_subalgoE9EijbEEZZNS1_14partition_implILS5_9ELb0ES3_jN6thrust23THRUST_200600_302600_NS6detail15normal_iteratorINS9_10device_ptrIiEEEENSB_INSC_IjEEEEPNS0_10empty_typeENS0_5tupleIJSE_SH_EEENSJ_IJSG_SI_EEENS0_18inequality_wrapperINS9_8equal_toIiEEEEPmJSH_EEE10hipError_tPvRmT3_T4_T5_T6_T7_T9_mT8_P12ihipStream_tbDpT10_ENKUlT_T0_E_clISt17integral_constantIbLb1EES19_IbLb0EEEEDaS15_S16_EUlS15_E_NS1_11comp_targetILNS1_3genE2ELNS1_11target_archE906ELNS1_3gpuE6ELNS1_3repE0EEENS1_30default_config_static_selectorELNS0_4arch9wavefront6targetE0EEEvT1_,"axG",@progbits,_ZN7rocprim17ROCPRIM_400000_NS6detail17trampoline_kernelINS0_14default_configENS1_25partition_config_selectorILNS1_17partition_subalgoE9EijbEEZZNS1_14partition_implILS5_9ELb0ES3_jN6thrust23THRUST_200600_302600_NS6detail15normal_iteratorINS9_10device_ptrIiEEEENSB_INSC_IjEEEEPNS0_10empty_typeENS0_5tupleIJSE_SH_EEENSJ_IJSG_SI_EEENS0_18inequality_wrapperINS9_8equal_toIiEEEEPmJSH_EEE10hipError_tPvRmT3_T4_T5_T6_T7_T9_mT8_P12ihipStream_tbDpT10_ENKUlT_T0_E_clISt17integral_constantIbLb1EES19_IbLb0EEEEDaS15_S16_EUlS15_E_NS1_11comp_targetILNS1_3genE2ELNS1_11target_archE906ELNS1_3gpuE6ELNS1_3repE0EEENS1_30default_config_static_selectorELNS0_4arch9wavefront6targetE0EEEvT1_,comdat
.Lfunc_end649:
	.size	_ZN7rocprim17ROCPRIM_400000_NS6detail17trampoline_kernelINS0_14default_configENS1_25partition_config_selectorILNS1_17partition_subalgoE9EijbEEZZNS1_14partition_implILS5_9ELb0ES3_jN6thrust23THRUST_200600_302600_NS6detail15normal_iteratorINS9_10device_ptrIiEEEENSB_INSC_IjEEEEPNS0_10empty_typeENS0_5tupleIJSE_SH_EEENSJ_IJSG_SI_EEENS0_18inequality_wrapperINS9_8equal_toIiEEEEPmJSH_EEE10hipError_tPvRmT3_T4_T5_T6_T7_T9_mT8_P12ihipStream_tbDpT10_ENKUlT_T0_E_clISt17integral_constantIbLb1EES19_IbLb0EEEEDaS15_S16_EUlS15_E_NS1_11comp_targetILNS1_3genE2ELNS1_11target_archE906ELNS1_3gpuE6ELNS1_3repE0EEENS1_30default_config_static_selectorELNS0_4arch9wavefront6targetE0EEEvT1_, .Lfunc_end649-_ZN7rocprim17ROCPRIM_400000_NS6detail17trampoline_kernelINS0_14default_configENS1_25partition_config_selectorILNS1_17partition_subalgoE9EijbEEZZNS1_14partition_implILS5_9ELb0ES3_jN6thrust23THRUST_200600_302600_NS6detail15normal_iteratorINS9_10device_ptrIiEEEENSB_INSC_IjEEEEPNS0_10empty_typeENS0_5tupleIJSE_SH_EEENSJ_IJSG_SI_EEENS0_18inequality_wrapperINS9_8equal_toIiEEEEPmJSH_EEE10hipError_tPvRmT3_T4_T5_T6_T7_T9_mT8_P12ihipStream_tbDpT10_ENKUlT_T0_E_clISt17integral_constantIbLb1EES19_IbLb0EEEEDaS15_S16_EUlS15_E_NS1_11comp_targetILNS1_3genE2ELNS1_11target_archE906ELNS1_3gpuE6ELNS1_3repE0EEENS1_30default_config_static_selectorELNS0_4arch9wavefront6targetE0EEEvT1_
                                        ; -- End function
	.section	.AMDGPU.csdata,"",@progbits
; Kernel info:
; codeLenInByte = 0
; NumSgprs: 0
; NumVgprs: 0
; ScratchSize: 0
; MemoryBound: 0
; FloatMode: 240
; IeeeMode: 1
; LDSByteSize: 0 bytes/workgroup (compile time only)
; SGPRBlocks: 0
; VGPRBlocks: 0
; NumSGPRsForWavesPerEU: 1
; NumVGPRsForWavesPerEU: 1
; Occupancy: 16
; WaveLimiterHint : 0
; COMPUTE_PGM_RSRC2:SCRATCH_EN: 0
; COMPUTE_PGM_RSRC2:USER_SGPR: 15
; COMPUTE_PGM_RSRC2:TRAP_HANDLER: 0
; COMPUTE_PGM_RSRC2:TGID_X_EN: 1
; COMPUTE_PGM_RSRC2:TGID_Y_EN: 0
; COMPUTE_PGM_RSRC2:TGID_Z_EN: 0
; COMPUTE_PGM_RSRC2:TIDIG_COMP_CNT: 0
	.section	.text._ZN7rocprim17ROCPRIM_400000_NS6detail17trampoline_kernelINS0_14default_configENS1_25partition_config_selectorILNS1_17partition_subalgoE9EijbEEZZNS1_14partition_implILS5_9ELb0ES3_jN6thrust23THRUST_200600_302600_NS6detail15normal_iteratorINS9_10device_ptrIiEEEENSB_INSC_IjEEEEPNS0_10empty_typeENS0_5tupleIJSE_SH_EEENSJ_IJSG_SI_EEENS0_18inequality_wrapperINS9_8equal_toIiEEEEPmJSH_EEE10hipError_tPvRmT3_T4_T5_T6_T7_T9_mT8_P12ihipStream_tbDpT10_ENKUlT_T0_E_clISt17integral_constantIbLb1EES19_IbLb0EEEEDaS15_S16_EUlS15_E_NS1_11comp_targetILNS1_3genE10ELNS1_11target_archE1200ELNS1_3gpuE4ELNS1_3repE0EEENS1_30default_config_static_selectorELNS0_4arch9wavefront6targetE0EEEvT1_,"axG",@progbits,_ZN7rocprim17ROCPRIM_400000_NS6detail17trampoline_kernelINS0_14default_configENS1_25partition_config_selectorILNS1_17partition_subalgoE9EijbEEZZNS1_14partition_implILS5_9ELb0ES3_jN6thrust23THRUST_200600_302600_NS6detail15normal_iteratorINS9_10device_ptrIiEEEENSB_INSC_IjEEEEPNS0_10empty_typeENS0_5tupleIJSE_SH_EEENSJ_IJSG_SI_EEENS0_18inequality_wrapperINS9_8equal_toIiEEEEPmJSH_EEE10hipError_tPvRmT3_T4_T5_T6_T7_T9_mT8_P12ihipStream_tbDpT10_ENKUlT_T0_E_clISt17integral_constantIbLb1EES19_IbLb0EEEEDaS15_S16_EUlS15_E_NS1_11comp_targetILNS1_3genE10ELNS1_11target_archE1200ELNS1_3gpuE4ELNS1_3repE0EEENS1_30default_config_static_selectorELNS0_4arch9wavefront6targetE0EEEvT1_,comdat
	.protected	_ZN7rocprim17ROCPRIM_400000_NS6detail17trampoline_kernelINS0_14default_configENS1_25partition_config_selectorILNS1_17partition_subalgoE9EijbEEZZNS1_14partition_implILS5_9ELb0ES3_jN6thrust23THRUST_200600_302600_NS6detail15normal_iteratorINS9_10device_ptrIiEEEENSB_INSC_IjEEEEPNS0_10empty_typeENS0_5tupleIJSE_SH_EEENSJ_IJSG_SI_EEENS0_18inequality_wrapperINS9_8equal_toIiEEEEPmJSH_EEE10hipError_tPvRmT3_T4_T5_T6_T7_T9_mT8_P12ihipStream_tbDpT10_ENKUlT_T0_E_clISt17integral_constantIbLb1EES19_IbLb0EEEEDaS15_S16_EUlS15_E_NS1_11comp_targetILNS1_3genE10ELNS1_11target_archE1200ELNS1_3gpuE4ELNS1_3repE0EEENS1_30default_config_static_selectorELNS0_4arch9wavefront6targetE0EEEvT1_ ; -- Begin function _ZN7rocprim17ROCPRIM_400000_NS6detail17trampoline_kernelINS0_14default_configENS1_25partition_config_selectorILNS1_17partition_subalgoE9EijbEEZZNS1_14partition_implILS5_9ELb0ES3_jN6thrust23THRUST_200600_302600_NS6detail15normal_iteratorINS9_10device_ptrIiEEEENSB_INSC_IjEEEEPNS0_10empty_typeENS0_5tupleIJSE_SH_EEENSJ_IJSG_SI_EEENS0_18inequality_wrapperINS9_8equal_toIiEEEEPmJSH_EEE10hipError_tPvRmT3_T4_T5_T6_T7_T9_mT8_P12ihipStream_tbDpT10_ENKUlT_T0_E_clISt17integral_constantIbLb1EES19_IbLb0EEEEDaS15_S16_EUlS15_E_NS1_11comp_targetILNS1_3genE10ELNS1_11target_archE1200ELNS1_3gpuE4ELNS1_3repE0EEENS1_30default_config_static_selectorELNS0_4arch9wavefront6targetE0EEEvT1_
	.globl	_ZN7rocprim17ROCPRIM_400000_NS6detail17trampoline_kernelINS0_14default_configENS1_25partition_config_selectorILNS1_17partition_subalgoE9EijbEEZZNS1_14partition_implILS5_9ELb0ES3_jN6thrust23THRUST_200600_302600_NS6detail15normal_iteratorINS9_10device_ptrIiEEEENSB_INSC_IjEEEEPNS0_10empty_typeENS0_5tupleIJSE_SH_EEENSJ_IJSG_SI_EEENS0_18inequality_wrapperINS9_8equal_toIiEEEEPmJSH_EEE10hipError_tPvRmT3_T4_T5_T6_T7_T9_mT8_P12ihipStream_tbDpT10_ENKUlT_T0_E_clISt17integral_constantIbLb1EES19_IbLb0EEEEDaS15_S16_EUlS15_E_NS1_11comp_targetILNS1_3genE10ELNS1_11target_archE1200ELNS1_3gpuE4ELNS1_3repE0EEENS1_30default_config_static_selectorELNS0_4arch9wavefront6targetE0EEEvT1_
	.p2align	8
	.type	_ZN7rocprim17ROCPRIM_400000_NS6detail17trampoline_kernelINS0_14default_configENS1_25partition_config_selectorILNS1_17partition_subalgoE9EijbEEZZNS1_14partition_implILS5_9ELb0ES3_jN6thrust23THRUST_200600_302600_NS6detail15normal_iteratorINS9_10device_ptrIiEEEENSB_INSC_IjEEEEPNS0_10empty_typeENS0_5tupleIJSE_SH_EEENSJ_IJSG_SI_EEENS0_18inequality_wrapperINS9_8equal_toIiEEEEPmJSH_EEE10hipError_tPvRmT3_T4_T5_T6_T7_T9_mT8_P12ihipStream_tbDpT10_ENKUlT_T0_E_clISt17integral_constantIbLb1EES19_IbLb0EEEEDaS15_S16_EUlS15_E_NS1_11comp_targetILNS1_3genE10ELNS1_11target_archE1200ELNS1_3gpuE4ELNS1_3repE0EEENS1_30default_config_static_selectorELNS0_4arch9wavefront6targetE0EEEvT1_,@function
_ZN7rocprim17ROCPRIM_400000_NS6detail17trampoline_kernelINS0_14default_configENS1_25partition_config_selectorILNS1_17partition_subalgoE9EijbEEZZNS1_14partition_implILS5_9ELb0ES3_jN6thrust23THRUST_200600_302600_NS6detail15normal_iteratorINS9_10device_ptrIiEEEENSB_INSC_IjEEEEPNS0_10empty_typeENS0_5tupleIJSE_SH_EEENSJ_IJSG_SI_EEENS0_18inequality_wrapperINS9_8equal_toIiEEEEPmJSH_EEE10hipError_tPvRmT3_T4_T5_T6_T7_T9_mT8_P12ihipStream_tbDpT10_ENKUlT_T0_E_clISt17integral_constantIbLb1EES19_IbLb0EEEEDaS15_S16_EUlS15_E_NS1_11comp_targetILNS1_3genE10ELNS1_11target_archE1200ELNS1_3gpuE4ELNS1_3repE0EEENS1_30default_config_static_selectorELNS0_4arch9wavefront6targetE0EEEvT1_: ; @_ZN7rocprim17ROCPRIM_400000_NS6detail17trampoline_kernelINS0_14default_configENS1_25partition_config_selectorILNS1_17partition_subalgoE9EijbEEZZNS1_14partition_implILS5_9ELb0ES3_jN6thrust23THRUST_200600_302600_NS6detail15normal_iteratorINS9_10device_ptrIiEEEENSB_INSC_IjEEEEPNS0_10empty_typeENS0_5tupleIJSE_SH_EEENSJ_IJSG_SI_EEENS0_18inequality_wrapperINS9_8equal_toIiEEEEPmJSH_EEE10hipError_tPvRmT3_T4_T5_T6_T7_T9_mT8_P12ihipStream_tbDpT10_ENKUlT_T0_E_clISt17integral_constantIbLb1EES19_IbLb0EEEEDaS15_S16_EUlS15_E_NS1_11comp_targetILNS1_3genE10ELNS1_11target_archE1200ELNS1_3gpuE4ELNS1_3repE0EEENS1_30default_config_static_selectorELNS0_4arch9wavefront6targetE0EEEvT1_
; %bb.0:
	.section	.rodata,"a",@progbits
	.p2align	6, 0x0
	.amdhsa_kernel _ZN7rocprim17ROCPRIM_400000_NS6detail17trampoline_kernelINS0_14default_configENS1_25partition_config_selectorILNS1_17partition_subalgoE9EijbEEZZNS1_14partition_implILS5_9ELb0ES3_jN6thrust23THRUST_200600_302600_NS6detail15normal_iteratorINS9_10device_ptrIiEEEENSB_INSC_IjEEEEPNS0_10empty_typeENS0_5tupleIJSE_SH_EEENSJ_IJSG_SI_EEENS0_18inequality_wrapperINS9_8equal_toIiEEEEPmJSH_EEE10hipError_tPvRmT3_T4_T5_T6_T7_T9_mT8_P12ihipStream_tbDpT10_ENKUlT_T0_E_clISt17integral_constantIbLb1EES19_IbLb0EEEEDaS15_S16_EUlS15_E_NS1_11comp_targetILNS1_3genE10ELNS1_11target_archE1200ELNS1_3gpuE4ELNS1_3repE0EEENS1_30default_config_static_selectorELNS0_4arch9wavefront6targetE0EEEvT1_
		.amdhsa_group_segment_fixed_size 0
		.amdhsa_private_segment_fixed_size 0
		.amdhsa_kernarg_size 112
		.amdhsa_user_sgpr_count 15
		.amdhsa_user_sgpr_dispatch_ptr 0
		.amdhsa_user_sgpr_queue_ptr 0
		.amdhsa_user_sgpr_kernarg_segment_ptr 1
		.amdhsa_user_sgpr_dispatch_id 0
		.amdhsa_user_sgpr_private_segment_size 0
		.amdhsa_wavefront_size32 1
		.amdhsa_uses_dynamic_stack 0
		.amdhsa_enable_private_segment 0
		.amdhsa_system_sgpr_workgroup_id_x 1
		.amdhsa_system_sgpr_workgroup_id_y 0
		.amdhsa_system_sgpr_workgroup_id_z 0
		.amdhsa_system_sgpr_workgroup_info 0
		.amdhsa_system_vgpr_workitem_id 0
		.amdhsa_next_free_vgpr 1
		.amdhsa_next_free_sgpr 1
		.amdhsa_reserve_vcc 0
		.amdhsa_float_round_mode_32 0
		.amdhsa_float_round_mode_16_64 0
		.amdhsa_float_denorm_mode_32 3
		.amdhsa_float_denorm_mode_16_64 3
		.amdhsa_dx10_clamp 1
		.amdhsa_ieee_mode 1
		.amdhsa_fp16_overflow 0
		.amdhsa_workgroup_processor_mode 1
		.amdhsa_memory_ordered 1
		.amdhsa_forward_progress 0
		.amdhsa_shared_vgpr_count 0
		.amdhsa_exception_fp_ieee_invalid_op 0
		.amdhsa_exception_fp_denorm_src 0
		.amdhsa_exception_fp_ieee_div_zero 0
		.amdhsa_exception_fp_ieee_overflow 0
		.amdhsa_exception_fp_ieee_underflow 0
		.amdhsa_exception_fp_ieee_inexact 0
		.amdhsa_exception_int_div_zero 0
	.end_amdhsa_kernel
	.section	.text._ZN7rocprim17ROCPRIM_400000_NS6detail17trampoline_kernelINS0_14default_configENS1_25partition_config_selectorILNS1_17partition_subalgoE9EijbEEZZNS1_14partition_implILS5_9ELb0ES3_jN6thrust23THRUST_200600_302600_NS6detail15normal_iteratorINS9_10device_ptrIiEEEENSB_INSC_IjEEEEPNS0_10empty_typeENS0_5tupleIJSE_SH_EEENSJ_IJSG_SI_EEENS0_18inequality_wrapperINS9_8equal_toIiEEEEPmJSH_EEE10hipError_tPvRmT3_T4_T5_T6_T7_T9_mT8_P12ihipStream_tbDpT10_ENKUlT_T0_E_clISt17integral_constantIbLb1EES19_IbLb0EEEEDaS15_S16_EUlS15_E_NS1_11comp_targetILNS1_3genE10ELNS1_11target_archE1200ELNS1_3gpuE4ELNS1_3repE0EEENS1_30default_config_static_selectorELNS0_4arch9wavefront6targetE0EEEvT1_,"axG",@progbits,_ZN7rocprim17ROCPRIM_400000_NS6detail17trampoline_kernelINS0_14default_configENS1_25partition_config_selectorILNS1_17partition_subalgoE9EijbEEZZNS1_14partition_implILS5_9ELb0ES3_jN6thrust23THRUST_200600_302600_NS6detail15normal_iteratorINS9_10device_ptrIiEEEENSB_INSC_IjEEEEPNS0_10empty_typeENS0_5tupleIJSE_SH_EEENSJ_IJSG_SI_EEENS0_18inequality_wrapperINS9_8equal_toIiEEEEPmJSH_EEE10hipError_tPvRmT3_T4_T5_T6_T7_T9_mT8_P12ihipStream_tbDpT10_ENKUlT_T0_E_clISt17integral_constantIbLb1EES19_IbLb0EEEEDaS15_S16_EUlS15_E_NS1_11comp_targetILNS1_3genE10ELNS1_11target_archE1200ELNS1_3gpuE4ELNS1_3repE0EEENS1_30default_config_static_selectorELNS0_4arch9wavefront6targetE0EEEvT1_,comdat
.Lfunc_end650:
	.size	_ZN7rocprim17ROCPRIM_400000_NS6detail17trampoline_kernelINS0_14default_configENS1_25partition_config_selectorILNS1_17partition_subalgoE9EijbEEZZNS1_14partition_implILS5_9ELb0ES3_jN6thrust23THRUST_200600_302600_NS6detail15normal_iteratorINS9_10device_ptrIiEEEENSB_INSC_IjEEEEPNS0_10empty_typeENS0_5tupleIJSE_SH_EEENSJ_IJSG_SI_EEENS0_18inequality_wrapperINS9_8equal_toIiEEEEPmJSH_EEE10hipError_tPvRmT3_T4_T5_T6_T7_T9_mT8_P12ihipStream_tbDpT10_ENKUlT_T0_E_clISt17integral_constantIbLb1EES19_IbLb0EEEEDaS15_S16_EUlS15_E_NS1_11comp_targetILNS1_3genE10ELNS1_11target_archE1200ELNS1_3gpuE4ELNS1_3repE0EEENS1_30default_config_static_selectorELNS0_4arch9wavefront6targetE0EEEvT1_, .Lfunc_end650-_ZN7rocprim17ROCPRIM_400000_NS6detail17trampoline_kernelINS0_14default_configENS1_25partition_config_selectorILNS1_17partition_subalgoE9EijbEEZZNS1_14partition_implILS5_9ELb0ES3_jN6thrust23THRUST_200600_302600_NS6detail15normal_iteratorINS9_10device_ptrIiEEEENSB_INSC_IjEEEEPNS0_10empty_typeENS0_5tupleIJSE_SH_EEENSJ_IJSG_SI_EEENS0_18inequality_wrapperINS9_8equal_toIiEEEEPmJSH_EEE10hipError_tPvRmT3_T4_T5_T6_T7_T9_mT8_P12ihipStream_tbDpT10_ENKUlT_T0_E_clISt17integral_constantIbLb1EES19_IbLb0EEEEDaS15_S16_EUlS15_E_NS1_11comp_targetILNS1_3genE10ELNS1_11target_archE1200ELNS1_3gpuE4ELNS1_3repE0EEENS1_30default_config_static_selectorELNS0_4arch9wavefront6targetE0EEEvT1_
                                        ; -- End function
	.section	.AMDGPU.csdata,"",@progbits
; Kernel info:
; codeLenInByte = 0
; NumSgprs: 0
; NumVgprs: 0
; ScratchSize: 0
; MemoryBound: 0
; FloatMode: 240
; IeeeMode: 1
; LDSByteSize: 0 bytes/workgroup (compile time only)
; SGPRBlocks: 0
; VGPRBlocks: 0
; NumSGPRsForWavesPerEU: 1
; NumVGPRsForWavesPerEU: 1
; Occupancy: 15
; WaveLimiterHint : 0
; COMPUTE_PGM_RSRC2:SCRATCH_EN: 0
; COMPUTE_PGM_RSRC2:USER_SGPR: 15
; COMPUTE_PGM_RSRC2:TRAP_HANDLER: 0
; COMPUTE_PGM_RSRC2:TGID_X_EN: 1
; COMPUTE_PGM_RSRC2:TGID_Y_EN: 0
; COMPUTE_PGM_RSRC2:TGID_Z_EN: 0
; COMPUTE_PGM_RSRC2:TIDIG_COMP_CNT: 0
	.section	.text._ZN7rocprim17ROCPRIM_400000_NS6detail17trampoline_kernelINS0_14default_configENS1_25partition_config_selectorILNS1_17partition_subalgoE9EijbEEZZNS1_14partition_implILS5_9ELb0ES3_jN6thrust23THRUST_200600_302600_NS6detail15normal_iteratorINS9_10device_ptrIiEEEENSB_INSC_IjEEEEPNS0_10empty_typeENS0_5tupleIJSE_SH_EEENSJ_IJSG_SI_EEENS0_18inequality_wrapperINS9_8equal_toIiEEEEPmJSH_EEE10hipError_tPvRmT3_T4_T5_T6_T7_T9_mT8_P12ihipStream_tbDpT10_ENKUlT_T0_E_clISt17integral_constantIbLb1EES19_IbLb0EEEEDaS15_S16_EUlS15_E_NS1_11comp_targetILNS1_3genE9ELNS1_11target_archE1100ELNS1_3gpuE3ELNS1_3repE0EEENS1_30default_config_static_selectorELNS0_4arch9wavefront6targetE0EEEvT1_,"axG",@progbits,_ZN7rocprim17ROCPRIM_400000_NS6detail17trampoline_kernelINS0_14default_configENS1_25partition_config_selectorILNS1_17partition_subalgoE9EijbEEZZNS1_14partition_implILS5_9ELb0ES3_jN6thrust23THRUST_200600_302600_NS6detail15normal_iteratorINS9_10device_ptrIiEEEENSB_INSC_IjEEEEPNS0_10empty_typeENS0_5tupleIJSE_SH_EEENSJ_IJSG_SI_EEENS0_18inequality_wrapperINS9_8equal_toIiEEEEPmJSH_EEE10hipError_tPvRmT3_T4_T5_T6_T7_T9_mT8_P12ihipStream_tbDpT10_ENKUlT_T0_E_clISt17integral_constantIbLb1EES19_IbLb0EEEEDaS15_S16_EUlS15_E_NS1_11comp_targetILNS1_3genE9ELNS1_11target_archE1100ELNS1_3gpuE3ELNS1_3repE0EEENS1_30default_config_static_selectorELNS0_4arch9wavefront6targetE0EEEvT1_,comdat
	.protected	_ZN7rocprim17ROCPRIM_400000_NS6detail17trampoline_kernelINS0_14default_configENS1_25partition_config_selectorILNS1_17partition_subalgoE9EijbEEZZNS1_14partition_implILS5_9ELb0ES3_jN6thrust23THRUST_200600_302600_NS6detail15normal_iteratorINS9_10device_ptrIiEEEENSB_INSC_IjEEEEPNS0_10empty_typeENS0_5tupleIJSE_SH_EEENSJ_IJSG_SI_EEENS0_18inequality_wrapperINS9_8equal_toIiEEEEPmJSH_EEE10hipError_tPvRmT3_T4_T5_T6_T7_T9_mT8_P12ihipStream_tbDpT10_ENKUlT_T0_E_clISt17integral_constantIbLb1EES19_IbLb0EEEEDaS15_S16_EUlS15_E_NS1_11comp_targetILNS1_3genE9ELNS1_11target_archE1100ELNS1_3gpuE3ELNS1_3repE0EEENS1_30default_config_static_selectorELNS0_4arch9wavefront6targetE0EEEvT1_ ; -- Begin function _ZN7rocprim17ROCPRIM_400000_NS6detail17trampoline_kernelINS0_14default_configENS1_25partition_config_selectorILNS1_17partition_subalgoE9EijbEEZZNS1_14partition_implILS5_9ELb0ES3_jN6thrust23THRUST_200600_302600_NS6detail15normal_iteratorINS9_10device_ptrIiEEEENSB_INSC_IjEEEEPNS0_10empty_typeENS0_5tupleIJSE_SH_EEENSJ_IJSG_SI_EEENS0_18inequality_wrapperINS9_8equal_toIiEEEEPmJSH_EEE10hipError_tPvRmT3_T4_T5_T6_T7_T9_mT8_P12ihipStream_tbDpT10_ENKUlT_T0_E_clISt17integral_constantIbLb1EES19_IbLb0EEEEDaS15_S16_EUlS15_E_NS1_11comp_targetILNS1_3genE9ELNS1_11target_archE1100ELNS1_3gpuE3ELNS1_3repE0EEENS1_30default_config_static_selectorELNS0_4arch9wavefront6targetE0EEEvT1_
	.globl	_ZN7rocprim17ROCPRIM_400000_NS6detail17trampoline_kernelINS0_14default_configENS1_25partition_config_selectorILNS1_17partition_subalgoE9EijbEEZZNS1_14partition_implILS5_9ELb0ES3_jN6thrust23THRUST_200600_302600_NS6detail15normal_iteratorINS9_10device_ptrIiEEEENSB_INSC_IjEEEEPNS0_10empty_typeENS0_5tupleIJSE_SH_EEENSJ_IJSG_SI_EEENS0_18inequality_wrapperINS9_8equal_toIiEEEEPmJSH_EEE10hipError_tPvRmT3_T4_T5_T6_T7_T9_mT8_P12ihipStream_tbDpT10_ENKUlT_T0_E_clISt17integral_constantIbLb1EES19_IbLb0EEEEDaS15_S16_EUlS15_E_NS1_11comp_targetILNS1_3genE9ELNS1_11target_archE1100ELNS1_3gpuE3ELNS1_3repE0EEENS1_30default_config_static_selectorELNS0_4arch9wavefront6targetE0EEEvT1_
	.p2align	8
	.type	_ZN7rocprim17ROCPRIM_400000_NS6detail17trampoline_kernelINS0_14default_configENS1_25partition_config_selectorILNS1_17partition_subalgoE9EijbEEZZNS1_14partition_implILS5_9ELb0ES3_jN6thrust23THRUST_200600_302600_NS6detail15normal_iteratorINS9_10device_ptrIiEEEENSB_INSC_IjEEEEPNS0_10empty_typeENS0_5tupleIJSE_SH_EEENSJ_IJSG_SI_EEENS0_18inequality_wrapperINS9_8equal_toIiEEEEPmJSH_EEE10hipError_tPvRmT3_T4_T5_T6_T7_T9_mT8_P12ihipStream_tbDpT10_ENKUlT_T0_E_clISt17integral_constantIbLb1EES19_IbLb0EEEEDaS15_S16_EUlS15_E_NS1_11comp_targetILNS1_3genE9ELNS1_11target_archE1100ELNS1_3gpuE3ELNS1_3repE0EEENS1_30default_config_static_selectorELNS0_4arch9wavefront6targetE0EEEvT1_,@function
_ZN7rocprim17ROCPRIM_400000_NS6detail17trampoline_kernelINS0_14default_configENS1_25partition_config_selectorILNS1_17partition_subalgoE9EijbEEZZNS1_14partition_implILS5_9ELb0ES3_jN6thrust23THRUST_200600_302600_NS6detail15normal_iteratorINS9_10device_ptrIiEEEENSB_INSC_IjEEEEPNS0_10empty_typeENS0_5tupleIJSE_SH_EEENSJ_IJSG_SI_EEENS0_18inequality_wrapperINS9_8equal_toIiEEEEPmJSH_EEE10hipError_tPvRmT3_T4_T5_T6_T7_T9_mT8_P12ihipStream_tbDpT10_ENKUlT_T0_E_clISt17integral_constantIbLb1EES19_IbLb0EEEEDaS15_S16_EUlS15_E_NS1_11comp_targetILNS1_3genE9ELNS1_11target_archE1100ELNS1_3gpuE3ELNS1_3repE0EEENS1_30default_config_static_selectorELNS0_4arch9wavefront6targetE0EEEvT1_: ; @_ZN7rocprim17ROCPRIM_400000_NS6detail17trampoline_kernelINS0_14default_configENS1_25partition_config_selectorILNS1_17partition_subalgoE9EijbEEZZNS1_14partition_implILS5_9ELb0ES3_jN6thrust23THRUST_200600_302600_NS6detail15normal_iteratorINS9_10device_ptrIiEEEENSB_INSC_IjEEEEPNS0_10empty_typeENS0_5tupleIJSE_SH_EEENSJ_IJSG_SI_EEENS0_18inequality_wrapperINS9_8equal_toIiEEEEPmJSH_EEE10hipError_tPvRmT3_T4_T5_T6_T7_T9_mT8_P12ihipStream_tbDpT10_ENKUlT_T0_E_clISt17integral_constantIbLb1EES19_IbLb0EEEEDaS15_S16_EUlS15_E_NS1_11comp_targetILNS1_3genE9ELNS1_11target_archE1100ELNS1_3gpuE3ELNS1_3repE0EEENS1_30default_config_static_selectorELNS0_4arch9wavefront6targetE0EEEvT1_
; %bb.0:
	s_clause 0x4
	s_load_b128 s[4:7], s[0:1], 0x8
	s_load_b32 s14, s[0:1], 0x68
	s_load_b128 s[16:19], s[0:1], 0x40
	s_load_b64 s[2:3], s[0:1], 0x50
	s_load_b64 s[8:9], s[0:1], 0x18
	s_mov_b32 s23, 0
	s_mul_i32 s22, s15, 0xc00
	v_lshrrev_b32_e32 v18, 3, v0
	v_add_nc_u32_e32 v23, 0x180, v0
	v_add_nc_u32_e32 v22, 0x300, v0
	;; [unrolled: 1-line block ×3, first 2 shown]
	v_or_b32_e32 v24, 0x600, v0
	v_add_nc_u32_e32 v20, 0x780, v0
	v_add_nc_u32_e32 v17, 0x900, v0
	v_add_nc_u32_e32 v21, 0xa80, v0
	s_waitcnt lgkmcnt(0)
	s_lshl_b64 s[12:13], s[6:7], 2
	s_mul_i32 s20, s14, 0xc00
	s_add_u32 s21, s4, s12
	s_addc_u32 s24, s5, s13
	s_add_i32 s4, s20, s6
	s_load_b64 s[10:11], s[18:19], 0x0
	s_sub_i32 s19, s2, s4
	s_add_i32 s14, s14, -1
	s_addk_i32 s19, 0xc00
	s_add_u32 s4, s6, s20
	s_addc_u32 s5, s7, 0
	s_cmp_eq_u32 s15, s14
	v_cmp_ge_u64_e64 s2, s[4:5], s[2:3]
	s_cselect_b32 s14, -1, 0
	s_lshl_b64 s[4:5], s[22:23], 2
	s_mov_b32 s22, -1
	s_delay_alu instid0(VALU_DEP_1) | instskip(NEXT) | instid1(SALU_CYCLE_1)
	s_and_b32 s20, s14, s2
	s_xor_b32 s18, s20, -1
	s_add_u32 s21, s21, s4
	s_addc_u32 s3, s24, s5
	s_and_b32 vcc_lo, exec_lo, s18
	s_cbranch_vccz .LBB651_2
; %bb.1:
	v_lshlrev_b32_e32 v7, 2, v0
	v_lshrrev_b32_e32 v11, 3, v23
	v_lshrrev_b32_e32 v12, 3, v22
	;; [unrolled: 1-line block ×4, first 2 shown]
	v_add_co_u32 v1, s2, s21, v7
	s_delay_alu instid0(VALU_DEP_1) | instskip(SKIP_1) | instid1(VALU_DEP_3)
	v_add_co_ci_u32_e64 v2, null, s3, 0, s2
	v_lshrrev_b32_e32 v15, 3, v20
	v_add_co_u32 v3, vcc_lo, 0x1000, v1
	s_delay_alu instid0(VALU_DEP_3)
	v_add_co_ci_u32_e32 v4, vcc_lo, 0, v2, vcc_lo
	v_add_co_u32 v5, vcc_lo, 0x2000, v1
	v_add_co_ci_u32_e32 v6, vcc_lo, 0, v2, vcc_lo
	s_clause 0x7
	flat_load_b32 v8, v[1:2]
	flat_load_b32 v9, v[1:2] offset:1536
	flat_load_b32 v1, v[1:2] offset:3072
	;; [unrolled: 1-line block ×7, first 2 shown]
	v_and_b32_e32 v6, 60, v18
	v_lshrrev_b32_e32 v16, 3, v17
	v_lshrrev_b32_e32 v19, 3, v21
	v_and_b32_e32 v11, 0x7c, v11
	v_and_b32_e32 v12, 0xfc, v12
	;; [unrolled: 1-line block ×4, first 2 shown]
	v_add_nc_u32_e32 v6, v6, v7
	v_and_b32_e32 v15, 0x1fc, v15
	v_and_b32_e32 v16, 0x17c, v16
	;; [unrolled: 1-line block ×3, first 2 shown]
	v_add_nc_u32_e32 v11, v11, v7
	v_add_nc_u32_e32 v12, v12, v7
	;; [unrolled: 1-line block ×4, first 2 shown]
	s_mov_b32 s22, 0
	v_add_nc_u32_e32 v15, v15, v7
	v_add_nc_u32_e32 v16, v16, v7
	v_add_nc_u32_e32 v7, v19, v7
	s_waitcnt vmcnt(7) lgkmcnt(0)
	ds_store_b32 v6, v8
	s_waitcnt vmcnt(6)
	ds_store_b32 v11, v9 offset:1536
	s_waitcnt vmcnt(5)
	ds_store_b32 v12, v1 offset:3072
	s_waitcnt vmcnt(4)
	ds_store_b32 v13, v2 offset:4608
	s_waitcnt vmcnt(3)
	ds_store_b32 v14, v10 offset:6144
	s_waitcnt vmcnt(2)
	ds_store_b32 v15, v3 offset:7680
	s_waitcnt vmcnt(1)
	ds_store_b32 v16, v4 offset:9216
	s_waitcnt vmcnt(0)
	ds_store_b32 v7, v5 offset:10752
	s_waitcnt lgkmcnt(0)
	s_barrier
.LBB651_2:
	v_cmp_gt_u32_e64 s2, s19, v0
	s_and_not1_b32 vcc_lo, exec_lo, s22
	s_cbranch_vccnz .LBB651_20
; %bb.3:
                                        ; implicit-def: $vgpr1_vgpr2_vgpr3_vgpr4_vgpr5_vgpr6_vgpr7_vgpr8
	s_delay_alu instid0(VALU_DEP_1)
	s_and_saveexec_b32 s22, s2
	s_cbranch_execz .LBB651_11
; %bb.4:
	v_lshlrev_b32_e32 v1, 2, v0
	s_delay_alu instid0(VALU_DEP_1) | instskip(NEXT) | instid1(VALU_DEP_1)
	v_add_co_u32 v1, s2, s21, v1
	v_add_co_ci_u32_e64 v2, null, s3, 0, s2
	flat_load_b32 v1, v[1:2]
	s_or_b32 exec_lo, exec_lo, s22
	s_delay_alu instid0(SALU_CYCLE_1)
	s_mov_b32 s2, exec_lo
	v_cmpx_gt_u32_e64 s19, v23
	s_cbranch_execnz .LBB651_12
.LBB651_5:
	s_or_b32 exec_lo, exec_lo, s2
	s_delay_alu instid0(SALU_CYCLE_1)
	s_mov_b32 s2, exec_lo
	v_cmpx_gt_u32_e64 s19, v22
	s_cbranch_execz .LBB651_13
.LBB651_6:
	v_lshlrev_b32_e32 v3, 2, v0
	s_delay_alu instid0(VALU_DEP_1) | instskip(NEXT) | instid1(VALU_DEP_1)
	v_add_co_u32 v9, s22, s21, v3
	v_add_co_ci_u32_e64 v10, null, s3, 0, s22
	flat_load_b32 v3, v[9:10] offset:3072
	s_or_b32 exec_lo, exec_lo, s2
	s_delay_alu instid0(SALU_CYCLE_1)
	s_mov_b32 s2, exec_lo
	v_cmpx_gt_u32_e64 s19, v25
	s_cbranch_execnz .LBB651_14
.LBB651_7:
	s_or_b32 exec_lo, exec_lo, s2
	s_delay_alu instid0(SALU_CYCLE_1)
	s_mov_b32 s2, exec_lo
	v_cmpx_gt_u32_e64 s19, v24
	s_cbranch_execz .LBB651_15
.LBB651_8:
	v_lshlrev_b32_e32 v5, 2, v24
	s_delay_alu instid0(VALU_DEP_1) | instskip(NEXT) | instid1(VALU_DEP_1)
	v_add_co_u32 v9, s22, s21, v5
	v_add_co_ci_u32_e64 v10, null, s3, 0, s22
	flat_load_b32 v5, v[9:10]
	s_or_b32 exec_lo, exec_lo, s2
	s_delay_alu instid0(SALU_CYCLE_1)
	s_mov_b32 s2, exec_lo
	v_cmpx_gt_u32_e64 s19, v20
	s_cbranch_execnz .LBB651_16
.LBB651_9:
	s_or_b32 exec_lo, exec_lo, s2
	s_delay_alu instid0(SALU_CYCLE_1)
	s_mov_b32 s2, exec_lo
	v_cmpx_gt_u32_e64 s19, v17
	s_cbranch_execz .LBB651_17
.LBB651_10:
	v_lshlrev_b32_e32 v7, 2, v17
	s_delay_alu instid0(VALU_DEP_1) | instskip(NEXT) | instid1(VALU_DEP_1)
	v_add_co_u32 v9, s22, s21, v7
	v_add_co_ci_u32_e64 v10, null, s3, 0, s22
	flat_load_b32 v7, v[9:10]
	s_or_b32 exec_lo, exec_lo, s2
	s_delay_alu instid0(SALU_CYCLE_1)
	s_mov_b32 s2, exec_lo
	v_cmpx_gt_u32_e64 s19, v21
	s_cbranch_execnz .LBB651_18
	s_branch .LBB651_19
.LBB651_11:
	s_or_b32 exec_lo, exec_lo, s22
	s_delay_alu instid0(SALU_CYCLE_1)
	s_mov_b32 s2, exec_lo
	v_cmpx_gt_u32_e64 s19, v23
	s_cbranch_execz .LBB651_5
.LBB651_12:
	v_lshlrev_b32_e32 v2, 2, v0
	s_delay_alu instid0(VALU_DEP_1) | instskip(NEXT) | instid1(VALU_DEP_1)
	v_add_co_u32 v9, s22, s21, v2
	v_add_co_ci_u32_e64 v10, null, s3, 0, s22
	flat_load_b32 v2, v[9:10] offset:1536
	s_or_b32 exec_lo, exec_lo, s2
	s_delay_alu instid0(SALU_CYCLE_1)
	s_mov_b32 s2, exec_lo
	v_cmpx_gt_u32_e64 s19, v22
	s_cbranch_execnz .LBB651_6
.LBB651_13:
	s_or_b32 exec_lo, exec_lo, s2
	s_delay_alu instid0(SALU_CYCLE_1)
	s_mov_b32 s2, exec_lo
	v_cmpx_gt_u32_e64 s19, v25
	s_cbranch_execz .LBB651_7
.LBB651_14:
	v_lshlrev_b32_e32 v4, 2, v25
	s_delay_alu instid0(VALU_DEP_1) | instskip(NEXT) | instid1(VALU_DEP_1)
	v_add_co_u32 v9, s22, s21, v4
	v_add_co_ci_u32_e64 v10, null, s3, 0, s22
	flat_load_b32 v4, v[9:10]
	s_or_b32 exec_lo, exec_lo, s2
	s_delay_alu instid0(SALU_CYCLE_1)
	s_mov_b32 s2, exec_lo
	v_cmpx_gt_u32_e64 s19, v24
	s_cbranch_execnz .LBB651_8
.LBB651_15:
	s_or_b32 exec_lo, exec_lo, s2
	s_delay_alu instid0(SALU_CYCLE_1)
	s_mov_b32 s2, exec_lo
	v_cmpx_gt_u32_e64 s19, v20
	s_cbranch_execz .LBB651_9
.LBB651_16:
	v_lshlrev_b32_e32 v6, 2, v20
	s_delay_alu instid0(VALU_DEP_1) | instskip(NEXT) | instid1(VALU_DEP_1)
	v_add_co_u32 v9, s22, s21, v6
	v_add_co_ci_u32_e64 v10, null, s3, 0, s22
	flat_load_b32 v6, v[9:10]
	s_or_b32 exec_lo, exec_lo, s2
	s_delay_alu instid0(SALU_CYCLE_1)
	s_mov_b32 s2, exec_lo
	v_cmpx_gt_u32_e64 s19, v17
	s_cbranch_execnz .LBB651_10
.LBB651_17:
	s_or_b32 exec_lo, exec_lo, s2
	s_delay_alu instid0(SALU_CYCLE_1)
	s_mov_b32 s2, exec_lo
	v_cmpx_gt_u32_e64 s19, v21
	s_cbranch_execz .LBB651_19
.LBB651_18:
	v_lshlrev_b32_e32 v8, 2, v21
	s_delay_alu instid0(VALU_DEP_1) | instskip(NEXT) | instid1(VALU_DEP_1)
	v_add_co_u32 v8, s22, s21, v8
	v_add_co_ci_u32_e64 v9, null, s3, 0, s22
	flat_load_b32 v8, v[8:9]
.LBB651_19:
	s_or_b32 exec_lo, exec_lo, s2
	v_lshrrev_b32_e32 v9, 3, v23
	v_lshrrev_b32_e32 v10, 3, v22
	;; [unrolled: 1-line block ×4, first 2 shown]
	v_and_b32_e32 v11, 60, v18
	v_lshlrev_b32_e32 v12, 2, v0
	v_lshrrev_b32_e32 v15, 3, v20
	v_lshrrev_b32_e32 v16, 3, v17
	;; [unrolled: 1-line block ×3, first 2 shown]
	v_and_b32_e32 v9, 0x7c, v9
	v_and_b32_e32 v10, 0xfc, v10
	;; [unrolled: 1-line block ×4, first 2 shown]
	v_add_nc_u32_e32 v11, v11, v12
	v_and_b32_e32 v15, 0x1fc, v15
	v_and_b32_e32 v16, 0x1fc, v16
	;; [unrolled: 1-line block ×3, first 2 shown]
	v_add_nc_u32_e32 v9, v9, v12
	v_add_nc_u32_e32 v10, v10, v12
	;; [unrolled: 1-line block ×7, first 2 shown]
	s_waitcnt vmcnt(0) lgkmcnt(0)
	ds_store_b32 v11, v1
	ds_store_b32 v9, v2 offset:1536
	ds_store_b32 v10, v3 offset:3072
	;; [unrolled: 1-line block ×7, first 2 shown]
	s_waitcnt lgkmcnt(0)
	s_barrier
.LBB651_20:
	v_lshlrev_b32_e32 v19, 3, v0
	v_lshrrev_b32_e32 v1, 2, v0
	s_waitcnt lgkmcnt(0)
	buffer_gl0_inv
	s_add_u32 s2, s8, s12
	s_addc_u32 s8, s9, s13
	s_add_u32 s2, s2, s4
	v_add_lshl_u32 v1, v1, v19, 2
	s_addc_u32 s4, s8, s5
	s_and_b32 vcc_lo, exec_lo, s18
	s_mov_b32 s5, -1
	ds_load_2addr_b32 v[15:16], v1 offset1:1
	ds_load_2addr_b32 v[13:14], v1 offset0:2 offset1:3
	ds_load_2addr_b32 v[11:12], v1 offset0:4 offset1:5
	ds_load_2addr_b32 v[9:10], v1 offset0:6 offset1:7
	s_waitcnt lgkmcnt(0)
	s_barrier
	buffer_gl0_inv
	s_cbranch_vccz .LBB651_22
; %bb.21:
	v_lshlrev_b32_e32 v8, 2, v0
	v_lshrrev_b32_e32 v29, 3, v23
	v_lshrrev_b32_e32 v30, 3, v22
	;; [unrolled: 1-line block ×4, first 2 shown]
	v_add_co_u32 v2, s5, s2, v8
	s_delay_alu instid0(VALU_DEP_1) | instskip(SKIP_1) | instid1(VALU_DEP_3)
	v_add_co_ci_u32_e64 v3, null, s4, 0, s5
	v_lshrrev_b32_e32 v33, 3, v20
	v_add_co_u32 v4, vcc_lo, 0x1000, v2
	s_delay_alu instid0(VALU_DEP_3)
	v_add_co_ci_u32_e32 v5, vcc_lo, 0, v3, vcc_lo
	v_add_co_u32 v6, vcc_lo, 0x2000, v2
	v_add_co_ci_u32_e32 v7, vcc_lo, 0, v3, vcc_lo
	s_clause 0x7
	flat_load_b32 v26, v[2:3]
	flat_load_b32 v27, v[2:3] offset:1536
	flat_load_b32 v2, v[2:3] offset:3072
	;; [unrolled: 1-line block ×7, first 2 shown]
	v_and_b32_e32 v7, 60, v18
	v_lshrrev_b32_e32 v34, 3, v17
	v_lshrrev_b32_e32 v35, 3, v21
	v_and_b32_e32 v29, 0x7c, v29
	v_and_b32_e32 v30, 0xfc, v30
	v_and_b32_e32 v31, 0xfc, v31
	v_and_b32_e32 v32, 0xfc, v32
	v_add_nc_u32_e32 v7, v7, v8
	v_and_b32_e32 v33, 0x1fc, v33
	v_and_b32_e32 v34, 0x17c, v34
	;; [unrolled: 1-line block ×3, first 2 shown]
	v_add_nc_u32_e32 v29, v29, v8
	v_add_nc_u32_e32 v30, v30, v8
	;; [unrolled: 1-line block ×4, first 2 shown]
	s_mov_b32 s5, 0
	v_add_nc_u32_e32 v33, v33, v8
	v_add_nc_u32_e32 v34, v34, v8
	;; [unrolled: 1-line block ×3, first 2 shown]
	s_waitcnt vmcnt(7) lgkmcnt(7)
	ds_store_b32 v7, v26
	s_waitcnt vmcnt(6) lgkmcnt(7)
	ds_store_b32 v29, v27 offset:1536
	s_waitcnt vmcnt(5) lgkmcnt(7)
	ds_store_b32 v30, v2 offset:3072
	;; [unrolled: 2-line block ×7, first 2 shown]
	s_waitcnt lgkmcnt(0)
	s_barrier
.LBB651_22:
	s_and_not1_b32 vcc_lo, exec_lo, s5
	s_cbranch_vccnz .LBB651_40
; %bb.23:
	s_mov_b32 s5, exec_lo
                                        ; implicit-def: $vgpr2
	v_cmpx_gt_u32_e64 s19, v0
	s_cbranch_execz .LBB651_25
; %bb.24:
	v_lshlrev_b32_e32 v2, 2, v0
	s_delay_alu instid0(VALU_DEP_1) | instskip(NEXT) | instid1(VALU_DEP_1)
	v_add_co_u32 v2, s8, s2, v2
	v_add_co_ci_u32_e64 v3, null, s4, 0, s8
	flat_load_b32 v2, v[2:3]
.LBB651_25:
	s_or_b32 exec_lo, exec_lo, s5
	s_delay_alu instid0(SALU_CYCLE_1)
	s_mov_b32 s5, exec_lo
                                        ; implicit-def: $vgpr3
	v_cmpx_gt_u32_e64 s19, v23
	s_cbranch_execz .LBB651_27
; %bb.26:
	v_lshlrev_b32_e32 v3, 2, v0
	s_delay_alu instid0(VALU_DEP_1) | instskip(NEXT) | instid1(VALU_DEP_1)
	v_add_co_u32 v3, s8, s2, v3
	v_add_co_ci_u32_e64 v4, null, s4, 0, s8
	flat_load_b32 v3, v[3:4] offset:1536
.LBB651_27:
	s_or_b32 exec_lo, exec_lo, s5
	s_delay_alu instid0(SALU_CYCLE_1)
	s_mov_b32 s5, exec_lo
                                        ; implicit-def: $vgpr4
	v_cmpx_gt_u32_e64 s19, v22
	s_cbranch_execz .LBB651_29
; %bb.28:
	v_lshlrev_b32_e32 v4, 2, v0
	s_delay_alu instid0(VALU_DEP_1) | instskip(NEXT) | instid1(VALU_DEP_1)
	v_add_co_u32 v4, s8, s2, v4
	v_add_co_ci_u32_e64 v5, null, s4, 0, s8
	flat_load_b32 v4, v[4:5] offset:3072
.LBB651_29:
	s_or_b32 exec_lo, exec_lo, s5
	s_delay_alu instid0(SALU_CYCLE_1)
	s_mov_b32 s5, exec_lo
                                        ; implicit-def: $vgpr5
	v_cmpx_gt_u32_e64 s19, v25
	s_cbranch_execz .LBB651_31
; %bb.30:
	v_lshlrev_b32_e32 v5, 2, v25
	s_delay_alu instid0(VALU_DEP_1) | instskip(NEXT) | instid1(VALU_DEP_1)
	v_add_co_u32 v5, s8, s2, v5
	v_add_co_ci_u32_e64 v6, null, s4, 0, s8
	flat_load_b32 v5, v[5:6]
.LBB651_31:
	s_or_b32 exec_lo, exec_lo, s5
	s_delay_alu instid0(SALU_CYCLE_1)
	s_mov_b32 s5, exec_lo
                                        ; implicit-def: $vgpr6
	v_cmpx_gt_u32_e64 s19, v24
	s_cbranch_execz .LBB651_33
; %bb.32:
	v_lshlrev_b32_e32 v6, 2, v24
	s_delay_alu instid0(VALU_DEP_1) | instskip(NEXT) | instid1(VALU_DEP_1)
	v_add_co_u32 v6, s8, s2, v6
	v_add_co_ci_u32_e64 v7, null, s4, 0, s8
	flat_load_b32 v6, v[6:7]
.LBB651_33:
	s_or_b32 exec_lo, exec_lo, s5
	s_delay_alu instid0(SALU_CYCLE_1)
	s_mov_b32 s5, exec_lo
                                        ; implicit-def: $vgpr7
	v_cmpx_gt_u32_e64 s19, v20
	s_cbranch_execz .LBB651_35
; %bb.34:
	v_lshlrev_b32_e32 v7, 2, v20
	s_delay_alu instid0(VALU_DEP_1) | instskip(NEXT) | instid1(VALU_DEP_1)
	v_add_co_u32 v7, s8, s2, v7
	v_add_co_ci_u32_e64 v8, null, s4, 0, s8
	flat_load_b32 v7, v[7:8]
.LBB651_35:
	s_or_b32 exec_lo, exec_lo, s5
	s_delay_alu instid0(SALU_CYCLE_1)
	s_mov_b32 s5, exec_lo
                                        ; implicit-def: $vgpr8
	v_cmpx_gt_u32_e64 s19, v17
	s_cbranch_execz .LBB651_37
; %bb.36:
	v_lshlrev_b32_e32 v8, 2, v17
	s_delay_alu instid0(VALU_DEP_1) | instskip(NEXT) | instid1(VALU_DEP_1)
	v_add_co_u32 v26, s8, s2, v8
	v_add_co_ci_u32_e64 v27, null, s4, 0, s8
	flat_load_b32 v8, v[26:27]
.LBB651_37:
	s_or_b32 exec_lo, exec_lo, s5
	s_delay_alu instid0(SALU_CYCLE_1)
	s_mov_b32 s5, exec_lo
                                        ; implicit-def: $vgpr26
	v_cmpx_gt_u32_e64 s19, v21
	s_cbranch_execz .LBB651_39
; %bb.38:
	v_lshlrev_b32_e32 v26, 2, v21
	s_delay_alu instid0(VALU_DEP_1) | instskip(NEXT) | instid1(VALU_DEP_1)
	v_add_co_u32 v26, s2, s2, v26
	v_add_co_ci_u32_e64 v27, null, s4, 0, s2
	flat_load_b32 v26, v[26:27]
.LBB651_39:
	s_or_b32 exec_lo, exec_lo, s5
	v_lshrrev_b32_e32 v23, 3, v23
	v_lshrrev_b32_e32 v22, 3, v22
	;; [unrolled: 1-line block ×4, first 2 shown]
	v_and_b32_e32 v18, 60, v18
	v_lshlrev_b32_e32 v27, 2, v0
	v_lshrrev_b32_e32 v20, 3, v20
	v_lshrrev_b32_e32 v17, 3, v17
	v_lshrrev_b32_e32 v21, 3, v21
	v_and_b32_e32 v23, 0x7c, v23
	v_and_b32_e32 v22, 0xfc, v22
	;; [unrolled: 1-line block ×4, first 2 shown]
	v_add_nc_u32_e32 v18, v18, v27
	v_and_b32_e32 v20, 0x1fc, v20
	v_and_b32_e32 v17, 0x1fc, v17
	;; [unrolled: 1-line block ×3, first 2 shown]
	v_add_nc_u32_e32 v23, v23, v27
	v_add_nc_u32_e32 v22, v22, v27
	;; [unrolled: 1-line block ×7, first 2 shown]
	s_waitcnt vmcnt(0) lgkmcnt(0)
	ds_store_b32 v18, v2
	ds_store_b32 v23, v3 offset:1536
	ds_store_b32 v22, v4 offset:3072
	;; [unrolled: 1-line block ×7, first 2 shown]
	s_waitcnt lgkmcnt(0)
	s_barrier
.LBB651_40:
	buffer_gl0_inv
	ds_load_2addr_b32 v[7:8], v1 offset1:1
	ds_load_2addr_b32 v[5:6], v1 offset0:2 offset1:3
	ds_load_2addr_b32 v[3:4], v1 offset0:4 offset1:5
	;; [unrolled: 1-line block ×3, first 2 shown]
	s_cmp_lg_u32 s15, 0
	s_mov_b32 s12, 0
	s_cselect_b32 s9, -1, 0
	s_cmp_lg_u64 s[6:7], 0
	s_waitcnt lgkmcnt(0)
	s_cselect_b32 s2, -1, 0
	s_barrier
	s_or_b32 s2, s9, s2
	buffer_gl0_inv
	s_and_b32 vcc_lo, exec_lo, s2
	s_cbranch_vccz .LBB651_45
; %bb.41:
	v_add_co_u32 v17, s2, -4, s21
	s_delay_alu instid0(VALU_DEP_1)
	v_add_co_ci_u32_e64 v18, null, -1, s3, s2
	v_lshlrev_b32_e32 v21, 2, v0
	s_mov_b32 s3, -1
	s_and_b32 vcc_lo, exec_lo, s18
	flat_load_b32 v20, v[17:18]
	ds_store_b32 v21, v10
	s_cbranch_vccz .LBB651_46
; %bb.42:
	s_waitcnt vmcnt(0) lgkmcnt(1)
	v_mov_b32_e32 v17, v20
	s_mov_b32 s3, 0
	s_mov_b32 s2, exec_lo
	s_waitcnt lgkmcnt(0)
	s_barrier
	buffer_gl0_inv
	v_cmpx_ne_u32_e32 0, v0
	s_cbranch_execz .LBB651_44
; %bb.43:
	v_add_nc_u32_e32 v17, -4, v21
	ds_load_b32 v17, v17
.LBB651_44:
	s_or_b32 exec_lo, exec_lo, s2
	v_cmp_ne_u32_e32 vcc_lo, v9, v10
	s_waitcnt lgkmcnt(0)
	v_cmp_ne_u32_e64 s2, v17, v15
	v_cndmask_b32_e64 v18, 0, 1, vcc_lo
	v_cmp_ne_u32_e32 vcc_lo, v12, v9
	s_delay_alu instid0(VALU_DEP_2) | instskip(SKIP_2) | instid1(VALU_DEP_2)
	v_lshlrev_b16 v18, 8, v18
	v_cndmask_b32_e64 v22, 0, 1, vcc_lo
	v_cmp_ne_u32_e32 vcc_lo, v11, v12
	v_or_b32_e32 v18, v22, v18
	v_cndmask_b32_e64 v23, 0, 1, vcc_lo
	v_cmp_ne_u32_e32 vcc_lo, v13, v14
	s_delay_alu instid0(VALU_DEP_3) | instskip(NEXT) | instid1(VALU_DEP_3)
	v_lshlrev_b32_e32 v18, 16, v18
	v_lshlrev_b16 v23, 8, v23
	v_cndmask_b32_e64 v24, 0, 1, vcc_lo
	v_cmp_ne_u32_e32 vcc_lo, v14, v11
	s_delay_alu instid0(VALU_DEP_2) | instskip(SKIP_2) | instid1(VALU_DEP_2)
	v_lshlrev_b16 v24, 8, v24
	v_cndmask_b32_e64 v25, 0, 1, vcc_lo
	v_cmp_ne_u32_e32 vcc_lo, v16, v13
	v_or_b32_e32 v23, v25, v23
	v_cndmask_b32_e64 v26, 0, 1, vcc_lo
	v_cmp_ne_u32_e32 vcc_lo, v15, v16
	s_delay_alu instid0(VALU_DEP_3) | instskip(NEXT) | instid1(VALU_DEP_3)
	v_and_b32_e32 v23, 0xffff, v23
	v_or_b32_e32 v24, v26, v24
	v_cndmask_b32_e64 v27, 0, 1, vcc_lo
	s_delay_alu instid0(VALU_DEP_3) | instskip(NEXT) | instid1(VALU_DEP_3)
	v_or_b32_e32 v18, v23, v18
	v_lshlrev_b32_e32 v22, 16, v24
	s_delay_alu instid0(VALU_DEP_3) | instskip(NEXT) | instid1(VALU_DEP_1)
	v_lshlrev_b16 v26, 8, v27
	v_and_b32_e32 v24, 0xffff, v26
	s_delay_alu instid0(VALU_DEP_1)
	v_or_b32_e32 v17, v24, v22
	s_and_b32 vcc_lo, exec_lo, s3
	s_cbranch_vccnz .LBB651_47
	s_branch .LBB651_50
.LBB651_45:
                                        ; implicit-def: $sgpr2
                                        ; implicit-def: $vgpr18
	s_branch .LBB651_51
.LBB651_46:
                                        ; implicit-def: $sgpr2
                                        ; implicit-def: $vgpr18
	s_and_b32 vcc_lo, exec_lo, s3
	s_cbranch_vccz .LBB651_50
.LBB651_47:
	s_mov_b32 s2, exec_lo
	s_waitcnt vmcnt(0) lgkmcnt(0)
	s_barrier
	buffer_gl0_inv
	v_cmpx_ne_u32_e32 0, v0
	s_cbranch_execz .LBB651_49
; %bb.48:
	v_add_nc_u32_e32 v17, -4, v21
	ds_load_b32 v20, v17
.LBB651_49:
	s_or_b32 exec_lo, exec_lo, s2
	v_or_b32_e32 v17, 7, v19
	v_or_b32_e32 v18, 6, v19
	;; [unrolled: 1-line block ×3, first 2 shown]
	v_cmp_ne_u32_e32 vcc_lo, v9, v10
	v_cmp_ne_u32_e64 s3, v12, v9
	v_cmp_gt_u32_e64 s2, s19, v17
	v_cmp_gt_u32_e64 s5, s19, v18
	v_cmp_ne_u32_e64 s4, v11, v12
	v_cmp_gt_u32_e64 s6, s19, v21
	v_or_b32_e32 v18, 3, v19
	s_and_b32 s2, s2, vcc_lo
	v_or_b32_e32 v22, 4, v19
	v_cndmask_b32_e64 v17, 0, 1, s2
	s_and_b32 s2, s5, s3
	v_cmp_gt_u32_e32 vcc_lo, s19, v18
	v_cndmask_b32_e64 v21, 0, 1, s2
	s_and_b32 s2, s6, s4
	v_or_b32_e32 v18, 2, v19
	v_cndmask_b32_e64 v23, 0, 1, s2
	v_cmp_ne_u32_e64 s2, v13, v14
	v_cmp_gt_u32_e64 s3, s19, v22
	v_or_b32_e32 v22, 1, v19
	v_cmp_ne_u32_e64 s4, v14, v11
	v_cmp_ne_u32_e64 s6, v15, v16
	s_and_b32 s2, vcc_lo, s2
	v_cmp_gt_u32_e32 vcc_lo, s19, v18
	v_cndmask_b32_e64 v24, 0, 1, s2
	v_cmp_ne_u32_e64 s2, v16, v13
	v_cmp_gt_u32_e64 s5, s19, v22
	s_and_b32 s3, s3, s4
	v_lshlrev_b16 v23, 8, v23
	v_cndmask_b32_e64 v18, 0, 1, s3
	s_and_b32 s2, vcc_lo, s2
	v_lshlrev_b16 v24, 8, v24
	v_cndmask_b32_e64 v22, 0, 1, s2
	s_and_b32 s2, s5, s6
	v_lshlrev_b16 v17, 8, v17
	v_cndmask_b32_e64 v25, 0, 1, s2
	v_or_b32_e32 v18, v18, v23
	v_or_b32_e32 v22, v22, v24
	v_cmp_gt_u32_e32 vcc_lo, s19, v19
	v_or_b32_e32 v17, v21, v17
	v_lshlrev_b16 v24, 8, v25
	v_and_b32_e32 v18, 0xffff, v18
	v_lshlrev_b32_e32 v21, 16, v22
	s_waitcnt lgkmcnt(0)
	v_cmp_ne_u32_e64 s2, v20, v15
	v_lshlrev_b32_e32 v23, 16, v17
	v_and_b32_e32 v22, 0xffff, v24
	s_delay_alu instid0(VALU_DEP_3) | instskip(NEXT) | instid1(VALU_DEP_2)
	s_and_b32 s2, vcc_lo, s2
	v_or_b32_e32 v18, v18, v23
	s_delay_alu instid0(VALU_DEP_2)
	v_or_b32_e32 v17, v22, v21
.LBB651_50:
	s_mov_b32 s12, -1
	s_cbranch_execnz .LBB651_59
.LBB651_51:
	s_waitcnt vmcnt(0) lgkmcnt(1)
	v_lshlrev_b32_e32 v20, 2, v0
	v_cmp_ne_u32_e64 s3, v9, v10
	v_cmp_ne_u32_e64 s4, v12, v9
	;; [unrolled: 1-line block ×7, first 2 shown]
	s_and_b32 vcc_lo, exec_lo, s18
	ds_store_b32 v20, v10
	s_cbranch_vccz .LBB651_55
; %bb.52:
	v_cndmask_b32_e64 v17, 0, 1, s3
	v_cndmask_b32_e64 v21, 0, 1, s5
	;; [unrolled: 1-line block ×7, first 2 shown]
	v_lshlrev_b16 v21, 8, v21
	v_lshlrev_b16 v17, 8, v17
	;; [unrolled: 1-line block ×4, first 2 shown]
	s_mov_b32 s3, 0
	v_or_b32_e32 v21, v22, v21
	v_or_b32_e32 v17, v18, v17
	;; [unrolled: 1-line block ×4, first 2 shown]
	s_mov_b32 s4, exec_lo
	v_and_b32_e32 v21, 0xffff, v21
	v_lshlrev_b32_e32 v17, 16, v17
	v_lshlrev_b32_e32 v23, 16, v18
	v_and_b32_e32 v22, 0xffff, v22
	s_waitcnt lgkmcnt(0)
	s_barrier
	v_or_b32_e32 v18, v21, v17
	buffer_gl0_inv
	v_or_b32_e32 v17, v22, v23
                                        ; implicit-def: $sgpr2
	v_cmpx_ne_u32_e32 0, v0
	s_xor_b32 s4, exec_lo, s4
	s_cbranch_execz .LBB651_54
; %bb.53:
	v_add_nc_u32_e32 v21, -4, v20
	s_or_b32 s12, s12, exec_lo
	ds_load_b32 v21, v21
	s_waitcnt lgkmcnt(0)
	v_cmp_ne_u32_e32 vcc_lo, v21, v15
	s_and_b32 s2, vcc_lo, exec_lo
.LBB651_54:
	s_or_b32 exec_lo, exec_lo, s4
	s_delay_alu instid0(SALU_CYCLE_1)
	s_and_b32 vcc_lo, exec_lo, s3
	s_cbranch_vccnz .LBB651_56
	s_branch .LBB651_59
.LBB651_55:
                                        ; implicit-def: $sgpr2
                                        ; implicit-def: $vgpr18
	s_cbranch_execz .LBB651_59
.LBB651_56:
	v_or_b32_e32 v17, 7, v19
	v_or_b32_e32 v18, 6, v19
	v_cmp_ne_u32_e32 vcc_lo, v9, v10
	v_cmp_ne_u32_e64 s3, v12, v9
	v_or_b32_e32 v21, 5, v19
	v_cmp_gt_u32_e64 s2, s19, v17
	v_cmp_gt_u32_e64 s4, s19, v18
	v_or_b32_e32 v17, 4, v19
	v_or_b32_e32 v22, 3, v19
	v_cmp_gt_u32_e64 s5, s19, v21
	s_and_b32 s2, s2, vcc_lo
	v_cmp_ne_u32_e32 vcc_lo, v11, v12
	v_cndmask_b32_e64 v18, 0, 1, s2
	s_and_b32 s2, s4, s3
	v_cmp_ne_u32_e64 s3, v14, v11
	v_cndmask_b32_e64 v21, 0, 1, s2
	v_cmp_gt_u32_e64 s2, s19, v17
	v_or_b32_e32 v23, 1, v19
	s_and_b32 s4, s5, vcc_lo
	v_cmp_gt_u32_e32 vcc_lo, s19, v22
	v_cndmask_b32_e64 v17, 0, 1, s4
	s_and_b32 s2, s2, s3
	v_or_b32_e32 v25, 2, v19
	v_cndmask_b32_e64 v24, 0, 1, s2
	v_cmp_ne_u32_e64 s2, v13, v14
	v_cmp_gt_u32_e64 s3, s19, v23
	v_cmp_ne_u32_e64 s4, v15, v16
	v_cmp_gt_u32_e64 s5, s19, v25
	v_cmp_ne_u32_e64 s6, v16, v13
	s_and_b32 s2, vcc_lo, s2
	v_lshlrev_b16 v17, 8, v17
	v_cndmask_b32_e64 v22, 0, 1, s2
	s_and_b32 s2, s3, s4
	v_lshlrev_b16 v18, 8, v18
	v_cndmask_b32_e64 v23, 0, 1, s2
	s_and_b32 s2, s5, s6
	v_lshlrev_b16 v22, 8, v22
	v_cndmask_b32_e64 v25, 0, 1, s2
	v_or_b32_e32 v17, v24, v17
	v_lshlrev_b16 v23, 8, v23
	v_or_b32_e32 v18, v21, v18
	s_mov_b32 s3, exec_lo
	v_or_b32_e32 v21, v25, v22
	v_and_b32_e32 v17, 0xffff, v17
	v_or_b32_e32 v22, 1, v23
	v_lshlrev_b32_e32 v18, 16, v18
	s_waitcnt lgkmcnt(0)
	v_lshlrev_b32_e32 v21, 16, v21
	s_barrier
	v_and_b32_e32 v22, 0xffff, v22
	v_or_b32_e32 v18, v17, v18
	buffer_gl0_inv
                                        ; implicit-def: $sgpr2
	v_or_b32_e32 v17, v22, v21
	v_cmpx_ne_u32_e32 0, v0
	s_cbranch_execz .LBB651_58
; %bb.57:
	v_add_nc_u32_e32 v20, -4, v20
	v_cmp_gt_u32_e32 vcc_lo, s19, v19
	s_or_b32 s12, s12, exec_lo
	ds_load_b32 v20, v20
	s_waitcnt lgkmcnt(0)
	v_cmp_ne_u32_e64 s2, v20, v15
	s_delay_alu instid0(VALU_DEP_1) | instskip(NEXT) | instid1(SALU_CYCLE_1)
	s_and_b32 s2, vcc_lo, s2
	s_and_b32 s2, s2, exec_lo
.LBB651_58:
	s_or_b32 exec_lo, exec_lo, s3
.LBB651_59:
	s_and_saveexec_b32 s3, s12
	s_cbranch_execz .LBB651_61
; %bb.60:
	s_waitcnt vmcnt(0) lgkmcnt(1)
	v_and_b32_e32 v20, 0xffffff00, v17
	v_cndmask_b32_e64 v21, 0, 1, s2
	s_delay_alu instid0(VALU_DEP_1) | instskip(NEXT) | instid1(VALU_DEP_1)
	v_or_b32_e32 v20, v21, v20
	v_and_b32_e32 v20, 0xffff, v20
	s_delay_alu instid0(VALU_DEP_1)
	v_and_or_b32 v17, 0xffff0000, v17, v20
.LBB651_61:
	s_or_b32 exec_lo, exec_lo, s3
	s_load_b64 s[12:13], s[0:1], 0x60
	s_and_not1_b32 vcc_lo, exec_lo, s20
	s_cbranch_vccnz .LBB651_63
; %bb.62:
	v_cmp_gt_u32_e32 vcc_lo, s19, v19
	v_or_b32_e32 v21, 1, v19
	v_and_b32_e32 v22, 0xffffff00, v18
	v_or_b32_e32 v23, 2, v19
	s_waitcnt vmcnt(0) lgkmcnt(0)
	v_cndmask_b32_e32 v20, 0, v17, vcc_lo
	v_cmp_gt_u32_e32 vcc_lo, s19, v21
	v_or_b32_e32 v21, 4, v19
	v_cmp_gt_u32_e64 s2, s19, v23
	v_or_b32_e32 v23, 3, v19
	v_and_b32_e32 v20, 0xff, v20
	s_delay_alu instid0(VALU_DEP_2) | instskip(NEXT) | instid1(VALU_DEP_2)
	v_cmp_gt_u32_e64 s3, s19, v23
	v_cndmask_b32_e32 v20, v20, v17, vcc_lo
	v_cmp_gt_u32_e32 vcc_lo, s19, v21
	s_delay_alu instid0(VALU_DEP_2) | instskip(SKIP_1) | instid1(VALU_DEP_2)
	v_dual_cndmask_b32 v21, v22, v18 :: v_dual_and_b32 v20, 0xffff, v20
	v_or_b32_e32 v22, 5, v19
	v_cndmask_b32_e64 v20, v20, v17, s2
	s_delay_alu instid0(VALU_DEP_3) | instskip(NEXT) | instid1(VALU_DEP_3)
	v_and_b32_e32 v21, 0xffff00ff, v21
	v_cmp_gt_u32_e64 s2, s19, v22
	v_or_b32_e32 v22, 6, v19
	v_or_b32_e32 v19, 7, v19
	v_and_b32_e32 v20, 0xffffff, v20
	s_delay_alu instid0(VALU_DEP_4) | instskip(NEXT) | instid1(VALU_DEP_2)
	v_cndmask_b32_e64 v21, v21, v18, s2
	v_cndmask_b32_e64 v20, v20, v17, s3
	s_delay_alu instid0(VALU_DEP_2) | instskip(NEXT) | instid1(VALU_DEP_2)
	v_and_b32_e32 v21, 0xff00ffff, v21
	v_cndmask_b32_e32 v20, v20, v17, vcc_lo
	v_cmp_gt_u32_e32 vcc_lo, s19, v22
	s_delay_alu instid0(VALU_DEP_2) | instskip(NEXT) | instid1(VALU_DEP_1)
	v_cndmask_b32_e64 v20, v20, v17, s2
	v_dual_cndmask_b32 v21, v21, v18 :: v_dual_cndmask_b32 v20, v20, v17
	s_delay_alu instid0(VALU_DEP_1) | instskip(SKIP_1) | instid1(VALU_DEP_2)
	v_and_b32_e32 v21, 0xffffff, v21
	v_cmp_gt_u32_e32 vcc_lo, s19, v19
	v_dual_cndmask_b32 v18, v21, v18 :: v_dual_cndmask_b32 v17, v20, v17
.LBB651_63:
	s_delay_alu instid0(VALU_DEP_1) | instskip(NEXT) | instid1(VALU_DEP_2)
	v_and_b32_e32 v28, 0xff, v17
	v_alignbit_b32 v19, v18, v17, 24
	v_bfe_u32 v30, v17, 8, 8
	v_bfe_u32 v32, v17, 16, 8
	v_and_b32_e32 v36, 0xff, v18
	v_bfe_u32 v38, v18, 8, 8
	v_and_b32_e32 v34, 0xff, v19
	v_add_nc_u32_e32 v19, v30, v28
	s_waitcnt vmcnt(0) lgkmcnt(0)
	v_and_b32_e32 v20, 0x1e0, v0
	v_mbcnt_lo_u32_b32 v41, -1, 0
	v_bfe_u32 v40, v18, 16, 8
	v_lshrrev_b32_e32 v39, 24, v18
	v_add3_u32 v19, v19, v32, v34
	v_min_u32_e32 v20, 0x160, v20
	v_and_b32_e32 v21, 15, v41
	v_lshrrev_b32_e32 v42, 5, v0
	s_and_b32 vcc_lo, exec_lo, s9
	v_add3_u32 v19, v19, v36, v38
	v_or_b32_e32 v20, 31, v20
	v_cmp_eq_u32_e64 s4, 0, v21
	v_cmp_lt_u32_e64 s5, 1, v21
	v_cmp_lt_u32_e64 s3, 3, v21
	v_add3_u32 v43, v19, v40, v39
	v_and_b32_e32 v19, 16, v41
	v_cmp_lt_u32_e64 s2, 7, v21
	v_cmp_eq_u32_e64 s6, v20, v0
	s_mov_b32 s8, -1
	s_delay_alu instid0(VALU_DEP_3)
	v_cmp_eq_u32_e64 s7, 0, v19
	s_barrier
	buffer_gl0_inv
	s_cbranch_vccz .LBB651_94
; %bb.64:
	v_mov_b32_dpp v19, v43 row_shr:1 row_mask:0xf bank_mask:0xf
	s_delay_alu instid0(VALU_DEP_1) | instskip(NEXT) | instid1(VALU_DEP_1)
	v_cndmask_b32_e64 v19, v19, 0, s4
	v_add_nc_u32_e32 v19, v19, v43
	s_delay_alu instid0(VALU_DEP_1) | instskip(NEXT) | instid1(VALU_DEP_1)
	v_mov_b32_dpp v20, v19 row_shr:2 row_mask:0xf bank_mask:0xf
	v_cndmask_b32_e64 v20, 0, v20, s5
	s_delay_alu instid0(VALU_DEP_1) | instskip(NEXT) | instid1(VALU_DEP_1)
	v_add_nc_u32_e32 v19, v19, v20
	v_mov_b32_dpp v20, v19 row_shr:4 row_mask:0xf bank_mask:0xf
	s_delay_alu instid0(VALU_DEP_1) | instskip(NEXT) | instid1(VALU_DEP_1)
	v_cndmask_b32_e64 v20, 0, v20, s3
	v_add_nc_u32_e32 v19, v19, v20
	s_delay_alu instid0(VALU_DEP_1) | instskip(NEXT) | instid1(VALU_DEP_1)
	v_mov_b32_dpp v20, v19 row_shr:8 row_mask:0xf bank_mask:0xf
	v_cndmask_b32_e64 v20, 0, v20, s2
	s_delay_alu instid0(VALU_DEP_1) | instskip(SKIP_3) | instid1(VALU_DEP_1)
	v_add_nc_u32_e32 v19, v19, v20
	ds_swizzle_b32 v20, v19 offset:swizzle(BROADCAST,32,15)
	s_waitcnt lgkmcnt(0)
	v_cndmask_b32_e64 v20, v20, 0, s7
	v_add_nc_u32_e32 v19, v19, v20
	s_and_saveexec_b32 s8, s6
	s_cbranch_execz .LBB651_66
; %bb.65:
	v_lshlrev_b32_e32 v20, 2, v42
	ds_store_b32 v20, v19
.LBB651_66:
	s_or_b32 exec_lo, exec_lo, s8
	s_delay_alu instid0(SALU_CYCLE_1)
	s_mov_b32 s8, exec_lo
	s_waitcnt lgkmcnt(0)
	s_barrier
	buffer_gl0_inv
	v_cmpx_gt_u32_e32 12, v0
	s_cbranch_execz .LBB651_68
; %bb.67:
	v_lshlrev_b32_e32 v20, 2, v0
	ds_load_b32 v21, v20
	s_waitcnt lgkmcnt(0)
	v_mov_b32_dpp v22, v21 row_shr:1 row_mask:0xf bank_mask:0xf
	s_delay_alu instid0(VALU_DEP_1) | instskip(NEXT) | instid1(VALU_DEP_1)
	v_cndmask_b32_e64 v22, v22, 0, s4
	v_add_nc_u32_e32 v21, v22, v21
	s_delay_alu instid0(VALU_DEP_1) | instskip(NEXT) | instid1(VALU_DEP_1)
	v_mov_b32_dpp v22, v21 row_shr:2 row_mask:0xf bank_mask:0xf
	v_cndmask_b32_e64 v22, 0, v22, s5
	s_delay_alu instid0(VALU_DEP_1) | instskip(NEXT) | instid1(VALU_DEP_1)
	v_add_nc_u32_e32 v21, v21, v22
	v_mov_b32_dpp v22, v21 row_shr:4 row_mask:0xf bank_mask:0xf
	s_delay_alu instid0(VALU_DEP_1) | instskip(NEXT) | instid1(VALU_DEP_1)
	v_cndmask_b32_e64 v22, 0, v22, s3
	v_add_nc_u32_e32 v21, v21, v22
	s_delay_alu instid0(VALU_DEP_1) | instskip(NEXT) | instid1(VALU_DEP_1)
	v_mov_b32_dpp v22, v21 row_shr:8 row_mask:0xf bank_mask:0xf
	v_cndmask_b32_e64 v22, 0, v22, s2
	s_delay_alu instid0(VALU_DEP_1)
	v_add_nc_u32_e32 v21, v21, v22
	ds_store_b32 v20, v21
.LBB651_68:
	s_or_b32 exec_lo, exec_lo, s8
	v_cmp_gt_u32_e32 vcc_lo, 32, v0
	s_mov_b32 s9, exec_lo
	s_waitcnt lgkmcnt(0)
	s_barrier
	buffer_gl0_inv
                                        ; implicit-def: $vgpr27
	v_cmpx_lt_u32_e32 31, v0
	s_cbranch_execz .LBB651_70
; %bb.69:
	v_lshl_add_u32 v20, v42, 2, -4
	ds_load_b32 v27, v20
	s_waitcnt lgkmcnt(0)
	v_add_nc_u32_e32 v19, v27, v19
.LBB651_70:
	s_or_b32 exec_lo, exec_lo, s9
	v_add_nc_u32_e32 v20, -1, v41
	s_delay_alu instid0(VALU_DEP_1) | instskip(NEXT) | instid1(VALU_DEP_1)
	v_cmp_gt_i32_e64 s8, 0, v20
	v_cndmask_b32_e64 v20, v20, v41, s8
	v_cmp_eq_u32_e64 s8, 0, v41
	s_delay_alu instid0(VALU_DEP_2)
	v_lshlrev_b32_e32 v20, 2, v20
	ds_bpermute_b32 v29, v20, v19
	s_and_saveexec_b32 s9, vcc_lo
	s_cbranch_execz .LBB651_93
; %bb.71:
	v_mov_b32_e32 v23, 0
	ds_load_b32 v19, v23 offset:44
	s_and_saveexec_b32 s19, s8
	s_cbranch_execz .LBB651_73
; %bb.72:
	s_add_i32 s20, s15, 32
	s_mov_b32 s21, 0
	v_mov_b32_e32 v20, 1
	s_lshl_b64 s[20:21], s[20:21], 3
	s_delay_alu instid0(SALU_CYCLE_1)
	s_add_u32 s20, s12, s20
	s_addc_u32 s21, s13, s21
	s_waitcnt lgkmcnt(0)
	global_store_b64 v23, v[19:20], s[20:21]
.LBB651_73:
	s_or_b32 exec_lo, exec_lo, s19
	v_xad_u32 v21, v41, -1, s15
	s_mov_b32 s20, 0
	s_mov_b32 s19, exec_lo
	s_delay_alu instid0(VALU_DEP_1) | instskip(NEXT) | instid1(VALU_DEP_1)
	v_add_nc_u32_e32 v22, 32, v21
	v_lshlrev_b64 v[22:23], 3, v[22:23]
	s_delay_alu instid0(VALU_DEP_1) | instskip(NEXT) | instid1(VALU_DEP_2)
	v_add_co_u32 v25, vcc_lo, s12, v22
	v_add_co_ci_u32_e32 v26, vcc_lo, s13, v23, vcc_lo
	global_load_b64 v[23:24], v[25:26], off glc
	s_waitcnt vmcnt(0)
	v_and_b32_e32 v20, 0xff, v24
	s_delay_alu instid0(VALU_DEP_1)
	v_cmpx_eq_u16_e32 0, v20
	s_cbranch_execz .LBB651_79
; %bb.74:
	s_mov_b32 s21, 1
	.p2align	6
.LBB651_75:                             ; =>This Loop Header: Depth=1
                                        ;     Child Loop BB651_76 Depth 2
	s_delay_alu instid0(SALU_CYCLE_1)
	s_max_u32 s22, s21, 1
.LBB651_76:                             ;   Parent Loop BB651_75 Depth=1
                                        ; =>  This Inner Loop Header: Depth=2
	s_delay_alu instid0(SALU_CYCLE_1)
	s_add_i32 s22, s22, -1
	s_sleep 1
	s_cmp_eq_u32 s22, 0
	s_cbranch_scc0 .LBB651_76
; %bb.77:                               ;   in Loop: Header=BB651_75 Depth=1
	global_load_b64 v[23:24], v[25:26], off glc
	s_cmp_lt_u32 s21, 32
	s_cselect_b32 s22, -1, 0
	s_delay_alu instid0(SALU_CYCLE_1) | instskip(SKIP_3) | instid1(VALU_DEP_1)
	s_cmp_lg_u32 s22, 0
	s_addc_u32 s21, s21, 0
	s_waitcnt vmcnt(0)
	v_and_b32_e32 v20, 0xff, v24
	v_cmp_ne_u16_e32 vcc_lo, 0, v20
	s_or_b32 s20, vcc_lo, s20
	s_delay_alu instid0(SALU_CYCLE_1)
	s_and_not1_b32 exec_lo, exec_lo, s20
	s_cbranch_execnz .LBB651_75
; %bb.78:
	s_or_b32 exec_lo, exec_lo, s20
.LBB651_79:
	s_delay_alu instid0(SALU_CYCLE_1)
	s_or_b32 exec_lo, exec_lo, s19
	v_cmp_ne_u32_e32 vcc_lo, 31, v41
	v_lshlrev_b32_e64 v33, v41, -1
	v_add_nc_u32_e32 v37, 2, v41
	v_add_nc_u32_e32 v45, 4, v41
	v_add_nc_u32_e32 v47, 8, v41
	v_add_co_ci_u32_e32 v20, vcc_lo, 0, v41, vcc_lo
	v_add_nc_u32_e32 v49, 16, v41
	s_delay_alu instid0(VALU_DEP_2)
	v_lshlrev_b32_e32 v31, 2, v20
	v_and_b32_e32 v20, 0xff, v24
	ds_bpermute_b32 v22, v31, v23
	v_cmp_eq_u16_e32 vcc_lo, 2, v20
	v_and_or_b32 v20, vcc_lo, v33, 0x80000000
	v_cmp_gt_u32_e32 vcc_lo, 30, v41
	s_delay_alu instid0(VALU_DEP_2) | instskip(SKIP_1) | instid1(VALU_DEP_2)
	v_ctz_i32_b32_e32 v20, v20
	v_cndmask_b32_e64 v25, 0, 1, vcc_lo
	v_cmp_lt_u32_e32 vcc_lo, v41, v20
	s_waitcnt lgkmcnt(0)
	s_delay_alu instid0(VALU_DEP_2) | instskip(NEXT) | instid1(VALU_DEP_1)
	v_dual_cndmask_b32 v22, 0, v22 :: v_dual_lshlrev_b32 v25, 1, v25
	v_add_lshl_u32 v35, v25, v41, 2
	v_cmp_gt_u32_e32 vcc_lo, 28, v41
	s_delay_alu instid0(VALU_DEP_3) | instskip(SKIP_4) | instid1(VALU_DEP_1)
	v_add_nc_u32_e32 v22, v22, v23
	v_cndmask_b32_e64 v25, 0, 1, vcc_lo
	v_cmp_le_u32_e32 vcc_lo, v37, v20
	ds_bpermute_b32 v23, v35, v22
	v_lshlrev_b32_e32 v25, 2, v25
	v_add_lshl_u32 v44, v25, v41, 2
	s_waitcnt lgkmcnt(0)
	v_cndmask_b32_e32 v23, 0, v23, vcc_lo
	v_cmp_gt_u32_e32 vcc_lo, 24, v41
	s_delay_alu instid0(VALU_DEP_2) | instskip(SKIP_4) | instid1(VALU_DEP_1)
	v_add_nc_u32_e32 v22, v22, v23
	v_cndmask_b32_e64 v25, 0, 1, vcc_lo
	v_cmp_le_u32_e32 vcc_lo, v45, v20
	ds_bpermute_b32 v23, v44, v22
	v_lshlrev_b32_e32 v25, 3, v25
	v_add_lshl_u32 v46, v25, v41, 2
	s_waitcnt lgkmcnt(0)
	v_cndmask_b32_e32 v23, 0, v23, vcc_lo
	v_cmp_gt_u32_e32 vcc_lo, 16, v41
	s_delay_alu instid0(VALU_DEP_2) | instskip(SKIP_4) | instid1(VALU_DEP_1)
	v_add_nc_u32_e32 v22, v22, v23
	v_cndmask_b32_e64 v25, 0, 1, vcc_lo
	v_cmp_le_u32_e32 vcc_lo, v47, v20
	ds_bpermute_b32 v23, v46, v22
	v_lshlrev_b32_e32 v25, 4, v25
	v_add_lshl_u32 v48, v25, v41, 2
	s_waitcnt lgkmcnt(0)
	v_cndmask_b32_e32 v23, 0, v23, vcc_lo
	v_cmp_le_u32_e32 vcc_lo, v49, v20
	s_delay_alu instid0(VALU_DEP_2) | instskip(SKIP_3) | instid1(VALU_DEP_1)
	v_add_nc_u32_e32 v22, v22, v23
	ds_bpermute_b32 v23, v48, v22
	s_waitcnt lgkmcnt(0)
	v_cndmask_b32_e32 v20, 0, v23, vcc_lo
	v_dual_mov_b32 v22, 0 :: v_dual_add_nc_u32 v23, v22, v20
	s_branch .LBB651_81
.LBB651_80:                             ;   in Loop: Header=BB651_81 Depth=1
	s_or_b32 exec_lo, exec_lo, s19
	ds_bpermute_b32 v26, v31, v23
	v_and_b32_e32 v25, 0xff, v24
	v_subrev_nc_u32_e32 v21, 32, v21
	s_delay_alu instid0(VALU_DEP_2) | instskip(SKIP_1) | instid1(VALU_DEP_1)
	v_cmp_eq_u16_e32 vcc_lo, 2, v25
	v_and_or_b32 v25, vcc_lo, v33, 0x80000000
	v_ctz_i32_b32_e32 v25, v25
	s_delay_alu instid0(VALU_DEP_1) | instskip(SKIP_3) | instid1(VALU_DEP_2)
	v_cmp_lt_u32_e32 vcc_lo, v41, v25
	s_waitcnt lgkmcnt(0)
	v_cndmask_b32_e32 v26, 0, v26, vcc_lo
	v_cmp_le_u32_e32 vcc_lo, v37, v25
	v_add_nc_u32_e32 v23, v26, v23
	ds_bpermute_b32 v26, v35, v23
	s_waitcnt lgkmcnt(0)
	v_cndmask_b32_e32 v26, 0, v26, vcc_lo
	v_cmp_le_u32_e32 vcc_lo, v45, v25
	s_delay_alu instid0(VALU_DEP_2) | instskip(SKIP_4) | instid1(VALU_DEP_2)
	v_add_nc_u32_e32 v23, v23, v26
	ds_bpermute_b32 v26, v44, v23
	s_waitcnt lgkmcnt(0)
	v_cndmask_b32_e32 v26, 0, v26, vcc_lo
	v_cmp_le_u32_e32 vcc_lo, v47, v25
	v_add_nc_u32_e32 v23, v23, v26
	ds_bpermute_b32 v26, v46, v23
	s_waitcnt lgkmcnt(0)
	v_cndmask_b32_e32 v26, 0, v26, vcc_lo
	v_cmp_le_u32_e32 vcc_lo, v49, v25
	s_delay_alu instid0(VALU_DEP_2) | instskip(SKIP_3) | instid1(VALU_DEP_1)
	v_add_nc_u32_e32 v23, v23, v26
	ds_bpermute_b32 v26, v48, v23
	s_waitcnt lgkmcnt(0)
	v_cndmask_b32_e32 v25, 0, v26, vcc_lo
	v_add3_u32 v23, v25, v20, v23
.LBB651_81:                             ; =>This Loop Header: Depth=1
                                        ;     Child Loop BB651_84 Depth 2
                                        ;       Child Loop BB651_85 Depth 3
	v_and_b32_e32 v20, 0xff, v24
	s_delay_alu instid0(VALU_DEP_1) | instskip(SKIP_2) | instid1(VALU_DEP_1)
	v_cmp_ne_u16_e32 vcc_lo, 2, v20
	v_cndmask_b32_e64 v20, 0, 1, vcc_lo
	;;#ASMSTART
	;;#ASMEND
	v_cmp_ne_u32_e32 vcc_lo, 0, v20
	v_mov_b32_e32 v20, v23
	s_cmp_lg_u32 vcc_lo, exec_lo
	s_cbranch_scc1 .LBB651_88
; %bb.82:                               ;   in Loop: Header=BB651_81 Depth=1
	v_lshlrev_b64 v[23:24], 3, v[21:22]
	s_mov_b32 s19, exec_lo
	s_delay_alu instid0(VALU_DEP_1) | instskip(NEXT) | instid1(VALU_DEP_2)
	v_add_co_u32 v25, vcc_lo, s12, v23
	v_add_co_ci_u32_e32 v26, vcc_lo, s13, v24, vcc_lo
	global_load_b64 v[23:24], v[25:26], off glc
	s_waitcnt vmcnt(0)
	v_and_b32_e32 v50, 0xff, v24
	s_delay_alu instid0(VALU_DEP_1)
	v_cmpx_eq_u16_e32 0, v50
	s_cbranch_execz .LBB651_80
; %bb.83:                               ;   in Loop: Header=BB651_81 Depth=1
	s_mov_b32 s21, 1
	s_mov_b32 s20, 0
	.p2align	6
.LBB651_84:                             ;   Parent Loop BB651_81 Depth=1
                                        ; =>  This Loop Header: Depth=2
                                        ;       Child Loop BB651_85 Depth 3
	s_max_u32 s22, s21, 1
.LBB651_85:                             ;   Parent Loop BB651_81 Depth=1
                                        ;     Parent Loop BB651_84 Depth=2
                                        ; =>    This Inner Loop Header: Depth=3
	s_delay_alu instid0(SALU_CYCLE_1)
	s_add_i32 s22, s22, -1
	s_sleep 1
	s_cmp_eq_u32 s22, 0
	s_cbranch_scc0 .LBB651_85
; %bb.86:                               ;   in Loop: Header=BB651_84 Depth=2
	global_load_b64 v[23:24], v[25:26], off glc
	s_cmp_lt_u32 s21, 32
	s_cselect_b32 s22, -1, 0
	s_delay_alu instid0(SALU_CYCLE_1) | instskip(SKIP_3) | instid1(VALU_DEP_1)
	s_cmp_lg_u32 s22, 0
	s_addc_u32 s21, s21, 0
	s_waitcnt vmcnt(0)
	v_and_b32_e32 v50, 0xff, v24
	v_cmp_ne_u16_e32 vcc_lo, 0, v50
	s_or_b32 s20, vcc_lo, s20
	s_delay_alu instid0(SALU_CYCLE_1)
	s_and_not1_b32 exec_lo, exec_lo, s20
	s_cbranch_execnz .LBB651_84
; %bb.87:                               ;   in Loop: Header=BB651_81 Depth=1
	s_or_b32 exec_lo, exec_lo, s20
	s_branch .LBB651_80
.LBB651_88:                             ;   in Loop: Header=BB651_81 Depth=1
                                        ; implicit-def: $vgpr23
                                        ; implicit-def: $vgpr24
	s_cbranch_execz .LBB651_81
; %bb.89:
	s_and_saveexec_b32 s19, s8
	s_cbranch_execz .LBB651_91
; %bb.90:
	s_add_i32 s20, s15, 32
	s_mov_b32 s21, 0
	v_dual_mov_b32 v22, 2 :: v_dual_add_nc_u32 v21, v20, v19
	s_lshl_b64 s[20:21], s[20:21], 3
	v_mov_b32_e32 v23, 0
	s_add_u32 s20, s12, s20
	s_addc_u32 s21, s13, s21
	global_store_b64 v23, v[21:22], s[20:21]
	ds_store_b64 v23, v[19:20] offset:12672
.LBB651_91:
	s_or_b32 exec_lo, exec_lo, s19
	v_cmp_eq_u32_e32 vcc_lo, 0, v0
	s_and_b32 exec_lo, exec_lo, vcc_lo
	s_cbranch_execz .LBB651_93
; %bb.92:
	v_mov_b32_e32 v19, 0
	ds_store_b32 v19, v20 offset:44
.LBB651_93:
	s_or_b32 exec_lo, exec_lo, s9
	v_mov_b32_e32 v19, 0
	s_waitcnt lgkmcnt(0)
	s_waitcnt_vscnt null, 0x0
	s_barrier
	buffer_gl0_inv
	v_cndmask_b32_e64 v21, v29, v27, s8
	ds_load_b32 v20, v19 offset:44
	v_cmp_ne_u32_e32 vcc_lo, 0, v0
	s_waitcnt lgkmcnt(0)
	s_barrier
	buffer_gl0_inv
	v_cndmask_b32_e32 v21, 0, v21, vcc_lo
	s_delay_alu instid0(VALU_DEP_1) | instskip(SKIP_2) | instid1(VALU_DEP_1)
	v_add_nc_u32_e32 v37, v20, v21
	ds_load_b64 v[19:20], v19 offset:12672
	v_add_nc_u32_e32 v35, v37, v28
	v_add_nc_u32_e32 v33, v35, v30
	s_delay_alu instid0(VALU_DEP_1) | instskip(NEXT) | instid1(VALU_DEP_1)
	v_add_nc_u32_e32 v31, v33, v32
	v_add_nc_u32_e32 v29, v31, v34
	s_delay_alu instid0(VALU_DEP_1) | instskip(NEXT) | instid1(VALU_DEP_1)
	v_add_nc_u32_e32 v27, v29, v36
	v_add_nc_u32_e32 v25, v27, v38
	s_delay_alu instid0(VALU_DEP_1)
	v_add_nc_u32_e32 v23, v25, v40
	v_lshrrev_b64 v[21:22], 24, v[17:18]
	s_branch .LBB651_104
.LBB651_94:
                                        ; implicit-def: $vgpr23
                                        ; implicit-def: $vgpr25
                                        ; implicit-def: $vgpr27
                                        ; implicit-def: $vgpr29
                                        ; implicit-def: $vgpr31
                                        ; implicit-def: $vgpr33
                                        ; implicit-def: $vgpr35
                                        ; implicit-def: $vgpr37
                                        ; implicit-def: $vgpr20
	v_lshrrev_b64 v[21:22], 24, v[17:18]
	s_and_b32 vcc_lo, exec_lo, s8
	s_cbranch_vccz .LBB651_104
; %bb.95:
	s_waitcnt lgkmcnt(0)
	v_mov_b32_dpp v19, v43 row_shr:1 row_mask:0xf bank_mask:0xf
	s_delay_alu instid0(VALU_DEP_1) | instskip(NEXT) | instid1(VALU_DEP_1)
	v_cndmask_b32_e64 v19, v19, 0, s4
	v_add_nc_u32_e32 v19, v19, v43
	s_delay_alu instid0(VALU_DEP_1) | instskip(NEXT) | instid1(VALU_DEP_1)
	v_mov_b32_dpp v20, v19 row_shr:2 row_mask:0xf bank_mask:0xf
	v_cndmask_b32_e64 v20, 0, v20, s5
	s_delay_alu instid0(VALU_DEP_1) | instskip(NEXT) | instid1(VALU_DEP_1)
	v_add_nc_u32_e32 v19, v19, v20
	v_mov_b32_dpp v20, v19 row_shr:4 row_mask:0xf bank_mask:0xf
	s_delay_alu instid0(VALU_DEP_1) | instskip(NEXT) | instid1(VALU_DEP_1)
	v_cndmask_b32_e64 v20, 0, v20, s3
	v_add_nc_u32_e32 v19, v19, v20
	s_delay_alu instid0(VALU_DEP_1) | instskip(NEXT) | instid1(VALU_DEP_1)
	v_mov_b32_dpp v20, v19 row_shr:8 row_mask:0xf bank_mask:0xf
	v_cndmask_b32_e64 v20, 0, v20, s2
	s_delay_alu instid0(VALU_DEP_1) | instskip(SKIP_3) | instid1(VALU_DEP_1)
	v_add_nc_u32_e32 v19, v19, v20
	ds_swizzle_b32 v20, v19 offset:swizzle(BROADCAST,32,15)
	s_waitcnt lgkmcnt(0)
	v_cndmask_b32_e64 v20, v20, 0, s7
	v_add_nc_u32_e32 v19, v19, v20
	s_and_saveexec_b32 s7, s6
	s_cbranch_execz .LBB651_97
; %bb.96:
	v_lshlrev_b32_e32 v20, 2, v42
	ds_store_b32 v20, v19
.LBB651_97:
	s_or_b32 exec_lo, exec_lo, s7
	s_delay_alu instid0(SALU_CYCLE_1)
	s_mov_b32 s6, exec_lo
	s_waitcnt lgkmcnt(0)
	s_barrier
	buffer_gl0_inv
	v_cmpx_gt_u32_e32 12, v0
	s_cbranch_execz .LBB651_99
; %bb.98:
	v_lshlrev_b32_e32 v20, 2, v0
	ds_load_b32 v22, v20
	s_waitcnt lgkmcnt(0)
	v_mov_b32_dpp v23, v22 row_shr:1 row_mask:0xf bank_mask:0xf
	s_delay_alu instid0(VALU_DEP_1) | instskip(NEXT) | instid1(VALU_DEP_1)
	v_cndmask_b32_e64 v23, v23, 0, s4
	v_add_nc_u32_e32 v22, v23, v22
	s_delay_alu instid0(VALU_DEP_1) | instskip(NEXT) | instid1(VALU_DEP_1)
	v_mov_b32_dpp v23, v22 row_shr:2 row_mask:0xf bank_mask:0xf
	v_cndmask_b32_e64 v23, 0, v23, s5
	s_delay_alu instid0(VALU_DEP_1) | instskip(NEXT) | instid1(VALU_DEP_1)
	v_add_nc_u32_e32 v22, v22, v23
	v_mov_b32_dpp v23, v22 row_shr:4 row_mask:0xf bank_mask:0xf
	s_delay_alu instid0(VALU_DEP_1) | instskip(NEXT) | instid1(VALU_DEP_1)
	v_cndmask_b32_e64 v23, 0, v23, s3
	v_add_nc_u32_e32 v22, v22, v23
	s_delay_alu instid0(VALU_DEP_1) | instskip(NEXT) | instid1(VALU_DEP_1)
	v_mov_b32_dpp v23, v22 row_shr:8 row_mask:0xf bank_mask:0xf
	v_cndmask_b32_e64 v23, 0, v23, s2
	s_delay_alu instid0(VALU_DEP_1)
	v_add_nc_u32_e32 v22, v22, v23
	ds_store_b32 v20, v22
.LBB651_99:
	s_or_b32 exec_lo, exec_lo, s6
	v_mov_b32_e32 v20, 0
	v_mov_b32_e32 v22, 0
	s_mov_b32 s2, exec_lo
	s_waitcnt lgkmcnt(0)
	s_barrier
	buffer_gl0_inv
	v_cmpx_lt_u32_e32 31, v0
	s_cbranch_execz .LBB651_101
; %bb.100:
	v_lshl_add_u32 v22, v42, 2, -4
	ds_load_b32 v22, v22
.LBB651_101:
	s_or_b32 exec_lo, exec_lo, s2
	v_add_nc_u32_e32 v23, -1, v41
	s_waitcnt lgkmcnt(0)
	v_add_nc_u32_e32 v19, v22, v19
	s_delay_alu instid0(VALU_DEP_2) | instskip(SKIP_2) | instid1(VALU_DEP_2)
	v_cmp_gt_i32_e32 vcc_lo, 0, v23
	v_cndmask_b32_e32 v23, v23, v41, vcc_lo
	v_cmp_eq_u32_e32 vcc_lo, 0, v0
	v_lshlrev_b32_e32 v23, 2, v23
	ds_bpermute_b32 v23, v23, v19
	ds_load_b32 v19, v20 offset:44
	s_and_saveexec_b32 s2, vcc_lo
	s_cbranch_execz .LBB651_103
; %bb.102:
	v_mov_b32_e32 v24, 0
	v_mov_b32_e32 v20, 2
	s_waitcnt lgkmcnt(0)
	global_store_b64 v24, v[19:20], s[12:13] offset:256
.LBB651_103:
	s_or_b32 exec_lo, exec_lo, s2
	v_cmp_eq_u32_e64 s2, 0, v41
	s_waitcnt lgkmcnt(0)
	s_waitcnt_vscnt null, 0x0
	s_barrier
	buffer_gl0_inv
	v_cndmask_b32_e64 v20, v23, v22, s2
	s_delay_alu instid0(VALU_DEP_1) | instskip(NEXT) | instid1(VALU_DEP_1)
	v_cndmask_b32_e64 v37, v20, 0, vcc_lo
	v_dual_mov_b32 v20, 0 :: v_dual_add_nc_u32 v35, v37, v28
	s_delay_alu instid0(VALU_DEP_1) | instskip(NEXT) | instid1(VALU_DEP_1)
	v_add_nc_u32_e32 v33, v35, v30
	v_add_nc_u32_e32 v31, v33, v32
	s_delay_alu instid0(VALU_DEP_1) | instskip(NEXT) | instid1(VALU_DEP_1)
	v_add_nc_u32_e32 v29, v31, v34
	v_add_nc_u32_e32 v27, v29, v36
	;; [unrolled: 3-line block ×3, first 2 shown]
.LBB651_104:
	s_load_b128 s[4:7], s[0:1], 0x28
	s_waitcnt lgkmcnt(0)
	v_add_nc_u32_e32 v43, v20, v19
	v_cmp_gt_u32_e64 s0, 0x181, v19
	v_lshrrev_b32_e32 v42, 8, v17
	v_lshrrev_b32_e32 v41, 16, v17
	;; [unrolled: 1-line block ×4, first 2 shown]
	v_cmp_lt_u32_e64 s1, v37, v43
	s_and_b32 vcc_lo, exec_lo, s0
	s_mov_b32 s2, -1
	s_cbranch_vccz .LBB651_130
; %bb.105:
	s_lshl_b64 s[2:3], s[10:11], 2
	s_delay_alu instid0(SALU_CYCLE_1) | instskip(SKIP_2) | instid1(SALU_CYCLE_1)
	s_add_u32 s2, s4, s2
	s_addc_u32 s3, s5, s3
	s_or_b32 s8, s18, s1
	s_and_saveexec_b32 s1, s8
	s_cbranch_execz .LBB651_108
; %bb.106:
	v_and_b32_e32 v24, 1, v17
	s_delay_alu instid0(VALU_DEP_1)
	v_cmp_eq_u32_e32 vcc_lo, 1, v24
	s_and_b32 exec_lo, exec_lo, vcc_lo
	s_cbranch_execz .LBB651_108
; %bb.107:
	v_mov_b32_e32 v38, 0
	s_delay_alu instid0(VALU_DEP_1) | instskip(NEXT) | instid1(VALU_DEP_1)
	v_lshlrev_b64 v[44:45], 2, v[37:38]
	v_add_co_u32 v44, vcc_lo, s2, v44
	s_delay_alu instid0(VALU_DEP_2)
	v_add_co_ci_u32_e32 v45, vcc_lo, s3, v45, vcc_lo
	global_store_b32 v[44:45], v15, off
.LBB651_108:
	s_or_b32 exec_lo, exec_lo, s1
	v_cmp_lt_u32_e32 vcc_lo, v35, v43
	s_or_b32 s8, s18, vcc_lo
	s_delay_alu instid0(SALU_CYCLE_1)
	s_and_saveexec_b32 s1, s8
	s_cbranch_execz .LBB651_111
; %bb.109:
	v_and_b32_e32 v24, 1, v42
	s_delay_alu instid0(VALU_DEP_1)
	v_cmp_eq_u32_e32 vcc_lo, 1, v24
	s_and_b32 exec_lo, exec_lo, vcc_lo
	s_cbranch_execz .LBB651_111
; %bb.110:
	v_mov_b32_e32 v36, 0
	s_delay_alu instid0(VALU_DEP_1) | instskip(NEXT) | instid1(VALU_DEP_1)
	v_lshlrev_b64 v[44:45], 2, v[35:36]
	v_add_co_u32 v44, vcc_lo, s2, v44
	s_delay_alu instid0(VALU_DEP_2)
	v_add_co_ci_u32_e32 v45, vcc_lo, s3, v45, vcc_lo
	global_store_b32 v[44:45], v16, off
.LBB651_111:
	s_or_b32 exec_lo, exec_lo, s1
	v_cmp_lt_u32_e32 vcc_lo, v33, v43
	s_or_b32 s8, s18, vcc_lo
	s_delay_alu instid0(SALU_CYCLE_1)
	s_and_saveexec_b32 s1, s8
	s_cbranch_execz .LBB651_114
; %bb.112:
	v_and_b32_e32 v24, 1, v41
	s_delay_alu instid0(VALU_DEP_1)
	v_cmp_eq_u32_e32 vcc_lo, 1, v24
	s_and_b32 exec_lo, exec_lo, vcc_lo
	s_cbranch_execz .LBB651_114
; %bb.113:
	v_mov_b32_e32 v34, 0
	s_delay_alu instid0(VALU_DEP_1) | instskip(NEXT) | instid1(VALU_DEP_1)
	v_lshlrev_b64 v[44:45], 2, v[33:34]
	v_add_co_u32 v44, vcc_lo, s2, v44
	s_delay_alu instid0(VALU_DEP_2)
	v_add_co_ci_u32_e32 v45, vcc_lo, s3, v45, vcc_lo
	global_store_b32 v[44:45], v13, off
.LBB651_114:
	s_or_b32 exec_lo, exec_lo, s1
	v_cmp_lt_u32_e32 vcc_lo, v31, v43
	s_or_b32 s8, s18, vcc_lo
	s_delay_alu instid0(SALU_CYCLE_1)
	s_and_saveexec_b32 s1, s8
	s_cbranch_execz .LBB651_117
; %bb.115:
	v_and_b32_e32 v24, 1, v21
	s_delay_alu instid0(VALU_DEP_1)
	v_cmp_eq_u32_e32 vcc_lo, 1, v24
	s_and_b32 exec_lo, exec_lo, vcc_lo
	s_cbranch_execz .LBB651_117
; %bb.116:
	v_mov_b32_e32 v32, 0
	s_delay_alu instid0(VALU_DEP_1) | instskip(NEXT) | instid1(VALU_DEP_1)
	v_lshlrev_b64 v[44:45], 2, v[31:32]
	v_add_co_u32 v44, vcc_lo, s2, v44
	s_delay_alu instid0(VALU_DEP_2)
	v_add_co_ci_u32_e32 v45, vcc_lo, s3, v45, vcc_lo
	global_store_b32 v[44:45], v14, off
.LBB651_117:
	s_or_b32 exec_lo, exec_lo, s1
	v_cmp_lt_u32_e32 vcc_lo, v29, v43
	s_or_b32 s8, s18, vcc_lo
	s_delay_alu instid0(SALU_CYCLE_1)
	s_and_saveexec_b32 s1, s8
	s_cbranch_execz .LBB651_120
; %bb.118:
	v_and_b32_e32 v24, 1, v18
	s_delay_alu instid0(VALU_DEP_1)
	v_cmp_eq_u32_e32 vcc_lo, 1, v24
	s_and_b32 exec_lo, exec_lo, vcc_lo
	s_cbranch_execz .LBB651_120
; %bb.119:
	v_mov_b32_e32 v30, 0
	s_delay_alu instid0(VALU_DEP_1) | instskip(NEXT) | instid1(VALU_DEP_1)
	v_lshlrev_b64 v[44:45], 2, v[29:30]
	v_add_co_u32 v44, vcc_lo, s2, v44
	s_delay_alu instid0(VALU_DEP_2)
	v_add_co_ci_u32_e32 v45, vcc_lo, s3, v45, vcc_lo
	global_store_b32 v[44:45], v11, off
.LBB651_120:
	s_or_b32 exec_lo, exec_lo, s1
	v_cmp_lt_u32_e32 vcc_lo, v27, v43
	s_or_b32 s8, s18, vcc_lo
	s_delay_alu instid0(SALU_CYCLE_1)
	s_and_saveexec_b32 s1, s8
	s_cbranch_execz .LBB651_123
; %bb.121:
	v_and_b32_e32 v24, 1, v40
	s_delay_alu instid0(VALU_DEP_1)
	v_cmp_eq_u32_e32 vcc_lo, 1, v24
	s_and_b32 exec_lo, exec_lo, vcc_lo
	s_cbranch_execz .LBB651_123
; %bb.122:
	v_mov_b32_e32 v28, 0
	s_delay_alu instid0(VALU_DEP_1) | instskip(NEXT) | instid1(VALU_DEP_1)
	v_lshlrev_b64 v[44:45], 2, v[27:28]
	v_add_co_u32 v44, vcc_lo, s2, v44
	s_delay_alu instid0(VALU_DEP_2)
	v_add_co_ci_u32_e32 v45, vcc_lo, s3, v45, vcc_lo
	global_store_b32 v[44:45], v12, off
.LBB651_123:
	s_or_b32 exec_lo, exec_lo, s1
	v_cmp_lt_u32_e32 vcc_lo, v25, v43
	s_or_b32 s8, s18, vcc_lo
	s_delay_alu instid0(SALU_CYCLE_1)
	s_and_saveexec_b32 s1, s8
	s_cbranch_execz .LBB651_126
; %bb.124:
	v_and_b32_e32 v24, 1, v22
	s_delay_alu instid0(VALU_DEP_1)
	v_cmp_eq_u32_e32 vcc_lo, 1, v24
	s_and_b32 exec_lo, exec_lo, vcc_lo
	s_cbranch_execz .LBB651_126
; %bb.125:
	v_mov_b32_e32 v26, 0
	s_delay_alu instid0(VALU_DEP_1) | instskip(NEXT) | instid1(VALU_DEP_1)
	v_lshlrev_b64 v[44:45], 2, v[25:26]
	v_add_co_u32 v44, vcc_lo, s2, v44
	s_delay_alu instid0(VALU_DEP_2)
	v_add_co_ci_u32_e32 v45, vcc_lo, s3, v45, vcc_lo
	global_store_b32 v[44:45], v9, off
.LBB651_126:
	s_or_b32 exec_lo, exec_lo, s1
	v_cmp_lt_u32_e32 vcc_lo, v23, v43
	s_or_b32 s8, s18, vcc_lo
	s_delay_alu instid0(SALU_CYCLE_1)
	s_and_saveexec_b32 s1, s8
	s_cbranch_execz .LBB651_129
; %bb.127:
	v_and_b32_e32 v24, 1, v39
	s_delay_alu instid0(VALU_DEP_1)
	v_cmp_eq_u32_e32 vcc_lo, 1, v24
	s_and_b32 exec_lo, exec_lo, vcc_lo
	s_cbranch_execz .LBB651_129
; %bb.128:
	v_mov_b32_e32 v24, 0
	s_delay_alu instid0(VALU_DEP_1) | instskip(NEXT) | instid1(VALU_DEP_1)
	v_lshlrev_b64 v[44:45], 2, v[23:24]
	v_add_co_u32 v44, vcc_lo, s2, v44
	s_delay_alu instid0(VALU_DEP_2)
	v_add_co_ci_u32_e32 v45, vcc_lo, s3, v45, vcc_lo
	global_store_b32 v[44:45], v10, off
.LBB651_129:
	s_or_b32 exec_lo, exec_lo, s1
	s_mov_b32 s2, 0
.LBB651_130:
	v_and_b32_e32 v17, 1, v17
	s_and_b32 vcc_lo, exec_lo, s2
	s_delay_alu instid0(VALU_DEP_1)
	v_cmp_eq_u32_e64 s1, 1, v17
	s_cbranch_vccz .LBB651_151
; %bb.131:
	s_delay_alu instid0(VALU_DEP_1)
	s_and_saveexec_b32 s2, s1
	s_cbranch_execz .LBB651_133
; %bb.132:
	v_sub_nc_u32_e32 v24, v37, v20
	s_delay_alu instid0(VALU_DEP_1)
	v_lshlrev_b32_e32 v24, 2, v24
	ds_store_b32 v24, v15
.LBB651_133:
	s_or_b32 exec_lo, exec_lo, s2
	v_and_b32_e32 v15, 1, v42
	s_mov_b32 s1, exec_lo
	s_delay_alu instid0(VALU_DEP_1)
	v_cmpx_eq_u32_e32 1, v15
	s_cbranch_execz .LBB651_135
; %bb.134:
	v_sub_nc_u32_e32 v15, v35, v20
	s_delay_alu instid0(VALU_DEP_1)
	v_lshlrev_b32_e32 v15, 2, v15
	ds_store_b32 v15, v16
.LBB651_135:
	s_or_b32 exec_lo, exec_lo, s1
	v_and_b32_e32 v15, 1, v41
	s_mov_b32 s1, exec_lo
	s_delay_alu instid0(VALU_DEP_1)
	v_cmpx_eq_u32_e32 1, v15
	;; [unrolled: 12-line block ×7, first 2 shown]
	s_cbranch_execz .LBB651_147
; %bb.146:
	v_sub_nc_u32_e32 v9, v23, v20
	s_delay_alu instid0(VALU_DEP_1)
	v_lshlrev_b32_e32 v9, 2, v9
	ds_store_b32 v9, v10
.LBB651_147:
	s_or_b32 exec_lo, exec_lo, s1
	s_delay_alu instid0(SALU_CYCLE_1)
	s_mov_b32 s2, exec_lo
	s_waitcnt lgkmcnt(0)
	s_waitcnt_vscnt null, 0x0
	s_barrier
	buffer_gl0_inv
	v_cmpx_lt_u32_e64 v0, v19
	s_cbranch_execz .LBB651_150
; %bb.148:
	v_dual_mov_b32 v10, 0 :: v_dual_mov_b32 v9, v20
	s_lshl_b64 s[8:9], s[10:11], 2
	v_lshlrev_b32_e32 v11, 2, v0
	s_add_u32 s1, s4, s8
	s_addc_u32 s3, s5, s9
	v_lshlrev_b64 v[12:13], 2, v[9:10]
	v_mov_b32_e32 v9, v0
	s_delay_alu instid0(VALU_DEP_2) | instskip(NEXT) | instid1(VALU_DEP_3)
	v_add_co_u32 v12, vcc_lo, s1, v12
	v_add_co_ci_u32_e32 v13, vcc_lo, s3, v13, vcc_lo
	s_mov_b32 s3, 0
	.p2align	6
.LBB651_149:                            ; =>This Inner Loop Header: Depth=1
	ds_load_b32 v16, v11
	v_lshlrev_b64 v[14:15], 2, v[9:10]
	v_add_nc_u32_e32 v9, 0x180, v9
	v_add_nc_u32_e32 v11, 0x600, v11
	s_delay_alu instid0(VALU_DEP_2) | instskip(NEXT) | instid1(VALU_DEP_4)
	v_cmp_ge_u32_e32 vcc_lo, v9, v19
	v_add_co_u32 v14, s1, v12, v14
	s_delay_alu instid0(VALU_DEP_1)
	v_add_co_ci_u32_e64 v15, s1, v13, v15, s1
	s_or_b32 s3, vcc_lo, s3
	s_waitcnt lgkmcnt(0)
	global_store_b32 v[14:15], v16, off
	s_and_not1_b32 exec_lo, exec_lo, s3
	s_cbranch_execnz .LBB651_149
.LBB651_150:
	s_or_b32 exec_lo, exec_lo, s2
.LBB651_151:
	s_delay_alu instid0(SALU_CYCLE_1)
	s_and_b32 vcc_lo, exec_lo, s0
	s_mov_b32 s0, -1
	s_waitcnt_vscnt null, 0x0
	s_barrier
	buffer_gl0_inv
	s_cbranch_vccz .LBB651_179
; %bb.152:
	v_cmp_lt_u32_e32 vcc_lo, v37, v43
	s_lshl_b64 s[0:1], s[10:11], 2
	s_delay_alu instid0(SALU_CYCLE_1) | instskip(SKIP_2) | instid1(SALU_CYCLE_1)
	s_add_u32 s0, s6, s0
	s_addc_u32 s1, s7, s1
	s_or_b32 s3, s18, vcc_lo
	s_and_saveexec_b32 s2, s3
	s_cbranch_execz .LBB651_155
; %bb.153:
	v_cmp_eq_u32_e32 vcc_lo, 1, v17
	s_and_b32 exec_lo, exec_lo, vcc_lo
	s_cbranch_execz .LBB651_155
; %bb.154:
	v_mov_b32_e32 v38, 0
	s_delay_alu instid0(VALU_DEP_1) | instskip(NEXT) | instid1(VALU_DEP_1)
	v_lshlrev_b64 v[9:10], 2, v[37:38]
	v_add_co_u32 v9, vcc_lo, s0, v9
	s_delay_alu instid0(VALU_DEP_2)
	v_add_co_ci_u32_e32 v10, vcc_lo, s1, v10, vcc_lo
	global_store_b32 v[9:10], v7, off
.LBB651_155:
	s_or_b32 exec_lo, exec_lo, s2
	v_cmp_lt_u32_e32 vcc_lo, v35, v43
	s_or_b32 s3, s18, vcc_lo
	s_delay_alu instid0(SALU_CYCLE_1)
	s_and_saveexec_b32 s2, s3
	s_cbranch_execz .LBB651_158
; %bb.156:
	v_and_b32_e32 v9, 1, v42
	s_delay_alu instid0(VALU_DEP_1)
	v_cmp_eq_u32_e32 vcc_lo, 1, v9
	s_and_b32 exec_lo, exec_lo, vcc_lo
	s_cbranch_execz .LBB651_158
; %bb.157:
	v_mov_b32_e32 v36, 0
	s_delay_alu instid0(VALU_DEP_1) | instskip(NEXT) | instid1(VALU_DEP_1)
	v_lshlrev_b64 v[9:10], 2, v[35:36]
	v_add_co_u32 v9, vcc_lo, s0, v9
	s_delay_alu instid0(VALU_DEP_2)
	v_add_co_ci_u32_e32 v10, vcc_lo, s1, v10, vcc_lo
	global_store_b32 v[9:10], v8, off
.LBB651_158:
	s_or_b32 exec_lo, exec_lo, s2
	v_cmp_lt_u32_e32 vcc_lo, v33, v43
	s_or_b32 s3, s18, vcc_lo
	s_delay_alu instid0(SALU_CYCLE_1)
	s_and_saveexec_b32 s2, s3
	s_cbranch_execz .LBB651_161
; %bb.159:
	v_and_b32_e32 v9, 1, v41
	s_delay_alu instid0(VALU_DEP_1)
	v_cmp_eq_u32_e32 vcc_lo, 1, v9
	s_and_b32 exec_lo, exec_lo, vcc_lo
	s_cbranch_execz .LBB651_161
; %bb.160:
	v_mov_b32_e32 v34, 0
	s_delay_alu instid0(VALU_DEP_1) | instskip(NEXT) | instid1(VALU_DEP_1)
	v_lshlrev_b64 v[9:10], 2, v[33:34]
	v_add_co_u32 v9, vcc_lo, s0, v9
	s_delay_alu instid0(VALU_DEP_2)
	v_add_co_ci_u32_e32 v10, vcc_lo, s1, v10, vcc_lo
	global_store_b32 v[9:10], v5, off
.LBB651_161:
	;; [unrolled: 21-line block ×7, first 2 shown]
	s_or_b32 exec_lo, exec_lo, s2
.LBB651_177:
	v_cmp_eq_u32_e32 vcc_lo, 0, v0
	s_and_b32 s0, vcc_lo, s14
	s_delay_alu instid0(SALU_CYCLE_1)
	s_and_saveexec_b32 s1, s0
	s_cbranch_execz .LBB651_200
.LBB651_178:
	v_add_co_u32 v0, s0, s10, v19
	s_delay_alu instid0(VALU_DEP_1) | instskip(SKIP_1) | instid1(VALU_DEP_3)
	v_add_co_ci_u32_e64 v1, null, s11, 0, s0
	v_mov_b32_e32 v2, 0
	v_add_co_u32 v0, vcc_lo, v0, v20
	s_delay_alu instid0(VALU_DEP_3)
	v_add_co_ci_u32_e32 v1, vcc_lo, 0, v1, vcc_lo
	global_store_b64 v2, v[0:1], s[16:17]
	s_nop 0
	s_sendmsg sendmsg(MSG_DEALLOC_VGPRS)
	s_endpgm
.LBB651_179:
	s_and_b32 vcc_lo, exec_lo, s0
	s_cbranch_vccz .LBB651_177
; %bb.180:
	s_mov_b32 s0, exec_lo
	v_cmpx_eq_u32_e32 1, v17
	s_cbranch_execz .LBB651_182
; %bb.181:
	v_sub_nc_u32_e32 v9, v37, v20
	s_delay_alu instid0(VALU_DEP_1)
	v_lshlrev_b32_e32 v9, 2, v9
	ds_store_b32 v9, v7
.LBB651_182:
	s_or_b32 exec_lo, exec_lo, s0
	v_and_b32_e32 v7, 1, v42
	s_mov_b32 s0, exec_lo
	s_delay_alu instid0(VALU_DEP_1)
	v_cmpx_eq_u32_e32 1, v7
	s_cbranch_execz .LBB651_184
; %bb.183:
	v_sub_nc_u32_e32 v7, v35, v20
	s_delay_alu instid0(VALU_DEP_1)
	v_lshlrev_b32_e32 v7, 2, v7
	ds_store_b32 v7, v8
.LBB651_184:
	s_or_b32 exec_lo, exec_lo, s0
	v_and_b32_e32 v7, 1, v41
	s_mov_b32 s0, exec_lo
	s_delay_alu instid0(VALU_DEP_1)
	;; [unrolled: 12-line block ×7, first 2 shown]
	v_cmpx_eq_u32_e32 1, v1
	s_cbranch_execz .LBB651_196
; %bb.195:
	v_sub_nc_u32_e32 v1, v23, v20
	s_delay_alu instid0(VALU_DEP_1)
	v_lshlrev_b32_e32 v1, 2, v1
	ds_store_b32 v1, v2
.LBB651_196:
	s_or_b32 exec_lo, exec_lo, s0
	s_delay_alu instid0(SALU_CYCLE_1)
	s_mov_b32 s1, exec_lo
	s_waitcnt lgkmcnt(0)
	s_waitcnt_vscnt null, 0x0
	s_barrier
	buffer_gl0_inv
	v_cmpx_lt_u32_e64 v0, v19
	s_cbranch_execz .LBB651_199
; %bb.197:
	v_dual_mov_b32 v2, 0 :: v_dual_mov_b32 v1, v20
	s_lshl_b64 s[2:3], s[10:11], 2
	v_lshlrev_b32_e32 v3, 2, v0
	s_add_u32 s0, s6, s2
	s_addc_u32 s2, s7, s3
	v_lshlrev_b64 v[4:5], 2, v[1:2]
	v_mov_b32_e32 v1, v0
	s_delay_alu instid0(VALU_DEP_2) | instskip(NEXT) | instid1(VALU_DEP_3)
	v_add_co_u32 v4, vcc_lo, s0, v4
	v_add_co_ci_u32_e32 v5, vcc_lo, s2, v5, vcc_lo
	s_mov_b32 s2, 0
	.p2align	6
.LBB651_198:                            ; =>This Inner Loop Header: Depth=1
	ds_load_b32 v8, v3
	v_lshlrev_b64 v[6:7], 2, v[1:2]
	v_add_nc_u32_e32 v1, 0x180, v1
	v_add_nc_u32_e32 v3, 0x600, v3
	s_delay_alu instid0(VALU_DEP_2) | instskip(NEXT) | instid1(VALU_DEP_4)
	v_cmp_ge_u32_e32 vcc_lo, v1, v19
	v_add_co_u32 v6, s0, v4, v6
	s_delay_alu instid0(VALU_DEP_1)
	v_add_co_ci_u32_e64 v7, s0, v5, v7, s0
	s_or_b32 s2, vcc_lo, s2
	s_waitcnt lgkmcnt(0)
	global_store_b32 v[6:7], v8, off
	s_and_not1_b32 exec_lo, exec_lo, s2
	s_cbranch_execnz .LBB651_198
.LBB651_199:
	s_or_b32 exec_lo, exec_lo, s1
	v_cmp_eq_u32_e32 vcc_lo, 0, v0
	s_and_b32 s0, vcc_lo, s14
	s_delay_alu instid0(SALU_CYCLE_1)
	s_and_saveexec_b32 s1, s0
	s_cbranch_execnz .LBB651_178
.LBB651_200:
	s_nop 0
	s_sendmsg sendmsg(MSG_DEALLOC_VGPRS)
	s_endpgm
	.section	.rodata,"a",@progbits
	.p2align	6, 0x0
	.amdhsa_kernel _ZN7rocprim17ROCPRIM_400000_NS6detail17trampoline_kernelINS0_14default_configENS1_25partition_config_selectorILNS1_17partition_subalgoE9EijbEEZZNS1_14partition_implILS5_9ELb0ES3_jN6thrust23THRUST_200600_302600_NS6detail15normal_iteratorINS9_10device_ptrIiEEEENSB_INSC_IjEEEEPNS0_10empty_typeENS0_5tupleIJSE_SH_EEENSJ_IJSG_SI_EEENS0_18inequality_wrapperINS9_8equal_toIiEEEEPmJSH_EEE10hipError_tPvRmT3_T4_T5_T6_T7_T9_mT8_P12ihipStream_tbDpT10_ENKUlT_T0_E_clISt17integral_constantIbLb1EES19_IbLb0EEEEDaS15_S16_EUlS15_E_NS1_11comp_targetILNS1_3genE9ELNS1_11target_archE1100ELNS1_3gpuE3ELNS1_3repE0EEENS1_30default_config_static_selectorELNS0_4arch9wavefront6targetE0EEEvT1_
		.amdhsa_group_segment_fixed_size 12680
		.amdhsa_private_segment_fixed_size 0
		.amdhsa_kernarg_size 112
		.amdhsa_user_sgpr_count 15
		.amdhsa_user_sgpr_dispatch_ptr 0
		.amdhsa_user_sgpr_queue_ptr 0
		.amdhsa_user_sgpr_kernarg_segment_ptr 1
		.amdhsa_user_sgpr_dispatch_id 0
		.amdhsa_user_sgpr_private_segment_size 0
		.amdhsa_wavefront_size32 1
		.amdhsa_uses_dynamic_stack 0
		.amdhsa_enable_private_segment 0
		.amdhsa_system_sgpr_workgroup_id_x 1
		.amdhsa_system_sgpr_workgroup_id_y 0
		.amdhsa_system_sgpr_workgroup_id_z 0
		.amdhsa_system_sgpr_workgroup_info 0
		.amdhsa_system_vgpr_workitem_id 0
		.amdhsa_next_free_vgpr 51
		.amdhsa_next_free_sgpr 25
		.amdhsa_reserve_vcc 1
		.amdhsa_float_round_mode_32 0
		.amdhsa_float_round_mode_16_64 0
		.amdhsa_float_denorm_mode_32 3
		.amdhsa_float_denorm_mode_16_64 3
		.amdhsa_dx10_clamp 1
		.amdhsa_ieee_mode 1
		.amdhsa_fp16_overflow 0
		.amdhsa_workgroup_processor_mode 1
		.amdhsa_memory_ordered 1
		.amdhsa_forward_progress 0
		.amdhsa_shared_vgpr_count 0
		.amdhsa_exception_fp_ieee_invalid_op 0
		.amdhsa_exception_fp_denorm_src 0
		.amdhsa_exception_fp_ieee_div_zero 0
		.amdhsa_exception_fp_ieee_overflow 0
		.amdhsa_exception_fp_ieee_underflow 0
		.amdhsa_exception_fp_ieee_inexact 0
		.amdhsa_exception_int_div_zero 0
	.end_amdhsa_kernel
	.section	.text._ZN7rocprim17ROCPRIM_400000_NS6detail17trampoline_kernelINS0_14default_configENS1_25partition_config_selectorILNS1_17partition_subalgoE9EijbEEZZNS1_14partition_implILS5_9ELb0ES3_jN6thrust23THRUST_200600_302600_NS6detail15normal_iteratorINS9_10device_ptrIiEEEENSB_INSC_IjEEEEPNS0_10empty_typeENS0_5tupleIJSE_SH_EEENSJ_IJSG_SI_EEENS0_18inequality_wrapperINS9_8equal_toIiEEEEPmJSH_EEE10hipError_tPvRmT3_T4_T5_T6_T7_T9_mT8_P12ihipStream_tbDpT10_ENKUlT_T0_E_clISt17integral_constantIbLb1EES19_IbLb0EEEEDaS15_S16_EUlS15_E_NS1_11comp_targetILNS1_3genE9ELNS1_11target_archE1100ELNS1_3gpuE3ELNS1_3repE0EEENS1_30default_config_static_selectorELNS0_4arch9wavefront6targetE0EEEvT1_,"axG",@progbits,_ZN7rocprim17ROCPRIM_400000_NS6detail17trampoline_kernelINS0_14default_configENS1_25partition_config_selectorILNS1_17partition_subalgoE9EijbEEZZNS1_14partition_implILS5_9ELb0ES3_jN6thrust23THRUST_200600_302600_NS6detail15normal_iteratorINS9_10device_ptrIiEEEENSB_INSC_IjEEEEPNS0_10empty_typeENS0_5tupleIJSE_SH_EEENSJ_IJSG_SI_EEENS0_18inequality_wrapperINS9_8equal_toIiEEEEPmJSH_EEE10hipError_tPvRmT3_T4_T5_T6_T7_T9_mT8_P12ihipStream_tbDpT10_ENKUlT_T0_E_clISt17integral_constantIbLb1EES19_IbLb0EEEEDaS15_S16_EUlS15_E_NS1_11comp_targetILNS1_3genE9ELNS1_11target_archE1100ELNS1_3gpuE3ELNS1_3repE0EEENS1_30default_config_static_selectorELNS0_4arch9wavefront6targetE0EEEvT1_,comdat
.Lfunc_end651:
	.size	_ZN7rocprim17ROCPRIM_400000_NS6detail17trampoline_kernelINS0_14default_configENS1_25partition_config_selectorILNS1_17partition_subalgoE9EijbEEZZNS1_14partition_implILS5_9ELb0ES3_jN6thrust23THRUST_200600_302600_NS6detail15normal_iteratorINS9_10device_ptrIiEEEENSB_INSC_IjEEEEPNS0_10empty_typeENS0_5tupleIJSE_SH_EEENSJ_IJSG_SI_EEENS0_18inequality_wrapperINS9_8equal_toIiEEEEPmJSH_EEE10hipError_tPvRmT3_T4_T5_T6_T7_T9_mT8_P12ihipStream_tbDpT10_ENKUlT_T0_E_clISt17integral_constantIbLb1EES19_IbLb0EEEEDaS15_S16_EUlS15_E_NS1_11comp_targetILNS1_3genE9ELNS1_11target_archE1100ELNS1_3gpuE3ELNS1_3repE0EEENS1_30default_config_static_selectorELNS0_4arch9wavefront6targetE0EEEvT1_, .Lfunc_end651-_ZN7rocprim17ROCPRIM_400000_NS6detail17trampoline_kernelINS0_14default_configENS1_25partition_config_selectorILNS1_17partition_subalgoE9EijbEEZZNS1_14partition_implILS5_9ELb0ES3_jN6thrust23THRUST_200600_302600_NS6detail15normal_iteratorINS9_10device_ptrIiEEEENSB_INSC_IjEEEEPNS0_10empty_typeENS0_5tupleIJSE_SH_EEENSJ_IJSG_SI_EEENS0_18inequality_wrapperINS9_8equal_toIiEEEEPmJSH_EEE10hipError_tPvRmT3_T4_T5_T6_T7_T9_mT8_P12ihipStream_tbDpT10_ENKUlT_T0_E_clISt17integral_constantIbLb1EES19_IbLb0EEEEDaS15_S16_EUlS15_E_NS1_11comp_targetILNS1_3genE9ELNS1_11target_archE1100ELNS1_3gpuE3ELNS1_3repE0EEENS1_30default_config_static_selectorELNS0_4arch9wavefront6targetE0EEEvT1_
                                        ; -- End function
	.section	.AMDGPU.csdata,"",@progbits
; Kernel info:
; codeLenInByte = 9320
; NumSgprs: 27
; NumVgprs: 51
; ScratchSize: 0
; MemoryBound: 0
; FloatMode: 240
; IeeeMode: 1
; LDSByteSize: 12680 bytes/workgroup (compile time only)
; SGPRBlocks: 3
; VGPRBlocks: 6
; NumSGPRsForWavesPerEU: 27
; NumVGPRsForWavesPerEU: 51
; Occupancy: 15
; WaveLimiterHint : 1
; COMPUTE_PGM_RSRC2:SCRATCH_EN: 0
; COMPUTE_PGM_RSRC2:USER_SGPR: 15
; COMPUTE_PGM_RSRC2:TRAP_HANDLER: 0
; COMPUTE_PGM_RSRC2:TGID_X_EN: 1
; COMPUTE_PGM_RSRC2:TGID_Y_EN: 0
; COMPUTE_PGM_RSRC2:TGID_Z_EN: 0
; COMPUTE_PGM_RSRC2:TIDIG_COMP_CNT: 0
	.section	.text._ZN7rocprim17ROCPRIM_400000_NS6detail17trampoline_kernelINS0_14default_configENS1_25partition_config_selectorILNS1_17partition_subalgoE9EijbEEZZNS1_14partition_implILS5_9ELb0ES3_jN6thrust23THRUST_200600_302600_NS6detail15normal_iteratorINS9_10device_ptrIiEEEENSB_INSC_IjEEEEPNS0_10empty_typeENS0_5tupleIJSE_SH_EEENSJ_IJSG_SI_EEENS0_18inequality_wrapperINS9_8equal_toIiEEEEPmJSH_EEE10hipError_tPvRmT3_T4_T5_T6_T7_T9_mT8_P12ihipStream_tbDpT10_ENKUlT_T0_E_clISt17integral_constantIbLb1EES19_IbLb0EEEEDaS15_S16_EUlS15_E_NS1_11comp_targetILNS1_3genE8ELNS1_11target_archE1030ELNS1_3gpuE2ELNS1_3repE0EEENS1_30default_config_static_selectorELNS0_4arch9wavefront6targetE0EEEvT1_,"axG",@progbits,_ZN7rocprim17ROCPRIM_400000_NS6detail17trampoline_kernelINS0_14default_configENS1_25partition_config_selectorILNS1_17partition_subalgoE9EijbEEZZNS1_14partition_implILS5_9ELb0ES3_jN6thrust23THRUST_200600_302600_NS6detail15normal_iteratorINS9_10device_ptrIiEEEENSB_INSC_IjEEEEPNS0_10empty_typeENS0_5tupleIJSE_SH_EEENSJ_IJSG_SI_EEENS0_18inequality_wrapperINS9_8equal_toIiEEEEPmJSH_EEE10hipError_tPvRmT3_T4_T5_T6_T7_T9_mT8_P12ihipStream_tbDpT10_ENKUlT_T0_E_clISt17integral_constantIbLb1EES19_IbLb0EEEEDaS15_S16_EUlS15_E_NS1_11comp_targetILNS1_3genE8ELNS1_11target_archE1030ELNS1_3gpuE2ELNS1_3repE0EEENS1_30default_config_static_selectorELNS0_4arch9wavefront6targetE0EEEvT1_,comdat
	.protected	_ZN7rocprim17ROCPRIM_400000_NS6detail17trampoline_kernelINS0_14default_configENS1_25partition_config_selectorILNS1_17partition_subalgoE9EijbEEZZNS1_14partition_implILS5_9ELb0ES3_jN6thrust23THRUST_200600_302600_NS6detail15normal_iteratorINS9_10device_ptrIiEEEENSB_INSC_IjEEEEPNS0_10empty_typeENS0_5tupleIJSE_SH_EEENSJ_IJSG_SI_EEENS0_18inequality_wrapperINS9_8equal_toIiEEEEPmJSH_EEE10hipError_tPvRmT3_T4_T5_T6_T7_T9_mT8_P12ihipStream_tbDpT10_ENKUlT_T0_E_clISt17integral_constantIbLb1EES19_IbLb0EEEEDaS15_S16_EUlS15_E_NS1_11comp_targetILNS1_3genE8ELNS1_11target_archE1030ELNS1_3gpuE2ELNS1_3repE0EEENS1_30default_config_static_selectorELNS0_4arch9wavefront6targetE0EEEvT1_ ; -- Begin function _ZN7rocprim17ROCPRIM_400000_NS6detail17trampoline_kernelINS0_14default_configENS1_25partition_config_selectorILNS1_17partition_subalgoE9EijbEEZZNS1_14partition_implILS5_9ELb0ES3_jN6thrust23THRUST_200600_302600_NS6detail15normal_iteratorINS9_10device_ptrIiEEEENSB_INSC_IjEEEEPNS0_10empty_typeENS0_5tupleIJSE_SH_EEENSJ_IJSG_SI_EEENS0_18inequality_wrapperINS9_8equal_toIiEEEEPmJSH_EEE10hipError_tPvRmT3_T4_T5_T6_T7_T9_mT8_P12ihipStream_tbDpT10_ENKUlT_T0_E_clISt17integral_constantIbLb1EES19_IbLb0EEEEDaS15_S16_EUlS15_E_NS1_11comp_targetILNS1_3genE8ELNS1_11target_archE1030ELNS1_3gpuE2ELNS1_3repE0EEENS1_30default_config_static_selectorELNS0_4arch9wavefront6targetE0EEEvT1_
	.globl	_ZN7rocprim17ROCPRIM_400000_NS6detail17trampoline_kernelINS0_14default_configENS1_25partition_config_selectorILNS1_17partition_subalgoE9EijbEEZZNS1_14partition_implILS5_9ELb0ES3_jN6thrust23THRUST_200600_302600_NS6detail15normal_iteratorINS9_10device_ptrIiEEEENSB_INSC_IjEEEEPNS0_10empty_typeENS0_5tupleIJSE_SH_EEENSJ_IJSG_SI_EEENS0_18inequality_wrapperINS9_8equal_toIiEEEEPmJSH_EEE10hipError_tPvRmT3_T4_T5_T6_T7_T9_mT8_P12ihipStream_tbDpT10_ENKUlT_T0_E_clISt17integral_constantIbLb1EES19_IbLb0EEEEDaS15_S16_EUlS15_E_NS1_11comp_targetILNS1_3genE8ELNS1_11target_archE1030ELNS1_3gpuE2ELNS1_3repE0EEENS1_30default_config_static_selectorELNS0_4arch9wavefront6targetE0EEEvT1_
	.p2align	8
	.type	_ZN7rocprim17ROCPRIM_400000_NS6detail17trampoline_kernelINS0_14default_configENS1_25partition_config_selectorILNS1_17partition_subalgoE9EijbEEZZNS1_14partition_implILS5_9ELb0ES3_jN6thrust23THRUST_200600_302600_NS6detail15normal_iteratorINS9_10device_ptrIiEEEENSB_INSC_IjEEEEPNS0_10empty_typeENS0_5tupleIJSE_SH_EEENSJ_IJSG_SI_EEENS0_18inequality_wrapperINS9_8equal_toIiEEEEPmJSH_EEE10hipError_tPvRmT3_T4_T5_T6_T7_T9_mT8_P12ihipStream_tbDpT10_ENKUlT_T0_E_clISt17integral_constantIbLb1EES19_IbLb0EEEEDaS15_S16_EUlS15_E_NS1_11comp_targetILNS1_3genE8ELNS1_11target_archE1030ELNS1_3gpuE2ELNS1_3repE0EEENS1_30default_config_static_selectorELNS0_4arch9wavefront6targetE0EEEvT1_,@function
_ZN7rocprim17ROCPRIM_400000_NS6detail17trampoline_kernelINS0_14default_configENS1_25partition_config_selectorILNS1_17partition_subalgoE9EijbEEZZNS1_14partition_implILS5_9ELb0ES3_jN6thrust23THRUST_200600_302600_NS6detail15normal_iteratorINS9_10device_ptrIiEEEENSB_INSC_IjEEEEPNS0_10empty_typeENS0_5tupleIJSE_SH_EEENSJ_IJSG_SI_EEENS0_18inequality_wrapperINS9_8equal_toIiEEEEPmJSH_EEE10hipError_tPvRmT3_T4_T5_T6_T7_T9_mT8_P12ihipStream_tbDpT10_ENKUlT_T0_E_clISt17integral_constantIbLb1EES19_IbLb0EEEEDaS15_S16_EUlS15_E_NS1_11comp_targetILNS1_3genE8ELNS1_11target_archE1030ELNS1_3gpuE2ELNS1_3repE0EEENS1_30default_config_static_selectorELNS0_4arch9wavefront6targetE0EEEvT1_: ; @_ZN7rocprim17ROCPRIM_400000_NS6detail17trampoline_kernelINS0_14default_configENS1_25partition_config_selectorILNS1_17partition_subalgoE9EijbEEZZNS1_14partition_implILS5_9ELb0ES3_jN6thrust23THRUST_200600_302600_NS6detail15normal_iteratorINS9_10device_ptrIiEEEENSB_INSC_IjEEEEPNS0_10empty_typeENS0_5tupleIJSE_SH_EEENSJ_IJSG_SI_EEENS0_18inequality_wrapperINS9_8equal_toIiEEEEPmJSH_EEE10hipError_tPvRmT3_T4_T5_T6_T7_T9_mT8_P12ihipStream_tbDpT10_ENKUlT_T0_E_clISt17integral_constantIbLb1EES19_IbLb0EEEEDaS15_S16_EUlS15_E_NS1_11comp_targetILNS1_3genE8ELNS1_11target_archE1030ELNS1_3gpuE2ELNS1_3repE0EEENS1_30default_config_static_selectorELNS0_4arch9wavefront6targetE0EEEvT1_
; %bb.0:
	.section	.rodata,"a",@progbits
	.p2align	6, 0x0
	.amdhsa_kernel _ZN7rocprim17ROCPRIM_400000_NS6detail17trampoline_kernelINS0_14default_configENS1_25partition_config_selectorILNS1_17partition_subalgoE9EijbEEZZNS1_14partition_implILS5_9ELb0ES3_jN6thrust23THRUST_200600_302600_NS6detail15normal_iteratorINS9_10device_ptrIiEEEENSB_INSC_IjEEEEPNS0_10empty_typeENS0_5tupleIJSE_SH_EEENSJ_IJSG_SI_EEENS0_18inequality_wrapperINS9_8equal_toIiEEEEPmJSH_EEE10hipError_tPvRmT3_T4_T5_T6_T7_T9_mT8_P12ihipStream_tbDpT10_ENKUlT_T0_E_clISt17integral_constantIbLb1EES19_IbLb0EEEEDaS15_S16_EUlS15_E_NS1_11comp_targetILNS1_3genE8ELNS1_11target_archE1030ELNS1_3gpuE2ELNS1_3repE0EEENS1_30default_config_static_selectorELNS0_4arch9wavefront6targetE0EEEvT1_
		.amdhsa_group_segment_fixed_size 0
		.amdhsa_private_segment_fixed_size 0
		.amdhsa_kernarg_size 112
		.amdhsa_user_sgpr_count 15
		.amdhsa_user_sgpr_dispatch_ptr 0
		.amdhsa_user_sgpr_queue_ptr 0
		.amdhsa_user_sgpr_kernarg_segment_ptr 1
		.amdhsa_user_sgpr_dispatch_id 0
		.amdhsa_user_sgpr_private_segment_size 0
		.amdhsa_wavefront_size32 1
		.amdhsa_uses_dynamic_stack 0
		.amdhsa_enable_private_segment 0
		.amdhsa_system_sgpr_workgroup_id_x 1
		.amdhsa_system_sgpr_workgroup_id_y 0
		.amdhsa_system_sgpr_workgroup_id_z 0
		.amdhsa_system_sgpr_workgroup_info 0
		.amdhsa_system_vgpr_workitem_id 0
		.amdhsa_next_free_vgpr 1
		.amdhsa_next_free_sgpr 1
		.amdhsa_reserve_vcc 0
		.amdhsa_float_round_mode_32 0
		.amdhsa_float_round_mode_16_64 0
		.amdhsa_float_denorm_mode_32 3
		.amdhsa_float_denorm_mode_16_64 3
		.amdhsa_dx10_clamp 1
		.amdhsa_ieee_mode 1
		.amdhsa_fp16_overflow 0
		.amdhsa_workgroup_processor_mode 1
		.amdhsa_memory_ordered 1
		.amdhsa_forward_progress 0
		.amdhsa_shared_vgpr_count 0
		.amdhsa_exception_fp_ieee_invalid_op 0
		.amdhsa_exception_fp_denorm_src 0
		.amdhsa_exception_fp_ieee_div_zero 0
		.amdhsa_exception_fp_ieee_overflow 0
		.amdhsa_exception_fp_ieee_underflow 0
		.amdhsa_exception_fp_ieee_inexact 0
		.amdhsa_exception_int_div_zero 0
	.end_amdhsa_kernel
	.section	.text._ZN7rocprim17ROCPRIM_400000_NS6detail17trampoline_kernelINS0_14default_configENS1_25partition_config_selectorILNS1_17partition_subalgoE9EijbEEZZNS1_14partition_implILS5_9ELb0ES3_jN6thrust23THRUST_200600_302600_NS6detail15normal_iteratorINS9_10device_ptrIiEEEENSB_INSC_IjEEEEPNS0_10empty_typeENS0_5tupleIJSE_SH_EEENSJ_IJSG_SI_EEENS0_18inequality_wrapperINS9_8equal_toIiEEEEPmJSH_EEE10hipError_tPvRmT3_T4_T5_T6_T7_T9_mT8_P12ihipStream_tbDpT10_ENKUlT_T0_E_clISt17integral_constantIbLb1EES19_IbLb0EEEEDaS15_S16_EUlS15_E_NS1_11comp_targetILNS1_3genE8ELNS1_11target_archE1030ELNS1_3gpuE2ELNS1_3repE0EEENS1_30default_config_static_selectorELNS0_4arch9wavefront6targetE0EEEvT1_,"axG",@progbits,_ZN7rocprim17ROCPRIM_400000_NS6detail17trampoline_kernelINS0_14default_configENS1_25partition_config_selectorILNS1_17partition_subalgoE9EijbEEZZNS1_14partition_implILS5_9ELb0ES3_jN6thrust23THRUST_200600_302600_NS6detail15normal_iteratorINS9_10device_ptrIiEEEENSB_INSC_IjEEEEPNS0_10empty_typeENS0_5tupleIJSE_SH_EEENSJ_IJSG_SI_EEENS0_18inequality_wrapperINS9_8equal_toIiEEEEPmJSH_EEE10hipError_tPvRmT3_T4_T5_T6_T7_T9_mT8_P12ihipStream_tbDpT10_ENKUlT_T0_E_clISt17integral_constantIbLb1EES19_IbLb0EEEEDaS15_S16_EUlS15_E_NS1_11comp_targetILNS1_3genE8ELNS1_11target_archE1030ELNS1_3gpuE2ELNS1_3repE0EEENS1_30default_config_static_selectorELNS0_4arch9wavefront6targetE0EEEvT1_,comdat
.Lfunc_end652:
	.size	_ZN7rocprim17ROCPRIM_400000_NS6detail17trampoline_kernelINS0_14default_configENS1_25partition_config_selectorILNS1_17partition_subalgoE9EijbEEZZNS1_14partition_implILS5_9ELb0ES3_jN6thrust23THRUST_200600_302600_NS6detail15normal_iteratorINS9_10device_ptrIiEEEENSB_INSC_IjEEEEPNS0_10empty_typeENS0_5tupleIJSE_SH_EEENSJ_IJSG_SI_EEENS0_18inequality_wrapperINS9_8equal_toIiEEEEPmJSH_EEE10hipError_tPvRmT3_T4_T5_T6_T7_T9_mT8_P12ihipStream_tbDpT10_ENKUlT_T0_E_clISt17integral_constantIbLb1EES19_IbLb0EEEEDaS15_S16_EUlS15_E_NS1_11comp_targetILNS1_3genE8ELNS1_11target_archE1030ELNS1_3gpuE2ELNS1_3repE0EEENS1_30default_config_static_selectorELNS0_4arch9wavefront6targetE0EEEvT1_, .Lfunc_end652-_ZN7rocprim17ROCPRIM_400000_NS6detail17trampoline_kernelINS0_14default_configENS1_25partition_config_selectorILNS1_17partition_subalgoE9EijbEEZZNS1_14partition_implILS5_9ELb0ES3_jN6thrust23THRUST_200600_302600_NS6detail15normal_iteratorINS9_10device_ptrIiEEEENSB_INSC_IjEEEEPNS0_10empty_typeENS0_5tupleIJSE_SH_EEENSJ_IJSG_SI_EEENS0_18inequality_wrapperINS9_8equal_toIiEEEEPmJSH_EEE10hipError_tPvRmT3_T4_T5_T6_T7_T9_mT8_P12ihipStream_tbDpT10_ENKUlT_T0_E_clISt17integral_constantIbLb1EES19_IbLb0EEEEDaS15_S16_EUlS15_E_NS1_11comp_targetILNS1_3genE8ELNS1_11target_archE1030ELNS1_3gpuE2ELNS1_3repE0EEENS1_30default_config_static_selectorELNS0_4arch9wavefront6targetE0EEEvT1_
                                        ; -- End function
	.section	.AMDGPU.csdata,"",@progbits
; Kernel info:
; codeLenInByte = 0
; NumSgprs: 0
; NumVgprs: 0
; ScratchSize: 0
; MemoryBound: 0
; FloatMode: 240
; IeeeMode: 1
; LDSByteSize: 0 bytes/workgroup (compile time only)
; SGPRBlocks: 0
; VGPRBlocks: 0
; NumSGPRsForWavesPerEU: 1
; NumVGPRsForWavesPerEU: 1
; Occupancy: 16
; WaveLimiterHint : 0
; COMPUTE_PGM_RSRC2:SCRATCH_EN: 0
; COMPUTE_PGM_RSRC2:USER_SGPR: 15
; COMPUTE_PGM_RSRC2:TRAP_HANDLER: 0
; COMPUTE_PGM_RSRC2:TGID_X_EN: 1
; COMPUTE_PGM_RSRC2:TGID_Y_EN: 0
; COMPUTE_PGM_RSRC2:TGID_Z_EN: 0
; COMPUTE_PGM_RSRC2:TIDIG_COMP_CNT: 0
	.section	.text._ZN7rocprim17ROCPRIM_400000_NS6detail17trampoline_kernelINS0_14default_configENS1_25partition_config_selectorILNS1_17partition_subalgoE9EijbEEZZNS1_14partition_implILS5_9ELb0ES3_jN6thrust23THRUST_200600_302600_NS6detail15normal_iteratorINS9_10device_ptrIiEEEENSB_INSC_IjEEEEPNS0_10empty_typeENS0_5tupleIJSE_SH_EEENSJ_IJSG_SI_EEENS0_18inequality_wrapperINS9_8equal_toIiEEEEPmJSH_EEE10hipError_tPvRmT3_T4_T5_T6_T7_T9_mT8_P12ihipStream_tbDpT10_ENKUlT_T0_E_clISt17integral_constantIbLb0EES19_IbLb1EEEEDaS15_S16_EUlS15_E_NS1_11comp_targetILNS1_3genE0ELNS1_11target_archE4294967295ELNS1_3gpuE0ELNS1_3repE0EEENS1_30default_config_static_selectorELNS0_4arch9wavefront6targetE0EEEvT1_,"axG",@progbits,_ZN7rocprim17ROCPRIM_400000_NS6detail17trampoline_kernelINS0_14default_configENS1_25partition_config_selectorILNS1_17partition_subalgoE9EijbEEZZNS1_14partition_implILS5_9ELb0ES3_jN6thrust23THRUST_200600_302600_NS6detail15normal_iteratorINS9_10device_ptrIiEEEENSB_INSC_IjEEEEPNS0_10empty_typeENS0_5tupleIJSE_SH_EEENSJ_IJSG_SI_EEENS0_18inequality_wrapperINS9_8equal_toIiEEEEPmJSH_EEE10hipError_tPvRmT3_T4_T5_T6_T7_T9_mT8_P12ihipStream_tbDpT10_ENKUlT_T0_E_clISt17integral_constantIbLb0EES19_IbLb1EEEEDaS15_S16_EUlS15_E_NS1_11comp_targetILNS1_3genE0ELNS1_11target_archE4294967295ELNS1_3gpuE0ELNS1_3repE0EEENS1_30default_config_static_selectorELNS0_4arch9wavefront6targetE0EEEvT1_,comdat
	.protected	_ZN7rocprim17ROCPRIM_400000_NS6detail17trampoline_kernelINS0_14default_configENS1_25partition_config_selectorILNS1_17partition_subalgoE9EijbEEZZNS1_14partition_implILS5_9ELb0ES3_jN6thrust23THRUST_200600_302600_NS6detail15normal_iteratorINS9_10device_ptrIiEEEENSB_INSC_IjEEEEPNS0_10empty_typeENS0_5tupleIJSE_SH_EEENSJ_IJSG_SI_EEENS0_18inequality_wrapperINS9_8equal_toIiEEEEPmJSH_EEE10hipError_tPvRmT3_T4_T5_T6_T7_T9_mT8_P12ihipStream_tbDpT10_ENKUlT_T0_E_clISt17integral_constantIbLb0EES19_IbLb1EEEEDaS15_S16_EUlS15_E_NS1_11comp_targetILNS1_3genE0ELNS1_11target_archE4294967295ELNS1_3gpuE0ELNS1_3repE0EEENS1_30default_config_static_selectorELNS0_4arch9wavefront6targetE0EEEvT1_ ; -- Begin function _ZN7rocprim17ROCPRIM_400000_NS6detail17trampoline_kernelINS0_14default_configENS1_25partition_config_selectorILNS1_17partition_subalgoE9EijbEEZZNS1_14partition_implILS5_9ELb0ES3_jN6thrust23THRUST_200600_302600_NS6detail15normal_iteratorINS9_10device_ptrIiEEEENSB_INSC_IjEEEEPNS0_10empty_typeENS0_5tupleIJSE_SH_EEENSJ_IJSG_SI_EEENS0_18inequality_wrapperINS9_8equal_toIiEEEEPmJSH_EEE10hipError_tPvRmT3_T4_T5_T6_T7_T9_mT8_P12ihipStream_tbDpT10_ENKUlT_T0_E_clISt17integral_constantIbLb0EES19_IbLb1EEEEDaS15_S16_EUlS15_E_NS1_11comp_targetILNS1_3genE0ELNS1_11target_archE4294967295ELNS1_3gpuE0ELNS1_3repE0EEENS1_30default_config_static_selectorELNS0_4arch9wavefront6targetE0EEEvT1_
	.globl	_ZN7rocprim17ROCPRIM_400000_NS6detail17trampoline_kernelINS0_14default_configENS1_25partition_config_selectorILNS1_17partition_subalgoE9EijbEEZZNS1_14partition_implILS5_9ELb0ES3_jN6thrust23THRUST_200600_302600_NS6detail15normal_iteratorINS9_10device_ptrIiEEEENSB_INSC_IjEEEEPNS0_10empty_typeENS0_5tupleIJSE_SH_EEENSJ_IJSG_SI_EEENS0_18inequality_wrapperINS9_8equal_toIiEEEEPmJSH_EEE10hipError_tPvRmT3_T4_T5_T6_T7_T9_mT8_P12ihipStream_tbDpT10_ENKUlT_T0_E_clISt17integral_constantIbLb0EES19_IbLb1EEEEDaS15_S16_EUlS15_E_NS1_11comp_targetILNS1_3genE0ELNS1_11target_archE4294967295ELNS1_3gpuE0ELNS1_3repE0EEENS1_30default_config_static_selectorELNS0_4arch9wavefront6targetE0EEEvT1_
	.p2align	8
	.type	_ZN7rocprim17ROCPRIM_400000_NS6detail17trampoline_kernelINS0_14default_configENS1_25partition_config_selectorILNS1_17partition_subalgoE9EijbEEZZNS1_14partition_implILS5_9ELb0ES3_jN6thrust23THRUST_200600_302600_NS6detail15normal_iteratorINS9_10device_ptrIiEEEENSB_INSC_IjEEEEPNS0_10empty_typeENS0_5tupleIJSE_SH_EEENSJ_IJSG_SI_EEENS0_18inequality_wrapperINS9_8equal_toIiEEEEPmJSH_EEE10hipError_tPvRmT3_T4_T5_T6_T7_T9_mT8_P12ihipStream_tbDpT10_ENKUlT_T0_E_clISt17integral_constantIbLb0EES19_IbLb1EEEEDaS15_S16_EUlS15_E_NS1_11comp_targetILNS1_3genE0ELNS1_11target_archE4294967295ELNS1_3gpuE0ELNS1_3repE0EEENS1_30default_config_static_selectorELNS0_4arch9wavefront6targetE0EEEvT1_,@function
_ZN7rocprim17ROCPRIM_400000_NS6detail17trampoline_kernelINS0_14default_configENS1_25partition_config_selectorILNS1_17partition_subalgoE9EijbEEZZNS1_14partition_implILS5_9ELb0ES3_jN6thrust23THRUST_200600_302600_NS6detail15normal_iteratorINS9_10device_ptrIiEEEENSB_INSC_IjEEEEPNS0_10empty_typeENS0_5tupleIJSE_SH_EEENSJ_IJSG_SI_EEENS0_18inequality_wrapperINS9_8equal_toIiEEEEPmJSH_EEE10hipError_tPvRmT3_T4_T5_T6_T7_T9_mT8_P12ihipStream_tbDpT10_ENKUlT_T0_E_clISt17integral_constantIbLb0EES19_IbLb1EEEEDaS15_S16_EUlS15_E_NS1_11comp_targetILNS1_3genE0ELNS1_11target_archE4294967295ELNS1_3gpuE0ELNS1_3repE0EEENS1_30default_config_static_selectorELNS0_4arch9wavefront6targetE0EEEvT1_: ; @_ZN7rocprim17ROCPRIM_400000_NS6detail17trampoline_kernelINS0_14default_configENS1_25partition_config_selectorILNS1_17partition_subalgoE9EijbEEZZNS1_14partition_implILS5_9ELb0ES3_jN6thrust23THRUST_200600_302600_NS6detail15normal_iteratorINS9_10device_ptrIiEEEENSB_INSC_IjEEEEPNS0_10empty_typeENS0_5tupleIJSE_SH_EEENSJ_IJSG_SI_EEENS0_18inequality_wrapperINS9_8equal_toIiEEEEPmJSH_EEE10hipError_tPvRmT3_T4_T5_T6_T7_T9_mT8_P12ihipStream_tbDpT10_ENKUlT_T0_E_clISt17integral_constantIbLb0EES19_IbLb1EEEEDaS15_S16_EUlS15_E_NS1_11comp_targetILNS1_3genE0ELNS1_11target_archE4294967295ELNS1_3gpuE0ELNS1_3repE0EEENS1_30default_config_static_selectorELNS0_4arch9wavefront6targetE0EEEvT1_
; %bb.0:
	.section	.rodata,"a",@progbits
	.p2align	6, 0x0
	.amdhsa_kernel _ZN7rocprim17ROCPRIM_400000_NS6detail17trampoline_kernelINS0_14default_configENS1_25partition_config_selectorILNS1_17partition_subalgoE9EijbEEZZNS1_14partition_implILS5_9ELb0ES3_jN6thrust23THRUST_200600_302600_NS6detail15normal_iteratorINS9_10device_ptrIiEEEENSB_INSC_IjEEEEPNS0_10empty_typeENS0_5tupleIJSE_SH_EEENSJ_IJSG_SI_EEENS0_18inequality_wrapperINS9_8equal_toIiEEEEPmJSH_EEE10hipError_tPvRmT3_T4_T5_T6_T7_T9_mT8_P12ihipStream_tbDpT10_ENKUlT_T0_E_clISt17integral_constantIbLb0EES19_IbLb1EEEEDaS15_S16_EUlS15_E_NS1_11comp_targetILNS1_3genE0ELNS1_11target_archE4294967295ELNS1_3gpuE0ELNS1_3repE0EEENS1_30default_config_static_selectorELNS0_4arch9wavefront6targetE0EEEvT1_
		.amdhsa_group_segment_fixed_size 0
		.amdhsa_private_segment_fixed_size 0
		.amdhsa_kernarg_size 128
		.amdhsa_user_sgpr_count 15
		.amdhsa_user_sgpr_dispatch_ptr 0
		.amdhsa_user_sgpr_queue_ptr 0
		.amdhsa_user_sgpr_kernarg_segment_ptr 1
		.amdhsa_user_sgpr_dispatch_id 0
		.amdhsa_user_sgpr_private_segment_size 0
		.amdhsa_wavefront_size32 1
		.amdhsa_uses_dynamic_stack 0
		.amdhsa_enable_private_segment 0
		.amdhsa_system_sgpr_workgroup_id_x 1
		.amdhsa_system_sgpr_workgroup_id_y 0
		.amdhsa_system_sgpr_workgroup_id_z 0
		.amdhsa_system_sgpr_workgroup_info 0
		.amdhsa_system_vgpr_workitem_id 0
		.amdhsa_next_free_vgpr 1
		.amdhsa_next_free_sgpr 1
		.amdhsa_reserve_vcc 0
		.amdhsa_float_round_mode_32 0
		.amdhsa_float_round_mode_16_64 0
		.amdhsa_float_denorm_mode_32 3
		.amdhsa_float_denorm_mode_16_64 3
		.amdhsa_dx10_clamp 1
		.amdhsa_ieee_mode 1
		.amdhsa_fp16_overflow 0
		.amdhsa_workgroup_processor_mode 1
		.amdhsa_memory_ordered 1
		.amdhsa_forward_progress 0
		.amdhsa_shared_vgpr_count 0
		.amdhsa_exception_fp_ieee_invalid_op 0
		.amdhsa_exception_fp_denorm_src 0
		.amdhsa_exception_fp_ieee_div_zero 0
		.amdhsa_exception_fp_ieee_overflow 0
		.amdhsa_exception_fp_ieee_underflow 0
		.amdhsa_exception_fp_ieee_inexact 0
		.amdhsa_exception_int_div_zero 0
	.end_amdhsa_kernel
	.section	.text._ZN7rocprim17ROCPRIM_400000_NS6detail17trampoline_kernelINS0_14default_configENS1_25partition_config_selectorILNS1_17partition_subalgoE9EijbEEZZNS1_14partition_implILS5_9ELb0ES3_jN6thrust23THRUST_200600_302600_NS6detail15normal_iteratorINS9_10device_ptrIiEEEENSB_INSC_IjEEEEPNS0_10empty_typeENS0_5tupleIJSE_SH_EEENSJ_IJSG_SI_EEENS0_18inequality_wrapperINS9_8equal_toIiEEEEPmJSH_EEE10hipError_tPvRmT3_T4_T5_T6_T7_T9_mT8_P12ihipStream_tbDpT10_ENKUlT_T0_E_clISt17integral_constantIbLb0EES19_IbLb1EEEEDaS15_S16_EUlS15_E_NS1_11comp_targetILNS1_3genE0ELNS1_11target_archE4294967295ELNS1_3gpuE0ELNS1_3repE0EEENS1_30default_config_static_selectorELNS0_4arch9wavefront6targetE0EEEvT1_,"axG",@progbits,_ZN7rocprim17ROCPRIM_400000_NS6detail17trampoline_kernelINS0_14default_configENS1_25partition_config_selectorILNS1_17partition_subalgoE9EijbEEZZNS1_14partition_implILS5_9ELb0ES3_jN6thrust23THRUST_200600_302600_NS6detail15normal_iteratorINS9_10device_ptrIiEEEENSB_INSC_IjEEEEPNS0_10empty_typeENS0_5tupleIJSE_SH_EEENSJ_IJSG_SI_EEENS0_18inequality_wrapperINS9_8equal_toIiEEEEPmJSH_EEE10hipError_tPvRmT3_T4_T5_T6_T7_T9_mT8_P12ihipStream_tbDpT10_ENKUlT_T0_E_clISt17integral_constantIbLb0EES19_IbLb1EEEEDaS15_S16_EUlS15_E_NS1_11comp_targetILNS1_3genE0ELNS1_11target_archE4294967295ELNS1_3gpuE0ELNS1_3repE0EEENS1_30default_config_static_selectorELNS0_4arch9wavefront6targetE0EEEvT1_,comdat
.Lfunc_end653:
	.size	_ZN7rocprim17ROCPRIM_400000_NS6detail17trampoline_kernelINS0_14default_configENS1_25partition_config_selectorILNS1_17partition_subalgoE9EijbEEZZNS1_14partition_implILS5_9ELb0ES3_jN6thrust23THRUST_200600_302600_NS6detail15normal_iteratorINS9_10device_ptrIiEEEENSB_INSC_IjEEEEPNS0_10empty_typeENS0_5tupleIJSE_SH_EEENSJ_IJSG_SI_EEENS0_18inequality_wrapperINS9_8equal_toIiEEEEPmJSH_EEE10hipError_tPvRmT3_T4_T5_T6_T7_T9_mT8_P12ihipStream_tbDpT10_ENKUlT_T0_E_clISt17integral_constantIbLb0EES19_IbLb1EEEEDaS15_S16_EUlS15_E_NS1_11comp_targetILNS1_3genE0ELNS1_11target_archE4294967295ELNS1_3gpuE0ELNS1_3repE0EEENS1_30default_config_static_selectorELNS0_4arch9wavefront6targetE0EEEvT1_, .Lfunc_end653-_ZN7rocprim17ROCPRIM_400000_NS6detail17trampoline_kernelINS0_14default_configENS1_25partition_config_selectorILNS1_17partition_subalgoE9EijbEEZZNS1_14partition_implILS5_9ELb0ES3_jN6thrust23THRUST_200600_302600_NS6detail15normal_iteratorINS9_10device_ptrIiEEEENSB_INSC_IjEEEEPNS0_10empty_typeENS0_5tupleIJSE_SH_EEENSJ_IJSG_SI_EEENS0_18inequality_wrapperINS9_8equal_toIiEEEEPmJSH_EEE10hipError_tPvRmT3_T4_T5_T6_T7_T9_mT8_P12ihipStream_tbDpT10_ENKUlT_T0_E_clISt17integral_constantIbLb0EES19_IbLb1EEEEDaS15_S16_EUlS15_E_NS1_11comp_targetILNS1_3genE0ELNS1_11target_archE4294967295ELNS1_3gpuE0ELNS1_3repE0EEENS1_30default_config_static_selectorELNS0_4arch9wavefront6targetE0EEEvT1_
                                        ; -- End function
	.section	.AMDGPU.csdata,"",@progbits
; Kernel info:
; codeLenInByte = 0
; NumSgprs: 0
; NumVgprs: 0
; ScratchSize: 0
; MemoryBound: 0
; FloatMode: 240
; IeeeMode: 1
; LDSByteSize: 0 bytes/workgroup (compile time only)
; SGPRBlocks: 0
; VGPRBlocks: 0
; NumSGPRsForWavesPerEU: 1
; NumVGPRsForWavesPerEU: 1
; Occupancy: 16
; WaveLimiterHint : 0
; COMPUTE_PGM_RSRC2:SCRATCH_EN: 0
; COMPUTE_PGM_RSRC2:USER_SGPR: 15
; COMPUTE_PGM_RSRC2:TRAP_HANDLER: 0
; COMPUTE_PGM_RSRC2:TGID_X_EN: 1
; COMPUTE_PGM_RSRC2:TGID_Y_EN: 0
; COMPUTE_PGM_RSRC2:TGID_Z_EN: 0
; COMPUTE_PGM_RSRC2:TIDIG_COMP_CNT: 0
	.section	.text._ZN7rocprim17ROCPRIM_400000_NS6detail17trampoline_kernelINS0_14default_configENS1_25partition_config_selectorILNS1_17partition_subalgoE9EijbEEZZNS1_14partition_implILS5_9ELb0ES3_jN6thrust23THRUST_200600_302600_NS6detail15normal_iteratorINS9_10device_ptrIiEEEENSB_INSC_IjEEEEPNS0_10empty_typeENS0_5tupleIJSE_SH_EEENSJ_IJSG_SI_EEENS0_18inequality_wrapperINS9_8equal_toIiEEEEPmJSH_EEE10hipError_tPvRmT3_T4_T5_T6_T7_T9_mT8_P12ihipStream_tbDpT10_ENKUlT_T0_E_clISt17integral_constantIbLb0EES19_IbLb1EEEEDaS15_S16_EUlS15_E_NS1_11comp_targetILNS1_3genE5ELNS1_11target_archE942ELNS1_3gpuE9ELNS1_3repE0EEENS1_30default_config_static_selectorELNS0_4arch9wavefront6targetE0EEEvT1_,"axG",@progbits,_ZN7rocprim17ROCPRIM_400000_NS6detail17trampoline_kernelINS0_14default_configENS1_25partition_config_selectorILNS1_17partition_subalgoE9EijbEEZZNS1_14partition_implILS5_9ELb0ES3_jN6thrust23THRUST_200600_302600_NS6detail15normal_iteratorINS9_10device_ptrIiEEEENSB_INSC_IjEEEEPNS0_10empty_typeENS0_5tupleIJSE_SH_EEENSJ_IJSG_SI_EEENS0_18inequality_wrapperINS9_8equal_toIiEEEEPmJSH_EEE10hipError_tPvRmT3_T4_T5_T6_T7_T9_mT8_P12ihipStream_tbDpT10_ENKUlT_T0_E_clISt17integral_constantIbLb0EES19_IbLb1EEEEDaS15_S16_EUlS15_E_NS1_11comp_targetILNS1_3genE5ELNS1_11target_archE942ELNS1_3gpuE9ELNS1_3repE0EEENS1_30default_config_static_selectorELNS0_4arch9wavefront6targetE0EEEvT1_,comdat
	.protected	_ZN7rocprim17ROCPRIM_400000_NS6detail17trampoline_kernelINS0_14default_configENS1_25partition_config_selectorILNS1_17partition_subalgoE9EijbEEZZNS1_14partition_implILS5_9ELb0ES3_jN6thrust23THRUST_200600_302600_NS6detail15normal_iteratorINS9_10device_ptrIiEEEENSB_INSC_IjEEEEPNS0_10empty_typeENS0_5tupleIJSE_SH_EEENSJ_IJSG_SI_EEENS0_18inequality_wrapperINS9_8equal_toIiEEEEPmJSH_EEE10hipError_tPvRmT3_T4_T5_T6_T7_T9_mT8_P12ihipStream_tbDpT10_ENKUlT_T0_E_clISt17integral_constantIbLb0EES19_IbLb1EEEEDaS15_S16_EUlS15_E_NS1_11comp_targetILNS1_3genE5ELNS1_11target_archE942ELNS1_3gpuE9ELNS1_3repE0EEENS1_30default_config_static_selectorELNS0_4arch9wavefront6targetE0EEEvT1_ ; -- Begin function _ZN7rocprim17ROCPRIM_400000_NS6detail17trampoline_kernelINS0_14default_configENS1_25partition_config_selectorILNS1_17partition_subalgoE9EijbEEZZNS1_14partition_implILS5_9ELb0ES3_jN6thrust23THRUST_200600_302600_NS6detail15normal_iteratorINS9_10device_ptrIiEEEENSB_INSC_IjEEEEPNS0_10empty_typeENS0_5tupleIJSE_SH_EEENSJ_IJSG_SI_EEENS0_18inequality_wrapperINS9_8equal_toIiEEEEPmJSH_EEE10hipError_tPvRmT3_T4_T5_T6_T7_T9_mT8_P12ihipStream_tbDpT10_ENKUlT_T0_E_clISt17integral_constantIbLb0EES19_IbLb1EEEEDaS15_S16_EUlS15_E_NS1_11comp_targetILNS1_3genE5ELNS1_11target_archE942ELNS1_3gpuE9ELNS1_3repE0EEENS1_30default_config_static_selectorELNS0_4arch9wavefront6targetE0EEEvT1_
	.globl	_ZN7rocprim17ROCPRIM_400000_NS6detail17trampoline_kernelINS0_14default_configENS1_25partition_config_selectorILNS1_17partition_subalgoE9EijbEEZZNS1_14partition_implILS5_9ELb0ES3_jN6thrust23THRUST_200600_302600_NS6detail15normal_iteratorINS9_10device_ptrIiEEEENSB_INSC_IjEEEEPNS0_10empty_typeENS0_5tupleIJSE_SH_EEENSJ_IJSG_SI_EEENS0_18inequality_wrapperINS9_8equal_toIiEEEEPmJSH_EEE10hipError_tPvRmT3_T4_T5_T6_T7_T9_mT8_P12ihipStream_tbDpT10_ENKUlT_T0_E_clISt17integral_constantIbLb0EES19_IbLb1EEEEDaS15_S16_EUlS15_E_NS1_11comp_targetILNS1_3genE5ELNS1_11target_archE942ELNS1_3gpuE9ELNS1_3repE0EEENS1_30default_config_static_selectorELNS0_4arch9wavefront6targetE0EEEvT1_
	.p2align	8
	.type	_ZN7rocprim17ROCPRIM_400000_NS6detail17trampoline_kernelINS0_14default_configENS1_25partition_config_selectorILNS1_17partition_subalgoE9EijbEEZZNS1_14partition_implILS5_9ELb0ES3_jN6thrust23THRUST_200600_302600_NS6detail15normal_iteratorINS9_10device_ptrIiEEEENSB_INSC_IjEEEEPNS0_10empty_typeENS0_5tupleIJSE_SH_EEENSJ_IJSG_SI_EEENS0_18inequality_wrapperINS9_8equal_toIiEEEEPmJSH_EEE10hipError_tPvRmT3_T4_T5_T6_T7_T9_mT8_P12ihipStream_tbDpT10_ENKUlT_T0_E_clISt17integral_constantIbLb0EES19_IbLb1EEEEDaS15_S16_EUlS15_E_NS1_11comp_targetILNS1_3genE5ELNS1_11target_archE942ELNS1_3gpuE9ELNS1_3repE0EEENS1_30default_config_static_selectorELNS0_4arch9wavefront6targetE0EEEvT1_,@function
_ZN7rocprim17ROCPRIM_400000_NS6detail17trampoline_kernelINS0_14default_configENS1_25partition_config_selectorILNS1_17partition_subalgoE9EijbEEZZNS1_14partition_implILS5_9ELb0ES3_jN6thrust23THRUST_200600_302600_NS6detail15normal_iteratorINS9_10device_ptrIiEEEENSB_INSC_IjEEEEPNS0_10empty_typeENS0_5tupleIJSE_SH_EEENSJ_IJSG_SI_EEENS0_18inequality_wrapperINS9_8equal_toIiEEEEPmJSH_EEE10hipError_tPvRmT3_T4_T5_T6_T7_T9_mT8_P12ihipStream_tbDpT10_ENKUlT_T0_E_clISt17integral_constantIbLb0EES19_IbLb1EEEEDaS15_S16_EUlS15_E_NS1_11comp_targetILNS1_3genE5ELNS1_11target_archE942ELNS1_3gpuE9ELNS1_3repE0EEENS1_30default_config_static_selectorELNS0_4arch9wavefront6targetE0EEEvT1_: ; @_ZN7rocprim17ROCPRIM_400000_NS6detail17trampoline_kernelINS0_14default_configENS1_25partition_config_selectorILNS1_17partition_subalgoE9EijbEEZZNS1_14partition_implILS5_9ELb0ES3_jN6thrust23THRUST_200600_302600_NS6detail15normal_iteratorINS9_10device_ptrIiEEEENSB_INSC_IjEEEEPNS0_10empty_typeENS0_5tupleIJSE_SH_EEENSJ_IJSG_SI_EEENS0_18inequality_wrapperINS9_8equal_toIiEEEEPmJSH_EEE10hipError_tPvRmT3_T4_T5_T6_T7_T9_mT8_P12ihipStream_tbDpT10_ENKUlT_T0_E_clISt17integral_constantIbLb0EES19_IbLb1EEEEDaS15_S16_EUlS15_E_NS1_11comp_targetILNS1_3genE5ELNS1_11target_archE942ELNS1_3gpuE9ELNS1_3repE0EEENS1_30default_config_static_selectorELNS0_4arch9wavefront6targetE0EEEvT1_
; %bb.0:
	.section	.rodata,"a",@progbits
	.p2align	6, 0x0
	.amdhsa_kernel _ZN7rocprim17ROCPRIM_400000_NS6detail17trampoline_kernelINS0_14default_configENS1_25partition_config_selectorILNS1_17partition_subalgoE9EijbEEZZNS1_14partition_implILS5_9ELb0ES3_jN6thrust23THRUST_200600_302600_NS6detail15normal_iteratorINS9_10device_ptrIiEEEENSB_INSC_IjEEEEPNS0_10empty_typeENS0_5tupleIJSE_SH_EEENSJ_IJSG_SI_EEENS0_18inequality_wrapperINS9_8equal_toIiEEEEPmJSH_EEE10hipError_tPvRmT3_T4_T5_T6_T7_T9_mT8_P12ihipStream_tbDpT10_ENKUlT_T0_E_clISt17integral_constantIbLb0EES19_IbLb1EEEEDaS15_S16_EUlS15_E_NS1_11comp_targetILNS1_3genE5ELNS1_11target_archE942ELNS1_3gpuE9ELNS1_3repE0EEENS1_30default_config_static_selectorELNS0_4arch9wavefront6targetE0EEEvT1_
		.amdhsa_group_segment_fixed_size 0
		.amdhsa_private_segment_fixed_size 0
		.amdhsa_kernarg_size 128
		.amdhsa_user_sgpr_count 15
		.amdhsa_user_sgpr_dispatch_ptr 0
		.amdhsa_user_sgpr_queue_ptr 0
		.amdhsa_user_sgpr_kernarg_segment_ptr 1
		.amdhsa_user_sgpr_dispatch_id 0
		.amdhsa_user_sgpr_private_segment_size 0
		.amdhsa_wavefront_size32 1
		.amdhsa_uses_dynamic_stack 0
		.amdhsa_enable_private_segment 0
		.amdhsa_system_sgpr_workgroup_id_x 1
		.amdhsa_system_sgpr_workgroup_id_y 0
		.amdhsa_system_sgpr_workgroup_id_z 0
		.amdhsa_system_sgpr_workgroup_info 0
		.amdhsa_system_vgpr_workitem_id 0
		.amdhsa_next_free_vgpr 1
		.amdhsa_next_free_sgpr 1
		.amdhsa_reserve_vcc 0
		.amdhsa_float_round_mode_32 0
		.amdhsa_float_round_mode_16_64 0
		.amdhsa_float_denorm_mode_32 3
		.amdhsa_float_denorm_mode_16_64 3
		.amdhsa_dx10_clamp 1
		.amdhsa_ieee_mode 1
		.amdhsa_fp16_overflow 0
		.amdhsa_workgroup_processor_mode 1
		.amdhsa_memory_ordered 1
		.amdhsa_forward_progress 0
		.amdhsa_shared_vgpr_count 0
		.amdhsa_exception_fp_ieee_invalid_op 0
		.amdhsa_exception_fp_denorm_src 0
		.amdhsa_exception_fp_ieee_div_zero 0
		.amdhsa_exception_fp_ieee_overflow 0
		.amdhsa_exception_fp_ieee_underflow 0
		.amdhsa_exception_fp_ieee_inexact 0
		.amdhsa_exception_int_div_zero 0
	.end_amdhsa_kernel
	.section	.text._ZN7rocprim17ROCPRIM_400000_NS6detail17trampoline_kernelINS0_14default_configENS1_25partition_config_selectorILNS1_17partition_subalgoE9EijbEEZZNS1_14partition_implILS5_9ELb0ES3_jN6thrust23THRUST_200600_302600_NS6detail15normal_iteratorINS9_10device_ptrIiEEEENSB_INSC_IjEEEEPNS0_10empty_typeENS0_5tupleIJSE_SH_EEENSJ_IJSG_SI_EEENS0_18inequality_wrapperINS9_8equal_toIiEEEEPmJSH_EEE10hipError_tPvRmT3_T4_T5_T6_T7_T9_mT8_P12ihipStream_tbDpT10_ENKUlT_T0_E_clISt17integral_constantIbLb0EES19_IbLb1EEEEDaS15_S16_EUlS15_E_NS1_11comp_targetILNS1_3genE5ELNS1_11target_archE942ELNS1_3gpuE9ELNS1_3repE0EEENS1_30default_config_static_selectorELNS0_4arch9wavefront6targetE0EEEvT1_,"axG",@progbits,_ZN7rocprim17ROCPRIM_400000_NS6detail17trampoline_kernelINS0_14default_configENS1_25partition_config_selectorILNS1_17partition_subalgoE9EijbEEZZNS1_14partition_implILS5_9ELb0ES3_jN6thrust23THRUST_200600_302600_NS6detail15normal_iteratorINS9_10device_ptrIiEEEENSB_INSC_IjEEEEPNS0_10empty_typeENS0_5tupleIJSE_SH_EEENSJ_IJSG_SI_EEENS0_18inequality_wrapperINS9_8equal_toIiEEEEPmJSH_EEE10hipError_tPvRmT3_T4_T5_T6_T7_T9_mT8_P12ihipStream_tbDpT10_ENKUlT_T0_E_clISt17integral_constantIbLb0EES19_IbLb1EEEEDaS15_S16_EUlS15_E_NS1_11comp_targetILNS1_3genE5ELNS1_11target_archE942ELNS1_3gpuE9ELNS1_3repE0EEENS1_30default_config_static_selectorELNS0_4arch9wavefront6targetE0EEEvT1_,comdat
.Lfunc_end654:
	.size	_ZN7rocprim17ROCPRIM_400000_NS6detail17trampoline_kernelINS0_14default_configENS1_25partition_config_selectorILNS1_17partition_subalgoE9EijbEEZZNS1_14partition_implILS5_9ELb0ES3_jN6thrust23THRUST_200600_302600_NS6detail15normal_iteratorINS9_10device_ptrIiEEEENSB_INSC_IjEEEEPNS0_10empty_typeENS0_5tupleIJSE_SH_EEENSJ_IJSG_SI_EEENS0_18inequality_wrapperINS9_8equal_toIiEEEEPmJSH_EEE10hipError_tPvRmT3_T4_T5_T6_T7_T9_mT8_P12ihipStream_tbDpT10_ENKUlT_T0_E_clISt17integral_constantIbLb0EES19_IbLb1EEEEDaS15_S16_EUlS15_E_NS1_11comp_targetILNS1_3genE5ELNS1_11target_archE942ELNS1_3gpuE9ELNS1_3repE0EEENS1_30default_config_static_selectorELNS0_4arch9wavefront6targetE0EEEvT1_, .Lfunc_end654-_ZN7rocprim17ROCPRIM_400000_NS6detail17trampoline_kernelINS0_14default_configENS1_25partition_config_selectorILNS1_17partition_subalgoE9EijbEEZZNS1_14partition_implILS5_9ELb0ES3_jN6thrust23THRUST_200600_302600_NS6detail15normal_iteratorINS9_10device_ptrIiEEEENSB_INSC_IjEEEEPNS0_10empty_typeENS0_5tupleIJSE_SH_EEENSJ_IJSG_SI_EEENS0_18inequality_wrapperINS9_8equal_toIiEEEEPmJSH_EEE10hipError_tPvRmT3_T4_T5_T6_T7_T9_mT8_P12ihipStream_tbDpT10_ENKUlT_T0_E_clISt17integral_constantIbLb0EES19_IbLb1EEEEDaS15_S16_EUlS15_E_NS1_11comp_targetILNS1_3genE5ELNS1_11target_archE942ELNS1_3gpuE9ELNS1_3repE0EEENS1_30default_config_static_selectorELNS0_4arch9wavefront6targetE0EEEvT1_
                                        ; -- End function
	.section	.AMDGPU.csdata,"",@progbits
; Kernel info:
; codeLenInByte = 0
; NumSgprs: 0
; NumVgprs: 0
; ScratchSize: 0
; MemoryBound: 0
; FloatMode: 240
; IeeeMode: 1
; LDSByteSize: 0 bytes/workgroup (compile time only)
; SGPRBlocks: 0
; VGPRBlocks: 0
; NumSGPRsForWavesPerEU: 1
; NumVGPRsForWavesPerEU: 1
; Occupancy: 16
; WaveLimiterHint : 0
; COMPUTE_PGM_RSRC2:SCRATCH_EN: 0
; COMPUTE_PGM_RSRC2:USER_SGPR: 15
; COMPUTE_PGM_RSRC2:TRAP_HANDLER: 0
; COMPUTE_PGM_RSRC2:TGID_X_EN: 1
; COMPUTE_PGM_RSRC2:TGID_Y_EN: 0
; COMPUTE_PGM_RSRC2:TGID_Z_EN: 0
; COMPUTE_PGM_RSRC2:TIDIG_COMP_CNT: 0
	.section	.text._ZN7rocprim17ROCPRIM_400000_NS6detail17trampoline_kernelINS0_14default_configENS1_25partition_config_selectorILNS1_17partition_subalgoE9EijbEEZZNS1_14partition_implILS5_9ELb0ES3_jN6thrust23THRUST_200600_302600_NS6detail15normal_iteratorINS9_10device_ptrIiEEEENSB_INSC_IjEEEEPNS0_10empty_typeENS0_5tupleIJSE_SH_EEENSJ_IJSG_SI_EEENS0_18inequality_wrapperINS9_8equal_toIiEEEEPmJSH_EEE10hipError_tPvRmT3_T4_T5_T6_T7_T9_mT8_P12ihipStream_tbDpT10_ENKUlT_T0_E_clISt17integral_constantIbLb0EES19_IbLb1EEEEDaS15_S16_EUlS15_E_NS1_11comp_targetILNS1_3genE4ELNS1_11target_archE910ELNS1_3gpuE8ELNS1_3repE0EEENS1_30default_config_static_selectorELNS0_4arch9wavefront6targetE0EEEvT1_,"axG",@progbits,_ZN7rocprim17ROCPRIM_400000_NS6detail17trampoline_kernelINS0_14default_configENS1_25partition_config_selectorILNS1_17partition_subalgoE9EijbEEZZNS1_14partition_implILS5_9ELb0ES3_jN6thrust23THRUST_200600_302600_NS6detail15normal_iteratorINS9_10device_ptrIiEEEENSB_INSC_IjEEEEPNS0_10empty_typeENS0_5tupleIJSE_SH_EEENSJ_IJSG_SI_EEENS0_18inequality_wrapperINS9_8equal_toIiEEEEPmJSH_EEE10hipError_tPvRmT3_T4_T5_T6_T7_T9_mT8_P12ihipStream_tbDpT10_ENKUlT_T0_E_clISt17integral_constantIbLb0EES19_IbLb1EEEEDaS15_S16_EUlS15_E_NS1_11comp_targetILNS1_3genE4ELNS1_11target_archE910ELNS1_3gpuE8ELNS1_3repE0EEENS1_30default_config_static_selectorELNS0_4arch9wavefront6targetE0EEEvT1_,comdat
	.protected	_ZN7rocprim17ROCPRIM_400000_NS6detail17trampoline_kernelINS0_14default_configENS1_25partition_config_selectorILNS1_17partition_subalgoE9EijbEEZZNS1_14partition_implILS5_9ELb0ES3_jN6thrust23THRUST_200600_302600_NS6detail15normal_iteratorINS9_10device_ptrIiEEEENSB_INSC_IjEEEEPNS0_10empty_typeENS0_5tupleIJSE_SH_EEENSJ_IJSG_SI_EEENS0_18inequality_wrapperINS9_8equal_toIiEEEEPmJSH_EEE10hipError_tPvRmT3_T4_T5_T6_T7_T9_mT8_P12ihipStream_tbDpT10_ENKUlT_T0_E_clISt17integral_constantIbLb0EES19_IbLb1EEEEDaS15_S16_EUlS15_E_NS1_11comp_targetILNS1_3genE4ELNS1_11target_archE910ELNS1_3gpuE8ELNS1_3repE0EEENS1_30default_config_static_selectorELNS0_4arch9wavefront6targetE0EEEvT1_ ; -- Begin function _ZN7rocprim17ROCPRIM_400000_NS6detail17trampoline_kernelINS0_14default_configENS1_25partition_config_selectorILNS1_17partition_subalgoE9EijbEEZZNS1_14partition_implILS5_9ELb0ES3_jN6thrust23THRUST_200600_302600_NS6detail15normal_iteratorINS9_10device_ptrIiEEEENSB_INSC_IjEEEEPNS0_10empty_typeENS0_5tupleIJSE_SH_EEENSJ_IJSG_SI_EEENS0_18inequality_wrapperINS9_8equal_toIiEEEEPmJSH_EEE10hipError_tPvRmT3_T4_T5_T6_T7_T9_mT8_P12ihipStream_tbDpT10_ENKUlT_T0_E_clISt17integral_constantIbLb0EES19_IbLb1EEEEDaS15_S16_EUlS15_E_NS1_11comp_targetILNS1_3genE4ELNS1_11target_archE910ELNS1_3gpuE8ELNS1_3repE0EEENS1_30default_config_static_selectorELNS0_4arch9wavefront6targetE0EEEvT1_
	.globl	_ZN7rocprim17ROCPRIM_400000_NS6detail17trampoline_kernelINS0_14default_configENS1_25partition_config_selectorILNS1_17partition_subalgoE9EijbEEZZNS1_14partition_implILS5_9ELb0ES3_jN6thrust23THRUST_200600_302600_NS6detail15normal_iteratorINS9_10device_ptrIiEEEENSB_INSC_IjEEEEPNS0_10empty_typeENS0_5tupleIJSE_SH_EEENSJ_IJSG_SI_EEENS0_18inequality_wrapperINS9_8equal_toIiEEEEPmJSH_EEE10hipError_tPvRmT3_T4_T5_T6_T7_T9_mT8_P12ihipStream_tbDpT10_ENKUlT_T0_E_clISt17integral_constantIbLb0EES19_IbLb1EEEEDaS15_S16_EUlS15_E_NS1_11comp_targetILNS1_3genE4ELNS1_11target_archE910ELNS1_3gpuE8ELNS1_3repE0EEENS1_30default_config_static_selectorELNS0_4arch9wavefront6targetE0EEEvT1_
	.p2align	8
	.type	_ZN7rocprim17ROCPRIM_400000_NS6detail17trampoline_kernelINS0_14default_configENS1_25partition_config_selectorILNS1_17partition_subalgoE9EijbEEZZNS1_14partition_implILS5_9ELb0ES3_jN6thrust23THRUST_200600_302600_NS6detail15normal_iteratorINS9_10device_ptrIiEEEENSB_INSC_IjEEEEPNS0_10empty_typeENS0_5tupleIJSE_SH_EEENSJ_IJSG_SI_EEENS0_18inequality_wrapperINS9_8equal_toIiEEEEPmJSH_EEE10hipError_tPvRmT3_T4_T5_T6_T7_T9_mT8_P12ihipStream_tbDpT10_ENKUlT_T0_E_clISt17integral_constantIbLb0EES19_IbLb1EEEEDaS15_S16_EUlS15_E_NS1_11comp_targetILNS1_3genE4ELNS1_11target_archE910ELNS1_3gpuE8ELNS1_3repE0EEENS1_30default_config_static_selectorELNS0_4arch9wavefront6targetE0EEEvT1_,@function
_ZN7rocprim17ROCPRIM_400000_NS6detail17trampoline_kernelINS0_14default_configENS1_25partition_config_selectorILNS1_17partition_subalgoE9EijbEEZZNS1_14partition_implILS5_9ELb0ES3_jN6thrust23THRUST_200600_302600_NS6detail15normal_iteratorINS9_10device_ptrIiEEEENSB_INSC_IjEEEEPNS0_10empty_typeENS0_5tupleIJSE_SH_EEENSJ_IJSG_SI_EEENS0_18inequality_wrapperINS9_8equal_toIiEEEEPmJSH_EEE10hipError_tPvRmT3_T4_T5_T6_T7_T9_mT8_P12ihipStream_tbDpT10_ENKUlT_T0_E_clISt17integral_constantIbLb0EES19_IbLb1EEEEDaS15_S16_EUlS15_E_NS1_11comp_targetILNS1_3genE4ELNS1_11target_archE910ELNS1_3gpuE8ELNS1_3repE0EEENS1_30default_config_static_selectorELNS0_4arch9wavefront6targetE0EEEvT1_: ; @_ZN7rocprim17ROCPRIM_400000_NS6detail17trampoline_kernelINS0_14default_configENS1_25partition_config_selectorILNS1_17partition_subalgoE9EijbEEZZNS1_14partition_implILS5_9ELb0ES3_jN6thrust23THRUST_200600_302600_NS6detail15normal_iteratorINS9_10device_ptrIiEEEENSB_INSC_IjEEEEPNS0_10empty_typeENS0_5tupleIJSE_SH_EEENSJ_IJSG_SI_EEENS0_18inequality_wrapperINS9_8equal_toIiEEEEPmJSH_EEE10hipError_tPvRmT3_T4_T5_T6_T7_T9_mT8_P12ihipStream_tbDpT10_ENKUlT_T0_E_clISt17integral_constantIbLb0EES19_IbLb1EEEEDaS15_S16_EUlS15_E_NS1_11comp_targetILNS1_3genE4ELNS1_11target_archE910ELNS1_3gpuE8ELNS1_3repE0EEENS1_30default_config_static_selectorELNS0_4arch9wavefront6targetE0EEEvT1_
; %bb.0:
	.section	.rodata,"a",@progbits
	.p2align	6, 0x0
	.amdhsa_kernel _ZN7rocprim17ROCPRIM_400000_NS6detail17trampoline_kernelINS0_14default_configENS1_25partition_config_selectorILNS1_17partition_subalgoE9EijbEEZZNS1_14partition_implILS5_9ELb0ES3_jN6thrust23THRUST_200600_302600_NS6detail15normal_iteratorINS9_10device_ptrIiEEEENSB_INSC_IjEEEEPNS0_10empty_typeENS0_5tupleIJSE_SH_EEENSJ_IJSG_SI_EEENS0_18inequality_wrapperINS9_8equal_toIiEEEEPmJSH_EEE10hipError_tPvRmT3_T4_T5_T6_T7_T9_mT8_P12ihipStream_tbDpT10_ENKUlT_T0_E_clISt17integral_constantIbLb0EES19_IbLb1EEEEDaS15_S16_EUlS15_E_NS1_11comp_targetILNS1_3genE4ELNS1_11target_archE910ELNS1_3gpuE8ELNS1_3repE0EEENS1_30default_config_static_selectorELNS0_4arch9wavefront6targetE0EEEvT1_
		.amdhsa_group_segment_fixed_size 0
		.amdhsa_private_segment_fixed_size 0
		.amdhsa_kernarg_size 128
		.amdhsa_user_sgpr_count 15
		.amdhsa_user_sgpr_dispatch_ptr 0
		.amdhsa_user_sgpr_queue_ptr 0
		.amdhsa_user_sgpr_kernarg_segment_ptr 1
		.amdhsa_user_sgpr_dispatch_id 0
		.amdhsa_user_sgpr_private_segment_size 0
		.amdhsa_wavefront_size32 1
		.amdhsa_uses_dynamic_stack 0
		.amdhsa_enable_private_segment 0
		.amdhsa_system_sgpr_workgroup_id_x 1
		.amdhsa_system_sgpr_workgroup_id_y 0
		.amdhsa_system_sgpr_workgroup_id_z 0
		.amdhsa_system_sgpr_workgroup_info 0
		.amdhsa_system_vgpr_workitem_id 0
		.amdhsa_next_free_vgpr 1
		.amdhsa_next_free_sgpr 1
		.amdhsa_reserve_vcc 0
		.amdhsa_float_round_mode_32 0
		.amdhsa_float_round_mode_16_64 0
		.amdhsa_float_denorm_mode_32 3
		.amdhsa_float_denorm_mode_16_64 3
		.amdhsa_dx10_clamp 1
		.amdhsa_ieee_mode 1
		.amdhsa_fp16_overflow 0
		.amdhsa_workgroup_processor_mode 1
		.amdhsa_memory_ordered 1
		.amdhsa_forward_progress 0
		.amdhsa_shared_vgpr_count 0
		.amdhsa_exception_fp_ieee_invalid_op 0
		.amdhsa_exception_fp_denorm_src 0
		.amdhsa_exception_fp_ieee_div_zero 0
		.amdhsa_exception_fp_ieee_overflow 0
		.amdhsa_exception_fp_ieee_underflow 0
		.amdhsa_exception_fp_ieee_inexact 0
		.amdhsa_exception_int_div_zero 0
	.end_amdhsa_kernel
	.section	.text._ZN7rocprim17ROCPRIM_400000_NS6detail17trampoline_kernelINS0_14default_configENS1_25partition_config_selectorILNS1_17partition_subalgoE9EijbEEZZNS1_14partition_implILS5_9ELb0ES3_jN6thrust23THRUST_200600_302600_NS6detail15normal_iteratorINS9_10device_ptrIiEEEENSB_INSC_IjEEEEPNS0_10empty_typeENS0_5tupleIJSE_SH_EEENSJ_IJSG_SI_EEENS0_18inequality_wrapperINS9_8equal_toIiEEEEPmJSH_EEE10hipError_tPvRmT3_T4_T5_T6_T7_T9_mT8_P12ihipStream_tbDpT10_ENKUlT_T0_E_clISt17integral_constantIbLb0EES19_IbLb1EEEEDaS15_S16_EUlS15_E_NS1_11comp_targetILNS1_3genE4ELNS1_11target_archE910ELNS1_3gpuE8ELNS1_3repE0EEENS1_30default_config_static_selectorELNS0_4arch9wavefront6targetE0EEEvT1_,"axG",@progbits,_ZN7rocprim17ROCPRIM_400000_NS6detail17trampoline_kernelINS0_14default_configENS1_25partition_config_selectorILNS1_17partition_subalgoE9EijbEEZZNS1_14partition_implILS5_9ELb0ES3_jN6thrust23THRUST_200600_302600_NS6detail15normal_iteratorINS9_10device_ptrIiEEEENSB_INSC_IjEEEEPNS0_10empty_typeENS0_5tupleIJSE_SH_EEENSJ_IJSG_SI_EEENS0_18inequality_wrapperINS9_8equal_toIiEEEEPmJSH_EEE10hipError_tPvRmT3_T4_T5_T6_T7_T9_mT8_P12ihipStream_tbDpT10_ENKUlT_T0_E_clISt17integral_constantIbLb0EES19_IbLb1EEEEDaS15_S16_EUlS15_E_NS1_11comp_targetILNS1_3genE4ELNS1_11target_archE910ELNS1_3gpuE8ELNS1_3repE0EEENS1_30default_config_static_selectorELNS0_4arch9wavefront6targetE0EEEvT1_,comdat
.Lfunc_end655:
	.size	_ZN7rocprim17ROCPRIM_400000_NS6detail17trampoline_kernelINS0_14default_configENS1_25partition_config_selectorILNS1_17partition_subalgoE9EijbEEZZNS1_14partition_implILS5_9ELb0ES3_jN6thrust23THRUST_200600_302600_NS6detail15normal_iteratorINS9_10device_ptrIiEEEENSB_INSC_IjEEEEPNS0_10empty_typeENS0_5tupleIJSE_SH_EEENSJ_IJSG_SI_EEENS0_18inequality_wrapperINS9_8equal_toIiEEEEPmJSH_EEE10hipError_tPvRmT3_T4_T5_T6_T7_T9_mT8_P12ihipStream_tbDpT10_ENKUlT_T0_E_clISt17integral_constantIbLb0EES19_IbLb1EEEEDaS15_S16_EUlS15_E_NS1_11comp_targetILNS1_3genE4ELNS1_11target_archE910ELNS1_3gpuE8ELNS1_3repE0EEENS1_30default_config_static_selectorELNS0_4arch9wavefront6targetE0EEEvT1_, .Lfunc_end655-_ZN7rocprim17ROCPRIM_400000_NS6detail17trampoline_kernelINS0_14default_configENS1_25partition_config_selectorILNS1_17partition_subalgoE9EijbEEZZNS1_14partition_implILS5_9ELb0ES3_jN6thrust23THRUST_200600_302600_NS6detail15normal_iteratorINS9_10device_ptrIiEEEENSB_INSC_IjEEEEPNS0_10empty_typeENS0_5tupleIJSE_SH_EEENSJ_IJSG_SI_EEENS0_18inequality_wrapperINS9_8equal_toIiEEEEPmJSH_EEE10hipError_tPvRmT3_T4_T5_T6_T7_T9_mT8_P12ihipStream_tbDpT10_ENKUlT_T0_E_clISt17integral_constantIbLb0EES19_IbLb1EEEEDaS15_S16_EUlS15_E_NS1_11comp_targetILNS1_3genE4ELNS1_11target_archE910ELNS1_3gpuE8ELNS1_3repE0EEENS1_30default_config_static_selectorELNS0_4arch9wavefront6targetE0EEEvT1_
                                        ; -- End function
	.section	.AMDGPU.csdata,"",@progbits
; Kernel info:
; codeLenInByte = 0
; NumSgprs: 0
; NumVgprs: 0
; ScratchSize: 0
; MemoryBound: 0
; FloatMode: 240
; IeeeMode: 1
; LDSByteSize: 0 bytes/workgroup (compile time only)
; SGPRBlocks: 0
; VGPRBlocks: 0
; NumSGPRsForWavesPerEU: 1
; NumVGPRsForWavesPerEU: 1
; Occupancy: 15
; WaveLimiterHint : 0
; COMPUTE_PGM_RSRC2:SCRATCH_EN: 0
; COMPUTE_PGM_RSRC2:USER_SGPR: 15
; COMPUTE_PGM_RSRC2:TRAP_HANDLER: 0
; COMPUTE_PGM_RSRC2:TGID_X_EN: 1
; COMPUTE_PGM_RSRC2:TGID_Y_EN: 0
; COMPUTE_PGM_RSRC2:TGID_Z_EN: 0
; COMPUTE_PGM_RSRC2:TIDIG_COMP_CNT: 0
	.section	.text._ZN7rocprim17ROCPRIM_400000_NS6detail17trampoline_kernelINS0_14default_configENS1_25partition_config_selectorILNS1_17partition_subalgoE9EijbEEZZNS1_14partition_implILS5_9ELb0ES3_jN6thrust23THRUST_200600_302600_NS6detail15normal_iteratorINS9_10device_ptrIiEEEENSB_INSC_IjEEEEPNS0_10empty_typeENS0_5tupleIJSE_SH_EEENSJ_IJSG_SI_EEENS0_18inequality_wrapperINS9_8equal_toIiEEEEPmJSH_EEE10hipError_tPvRmT3_T4_T5_T6_T7_T9_mT8_P12ihipStream_tbDpT10_ENKUlT_T0_E_clISt17integral_constantIbLb0EES19_IbLb1EEEEDaS15_S16_EUlS15_E_NS1_11comp_targetILNS1_3genE3ELNS1_11target_archE908ELNS1_3gpuE7ELNS1_3repE0EEENS1_30default_config_static_selectorELNS0_4arch9wavefront6targetE0EEEvT1_,"axG",@progbits,_ZN7rocprim17ROCPRIM_400000_NS6detail17trampoline_kernelINS0_14default_configENS1_25partition_config_selectorILNS1_17partition_subalgoE9EijbEEZZNS1_14partition_implILS5_9ELb0ES3_jN6thrust23THRUST_200600_302600_NS6detail15normal_iteratorINS9_10device_ptrIiEEEENSB_INSC_IjEEEEPNS0_10empty_typeENS0_5tupleIJSE_SH_EEENSJ_IJSG_SI_EEENS0_18inequality_wrapperINS9_8equal_toIiEEEEPmJSH_EEE10hipError_tPvRmT3_T4_T5_T6_T7_T9_mT8_P12ihipStream_tbDpT10_ENKUlT_T0_E_clISt17integral_constantIbLb0EES19_IbLb1EEEEDaS15_S16_EUlS15_E_NS1_11comp_targetILNS1_3genE3ELNS1_11target_archE908ELNS1_3gpuE7ELNS1_3repE0EEENS1_30default_config_static_selectorELNS0_4arch9wavefront6targetE0EEEvT1_,comdat
	.protected	_ZN7rocprim17ROCPRIM_400000_NS6detail17trampoline_kernelINS0_14default_configENS1_25partition_config_selectorILNS1_17partition_subalgoE9EijbEEZZNS1_14partition_implILS5_9ELb0ES3_jN6thrust23THRUST_200600_302600_NS6detail15normal_iteratorINS9_10device_ptrIiEEEENSB_INSC_IjEEEEPNS0_10empty_typeENS0_5tupleIJSE_SH_EEENSJ_IJSG_SI_EEENS0_18inequality_wrapperINS9_8equal_toIiEEEEPmJSH_EEE10hipError_tPvRmT3_T4_T5_T6_T7_T9_mT8_P12ihipStream_tbDpT10_ENKUlT_T0_E_clISt17integral_constantIbLb0EES19_IbLb1EEEEDaS15_S16_EUlS15_E_NS1_11comp_targetILNS1_3genE3ELNS1_11target_archE908ELNS1_3gpuE7ELNS1_3repE0EEENS1_30default_config_static_selectorELNS0_4arch9wavefront6targetE0EEEvT1_ ; -- Begin function _ZN7rocprim17ROCPRIM_400000_NS6detail17trampoline_kernelINS0_14default_configENS1_25partition_config_selectorILNS1_17partition_subalgoE9EijbEEZZNS1_14partition_implILS5_9ELb0ES3_jN6thrust23THRUST_200600_302600_NS6detail15normal_iteratorINS9_10device_ptrIiEEEENSB_INSC_IjEEEEPNS0_10empty_typeENS0_5tupleIJSE_SH_EEENSJ_IJSG_SI_EEENS0_18inequality_wrapperINS9_8equal_toIiEEEEPmJSH_EEE10hipError_tPvRmT3_T4_T5_T6_T7_T9_mT8_P12ihipStream_tbDpT10_ENKUlT_T0_E_clISt17integral_constantIbLb0EES19_IbLb1EEEEDaS15_S16_EUlS15_E_NS1_11comp_targetILNS1_3genE3ELNS1_11target_archE908ELNS1_3gpuE7ELNS1_3repE0EEENS1_30default_config_static_selectorELNS0_4arch9wavefront6targetE0EEEvT1_
	.globl	_ZN7rocprim17ROCPRIM_400000_NS6detail17trampoline_kernelINS0_14default_configENS1_25partition_config_selectorILNS1_17partition_subalgoE9EijbEEZZNS1_14partition_implILS5_9ELb0ES3_jN6thrust23THRUST_200600_302600_NS6detail15normal_iteratorINS9_10device_ptrIiEEEENSB_INSC_IjEEEEPNS0_10empty_typeENS0_5tupleIJSE_SH_EEENSJ_IJSG_SI_EEENS0_18inequality_wrapperINS9_8equal_toIiEEEEPmJSH_EEE10hipError_tPvRmT3_T4_T5_T6_T7_T9_mT8_P12ihipStream_tbDpT10_ENKUlT_T0_E_clISt17integral_constantIbLb0EES19_IbLb1EEEEDaS15_S16_EUlS15_E_NS1_11comp_targetILNS1_3genE3ELNS1_11target_archE908ELNS1_3gpuE7ELNS1_3repE0EEENS1_30default_config_static_selectorELNS0_4arch9wavefront6targetE0EEEvT1_
	.p2align	8
	.type	_ZN7rocprim17ROCPRIM_400000_NS6detail17trampoline_kernelINS0_14default_configENS1_25partition_config_selectorILNS1_17partition_subalgoE9EijbEEZZNS1_14partition_implILS5_9ELb0ES3_jN6thrust23THRUST_200600_302600_NS6detail15normal_iteratorINS9_10device_ptrIiEEEENSB_INSC_IjEEEEPNS0_10empty_typeENS0_5tupleIJSE_SH_EEENSJ_IJSG_SI_EEENS0_18inequality_wrapperINS9_8equal_toIiEEEEPmJSH_EEE10hipError_tPvRmT3_T4_T5_T6_T7_T9_mT8_P12ihipStream_tbDpT10_ENKUlT_T0_E_clISt17integral_constantIbLb0EES19_IbLb1EEEEDaS15_S16_EUlS15_E_NS1_11comp_targetILNS1_3genE3ELNS1_11target_archE908ELNS1_3gpuE7ELNS1_3repE0EEENS1_30default_config_static_selectorELNS0_4arch9wavefront6targetE0EEEvT1_,@function
_ZN7rocprim17ROCPRIM_400000_NS6detail17trampoline_kernelINS0_14default_configENS1_25partition_config_selectorILNS1_17partition_subalgoE9EijbEEZZNS1_14partition_implILS5_9ELb0ES3_jN6thrust23THRUST_200600_302600_NS6detail15normal_iteratorINS9_10device_ptrIiEEEENSB_INSC_IjEEEEPNS0_10empty_typeENS0_5tupleIJSE_SH_EEENSJ_IJSG_SI_EEENS0_18inequality_wrapperINS9_8equal_toIiEEEEPmJSH_EEE10hipError_tPvRmT3_T4_T5_T6_T7_T9_mT8_P12ihipStream_tbDpT10_ENKUlT_T0_E_clISt17integral_constantIbLb0EES19_IbLb1EEEEDaS15_S16_EUlS15_E_NS1_11comp_targetILNS1_3genE3ELNS1_11target_archE908ELNS1_3gpuE7ELNS1_3repE0EEENS1_30default_config_static_selectorELNS0_4arch9wavefront6targetE0EEEvT1_: ; @_ZN7rocprim17ROCPRIM_400000_NS6detail17trampoline_kernelINS0_14default_configENS1_25partition_config_selectorILNS1_17partition_subalgoE9EijbEEZZNS1_14partition_implILS5_9ELb0ES3_jN6thrust23THRUST_200600_302600_NS6detail15normal_iteratorINS9_10device_ptrIiEEEENSB_INSC_IjEEEEPNS0_10empty_typeENS0_5tupleIJSE_SH_EEENSJ_IJSG_SI_EEENS0_18inequality_wrapperINS9_8equal_toIiEEEEPmJSH_EEE10hipError_tPvRmT3_T4_T5_T6_T7_T9_mT8_P12ihipStream_tbDpT10_ENKUlT_T0_E_clISt17integral_constantIbLb0EES19_IbLb1EEEEDaS15_S16_EUlS15_E_NS1_11comp_targetILNS1_3genE3ELNS1_11target_archE908ELNS1_3gpuE7ELNS1_3repE0EEENS1_30default_config_static_selectorELNS0_4arch9wavefront6targetE0EEEvT1_
; %bb.0:
	.section	.rodata,"a",@progbits
	.p2align	6, 0x0
	.amdhsa_kernel _ZN7rocprim17ROCPRIM_400000_NS6detail17trampoline_kernelINS0_14default_configENS1_25partition_config_selectorILNS1_17partition_subalgoE9EijbEEZZNS1_14partition_implILS5_9ELb0ES3_jN6thrust23THRUST_200600_302600_NS6detail15normal_iteratorINS9_10device_ptrIiEEEENSB_INSC_IjEEEEPNS0_10empty_typeENS0_5tupleIJSE_SH_EEENSJ_IJSG_SI_EEENS0_18inequality_wrapperINS9_8equal_toIiEEEEPmJSH_EEE10hipError_tPvRmT3_T4_T5_T6_T7_T9_mT8_P12ihipStream_tbDpT10_ENKUlT_T0_E_clISt17integral_constantIbLb0EES19_IbLb1EEEEDaS15_S16_EUlS15_E_NS1_11comp_targetILNS1_3genE3ELNS1_11target_archE908ELNS1_3gpuE7ELNS1_3repE0EEENS1_30default_config_static_selectorELNS0_4arch9wavefront6targetE0EEEvT1_
		.amdhsa_group_segment_fixed_size 0
		.amdhsa_private_segment_fixed_size 0
		.amdhsa_kernarg_size 128
		.amdhsa_user_sgpr_count 15
		.amdhsa_user_sgpr_dispatch_ptr 0
		.amdhsa_user_sgpr_queue_ptr 0
		.amdhsa_user_sgpr_kernarg_segment_ptr 1
		.amdhsa_user_sgpr_dispatch_id 0
		.amdhsa_user_sgpr_private_segment_size 0
		.amdhsa_wavefront_size32 1
		.amdhsa_uses_dynamic_stack 0
		.amdhsa_enable_private_segment 0
		.amdhsa_system_sgpr_workgroup_id_x 1
		.amdhsa_system_sgpr_workgroup_id_y 0
		.amdhsa_system_sgpr_workgroup_id_z 0
		.amdhsa_system_sgpr_workgroup_info 0
		.amdhsa_system_vgpr_workitem_id 0
		.amdhsa_next_free_vgpr 1
		.amdhsa_next_free_sgpr 1
		.amdhsa_reserve_vcc 0
		.amdhsa_float_round_mode_32 0
		.amdhsa_float_round_mode_16_64 0
		.amdhsa_float_denorm_mode_32 3
		.amdhsa_float_denorm_mode_16_64 3
		.amdhsa_dx10_clamp 1
		.amdhsa_ieee_mode 1
		.amdhsa_fp16_overflow 0
		.amdhsa_workgroup_processor_mode 1
		.amdhsa_memory_ordered 1
		.amdhsa_forward_progress 0
		.amdhsa_shared_vgpr_count 0
		.amdhsa_exception_fp_ieee_invalid_op 0
		.amdhsa_exception_fp_denorm_src 0
		.amdhsa_exception_fp_ieee_div_zero 0
		.amdhsa_exception_fp_ieee_overflow 0
		.amdhsa_exception_fp_ieee_underflow 0
		.amdhsa_exception_fp_ieee_inexact 0
		.amdhsa_exception_int_div_zero 0
	.end_amdhsa_kernel
	.section	.text._ZN7rocprim17ROCPRIM_400000_NS6detail17trampoline_kernelINS0_14default_configENS1_25partition_config_selectorILNS1_17partition_subalgoE9EijbEEZZNS1_14partition_implILS5_9ELb0ES3_jN6thrust23THRUST_200600_302600_NS6detail15normal_iteratorINS9_10device_ptrIiEEEENSB_INSC_IjEEEEPNS0_10empty_typeENS0_5tupleIJSE_SH_EEENSJ_IJSG_SI_EEENS0_18inequality_wrapperINS9_8equal_toIiEEEEPmJSH_EEE10hipError_tPvRmT3_T4_T5_T6_T7_T9_mT8_P12ihipStream_tbDpT10_ENKUlT_T0_E_clISt17integral_constantIbLb0EES19_IbLb1EEEEDaS15_S16_EUlS15_E_NS1_11comp_targetILNS1_3genE3ELNS1_11target_archE908ELNS1_3gpuE7ELNS1_3repE0EEENS1_30default_config_static_selectorELNS0_4arch9wavefront6targetE0EEEvT1_,"axG",@progbits,_ZN7rocprim17ROCPRIM_400000_NS6detail17trampoline_kernelINS0_14default_configENS1_25partition_config_selectorILNS1_17partition_subalgoE9EijbEEZZNS1_14partition_implILS5_9ELb0ES3_jN6thrust23THRUST_200600_302600_NS6detail15normal_iteratorINS9_10device_ptrIiEEEENSB_INSC_IjEEEEPNS0_10empty_typeENS0_5tupleIJSE_SH_EEENSJ_IJSG_SI_EEENS0_18inequality_wrapperINS9_8equal_toIiEEEEPmJSH_EEE10hipError_tPvRmT3_T4_T5_T6_T7_T9_mT8_P12ihipStream_tbDpT10_ENKUlT_T0_E_clISt17integral_constantIbLb0EES19_IbLb1EEEEDaS15_S16_EUlS15_E_NS1_11comp_targetILNS1_3genE3ELNS1_11target_archE908ELNS1_3gpuE7ELNS1_3repE0EEENS1_30default_config_static_selectorELNS0_4arch9wavefront6targetE0EEEvT1_,comdat
.Lfunc_end656:
	.size	_ZN7rocprim17ROCPRIM_400000_NS6detail17trampoline_kernelINS0_14default_configENS1_25partition_config_selectorILNS1_17partition_subalgoE9EijbEEZZNS1_14partition_implILS5_9ELb0ES3_jN6thrust23THRUST_200600_302600_NS6detail15normal_iteratorINS9_10device_ptrIiEEEENSB_INSC_IjEEEEPNS0_10empty_typeENS0_5tupleIJSE_SH_EEENSJ_IJSG_SI_EEENS0_18inequality_wrapperINS9_8equal_toIiEEEEPmJSH_EEE10hipError_tPvRmT3_T4_T5_T6_T7_T9_mT8_P12ihipStream_tbDpT10_ENKUlT_T0_E_clISt17integral_constantIbLb0EES19_IbLb1EEEEDaS15_S16_EUlS15_E_NS1_11comp_targetILNS1_3genE3ELNS1_11target_archE908ELNS1_3gpuE7ELNS1_3repE0EEENS1_30default_config_static_selectorELNS0_4arch9wavefront6targetE0EEEvT1_, .Lfunc_end656-_ZN7rocprim17ROCPRIM_400000_NS6detail17trampoline_kernelINS0_14default_configENS1_25partition_config_selectorILNS1_17partition_subalgoE9EijbEEZZNS1_14partition_implILS5_9ELb0ES3_jN6thrust23THRUST_200600_302600_NS6detail15normal_iteratorINS9_10device_ptrIiEEEENSB_INSC_IjEEEEPNS0_10empty_typeENS0_5tupleIJSE_SH_EEENSJ_IJSG_SI_EEENS0_18inequality_wrapperINS9_8equal_toIiEEEEPmJSH_EEE10hipError_tPvRmT3_T4_T5_T6_T7_T9_mT8_P12ihipStream_tbDpT10_ENKUlT_T0_E_clISt17integral_constantIbLb0EES19_IbLb1EEEEDaS15_S16_EUlS15_E_NS1_11comp_targetILNS1_3genE3ELNS1_11target_archE908ELNS1_3gpuE7ELNS1_3repE0EEENS1_30default_config_static_selectorELNS0_4arch9wavefront6targetE0EEEvT1_
                                        ; -- End function
	.section	.AMDGPU.csdata,"",@progbits
; Kernel info:
; codeLenInByte = 0
; NumSgprs: 0
; NumVgprs: 0
; ScratchSize: 0
; MemoryBound: 0
; FloatMode: 240
; IeeeMode: 1
; LDSByteSize: 0 bytes/workgroup (compile time only)
; SGPRBlocks: 0
; VGPRBlocks: 0
; NumSGPRsForWavesPerEU: 1
; NumVGPRsForWavesPerEU: 1
; Occupancy: 16
; WaveLimiterHint : 0
; COMPUTE_PGM_RSRC2:SCRATCH_EN: 0
; COMPUTE_PGM_RSRC2:USER_SGPR: 15
; COMPUTE_PGM_RSRC2:TRAP_HANDLER: 0
; COMPUTE_PGM_RSRC2:TGID_X_EN: 1
; COMPUTE_PGM_RSRC2:TGID_Y_EN: 0
; COMPUTE_PGM_RSRC2:TGID_Z_EN: 0
; COMPUTE_PGM_RSRC2:TIDIG_COMP_CNT: 0
	.section	.text._ZN7rocprim17ROCPRIM_400000_NS6detail17trampoline_kernelINS0_14default_configENS1_25partition_config_selectorILNS1_17partition_subalgoE9EijbEEZZNS1_14partition_implILS5_9ELb0ES3_jN6thrust23THRUST_200600_302600_NS6detail15normal_iteratorINS9_10device_ptrIiEEEENSB_INSC_IjEEEEPNS0_10empty_typeENS0_5tupleIJSE_SH_EEENSJ_IJSG_SI_EEENS0_18inequality_wrapperINS9_8equal_toIiEEEEPmJSH_EEE10hipError_tPvRmT3_T4_T5_T6_T7_T9_mT8_P12ihipStream_tbDpT10_ENKUlT_T0_E_clISt17integral_constantIbLb0EES19_IbLb1EEEEDaS15_S16_EUlS15_E_NS1_11comp_targetILNS1_3genE2ELNS1_11target_archE906ELNS1_3gpuE6ELNS1_3repE0EEENS1_30default_config_static_selectorELNS0_4arch9wavefront6targetE0EEEvT1_,"axG",@progbits,_ZN7rocprim17ROCPRIM_400000_NS6detail17trampoline_kernelINS0_14default_configENS1_25partition_config_selectorILNS1_17partition_subalgoE9EijbEEZZNS1_14partition_implILS5_9ELb0ES3_jN6thrust23THRUST_200600_302600_NS6detail15normal_iteratorINS9_10device_ptrIiEEEENSB_INSC_IjEEEEPNS0_10empty_typeENS0_5tupleIJSE_SH_EEENSJ_IJSG_SI_EEENS0_18inequality_wrapperINS9_8equal_toIiEEEEPmJSH_EEE10hipError_tPvRmT3_T4_T5_T6_T7_T9_mT8_P12ihipStream_tbDpT10_ENKUlT_T0_E_clISt17integral_constantIbLb0EES19_IbLb1EEEEDaS15_S16_EUlS15_E_NS1_11comp_targetILNS1_3genE2ELNS1_11target_archE906ELNS1_3gpuE6ELNS1_3repE0EEENS1_30default_config_static_selectorELNS0_4arch9wavefront6targetE0EEEvT1_,comdat
	.protected	_ZN7rocprim17ROCPRIM_400000_NS6detail17trampoline_kernelINS0_14default_configENS1_25partition_config_selectorILNS1_17partition_subalgoE9EijbEEZZNS1_14partition_implILS5_9ELb0ES3_jN6thrust23THRUST_200600_302600_NS6detail15normal_iteratorINS9_10device_ptrIiEEEENSB_INSC_IjEEEEPNS0_10empty_typeENS0_5tupleIJSE_SH_EEENSJ_IJSG_SI_EEENS0_18inequality_wrapperINS9_8equal_toIiEEEEPmJSH_EEE10hipError_tPvRmT3_T4_T5_T6_T7_T9_mT8_P12ihipStream_tbDpT10_ENKUlT_T0_E_clISt17integral_constantIbLb0EES19_IbLb1EEEEDaS15_S16_EUlS15_E_NS1_11comp_targetILNS1_3genE2ELNS1_11target_archE906ELNS1_3gpuE6ELNS1_3repE0EEENS1_30default_config_static_selectorELNS0_4arch9wavefront6targetE0EEEvT1_ ; -- Begin function _ZN7rocprim17ROCPRIM_400000_NS6detail17trampoline_kernelINS0_14default_configENS1_25partition_config_selectorILNS1_17partition_subalgoE9EijbEEZZNS1_14partition_implILS5_9ELb0ES3_jN6thrust23THRUST_200600_302600_NS6detail15normal_iteratorINS9_10device_ptrIiEEEENSB_INSC_IjEEEEPNS0_10empty_typeENS0_5tupleIJSE_SH_EEENSJ_IJSG_SI_EEENS0_18inequality_wrapperINS9_8equal_toIiEEEEPmJSH_EEE10hipError_tPvRmT3_T4_T5_T6_T7_T9_mT8_P12ihipStream_tbDpT10_ENKUlT_T0_E_clISt17integral_constantIbLb0EES19_IbLb1EEEEDaS15_S16_EUlS15_E_NS1_11comp_targetILNS1_3genE2ELNS1_11target_archE906ELNS1_3gpuE6ELNS1_3repE0EEENS1_30default_config_static_selectorELNS0_4arch9wavefront6targetE0EEEvT1_
	.globl	_ZN7rocprim17ROCPRIM_400000_NS6detail17trampoline_kernelINS0_14default_configENS1_25partition_config_selectorILNS1_17partition_subalgoE9EijbEEZZNS1_14partition_implILS5_9ELb0ES3_jN6thrust23THRUST_200600_302600_NS6detail15normal_iteratorINS9_10device_ptrIiEEEENSB_INSC_IjEEEEPNS0_10empty_typeENS0_5tupleIJSE_SH_EEENSJ_IJSG_SI_EEENS0_18inequality_wrapperINS9_8equal_toIiEEEEPmJSH_EEE10hipError_tPvRmT3_T4_T5_T6_T7_T9_mT8_P12ihipStream_tbDpT10_ENKUlT_T0_E_clISt17integral_constantIbLb0EES19_IbLb1EEEEDaS15_S16_EUlS15_E_NS1_11comp_targetILNS1_3genE2ELNS1_11target_archE906ELNS1_3gpuE6ELNS1_3repE0EEENS1_30default_config_static_selectorELNS0_4arch9wavefront6targetE0EEEvT1_
	.p2align	8
	.type	_ZN7rocprim17ROCPRIM_400000_NS6detail17trampoline_kernelINS0_14default_configENS1_25partition_config_selectorILNS1_17partition_subalgoE9EijbEEZZNS1_14partition_implILS5_9ELb0ES3_jN6thrust23THRUST_200600_302600_NS6detail15normal_iteratorINS9_10device_ptrIiEEEENSB_INSC_IjEEEEPNS0_10empty_typeENS0_5tupleIJSE_SH_EEENSJ_IJSG_SI_EEENS0_18inequality_wrapperINS9_8equal_toIiEEEEPmJSH_EEE10hipError_tPvRmT3_T4_T5_T6_T7_T9_mT8_P12ihipStream_tbDpT10_ENKUlT_T0_E_clISt17integral_constantIbLb0EES19_IbLb1EEEEDaS15_S16_EUlS15_E_NS1_11comp_targetILNS1_3genE2ELNS1_11target_archE906ELNS1_3gpuE6ELNS1_3repE0EEENS1_30default_config_static_selectorELNS0_4arch9wavefront6targetE0EEEvT1_,@function
_ZN7rocprim17ROCPRIM_400000_NS6detail17trampoline_kernelINS0_14default_configENS1_25partition_config_selectorILNS1_17partition_subalgoE9EijbEEZZNS1_14partition_implILS5_9ELb0ES3_jN6thrust23THRUST_200600_302600_NS6detail15normal_iteratorINS9_10device_ptrIiEEEENSB_INSC_IjEEEEPNS0_10empty_typeENS0_5tupleIJSE_SH_EEENSJ_IJSG_SI_EEENS0_18inequality_wrapperINS9_8equal_toIiEEEEPmJSH_EEE10hipError_tPvRmT3_T4_T5_T6_T7_T9_mT8_P12ihipStream_tbDpT10_ENKUlT_T0_E_clISt17integral_constantIbLb0EES19_IbLb1EEEEDaS15_S16_EUlS15_E_NS1_11comp_targetILNS1_3genE2ELNS1_11target_archE906ELNS1_3gpuE6ELNS1_3repE0EEENS1_30default_config_static_selectorELNS0_4arch9wavefront6targetE0EEEvT1_: ; @_ZN7rocprim17ROCPRIM_400000_NS6detail17trampoline_kernelINS0_14default_configENS1_25partition_config_selectorILNS1_17partition_subalgoE9EijbEEZZNS1_14partition_implILS5_9ELb0ES3_jN6thrust23THRUST_200600_302600_NS6detail15normal_iteratorINS9_10device_ptrIiEEEENSB_INSC_IjEEEEPNS0_10empty_typeENS0_5tupleIJSE_SH_EEENSJ_IJSG_SI_EEENS0_18inequality_wrapperINS9_8equal_toIiEEEEPmJSH_EEE10hipError_tPvRmT3_T4_T5_T6_T7_T9_mT8_P12ihipStream_tbDpT10_ENKUlT_T0_E_clISt17integral_constantIbLb0EES19_IbLb1EEEEDaS15_S16_EUlS15_E_NS1_11comp_targetILNS1_3genE2ELNS1_11target_archE906ELNS1_3gpuE6ELNS1_3repE0EEENS1_30default_config_static_selectorELNS0_4arch9wavefront6targetE0EEEvT1_
; %bb.0:
	.section	.rodata,"a",@progbits
	.p2align	6, 0x0
	.amdhsa_kernel _ZN7rocprim17ROCPRIM_400000_NS6detail17trampoline_kernelINS0_14default_configENS1_25partition_config_selectorILNS1_17partition_subalgoE9EijbEEZZNS1_14partition_implILS5_9ELb0ES3_jN6thrust23THRUST_200600_302600_NS6detail15normal_iteratorINS9_10device_ptrIiEEEENSB_INSC_IjEEEEPNS0_10empty_typeENS0_5tupleIJSE_SH_EEENSJ_IJSG_SI_EEENS0_18inequality_wrapperINS9_8equal_toIiEEEEPmJSH_EEE10hipError_tPvRmT3_T4_T5_T6_T7_T9_mT8_P12ihipStream_tbDpT10_ENKUlT_T0_E_clISt17integral_constantIbLb0EES19_IbLb1EEEEDaS15_S16_EUlS15_E_NS1_11comp_targetILNS1_3genE2ELNS1_11target_archE906ELNS1_3gpuE6ELNS1_3repE0EEENS1_30default_config_static_selectorELNS0_4arch9wavefront6targetE0EEEvT1_
		.amdhsa_group_segment_fixed_size 0
		.amdhsa_private_segment_fixed_size 0
		.amdhsa_kernarg_size 128
		.amdhsa_user_sgpr_count 15
		.amdhsa_user_sgpr_dispatch_ptr 0
		.amdhsa_user_sgpr_queue_ptr 0
		.amdhsa_user_sgpr_kernarg_segment_ptr 1
		.amdhsa_user_sgpr_dispatch_id 0
		.amdhsa_user_sgpr_private_segment_size 0
		.amdhsa_wavefront_size32 1
		.amdhsa_uses_dynamic_stack 0
		.amdhsa_enable_private_segment 0
		.amdhsa_system_sgpr_workgroup_id_x 1
		.amdhsa_system_sgpr_workgroup_id_y 0
		.amdhsa_system_sgpr_workgroup_id_z 0
		.amdhsa_system_sgpr_workgroup_info 0
		.amdhsa_system_vgpr_workitem_id 0
		.amdhsa_next_free_vgpr 1
		.amdhsa_next_free_sgpr 1
		.amdhsa_reserve_vcc 0
		.amdhsa_float_round_mode_32 0
		.amdhsa_float_round_mode_16_64 0
		.amdhsa_float_denorm_mode_32 3
		.amdhsa_float_denorm_mode_16_64 3
		.amdhsa_dx10_clamp 1
		.amdhsa_ieee_mode 1
		.amdhsa_fp16_overflow 0
		.amdhsa_workgroup_processor_mode 1
		.amdhsa_memory_ordered 1
		.amdhsa_forward_progress 0
		.amdhsa_shared_vgpr_count 0
		.amdhsa_exception_fp_ieee_invalid_op 0
		.amdhsa_exception_fp_denorm_src 0
		.amdhsa_exception_fp_ieee_div_zero 0
		.amdhsa_exception_fp_ieee_overflow 0
		.amdhsa_exception_fp_ieee_underflow 0
		.amdhsa_exception_fp_ieee_inexact 0
		.amdhsa_exception_int_div_zero 0
	.end_amdhsa_kernel
	.section	.text._ZN7rocprim17ROCPRIM_400000_NS6detail17trampoline_kernelINS0_14default_configENS1_25partition_config_selectorILNS1_17partition_subalgoE9EijbEEZZNS1_14partition_implILS5_9ELb0ES3_jN6thrust23THRUST_200600_302600_NS6detail15normal_iteratorINS9_10device_ptrIiEEEENSB_INSC_IjEEEEPNS0_10empty_typeENS0_5tupleIJSE_SH_EEENSJ_IJSG_SI_EEENS0_18inequality_wrapperINS9_8equal_toIiEEEEPmJSH_EEE10hipError_tPvRmT3_T4_T5_T6_T7_T9_mT8_P12ihipStream_tbDpT10_ENKUlT_T0_E_clISt17integral_constantIbLb0EES19_IbLb1EEEEDaS15_S16_EUlS15_E_NS1_11comp_targetILNS1_3genE2ELNS1_11target_archE906ELNS1_3gpuE6ELNS1_3repE0EEENS1_30default_config_static_selectorELNS0_4arch9wavefront6targetE0EEEvT1_,"axG",@progbits,_ZN7rocprim17ROCPRIM_400000_NS6detail17trampoline_kernelINS0_14default_configENS1_25partition_config_selectorILNS1_17partition_subalgoE9EijbEEZZNS1_14partition_implILS5_9ELb0ES3_jN6thrust23THRUST_200600_302600_NS6detail15normal_iteratorINS9_10device_ptrIiEEEENSB_INSC_IjEEEEPNS0_10empty_typeENS0_5tupleIJSE_SH_EEENSJ_IJSG_SI_EEENS0_18inequality_wrapperINS9_8equal_toIiEEEEPmJSH_EEE10hipError_tPvRmT3_T4_T5_T6_T7_T9_mT8_P12ihipStream_tbDpT10_ENKUlT_T0_E_clISt17integral_constantIbLb0EES19_IbLb1EEEEDaS15_S16_EUlS15_E_NS1_11comp_targetILNS1_3genE2ELNS1_11target_archE906ELNS1_3gpuE6ELNS1_3repE0EEENS1_30default_config_static_selectorELNS0_4arch9wavefront6targetE0EEEvT1_,comdat
.Lfunc_end657:
	.size	_ZN7rocprim17ROCPRIM_400000_NS6detail17trampoline_kernelINS0_14default_configENS1_25partition_config_selectorILNS1_17partition_subalgoE9EijbEEZZNS1_14partition_implILS5_9ELb0ES3_jN6thrust23THRUST_200600_302600_NS6detail15normal_iteratorINS9_10device_ptrIiEEEENSB_INSC_IjEEEEPNS0_10empty_typeENS0_5tupleIJSE_SH_EEENSJ_IJSG_SI_EEENS0_18inequality_wrapperINS9_8equal_toIiEEEEPmJSH_EEE10hipError_tPvRmT3_T4_T5_T6_T7_T9_mT8_P12ihipStream_tbDpT10_ENKUlT_T0_E_clISt17integral_constantIbLb0EES19_IbLb1EEEEDaS15_S16_EUlS15_E_NS1_11comp_targetILNS1_3genE2ELNS1_11target_archE906ELNS1_3gpuE6ELNS1_3repE0EEENS1_30default_config_static_selectorELNS0_4arch9wavefront6targetE0EEEvT1_, .Lfunc_end657-_ZN7rocprim17ROCPRIM_400000_NS6detail17trampoline_kernelINS0_14default_configENS1_25partition_config_selectorILNS1_17partition_subalgoE9EijbEEZZNS1_14partition_implILS5_9ELb0ES3_jN6thrust23THRUST_200600_302600_NS6detail15normal_iteratorINS9_10device_ptrIiEEEENSB_INSC_IjEEEEPNS0_10empty_typeENS0_5tupleIJSE_SH_EEENSJ_IJSG_SI_EEENS0_18inequality_wrapperINS9_8equal_toIiEEEEPmJSH_EEE10hipError_tPvRmT3_T4_T5_T6_T7_T9_mT8_P12ihipStream_tbDpT10_ENKUlT_T0_E_clISt17integral_constantIbLb0EES19_IbLb1EEEEDaS15_S16_EUlS15_E_NS1_11comp_targetILNS1_3genE2ELNS1_11target_archE906ELNS1_3gpuE6ELNS1_3repE0EEENS1_30default_config_static_selectorELNS0_4arch9wavefront6targetE0EEEvT1_
                                        ; -- End function
	.section	.AMDGPU.csdata,"",@progbits
; Kernel info:
; codeLenInByte = 0
; NumSgprs: 0
; NumVgprs: 0
; ScratchSize: 0
; MemoryBound: 0
; FloatMode: 240
; IeeeMode: 1
; LDSByteSize: 0 bytes/workgroup (compile time only)
; SGPRBlocks: 0
; VGPRBlocks: 0
; NumSGPRsForWavesPerEU: 1
; NumVGPRsForWavesPerEU: 1
; Occupancy: 16
; WaveLimiterHint : 0
; COMPUTE_PGM_RSRC2:SCRATCH_EN: 0
; COMPUTE_PGM_RSRC2:USER_SGPR: 15
; COMPUTE_PGM_RSRC2:TRAP_HANDLER: 0
; COMPUTE_PGM_RSRC2:TGID_X_EN: 1
; COMPUTE_PGM_RSRC2:TGID_Y_EN: 0
; COMPUTE_PGM_RSRC2:TGID_Z_EN: 0
; COMPUTE_PGM_RSRC2:TIDIG_COMP_CNT: 0
	.section	.text._ZN7rocprim17ROCPRIM_400000_NS6detail17trampoline_kernelINS0_14default_configENS1_25partition_config_selectorILNS1_17partition_subalgoE9EijbEEZZNS1_14partition_implILS5_9ELb0ES3_jN6thrust23THRUST_200600_302600_NS6detail15normal_iteratorINS9_10device_ptrIiEEEENSB_INSC_IjEEEEPNS0_10empty_typeENS0_5tupleIJSE_SH_EEENSJ_IJSG_SI_EEENS0_18inequality_wrapperINS9_8equal_toIiEEEEPmJSH_EEE10hipError_tPvRmT3_T4_T5_T6_T7_T9_mT8_P12ihipStream_tbDpT10_ENKUlT_T0_E_clISt17integral_constantIbLb0EES19_IbLb1EEEEDaS15_S16_EUlS15_E_NS1_11comp_targetILNS1_3genE10ELNS1_11target_archE1200ELNS1_3gpuE4ELNS1_3repE0EEENS1_30default_config_static_selectorELNS0_4arch9wavefront6targetE0EEEvT1_,"axG",@progbits,_ZN7rocprim17ROCPRIM_400000_NS6detail17trampoline_kernelINS0_14default_configENS1_25partition_config_selectorILNS1_17partition_subalgoE9EijbEEZZNS1_14partition_implILS5_9ELb0ES3_jN6thrust23THRUST_200600_302600_NS6detail15normal_iteratorINS9_10device_ptrIiEEEENSB_INSC_IjEEEEPNS0_10empty_typeENS0_5tupleIJSE_SH_EEENSJ_IJSG_SI_EEENS0_18inequality_wrapperINS9_8equal_toIiEEEEPmJSH_EEE10hipError_tPvRmT3_T4_T5_T6_T7_T9_mT8_P12ihipStream_tbDpT10_ENKUlT_T0_E_clISt17integral_constantIbLb0EES19_IbLb1EEEEDaS15_S16_EUlS15_E_NS1_11comp_targetILNS1_3genE10ELNS1_11target_archE1200ELNS1_3gpuE4ELNS1_3repE0EEENS1_30default_config_static_selectorELNS0_4arch9wavefront6targetE0EEEvT1_,comdat
	.protected	_ZN7rocprim17ROCPRIM_400000_NS6detail17trampoline_kernelINS0_14default_configENS1_25partition_config_selectorILNS1_17partition_subalgoE9EijbEEZZNS1_14partition_implILS5_9ELb0ES3_jN6thrust23THRUST_200600_302600_NS6detail15normal_iteratorINS9_10device_ptrIiEEEENSB_INSC_IjEEEEPNS0_10empty_typeENS0_5tupleIJSE_SH_EEENSJ_IJSG_SI_EEENS0_18inequality_wrapperINS9_8equal_toIiEEEEPmJSH_EEE10hipError_tPvRmT3_T4_T5_T6_T7_T9_mT8_P12ihipStream_tbDpT10_ENKUlT_T0_E_clISt17integral_constantIbLb0EES19_IbLb1EEEEDaS15_S16_EUlS15_E_NS1_11comp_targetILNS1_3genE10ELNS1_11target_archE1200ELNS1_3gpuE4ELNS1_3repE0EEENS1_30default_config_static_selectorELNS0_4arch9wavefront6targetE0EEEvT1_ ; -- Begin function _ZN7rocprim17ROCPRIM_400000_NS6detail17trampoline_kernelINS0_14default_configENS1_25partition_config_selectorILNS1_17partition_subalgoE9EijbEEZZNS1_14partition_implILS5_9ELb0ES3_jN6thrust23THRUST_200600_302600_NS6detail15normal_iteratorINS9_10device_ptrIiEEEENSB_INSC_IjEEEEPNS0_10empty_typeENS0_5tupleIJSE_SH_EEENSJ_IJSG_SI_EEENS0_18inequality_wrapperINS9_8equal_toIiEEEEPmJSH_EEE10hipError_tPvRmT3_T4_T5_T6_T7_T9_mT8_P12ihipStream_tbDpT10_ENKUlT_T0_E_clISt17integral_constantIbLb0EES19_IbLb1EEEEDaS15_S16_EUlS15_E_NS1_11comp_targetILNS1_3genE10ELNS1_11target_archE1200ELNS1_3gpuE4ELNS1_3repE0EEENS1_30default_config_static_selectorELNS0_4arch9wavefront6targetE0EEEvT1_
	.globl	_ZN7rocprim17ROCPRIM_400000_NS6detail17trampoline_kernelINS0_14default_configENS1_25partition_config_selectorILNS1_17partition_subalgoE9EijbEEZZNS1_14partition_implILS5_9ELb0ES3_jN6thrust23THRUST_200600_302600_NS6detail15normal_iteratorINS9_10device_ptrIiEEEENSB_INSC_IjEEEEPNS0_10empty_typeENS0_5tupleIJSE_SH_EEENSJ_IJSG_SI_EEENS0_18inequality_wrapperINS9_8equal_toIiEEEEPmJSH_EEE10hipError_tPvRmT3_T4_T5_T6_T7_T9_mT8_P12ihipStream_tbDpT10_ENKUlT_T0_E_clISt17integral_constantIbLb0EES19_IbLb1EEEEDaS15_S16_EUlS15_E_NS1_11comp_targetILNS1_3genE10ELNS1_11target_archE1200ELNS1_3gpuE4ELNS1_3repE0EEENS1_30default_config_static_selectorELNS0_4arch9wavefront6targetE0EEEvT1_
	.p2align	8
	.type	_ZN7rocprim17ROCPRIM_400000_NS6detail17trampoline_kernelINS0_14default_configENS1_25partition_config_selectorILNS1_17partition_subalgoE9EijbEEZZNS1_14partition_implILS5_9ELb0ES3_jN6thrust23THRUST_200600_302600_NS6detail15normal_iteratorINS9_10device_ptrIiEEEENSB_INSC_IjEEEEPNS0_10empty_typeENS0_5tupleIJSE_SH_EEENSJ_IJSG_SI_EEENS0_18inequality_wrapperINS9_8equal_toIiEEEEPmJSH_EEE10hipError_tPvRmT3_T4_T5_T6_T7_T9_mT8_P12ihipStream_tbDpT10_ENKUlT_T0_E_clISt17integral_constantIbLb0EES19_IbLb1EEEEDaS15_S16_EUlS15_E_NS1_11comp_targetILNS1_3genE10ELNS1_11target_archE1200ELNS1_3gpuE4ELNS1_3repE0EEENS1_30default_config_static_selectorELNS0_4arch9wavefront6targetE0EEEvT1_,@function
_ZN7rocprim17ROCPRIM_400000_NS6detail17trampoline_kernelINS0_14default_configENS1_25partition_config_selectorILNS1_17partition_subalgoE9EijbEEZZNS1_14partition_implILS5_9ELb0ES3_jN6thrust23THRUST_200600_302600_NS6detail15normal_iteratorINS9_10device_ptrIiEEEENSB_INSC_IjEEEEPNS0_10empty_typeENS0_5tupleIJSE_SH_EEENSJ_IJSG_SI_EEENS0_18inequality_wrapperINS9_8equal_toIiEEEEPmJSH_EEE10hipError_tPvRmT3_T4_T5_T6_T7_T9_mT8_P12ihipStream_tbDpT10_ENKUlT_T0_E_clISt17integral_constantIbLb0EES19_IbLb1EEEEDaS15_S16_EUlS15_E_NS1_11comp_targetILNS1_3genE10ELNS1_11target_archE1200ELNS1_3gpuE4ELNS1_3repE0EEENS1_30default_config_static_selectorELNS0_4arch9wavefront6targetE0EEEvT1_: ; @_ZN7rocprim17ROCPRIM_400000_NS6detail17trampoline_kernelINS0_14default_configENS1_25partition_config_selectorILNS1_17partition_subalgoE9EijbEEZZNS1_14partition_implILS5_9ELb0ES3_jN6thrust23THRUST_200600_302600_NS6detail15normal_iteratorINS9_10device_ptrIiEEEENSB_INSC_IjEEEEPNS0_10empty_typeENS0_5tupleIJSE_SH_EEENSJ_IJSG_SI_EEENS0_18inequality_wrapperINS9_8equal_toIiEEEEPmJSH_EEE10hipError_tPvRmT3_T4_T5_T6_T7_T9_mT8_P12ihipStream_tbDpT10_ENKUlT_T0_E_clISt17integral_constantIbLb0EES19_IbLb1EEEEDaS15_S16_EUlS15_E_NS1_11comp_targetILNS1_3genE10ELNS1_11target_archE1200ELNS1_3gpuE4ELNS1_3repE0EEENS1_30default_config_static_selectorELNS0_4arch9wavefront6targetE0EEEvT1_
; %bb.0:
	.section	.rodata,"a",@progbits
	.p2align	6, 0x0
	.amdhsa_kernel _ZN7rocprim17ROCPRIM_400000_NS6detail17trampoline_kernelINS0_14default_configENS1_25partition_config_selectorILNS1_17partition_subalgoE9EijbEEZZNS1_14partition_implILS5_9ELb0ES3_jN6thrust23THRUST_200600_302600_NS6detail15normal_iteratorINS9_10device_ptrIiEEEENSB_INSC_IjEEEEPNS0_10empty_typeENS0_5tupleIJSE_SH_EEENSJ_IJSG_SI_EEENS0_18inequality_wrapperINS9_8equal_toIiEEEEPmJSH_EEE10hipError_tPvRmT3_T4_T5_T6_T7_T9_mT8_P12ihipStream_tbDpT10_ENKUlT_T0_E_clISt17integral_constantIbLb0EES19_IbLb1EEEEDaS15_S16_EUlS15_E_NS1_11comp_targetILNS1_3genE10ELNS1_11target_archE1200ELNS1_3gpuE4ELNS1_3repE0EEENS1_30default_config_static_selectorELNS0_4arch9wavefront6targetE0EEEvT1_
		.amdhsa_group_segment_fixed_size 0
		.amdhsa_private_segment_fixed_size 0
		.amdhsa_kernarg_size 128
		.amdhsa_user_sgpr_count 15
		.amdhsa_user_sgpr_dispatch_ptr 0
		.amdhsa_user_sgpr_queue_ptr 0
		.amdhsa_user_sgpr_kernarg_segment_ptr 1
		.amdhsa_user_sgpr_dispatch_id 0
		.amdhsa_user_sgpr_private_segment_size 0
		.amdhsa_wavefront_size32 1
		.amdhsa_uses_dynamic_stack 0
		.amdhsa_enable_private_segment 0
		.amdhsa_system_sgpr_workgroup_id_x 1
		.amdhsa_system_sgpr_workgroup_id_y 0
		.amdhsa_system_sgpr_workgroup_id_z 0
		.amdhsa_system_sgpr_workgroup_info 0
		.amdhsa_system_vgpr_workitem_id 0
		.amdhsa_next_free_vgpr 1
		.amdhsa_next_free_sgpr 1
		.amdhsa_reserve_vcc 0
		.amdhsa_float_round_mode_32 0
		.amdhsa_float_round_mode_16_64 0
		.amdhsa_float_denorm_mode_32 3
		.amdhsa_float_denorm_mode_16_64 3
		.amdhsa_dx10_clamp 1
		.amdhsa_ieee_mode 1
		.amdhsa_fp16_overflow 0
		.amdhsa_workgroup_processor_mode 1
		.amdhsa_memory_ordered 1
		.amdhsa_forward_progress 0
		.amdhsa_shared_vgpr_count 0
		.amdhsa_exception_fp_ieee_invalid_op 0
		.amdhsa_exception_fp_denorm_src 0
		.amdhsa_exception_fp_ieee_div_zero 0
		.amdhsa_exception_fp_ieee_overflow 0
		.amdhsa_exception_fp_ieee_underflow 0
		.amdhsa_exception_fp_ieee_inexact 0
		.amdhsa_exception_int_div_zero 0
	.end_amdhsa_kernel
	.section	.text._ZN7rocprim17ROCPRIM_400000_NS6detail17trampoline_kernelINS0_14default_configENS1_25partition_config_selectorILNS1_17partition_subalgoE9EijbEEZZNS1_14partition_implILS5_9ELb0ES3_jN6thrust23THRUST_200600_302600_NS6detail15normal_iteratorINS9_10device_ptrIiEEEENSB_INSC_IjEEEEPNS0_10empty_typeENS0_5tupleIJSE_SH_EEENSJ_IJSG_SI_EEENS0_18inequality_wrapperINS9_8equal_toIiEEEEPmJSH_EEE10hipError_tPvRmT3_T4_T5_T6_T7_T9_mT8_P12ihipStream_tbDpT10_ENKUlT_T0_E_clISt17integral_constantIbLb0EES19_IbLb1EEEEDaS15_S16_EUlS15_E_NS1_11comp_targetILNS1_3genE10ELNS1_11target_archE1200ELNS1_3gpuE4ELNS1_3repE0EEENS1_30default_config_static_selectorELNS0_4arch9wavefront6targetE0EEEvT1_,"axG",@progbits,_ZN7rocprim17ROCPRIM_400000_NS6detail17trampoline_kernelINS0_14default_configENS1_25partition_config_selectorILNS1_17partition_subalgoE9EijbEEZZNS1_14partition_implILS5_9ELb0ES3_jN6thrust23THRUST_200600_302600_NS6detail15normal_iteratorINS9_10device_ptrIiEEEENSB_INSC_IjEEEEPNS0_10empty_typeENS0_5tupleIJSE_SH_EEENSJ_IJSG_SI_EEENS0_18inequality_wrapperINS9_8equal_toIiEEEEPmJSH_EEE10hipError_tPvRmT3_T4_T5_T6_T7_T9_mT8_P12ihipStream_tbDpT10_ENKUlT_T0_E_clISt17integral_constantIbLb0EES19_IbLb1EEEEDaS15_S16_EUlS15_E_NS1_11comp_targetILNS1_3genE10ELNS1_11target_archE1200ELNS1_3gpuE4ELNS1_3repE0EEENS1_30default_config_static_selectorELNS0_4arch9wavefront6targetE0EEEvT1_,comdat
.Lfunc_end658:
	.size	_ZN7rocprim17ROCPRIM_400000_NS6detail17trampoline_kernelINS0_14default_configENS1_25partition_config_selectorILNS1_17partition_subalgoE9EijbEEZZNS1_14partition_implILS5_9ELb0ES3_jN6thrust23THRUST_200600_302600_NS6detail15normal_iteratorINS9_10device_ptrIiEEEENSB_INSC_IjEEEEPNS0_10empty_typeENS0_5tupleIJSE_SH_EEENSJ_IJSG_SI_EEENS0_18inequality_wrapperINS9_8equal_toIiEEEEPmJSH_EEE10hipError_tPvRmT3_T4_T5_T6_T7_T9_mT8_P12ihipStream_tbDpT10_ENKUlT_T0_E_clISt17integral_constantIbLb0EES19_IbLb1EEEEDaS15_S16_EUlS15_E_NS1_11comp_targetILNS1_3genE10ELNS1_11target_archE1200ELNS1_3gpuE4ELNS1_3repE0EEENS1_30default_config_static_selectorELNS0_4arch9wavefront6targetE0EEEvT1_, .Lfunc_end658-_ZN7rocprim17ROCPRIM_400000_NS6detail17trampoline_kernelINS0_14default_configENS1_25partition_config_selectorILNS1_17partition_subalgoE9EijbEEZZNS1_14partition_implILS5_9ELb0ES3_jN6thrust23THRUST_200600_302600_NS6detail15normal_iteratorINS9_10device_ptrIiEEEENSB_INSC_IjEEEEPNS0_10empty_typeENS0_5tupleIJSE_SH_EEENSJ_IJSG_SI_EEENS0_18inequality_wrapperINS9_8equal_toIiEEEEPmJSH_EEE10hipError_tPvRmT3_T4_T5_T6_T7_T9_mT8_P12ihipStream_tbDpT10_ENKUlT_T0_E_clISt17integral_constantIbLb0EES19_IbLb1EEEEDaS15_S16_EUlS15_E_NS1_11comp_targetILNS1_3genE10ELNS1_11target_archE1200ELNS1_3gpuE4ELNS1_3repE0EEENS1_30default_config_static_selectorELNS0_4arch9wavefront6targetE0EEEvT1_
                                        ; -- End function
	.section	.AMDGPU.csdata,"",@progbits
; Kernel info:
; codeLenInByte = 0
; NumSgprs: 0
; NumVgprs: 0
; ScratchSize: 0
; MemoryBound: 0
; FloatMode: 240
; IeeeMode: 1
; LDSByteSize: 0 bytes/workgroup (compile time only)
; SGPRBlocks: 0
; VGPRBlocks: 0
; NumSGPRsForWavesPerEU: 1
; NumVGPRsForWavesPerEU: 1
; Occupancy: 15
; WaveLimiterHint : 0
; COMPUTE_PGM_RSRC2:SCRATCH_EN: 0
; COMPUTE_PGM_RSRC2:USER_SGPR: 15
; COMPUTE_PGM_RSRC2:TRAP_HANDLER: 0
; COMPUTE_PGM_RSRC2:TGID_X_EN: 1
; COMPUTE_PGM_RSRC2:TGID_Y_EN: 0
; COMPUTE_PGM_RSRC2:TGID_Z_EN: 0
; COMPUTE_PGM_RSRC2:TIDIG_COMP_CNT: 0
	.section	.text._ZN7rocprim17ROCPRIM_400000_NS6detail17trampoline_kernelINS0_14default_configENS1_25partition_config_selectorILNS1_17partition_subalgoE9EijbEEZZNS1_14partition_implILS5_9ELb0ES3_jN6thrust23THRUST_200600_302600_NS6detail15normal_iteratorINS9_10device_ptrIiEEEENSB_INSC_IjEEEEPNS0_10empty_typeENS0_5tupleIJSE_SH_EEENSJ_IJSG_SI_EEENS0_18inequality_wrapperINS9_8equal_toIiEEEEPmJSH_EEE10hipError_tPvRmT3_T4_T5_T6_T7_T9_mT8_P12ihipStream_tbDpT10_ENKUlT_T0_E_clISt17integral_constantIbLb0EES19_IbLb1EEEEDaS15_S16_EUlS15_E_NS1_11comp_targetILNS1_3genE9ELNS1_11target_archE1100ELNS1_3gpuE3ELNS1_3repE0EEENS1_30default_config_static_selectorELNS0_4arch9wavefront6targetE0EEEvT1_,"axG",@progbits,_ZN7rocprim17ROCPRIM_400000_NS6detail17trampoline_kernelINS0_14default_configENS1_25partition_config_selectorILNS1_17partition_subalgoE9EijbEEZZNS1_14partition_implILS5_9ELb0ES3_jN6thrust23THRUST_200600_302600_NS6detail15normal_iteratorINS9_10device_ptrIiEEEENSB_INSC_IjEEEEPNS0_10empty_typeENS0_5tupleIJSE_SH_EEENSJ_IJSG_SI_EEENS0_18inequality_wrapperINS9_8equal_toIiEEEEPmJSH_EEE10hipError_tPvRmT3_T4_T5_T6_T7_T9_mT8_P12ihipStream_tbDpT10_ENKUlT_T0_E_clISt17integral_constantIbLb0EES19_IbLb1EEEEDaS15_S16_EUlS15_E_NS1_11comp_targetILNS1_3genE9ELNS1_11target_archE1100ELNS1_3gpuE3ELNS1_3repE0EEENS1_30default_config_static_selectorELNS0_4arch9wavefront6targetE0EEEvT1_,comdat
	.protected	_ZN7rocprim17ROCPRIM_400000_NS6detail17trampoline_kernelINS0_14default_configENS1_25partition_config_selectorILNS1_17partition_subalgoE9EijbEEZZNS1_14partition_implILS5_9ELb0ES3_jN6thrust23THRUST_200600_302600_NS6detail15normal_iteratorINS9_10device_ptrIiEEEENSB_INSC_IjEEEEPNS0_10empty_typeENS0_5tupleIJSE_SH_EEENSJ_IJSG_SI_EEENS0_18inequality_wrapperINS9_8equal_toIiEEEEPmJSH_EEE10hipError_tPvRmT3_T4_T5_T6_T7_T9_mT8_P12ihipStream_tbDpT10_ENKUlT_T0_E_clISt17integral_constantIbLb0EES19_IbLb1EEEEDaS15_S16_EUlS15_E_NS1_11comp_targetILNS1_3genE9ELNS1_11target_archE1100ELNS1_3gpuE3ELNS1_3repE0EEENS1_30default_config_static_selectorELNS0_4arch9wavefront6targetE0EEEvT1_ ; -- Begin function _ZN7rocprim17ROCPRIM_400000_NS6detail17trampoline_kernelINS0_14default_configENS1_25partition_config_selectorILNS1_17partition_subalgoE9EijbEEZZNS1_14partition_implILS5_9ELb0ES3_jN6thrust23THRUST_200600_302600_NS6detail15normal_iteratorINS9_10device_ptrIiEEEENSB_INSC_IjEEEEPNS0_10empty_typeENS0_5tupleIJSE_SH_EEENSJ_IJSG_SI_EEENS0_18inequality_wrapperINS9_8equal_toIiEEEEPmJSH_EEE10hipError_tPvRmT3_T4_T5_T6_T7_T9_mT8_P12ihipStream_tbDpT10_ENKUlT_T0_E_clISt17integral_constantIbLb0EES19_IbLb1EEEEDaS15_S16_EUlS15_E_NS1_11comp_targetILNS1_3genE9ELNS1_11target_archE1100ELNS1_3gpuE3ELNS1_3repE0EEENS1_30default_config_static_selectorELNS0_4arch9wavefront6targetE0EEEvT1_
	.globl	_ZN7rocprim17ROCPRIM_400000_NS6detail17trampoline_kernelINS0_14default_configENS1_25partition_config_selectorILNS1_17partition_subalgoE9EijbEEZZNS1_14partition_implILS5_9ELb0ES3_jN6thrust23THRUST_200600_302600_NS6detail15normal_iteratorINS9_10device_ptrIiEEEENSB_INSC_IjEEEEPNS0_10empty_typeENS0_5tupleIJSE_SH_EEENSJ_IJSG_SI_EEENS0_18inequality_wrapperINS9_8equal_toIiEEEEPmJSH_EEE10hipError_tPvRmT3_T4_T5_T6_T7_T9_mT8_P12ihipStream_tbDpT10_ENKUlT_T0_E_clISt17integral_constantIbLb0EES19_IbLb1EEEEDaS15_S16_EUlS15_E_NS1_11comp_targetILNS1_3genE9ELNS1_11target_archE1100ELNS1_3gpuE3ELNS1_3repE0EEENS1_30default_config_static_selectorELNS0_4arch9wavefront6targetE0EEEvT1_
	.p2align	8
	.type	_ZN7rocprim17ROCPRIM_400000_NS6detail17trampoline_kernelINS0_14default_configENS1_25partition_config_selectorILNS1_17partition_subalgoE9EijbEEZZNS1_14partition_implILS5_9ELb0ES3_jN6thrust23THRUST_200600_302600_NS6detail15normal_iteratorINS9_10device_ptrIiEEEENSB_INSC_IjEEEEPNS0_10empty_typeENS0_5tupleIJSE_SH_EEENSJ_IJSG_SI_EEENS0_18inequality_wrapperINS9_8equal_toIiEEEEPmJSH_EEE10hipError_tPvRmT3_T4_T5_T6_T7_T9_mT8_P12ihipStream_tbDpT10_ENKUlT_T0_E_clISt17integral_constantIbLb0EES19_IbLb1EEEEDaS15_S16_EUlS15_E_NS1_11comp_targetILNS1_3genE9ELNS1_11target_archE1100ELNS1_3gpuE3ELNS1_3repE0EEENS1_30default_config_static_selectorELNS0_4arch9wavefront6targetE0EEEvT1_,@function
_ZN7rocprim17ROCPRIM_400000_NS6detail17trampoline_kernelINS0_14default_configENS1_25partition_config_selectorILNS1_17partition_subalgoE9EijbEEZZNS1_14partition_implILS5_9ELb0ES3_jN6thrust23THRUST_200600_302600_NS6detail15normal_iteratorINS9_10device_ptrIiEEEENSB_INSC_IjEEEEPNS0_10empty_typeENS0_5tupleIJSE_SH_EEENSJ_IJSG_SI_EEENS0_18inequality_wrapperINS9_8equal_toIiEEEEPmJSH_EEE10hipError_tPvRmT3_T4_T5_T6_T7_T9_mT8_P12ihipStream_tbDpT10_ENKUlT_T0_E_clISt17integral_constantIbLb0EES19_IbLb1EEEEDaS15_S16_EUlS15_E_NS1_11comp_targetILNS1_3genE9ELNS1_11target_archE1100ELNS1_3gpuE3ELNS1_3repE0EEENS1_30default_config_static_selectorELNS0_4arch9wavefront6targetE0EEEvT1_: ; @_ZN7rocprim17ROCPRIM_400000_NS6detail17trampoline_kernelINS0_14default_configENS1_25partition_config_selectorILNS1_17partition_subalgoE9EijbEEZZNS1_14partition_implILS5_9ELb0ES3_jN6thrust23THRUST_200600_302600_NS6detail15normal_iteratorINS9_10device_ptrIiEEEENSB_INSC_IjEEEEPNS0_10empty_typeENS0_5tupleIJSE_SH_EEENSJ_IJSG_SI_EEENS0_18inequality_wrapperINS9_8equal_toIiEEEEPmJSH_EEE10hipError_tPvRmT3_T4_T5_T6_T7_T9_mT8_P12ihipStream_tbDpT10_ENKUlT_T0_E_clISt17integral_constantIbLb0EES19_IbLb1EEEEDaS15_S16_EUlS15_E_NS1_11comp_targetILNS1_3genE9ELNS1_11target_archE1100ELNS1_3gpuE3ELNS1_3repE0EEENS1_30default_config_static_selectorELNS0_4arch9wavefront6targetE0EEEvT1_
; %bb.0:
	s_clause 0x4
	s_load_b128 s[4:7], s[0:1], 0x8
	s_load_b64 s[8:9], s[0:1], 0x18
	s_load_b128 s[12:15], s[0:1], 0x40
	s_load_b64 s[10:11], s[0:1], 0x50
	s_load_b64 s[20:21], s[0:1], 0x60
	v_cmp_ne_u32_e64 s3, 0, v0
	v_cmp_eq_u32_e64 s2, 0, v0
	s_delay_alu instid0(VALU_DEP_1)
	s_and_saveexec_b32 s16, s2
	s_cbranch_execz .LBB659_4
; %bb.1:
	s_mov_b32 s18, exec_lo
	s_mov_b32 s17, exec_lo
	v_mbcnt_lo_u32_b32 v1, s18, 0
                                        ; implicit-def: $vgpr2
	s_delay_alu instid0(VALU_DEP_1)
	v_cmpx_eq_u32_e32 0, v1
	s_cbranch_execz .LBB659_3
; %bb.2:
	s_load_b64 s[22:23], s[0:1], 0x70
	s_bcnt1_i32_b32 s18, s18
	s_delay_alu instid0(SALU_CYCLE_1)
	v_dual_mov_b32 v2, 0 :: v_dual_mov_b32 v3, s18
	s_waitcnt lgkmcnt(0)
	global_atomic_add_u32 v2, v2, v3, s[22:23] glc
.LBB659_3:
	s_or_b32 exec_lo, exec_lo, s17
	s_waitcnt vmcnt(0)
	v_readfirstlane_b32 s17, v2
	s_delay_alu instid0(VALU_DEP_1)
	v_dual_mov_b32 v2, 0 :: v_dual_add_nc_u32 v1, s17, v1
	ds_store_b32 v2, v1
.LBB659_4:
	s_or_b32 exec_lo, exec_lo, s16
	v_dual_mov_b32 v1, 0 :: v_dual_add_nc_u32 v22, 0x300, v0
	s_clause 0x1
	s_load_b128 s[16:19], s[0:1], 0x28
	s_load_b32 s0, s[0:1], 0x68
	s_waitcnt lgkmcnt(0)
	s_barrier
	buffer_gl0_inv
	ds_load_b32 v3, v1
	s_waitcnt lgkmcnt(0)
	s_barrier
	buffer_gl0_inv
	global_load_b64 v[1:2], v1, s[14:15]
	s_lshl_b64 s[14:15], s[6:7], 2
	s_mov_b32 s1, 0
	s_add_u32 s27, s4, s14
	s_addc_u32 s28, s5, s15
	v_lshrrev_b32_e32 v20, 3, v0
	v_add_nc_u32_e32 v25, 0x180, v0
	v_add_nc_u32_e32 v21, 0x480, v0
	v_or_b32_e32 v23, 0x600, v0
	v_add_nc_u32_e32 v18, 0x780, v0
	v_add_nc_u32_e32 v17, 0x900, v0
	;; [unrolled: 1-line block ×3, first 2 shown]
	s_mul_i32 s22, s0, 0xc00
	s_add_i32 s0, s0, -1
	s_add_i32 s4, s22, s6
	s_delay_alu instid0(SALU_CYCLE_1) | instskip(SKIP_4) | instid1(SALU_CYCLE_1)
	s_sub_i32 s25, s10, s4
	v_readfirstlane_b32 s24, v3
	s_addk_i32 s25, 0xc00
	s_add_u32 s4, s6, s22
	s_addc_u32 s5, s7, 0
	v_cmp_ge_u64_e64 s4, s[4:5], s[10:11]
	s_cmp_eq_u32 s24, s0
	s_mul_i32 s0, s24, 0xc00
	s_cselect_b32 s22, -1, 0
	s_delay_alu instid0(VALU_DEP_1) | instid1(SALU_CYCLE_1)
	s_and_b32 s26, s4, s22
	s_lshl_b64 s[4:5], s[0:1], 2
	s_xor_b32 s23, s26, -1
	s_add_u32 s27, s27, s4
	s_addc_u32 s1, s28, s5
	s_and_b32 vcc_lo, exec_lo, s23
	s_mov_b32 s28, -1
	s_waitcnt vmcnt(0)
	v_readfirstlane_b32 s10, v1
	v_readfirstlane_b32 s11, v2
	s_cbranch_vccz .LBB659_6
; %bb.5:
	v_lshlrev_b32_e32 v7, 2, v0
	v_lshrrev_b32_e32 v11, 3, v25
	v_lshrrev_b32_e32 v12, 3, v22
	;; [unrolled: 1-line block ×4, first 2 shown]
	v_add_co_u32 v1, s0, s27, v7
	s_delay_alu instid0(VALU_DEP_1) | instskip(SKIP_1) | instid1(VALU_DEP_3)
	v_add_co_ci_u32_e64 v2, null, s1, 0, s0
	v_lshrrev_b32_e32 v15, 3, v18
	v_add_co_u32 v3, vcc_lo, 0x1000, v1
	s_delay_alu instid0(VALU_DEP_3)
	v_add_co_ci_u32_e32 v4, vcc_lo, 0, v2, vcc_lo
	v_add_co_u32 v5, vcc_lo, 0x2000, v1
	v_add_co_ci_u32_e32 v6, vcc_lo, 0, v2, vcc_lo
	s_clause 0x7
	flat_load_b32 v8, v[1:2]
	flat_load_b32 v9, v[1:2] offset:1536
	flat_load_b32 v1, v[1:2] offset:3072
	;; [unrolled: 1-line block ×7, first 2 shown]
	v_and_b32_e32 v6, 60, v20
	v_lshrrev_b32_e32 v16, 3, v17
	v_lshrrev_b32_e32 v19, 3, v24
	v_and_b32_e32 v11, 0x7c, v11
	v_and_b32_e32 v12, 0xfc, v12
	;; [unrolled: 1-line block ×4, first 2 shown]
	v_add_nc_u32_e32 v6, v6, v7
	v_and_b32_e32 v15, 0x1fc, v15
	v_and_b32_e32 v16, 0x17c, v16
	;; [unrolled: 1-line block ×3, first 2 shown]
	v_add_nc_u32_e32 v11, v11, v7
	v_add_nc_u32_e32 v12, v12, v7
	;; [unrolled: 1-line block ×4, first 2 shown]
	s_mov_b32 s28, 0
	v_add_nc_u32_e32 v15, v15, v7
	v_add_nc_u32_e32 v16, v16, v7
	;; [unrolled: 1-line block ×3, first 2 shown]
	s_waitcnt vmcnt(7) lgkmcnt(7)
	ds_store_b32 v6, v8
	s_waitcnt vmcnt(6) lgkmcnt(7)
	ds_store_b32 v11, v9 offset:1536
	s_waitcnt vmcnt(5) lgkmcnt(7)
	ds_store_b32 v12, v1 offset:3072
	;; [unrolled: 2-line block ×7, first 2 shown]
	s_waitcnt lgkmcnt(0)
	s_barrier
.LBB659_6:
	v_cmp_gt_u32_e64 s0, s25, v0
	s_and_not1_b32 vcc_lo, exec_lo, s28
	s_cbranch_vccnz .LBB659_24
; %bb.7:
                                        ; implicit-def: $vgpr1_vgpr2_vgpr3_vgpr4_vgpr5_vgpr6_vgpr7_vgpr8
	s_delay_alu instid0(VALU_DEP_1)
	s_and_saveexec_b32 s28, s0
	s_cbranch_execz .LBB659_15
; %bb.8:
	v_lshlrev_b32_e32 v1, 2, v0
	s_delay_alu instid0(VALU_DEP_1) | instskip(NEXT) | instid1(VALU_DEP_1)
	v_add_co_u32 v1, s0, s27, v1
	v_add_co_ci_u32_e64 v2, null, s1, 0, s0
	flat_load_b32 v1, v[1:2]
	s_or_b32 exec_lo, exec_lo, s28
	s_delay_alu instid0(SALU_CYCLE_1)
	s_mov_b32 s0, exec_lo
	v_cmpx_gt_u32_e64 s25, v25
	s_cbranch_execnz .LBB659_16
.LBB659_9:
	s_or_b32 exec_lo, exec_lo, s0
	s_delay_alu instid0(SALU_CYCLE_1)
	s_mov_b32 s0, exec_lo
	v_cmpx_gt_u32_e64 s25, v22
	s_cbranch_execz .LBB659_17
.LBB659_10:
	v_lshlrev_b32_e32 v3, 2, v0
	s_delay_alu instid0(VALU_DEP_1) | instskip(NEXT) | instid1(VALU_DEP_1)
	v_add_co_u32 v9, s28, s27, v3
	v_add_co_ci_u32_e64 v10, null, s1, 0, s28
	flat_load_b32 v3, v[9:10] offset:3072
	s_or_b32 exec_lo, exec_lo, s0
	s_delay_alu instid0(SALU_CYCLE_1)
	s_mov_b32 s0, exec_lo
	v_cmpx_gt_u32_e64 s25, v21
	s_cbranch_execnz .LBB659_18
.LBB659_11:
	s_or_b32 exec_lo, exec_lo, s0
	s_delay_alu instid0(SALU_CYCLE_1)
	s_mov_b32 s0, exec_lo
	v_cmpx_gt_u32_e64 s25, v23
	s_cbranch_execz .LBB659_19
.LBB659_12:
	v_lshlrev_b32_e32 v5, 2, v23
	s_delay_alu instid0(VALU_DEP_1) | instskip(NEXT) | instid1(VALU_DEP_1)
	v_add_co_u32 v9, s28, s27, v5
	v_add_co_ci_u32_e64 v10, null, s1, 0, s28
	flat_load_b32 v5, v[9:10]
	s_or_b32 exec_lo, exec_lo, s0
	s_delay_alu instid0(SALU_CYCLE_1)
	s_mov_b32 s0, exec_lo
	v_cmpx_gt_u32_e64 s25, v18
	s_cbranch_execnz .LBB659_20
.LBB659_13:
	s_or_b32 exec_lo, exec_lo, s0
	s_delay_alu instid0(SALU_CYCLE_1)
	s_mov_b32 s0, exec_lo
	v_cmpx_gt_u32_e64 s25, v17
	s_cbranch_execz .LBB659_21
.LBB659_14:
	v_lshlrev_b32_e32 v7, 2, v17
	s_delay_alu instid0(VALU_DEP_1) | instskip(NEXT) | instid1(VALU_DEP_1)
	v_add_co_u32 v9, s28, s27, v7
	v_add_co_ci_u32_e64 v10, null, s1, 0, s28
	flat_load_b32 v7, v[9:10]
	s_or_b32 exec_lo, exec_lo, s0
	s_delay_alu instid0(SALU_CYCLE_1)
	s_mov_b32 s0, exec_lo
	v_cmpx_gt_u32_e64 s25, v24
	s_cbranch_execnz .LBB659_22
	s_branch .LBB659_23
.LBB659_15:
	s_or_b32 exec_lo, exec_lo, s28
	s_delay_alu instid0(SALU_CYCLE_1)
	s_mov_b32 s0, exec_lo
	v_cmpx_gt_u32_e64 s25, v25
	s_cbranch_execz .LBB659_9
.LBB659_16:
	v_lshlrev_b32_e32 v2, 2, v0
	s_delay_alu instid0(VALU_DEP_1) | instskip(NEXT) | instid1(VALU_DEP_1)
	v_add_co_u32 v9, s28, s27, v2
	v_add_co_ci_u32_e64 v10, null, s1, 0, s28
	flat_load_b32 v2, v[9:10] offset:1536
	s_or_b32 exec_lo, exec_lo, s0
	s_delay_alu instid0(SALU_CYCLE_1)
	s_mov_b32 s0, exec_lo
	v_cmpx_gt_u32_e64 s25, v22
	s_cbranch_execnz .LBB659_10
.LBB659_17:
	s_or_b32 exec_lo, exec_lo, s0
	s_delay_alu instid0(SALU_CYCLE_1)
	s_mov_b32 s0, exec_lo
	v_cmpx_gt_u32_e64 s25, v21
	s_cbranch_execz .LBB659_11
.LBB659_18:
	v_lshlrev_b32_e32 v4, 2, v21
	s_delay_alu instid0(VALU_DEP_1) | instskip(NEXT) | instid1(VALU_DEP_1)
	v_add_co_u32 v9, s28, s27, v4
	v_add_co_ci_u32_e64 v10, null, s1, 0, s28
	flat_load_b32 v4, v[9:10]
	s_or_b32 exec_lo, exec_lo, s0
	s_delay_alu instid0(SALU_CYCLE_1)
	s_mov_b32 s0, exec_lo
	v_cmpx_gt_u32_e64 s25, v23
	s_cbranch_execnz .LBB659_12
.LBB659_19:
	s_or_b32 exec_lo, exec_lo, s0
	s_delay_alu instid0(SALU_CYCLE_1)
	s_mov_b32 s0, exec_lo
	v_cmpx_gt_u32_e64 s25, v18
	s_cbranch_execz .LBB659_13
.LBB659_20:
	v_lshlrev_b32_e32 v6, 2, v18
	s_delay_alu instid0(VALU_DEP_1) | instskip(NEXT) | instid1(VALU_DEP_1)
	v_add_co_u32 v9, s28, s27, v6
	v_add_co_ci_u32_e64 v10, null, s1, 0, s28
	flat_load_b32 v6, v[9:10]
	s_or_b32 exec_lo, exec_lo, s0
	s_delay_alu instid0(SALU_CYCLE_1)
	s_mov_b32 s0, exec_lo
	v_cmpx_gt_u32_e64 s25, v17
	s_cbranch_execnz .LBB659_14
.LBB659_21:
	s_or_b32 exec_lo, exec_lo, s0
	s_delay_alu instid0(SALU_CYCLE_1)
	s_mov_b32 s0, exec_lo
	v_cmpx_gt_u32_e64 s25, v24
	s_cbranch_execz .LBB659_23
.LBB659_22:
	v_lshlrev_b32_e32 v8, 2, v24
	s_delay_alu instid0(VALU_DEP_1) | instskip(NEXT) | instid1(VALU_DEP_1)
	v_add_co_u32 v8, s28, s27, v8
	v_add_co_ci_u32_e64 v9, null, s1, 0, s28
	flat_load_b32 v8, v[8:9]
.LBB659_23:
	s_or_b32 exec_lo, exec_lo, s0
	v_lshrrev_b32_e32 v9, 3, v25
	v_lshrrev_b32_e32 v10, 3, v22
	;; [unrolled: 1-line block ×4, first 2 shown]
	v_and_b32_e32 v11, 60, v20
	v_lshlrev_b32_e32 v12, 2, v0
	v_lshrrev_b32_e32 v15, 3, v18
	v_lshrrev_b32_e32 v16, 3, v17
	;; [unrolled: 1-line block ×3, first 2 shown]
	v_and_b32_e32 v9, 0x7c, v9
	v_and_b32_e32 v10, 0xfc, v10
	;; [unrolled: 1-line block ×4, first 2 shown]
	v_add_nc_u32_e32 v11, v11, v12
	v_and_b32_e32 v15, 0x1fc, v15
	v_and_b32_e32 v16, 0x1fc, v16
	;; [unrolled: 1-line block ×3, first 2 shown]
	v_add_nc_u32_e32 v9, v9, v12
	v_add_nc_u32_e32 v10, v10, v12
	;; [unrolled: 1-line block ×7, first 2 shown]
	s_waitcnt vmcnt(0) lgkmcnt(0)
	ds_store_b32 v11, v1
	ds_store_b32 v9, v2 offset:1536
	ds_store_b32 v10, v3 offset:3072
	;; [unrolled: 1-line block ×7, first 2 shown]
	s_waitcnt lgkmcnt(0)
	s_barrier
.LBB659_24:
	v_lshlrev_b32_e32 v19, 3, v0
	v_lshrrev_b32_e32 v1, 2, v0
	buffer_gl0_inv
	s_add_u32 s0, s8, s14
	s_addc_u32 s8, s9, s15
	s_add_u32 s0, s0, s4
	v_add_lshl_u32 v1, v1, v19, 2
	s_addc_u32 s4, s8, s5
	s_and_b32 vcc_lo, exec_lo, s23
	s_mov_b32 s5, -1
	ds_load_2addr_b32 v[15:16], v1 offset1:1
	ds_load_2addr_b32 v[13:14], v1 offset0:2 offset1:3
	ds_load_2addr_b32 v[11:12], v1 offset0:4 offset1:5
	;; [unrolled: 1-line block ×3, first 2 shown]
	s_waitcnt lgkmcnt(0)
	s_barrier
	buffer_gl0_inv
	s_cbranch_vccz .LBB659_26
; %bb.25:
	v_lshlrev_b32_e32 v8, 2, v0
	v_lshrrev_b32_e32 v29, 3, v25
	v_lshrrev_b32_e32 v30, 3, v22
	;; [unrolled: 1-line block ×4, first 2 shown]
	v_add_co_u32 v2, s5, s0, v8
	s_delay_alu instid0(VALU_DEP_1) | instskip(SKIP_1) | instid1(VALU_DEP_3)
	v_add_co_ci_u32_e64 v3, null, s4, 0, s5
	v_lshrrev_b32_e32 v33, 3, v18
	v_add_co_u32 v4, vcc_lo, 0x1000, v2
	s_delay_alu instid0(VALU_DEP_3)
	v_add_co_ci_u32_e32 v5, vcc_lo, 0, v3, vcc_lo
	v_add_co_u32 v6, vcc_lo, 0x2000, v2
	v_add_co_ci_u32_e32 v7, vcc_lo, 0, v3, vcc_lo
	s_clause 0x7
	flat_load_b32 v26, v[2:3]
	flat_load_b32 v27, v[2:3] offset:1536
	flat_load_b32 v2, v[2:3] offset:3072
	;; [unrolled: 1-line block ×7, first 2 shown]
	v_and_b32_e32 v7, 60, v20
	v_lshrrev_b32_e32 v34, 3, v17
	v_lshrrev_b32_e32 v35, 3, v24
	v_and_b32_e32 v29, 0x7c, v29
	v_and_b32_e32 v30, 0xfc, v30
	;; [unrolled: 1-line block ×4, first 2 shown]
	v_add_nc_u32_e32 v7, v7, v8
	v_and_b32_e32 v33, 0x1fc, v33
	v_and_b32_e32 v34, 0x17c, v34
	v_and_b32_e32 v35, 0x1fc, v35
	v_add_nc_u32_e32 v29, v29, v8
	v_add_nc_u32_e32 v30, v30, v8
	;; [unrolled: 1-line block ×4, first 2 shown]
	s_mov_b32 s5, 0
	v_add_nc_u32_e32 v33, v33, v8
	v_add_nc_u32_e32 v34, v34, v8
	;; [unrolled: 1-line block ×3, first 2 shown]
	s_waitcnt vmcnt(7) lgkmcnt(7)
	ds_store_b32 v7, v26
	s_waitcnt vmcnt(6) lgkmcnt(7)
	ds_store_b32 v29, v27 offset:1536
	s_waitcnt vmcnt(5) lgkmcnt(7)
	ds_store_b32 v30, v2 offset:3072
	;; [unrolled: 2-line block ×7, first 2 shown]
	s_waitcnt lgkmcnt(0)
	s_barrier
.LBB659_26:
	s_and_not1_b32 vcc_lo, exec_lo, s5
	s_cbranch_vccnz .LBB659_44
; %bb.27:
	s_mov_b32 s5, exec_lo
                                        ; implicit-def: $vgpr2
	v_cmpx_gt_u32_e64 s25, v0
	s_cbranch_execz .LBB659_29
; %bb.28:
	v_lshlrev_b32_e32 v2, 2, v0
	s_delay_alu instid0(VALU_DEP_1) | instskip(NEXT) | instid1(VALU_DEP_1)
	v_add_co_u32 v2, s8, s0, v2
	v_add_co_ci_u32_e64 v3, null, s4, 0, s8
	flat_load_b32 v2, v[2:3]
.LBB659_29:
	s_or_b32 exec_lo, exec_lo, s5
	s_delay_alu instid0(SALU_CYCLE_1)
	s_mov_b32 s5, exec_lo
                                        ; implicit-def: $vgpr3
	v_cmpx_gt_u32_e64 s25, v25
	s_cbranch_execz .LBB659_31
; %bb.30:
	v_lshlrev_b32_e32 v3, 2, v0
	s_delay_alu instid0(VALU_DEP_1) | instskip(NEXT) | instid1(VALU_DEP_1)
	v_add_co_u32 v3, s8, s0, v3
	v_add_co_ci_u32_e64 v4, null, s4, 0, s8
	flat_load_b32 v3, v[3:4] offset:1536
.LBB659_31:
	s_or_b32 exec_lo, exec_lo, s5
	s_delay_alu instid0(SALU_CYCLE_1)
	s_mov_b32 s5, exec_lo
                                        ; implicit-def: $vgpr4
	v_cmpx_gt_u32_e64 s25, v22
	s_cbranch_execz .LBB659_33
; %bb.32:
	v_lshlrev_b32_e32 v4, 2, v0
	s_delay_alu instid0(VALU_DEP_1) | instskip(NEXT) | instid1(VALU_DEP_1)
	v_add_co_u32 v4, s8, s0, v4
	v_add_co_ci_u32_e64 v5, null, s4, 0, s8
	flat_load_b32 v4, v[4:5] offset:3072
.LBB659_33:
	s_or_b32 exec_lo, exec_lo, s5
	s_delay_alu instid0(SALU_CYCLE_1)
	s_mov_b32 s5, exec_lo
                                        ; implicit-def: $vgpr5
	v_cmpx_gt_u32_e64 s25, v21
	s_cbranch_execz .LBB659_35
; %bb.34:
	v_lshlrev_b32_e32 v5, 2, v21
	s_delay_alu instid0(VALU_DEP_1) | instskip(NEXT) | instid1(VALU_DEP_1)
	v_add_co_u32 v5, s8, s0, v5
	v_add_co_ci_u32_e64 v6, null, s4, 0, s8
	flat_load_b32 v5, v[5:6]
.LBB659_35:
	s_or_b32 exec_lo, exec_lo, s5
	s_delay_alu instid0(SALU_CYCLE_1)
	s_mov_b32 s5, exec_lo
                                        ; implicit-def: $vgpr6
	v_cmpx_gt_u32_e64 s25, v23
	s_cbranch_execz .LBB659_37
; %bb.36:
	v_lshlrev_b32_e32 v6, 2, v23
	s_delay_alu instid0(VALU_DEP_1) | instskip(NEXT) | instid1(VALU_DEP_1)
	v_add_co_u32 v6, s8, s0, v6
	v_add_co_ci_u32_e64 v7, null, s4, 0, s8
	flat_load_b32 v6, v[6:7]
.LBB659_37:
	s_or_b32 exec_lo, exec_lo, s5
	s_delay_alu instid0(SALU_CYCLE_1)
	s_mov_b32 s5, exec_lo
                                        ; implicit-def: $vgpr7
	v_cmpx_gt_u32_e64 s25, v18
	s_cbranch_execz .LBB659_39
; %bb.38:
	v_lshlrev_b32_e32 v7, 2, v18
	s_delay_alu instid0(VALU_DEP_1) | instskip(NEXT) | instid1(VALU_DEP_1)
	v_add_co_u32 v7, s8, s0, v7
	v_add_co_ci_u32_e64 v8, null, s4, 0, s8
	flat_load_b32 v7, v[7:8]
.LBB659_39:
	s_or_b32 exec_lo, exec_lo, s5
	s_delay_alu instid0(SALU_CYCLE_1)
	s_mov_b32 s5, exec_lo
                                        ; implicit-def: $vgpr8
	v_cmpx_gt_u32_e64 s25, v17
	s_cbranch_execz .LBB659_41
; %bb.40:
	v_lshlrev_b32_e32 v8, 2, v17
	s_delay_alu instid0(VALU_DEP_1) | instskip(NEXT) | instid1(VALU_DEP_1)
	v_add_co_u32 v26, s8, s0, v8
	v_add_co_ci_u32_e64 v27, null, s4, 0, s8
	flat_load_b32 v8, v[26:27]
.LBB659_41:
	s_or_b32 exec_lo, exec_lo, s5
	s_delay_alu instid0(SALU_CYCLE_1)
	s_mov_b32 s5, exec_lo
                                        ; implicit-def: $vgpr26
	v_cmpx_gt_u32_e64 s25, v24
	s_cbranch_execz .LBB659_43
; %bb.42:
	v_lshlrev_b32_e32 v26, 2, v24
	s_delay_alu instid0(VALU_DEP_1) | instskip(NEXT) | instid1(VALU_DEP_1)
	v_add_co_u32 v26, s0, s0, v26
	v_add_co_ci_u32_e64 v27, null, s4, 0, s0
	flat_load_b32 v26, v[26:27]
.LBB659_43:
	s_or_b32 exec_lo, exec_lo, s5
	v_lshrrev_b32_e32 v25, 3, v25
	v_lshrrev_b32_e32 v22, 3, v22
	;; [unrolled: 1-line block ×4, first 2 shown]
	v_and_b32_e32 v20, 60, v20
	v_lshlrev_b32_e32 v27, 2, v0
	v_lshrrev_b32_e32 v18, 3, v18
	v_lshrrev_b32_e32 v17, 3, v17
	;; [unrolled: 1-line block ×3, first 2 shown]
	v_and_b32_e32 v25, 0x7c, v25
	v_and_b32_e32 v22, 0xfc, v22
	;; [unrolled: 1-line block ×4, first 2 shown]
	v_add_nc_u32_e32 v20, v20, v27
	v_and_b32_e32 v18, 0x1fc, v18
	v_and_b32_e32 v17, 0x1fc, v17
	;; [unrolled: 1-line block ×3, first 2 shown]
	v_add_nc_u32_e32 v25, v25, v27
	v_add_nc_u32_e32 v22, v22, v27
	;; [unrolled: 1-line block ×7, first 2 shown]
	s_waitcnt vmcnt(0) lgkmcnt(0)
	ds_store_b32 v20, v2
	ds_store_b32 v25, v3 offset:1536
	ds_store_b32 v22, v4 offset:3072
	;; [unrolled: 1-line block ×7, first 2 shown]
	s_waitcnt lgkmcnt(0)
	s_barrier
.LBB659_44:
	buffer_gl0_inv
	ds_load_2addr_b32 v[7:8], v1 offset1:1
	ds_load_2addr_b32 v[5:6], v1 offset0:2 offset1:3
	ds_load_2addr_b32 v[3:4], v1 offset0:4 offset1:5
	;; [unrolled: 1-line block ×3, first 2 shown]
	s_cmp_lg_u32 s24, 0
	s_mov_b32 s14, 0
	s_cselect_b32 s9, -1, 0
	s_cmp_lg_u64 s[6:7], 0
	s_waitcnt lgkmcnt(0)
	s_cselect_b32 s0, -1, 0
	s_barrier
	s_or_b32 s0, s0, s9
	buffer_gl0_inv
	s_and_b32 vcc_lo, exec_lo, s0
	s_cbranch_vccz .LBB659_49
; %bb.45:
	v_add_co_u32 v17, s0, -4, s27
	s_delay_alu instid0(VALU_DEP_1)
	v_add_co_ci_u32_e64 v18, null, -1, s1, s0
	v_lshlrev_b32_e32 v21, 2, v0
	s_mov_b32 s1, -1
	s_and_b32 vcc_lo, exec_lo, s23
	flat_load_b32 v20, v[17:18]
	ds_store_b32 v21, v10
	s_cbranch_vccz .LBB659_50
; %bb.46:
	s_waitcnt vmcnt(0) lgkmcnt(1)
	v_mov_b32_e32 v17, v20
	s_waitcnt lgkmcnt(0)
	s_barrier
	buffer_gl0_inv
	s_and_saveexec_b32 s0, s3
	s_cbranch_execz .LBB659_48
; %bb.47:
	v_add_nc_u32_e32 v17, -4, v21
	ds_load_b32 v17, v17
.LBB659_48:
	s_or_b32 exec_lo, exec_lo, s0
	v_cmp_ne_u32_e32 vcc_lo, v9, v10
	s_waitcnt lgkmcnt(0)
	v_cmp_ne_u32_e64 s0, v17, v15
	v_cndmask_b32_e64 v18, 0, 1, vcc_lo
	v_cmp_ne_u32_e32 vcc_lo, v12, v9
	s_delay_alu instid0(VALU_DEP_2) | instskip(SKIP_2) | instid1(VALU_DEP_2)
	v_lshlrev_b16 v18, 8, v18
	v_cndmask_b32_e64 v22, 0, 1, vcc_lo
	v_cmp_ne_u32_e32 vcc_lo, v11, v12
	v_or_b32_e32 v18, v22, v18
	v_cndmask_b32_e64 v23, 0, 1, vcc_lo
	v_cmp_ne_u32_e32 vcc_lo, v13, v14
	s_delay_alu instid0(VALU_DEP_3) | instskip(NEXT) | instid1(VALU_DEP_3)
	v_lshlrev_b32_e32 v18, 16, v18
	v_lshlrev_b16 v23, 8, v23
	v_cndmask_b32_e64 v24, 0, 1, vcc_lo
	v_cmp_ne_u32_e32 vcc_lo, v14, v11
	s_delay_alu instid0(VALU_DEP_2) | instskip(SKIP_2) | instid1(VALU_DEP_2)
	v_lshlrev_b16 v24, 8, v24
	v_cndmask_b32_e64 v25, 0, 1, vcc_lo
	v_cmp_ne_u32_e32 vcc_lo, v16, v13
	v_or_b32_e32 v23, v25, v23
	v_cndmask_b32_e64 v26, 0, 1, vcc_lo
	v_cmp_ne_u32_e32 vcc_lo, v15, v16
	s_delay_alu instid0(VALU_DEP_3) | instskip(NEXT) | instid1(VALU_DEP_3)
	v_and_b32_e32 v23, 0xffff, v23
	v_or_b32_e32 v24, v26, v24
	v_cndmask_b32_e64 v27, 0, 1, vcc_lo
	s_delay_alu instid0(VALU_DEP_3) | instskip(NEXT) | instid1(VALU_DEP_3)
	v_or_b32_e32 v18, v23, v18
	v_lshlrev_b32_e32 v22, 16, v24
	s_delay_alu instid0(VALU_DEP_3) | instskip(NEXT) | instid1(VALU_DEP_1)
	v_lshlrev_b16 v26, 8, v27
	v_and_b32_e32 v24, 0xffff, v26
	s_delay_alu instid0(VALU_DEP_1)
	v_or_b32_e32 v17, v24, v22
	s_branch .LBB659_54
.LBB659_49:
                                        ; implicit-def: $sgpr0
                                        ; implicit-def: $vgpr18
	s_branch .LBB659_55
.LBB659_50:
                                        ; implicit-def: $sgpr0
                                        ; implicit-def: $vgpr18
	s_and_b32 vcc_lo, exec_lo, s1
	s_cbranch_vccz .LBB659_54
; %bb.51:
	s_waitcnt vmcnt(0) lgkmcnt(0)
	s_barrier
	buffer_gl0_inv
	s_and_saveexec_b32 s0, s3
	s_cbranch_execz .LBB659_53
; %bb.52:
	v_add_nc_u32_e32 v17, -4, v21
	ds_load_b32 v20, v17
.LBB659_53:
	s_or_b32 exec_lo, exec_lo, s0
	v_or_b32_e32 v17, 7, v19
	v_or_b32_e32 v18, 6, v19
	;; [unrolled: 1-line block ×3, first 2 shown]
	v_cmp_ne_u32_e32 vcc_lo, v9, v10
	v_cmp_ne_u32_e64 s1, v12, v9
	v_cmp_gt_u32_e64 s0, s25, v17
	v_cmp_gt_u32_e64 s5, s25, v18
	v_cmp_ne_u32_e64 s4, v11, v12
	v_cmp_gt_u32_e64 s6, s25, v21
	v_or_b32_e32 v18, 3, v19
	s_and_b32 s0, s0, vcc_lo
	v_or_b32_e32 v22, 4, v19
	v_cndmask_b32_e64 v17, 0, 1, s0
	s_and_b32 s0, s5, s1
	v_cmp_gt_u32_e32 vcc_lo, s25, v18
	v_cndmask_b32_e64 v21, 0, 1, s0
	s_and_b32 s0, s6, s4
	v_or_b32_e32 v18, 2, v19
	v_cndmask_b32_e64 v23, 0, 1, s0
	v_cmp_ne_u32_e64 s0, v13, v14
	v_cmp_gt_u32_e64 s1, s25, v22
	v_or_b32_e32 v22, 1, v19
	v_cmp_ne_u32_e64 s4, v14, v11
	v_cmp_ne_u32_e64 s6, v15, v16
	s_and_b32 s0, vcc_lo, s0
	v_cmp_gt_u32_e32 vcc_lo, s25, v18
	v_cndmask_b32_e64 v24, 0, 1, s0
	v_cmp_ne_u32_e64 s0, v16, v13
	v_cmp_gt_u32_e64 s5, s25, v22
	s_and_b32 s1, s1, s4
	v_lshlrev_b16 v23, 8, v23
	v_cndmask_b32_e64 v18, 0, 1, s1
	s_and_b32 s0, vcc_lo, s0
	v_lshlrev_b16 v24, 8, v24
	v_cndmask_b32_e64 v22, 0, 1, s0
	s_and_b32 s0, s5, s6
	v_lshlrev_b16 v17, 8, v17
	v_cndmask_b32_e64 v25, 0, 1, s0
	v_or_b32_e32 v18, v18, v23
	v_or_b32_e32 v22, v22, v24
	v_cmp_gt_u32_e32 vcc_lo, s25, v19
	v_or_b32_e32 v17, v21, v17
	v_lshlrev_b16 v24, 8, v25
	v_and_b32_e32 v18, 0xffff, v18
	v_lshlrev_b32_e32 v21, 16, v22
	s_waitcnt lgkmcnt(0)
	v_cmp_ne_u32_e64 s0, v20, v15
	v_lshlrev_b32_e32 v23, 16, v17
	v_and_b32_e32 v22, 0xffff, v24
	s_delay_alu instid0(VALU_DEP_3) | instskip(NEXT) | instid1(VALU_DEP_2)
	s_and_b32 s0, vcc_lo, s0
	v_or_b32_e32 v18, v18, v23
	s_delay_alu instid0(VALU_DEP_2)
	v_or_b32_e32 v17, v22, v21
.LBB659_54:
	s_mov_b32 s14, -1
	s_cbranch_execnz .LBB659_63
.LBB659_55:
	s_waitcnt vmcnt(0) lgkmcnt(1)
	v_lshlrev_b32_e32 v20, 2, v0
	v_cmp_ne_u32_e64 s1, v9, v10
	v_cmp_ne_u32_e64 s4, v12, v9
	;; [unrolled: 1-line block ×7, first 2 shown]
	s_and_b32 vcc_lo, exec_lo, s23
	ds_store_b32 v20, v10
	s_cbranch_vccz .LBB659_59
; %bb.56:
	v_cndmask_b32_e64 v17, 0, 1, s1
	v_cndmask_b32_e64 v21, 0, 1, s5
	;; [unrolled: 1-line block ×7, first 2 shown]
	v_lshlrev_b16 v21, 8, v21
	v_lshlrev_b16 v17, 8, v17
	;; [unrolled: 1-line block ×4, first 2 shown]
	s_waitcnt lgkmcnt(0)
	v_or_b32_e32 v21, v22, v21
	v_or_b32_e32 v17, v18, v17
	;; [unrolled: 1-line block ×4, first 2 shown]
	s_barrier
	v_and_b32_e32 v21, 0xffff, v21
	v_lshlrev_b32_e32 v17, 16, v17
	v_lshlrev_b32_e32 v23, 16, v18
	v_and_b32_e32 v22, 0xffff, v22
	buffer_gl0_inv
                                        ; implicit-def: $sgpr0
	v_or_b32_e32 v18, v21, v17
	v_or_b32_e32 v17, v22, v23
	s_and_saveexec_b32 s1, s3
	s_delay_alu instid0(SALU_CYCLE_1)
	s_xor_b32 s1, exec_lo, s1
	s_cbranch_execz .LBB659_58
; %bb.57:
	v_add_nc_u32_e32 v21, -4, v20
	s_or_b32 s14, s14, exec_lo
	ds_load_b32 v21, v21
	s_waitcnt lgkmcnt(0)
	v_cmp_ne_u32_e32 vcc_lo, v21, v15
	s_and_b32 s0, vcc_lo, exec_lo
.LBB659_58:
	s_or_b32 exec_lo, exec_lo, s1
	s_branch .LBB659_63
.LBB659_59:
                                        ; implicit-def: $sgpr0
                                        ; implicit-def: $vgpr18
	s_cbranch_execz .LBB659_63
; %bb.60:
	v_or_b32_e32 v17, 7, v19
	v_or_b32_e32 v18, 6, v19
	v_cmp_ne_u32_e32 vcc_lo, v9, v10
	v_cmp_ne_u32_e64 s1, v12, v9
	v_or_b32_e32 v21, 5, v19
	v_cmp_gt_u32_e64 s0, s25, v17
	v_cmp_gt_u32_e64 s4, s25, v18
	v_or_b32_e32 v17, 4, v19
	v_or_b32_e32 v22, 3, v19
	v_cmp_gt_u32_e64 s5, s25, v21
	s_and_b32 s0, s0, vcc_lo
	v_cmp_ne_u32_e32 vcc_lo, v11, v12
	v_cndmask_b32_e64 v18, 0, 1, s0
	s_and_b32 s0, s4, s1
	v_cmp_ne_u32_e64 s1, v14, v11
	v_cndmask_b32_e64 v21, 0, 1, s0
	v_cmp_gt_u32_e64 s0, s25, v17
	v_or_b32_e32 v23, 1, v19
	s_and_b32 s4, s5, vcc_lo
	v_cmp_gt_u32_e32 vcc_lo, s25, v22
	v_cndmask_b32_e64 v17, 0, 1, s4
	s_and_b32 s0, s0, s1
	v_or_b32_e32 v25, 2, v19
	v_cndmask_b32_e64 v24, 0, 1, s0
	v_cmp_ne_u32_e64 s0, v13, v14
	v_cmp_gt_u32_e64 s1, s25, v23
	v_cmp_ne_u32_e64 s4, v15, v16
	v_cmp_gt_u32_e64 s5, s25, v25
	v_cmp_ne_u32_e64 s6, v16, v13
	s_and_b32 s0, vcc_lo, s0
	v_lshlrev_b16 v17, 8, v17
	v_cndmask_b32_e64 v22, 0, 1, s0
	s_and_b32 s0, s1, s4
	v_lshlrev_b16 v18, 8, v18
	v_cndmask_b32_e64 v23, 0, 1, s0
	s_and_b32 s0, s5, s6
	v_lshlrev_b16 v22, 8, v22
	v_cndmask_b32_e64 v25, 0, 1, s0
	v_or_b32_e32 v17, v24, v17
	v_lshlrev_b16 v23, 8, v23
	v_or_b32_e32 v18, v21, v18
	s_waitcnt lgkmcnt(0)
	v_or_b32_e32 v21, v25, v22
	v_and_b32_e32 v17, 0xffff, v17
	v_or_b32_e32 v22, 1, v23
	v_lshlrev_b32_e32 v18, 16, v18
	s_barrier
	v_lshlrev_b32_e32 v21, 16, v21
	buffer_gl0_inv
	v_and_b32_e32 v22, 0xffff, v22
	v_or_b32_e32 v18, v17, v18
                                        ; implicit-def: $sgpr0
	s_delay_alu instid0(VALU_DEP_2)
	v_or_b32_e32 v17, v22, v21
	s_and_saveexec_b32 s1, s3
	s_cbranch_execz .LBB659_62
; %bb.61:
	v_add_nc_u32_e32 v20, -4, v20
	v_cmp_gt_u32_e32 vcc_lo, s25, v19
	s_or_b32 s14, s14, exec_lo
	ds_load_b32 v20, v20
	s_waitcnt lgkmcnt(0)
	v_cmp_ne_u32_e64 s0, v20, v15
	s_delay_alu instid0(VALU_DEP_1) | instskip(NEXT) | instid1(SALU_CYCLE_1)
	s_and_b32 s0, vcc_lo, s0
	s_and_b32 s0, s0, exec_lo
.LBB659_62:
	s_or_b32 exec_lo, exec_lo, s1
.LBB659_63:
	s_and_saveexec_b32 s1, s14
	s_cbranch_execz .LBB659_65
; %bb.64:
	s_waitcnt vmcnt(0) lgkmcnt(1)
	v_and_b32_e32 v20, 0xffffff00, v17
	v_cndmask_b32_e64 v21, 0, 1, s0
	s_delay_alu instid0(VALU_DEP_1) | instskip(NEXT) | instid1(VALU_DEP_1)
	v_or_b32_e32 v20, v21, v20
	v_and_b32_e32 v20, 0xffff, v20
	s_delay_alu instid0(VALU_DEP_1)
	v_and_or_b32 v17, 0xffff0000, v17, v20
.LBB659_65:
	s_or_b32 exec_lo, exec_lo, s1
	s_delay_alu instid0(SALU_CYCLE_1)
	s_and_not1_b32 vcc_lo, exec_lo, s26
	s_cbranch_vccnz .LBB659_67
; %bb.66:
	v_cmp_gt_u32_e32 vcc_lo, s25, v19
	v_or_b32_e32 v21, 1, v19
	v_and_b32_e32 v22, 0xffffff00, v18
	v_or_b32_e32 v23, 2, v19
	s_waitcnt vmcnt(0) lgkmcnt(1)
	v_cndmask_b32_e32 v20, 0, v17, vcc_lo
	v_cmp_gt_u32_e32 vcc_lo, s25, v21
	v_or_b32_e32 v21, 4, v19
	v_cmp_gt_u32_e64 s0, s25, v23
	v_or_b32_e32 v23, 3, v19
	v_and_b32_e32 v20, 0xff, v20
	s_delay_alu instid0(VALU_DEP_2) | instskip(NEXT) | instid1(VALU_DEP_2)
	v_cmp_gt_u32_e64 s1, s25, v23
	v_cndmask_b32_e32 v20, v20, v17, vcc_lo
	v_cmp_gt_u32_e32 vcc_lo, s25, v21
	s_delay_alu instid0(VALU_DEP_2) | instskip(SKIP_1) | instid1(VALU_DEP_2)
	v_dual_cndmask_b32 v21, v22, v18 :: v_dual_and_b32 v20, 0xffff, v20
	v_or_b32_e32 v22, 5, v19
	v_cndmask_b32_e64 v20, v20, v17, s0
	s_delay_alu instid0(VALU_DEP_3) | instskip(NEXT) | instid1(VALU_DEP_3)
	v_and_b32_e32 v21, 0xffff00ff, v21
	v_cmp_gt_u32_e64 s0, s25, v22
	v_or_b32_e32 v22, 6, v19
	v_or_b32_e32 v19, 7, v19
	v_and_b32_e32 v20, 0xffffff, v20
	s_delay_alu instid0(VALU_DEP_4) | instskip(NEXT) | instid1(VALU_DEP_2)
	v_cndmask_b32_e64 v21, v21, v18, s0
	v_cndmask_b32_e64 v20, v20, v17, s1
	s_delay_alu instid0(VALU_DEP_2) | instskip(NEXT) | instid1(VALU_DEP_2)
	v_and_b32_e32 v21, 0xff00ffff, v21
	v_cndmask_b32_e32 v20, v20, v17, vcc_lo
	v_cmp_gt_u32_e32 vcc_lo, s25, v22
	s_delay_alu instid0(VALU_DEP_2) | instskip(NEXT) | instid1(VALU_DEP_1)
	v_cndmask_b32_e64 v20, v20, v17, s0
	v_dual_cndmask_b32 v21, v21, v18 :: v_dual_cndmask_b32 v20, v20, v17
	s_delay_alu instid0(VALU_DEP_1) | instskip(SKIP_1) | instid1(VALU_DEP_2)
	v_and_b32_e32 v21, 0xffffff, v21
	v_cmp_gt_u32_e32 vcc_lo, s25, v19
	v_dual_cndmask_b32 v18, v21, v18 :: v_dual_cndmask_b32 v17, v20, v17
.LBB659_67:
	s_delay_alu instid0(VALU_DEP_1) | instskip(NEXT) | instid1(VALU_DEP_2)
	v_and_b32_e32 v28, 0xff, v17
	v_alignbit_b32 v19, v18, v17, 24
	v_bfe_u32 v30, v17, 8, 8
	v_bfe_u32 v32, v17, 16, 8
	v_and_b32_e32 v36, 0xff, v18
	v_bfe_u32 v38, v18, 8, 8
	v_and_b32_e32 v34, 0xff, v19
	v_add_nc_u32_e32 v19, v30, v28
	s_waitcnt vmcnt(0) lgkmcnt(1)
	v_and_b32_e32 v20, 0x1e0, v0
	v_mbcnt_lo_u32_b32 v41, -1, 0
	v_bfe_u32 v40, v18, 16, 8
	v_lshrrev_b32_e32 v39, 24, v18
	v_add3_u32 v19, v19, v32, v34
	v_min_u32_e32 v20, 0x160, v20
	v_and_b32_e32 v21, 15, v41
	v_lshrrev_b32_e32 v42, 5, v0
	s_and_b32 vcc_lo, exec_lo, s9
	v_add3_u32 v19, v19, v36, v38
	v_or_b32_e32 v20, 31, v20
	v_cmp_eq_u32_e64 s3, 0, v21
	v_cmp_lt_u32_e64 s4, 1, v21
	v_cmp_lt_u32_e64 s1, 3, v21
	v_add3_u32 v43, v19, v40, v39
	v_and_b32_e32 v19, 16, v41
	v_cmp_lt_u32_e64 s0, 7, v21
	v_cmp_eq_u32_e64 s5, v20, v0
	s_mov_b32 s7, -1
	s_waitcnt lgkmcnt(0)
	v_cmp_eq_u32_e64 s6, 0, v19
	s_barrier
	buffer_gl0_inv
	s_cbranch_vccz .LBB659_93
; %bb.68:
	v_mov_b32_dpp v19, v43 row_shr:1 row_mask:0xf bank_mask:0xf
	s_delay_alu instid0(VALU_DEP_1) | instskip(NEXT) | instid1(VALU_DEP_1)
	v_cndmask_b32_e64 v19, v19, 0, s3
	v_add_nc_u32_e32 v19, v19, v43
	s_delay_alu instid0(VALU_DEP_1) | instskip(NEXT) | instid1(VALU_DEP_1)
	v_mov_b32_dpp v20, v19 row_shr:2 row_mask:0xf bank_mask:0xf
	v_cndmask_b32_e64 v20, 0, v20, s4
	s_delay_alu instid0(VALU_DEP_1) | instskip(NEXT) | instid1(VALU_DEP_1)
	v_add_nc_u32_e32 v19, v19, v20
	v_mov_b32_dpp v20, v19 row_shr:4 row_mask:0xf bank_mask:0xf
	s_delay_alu instid0(VALU_DEP_1) | instskip(NEXT) | instid1(VALU_DEP_1)
	v_cndmask_b32_e64 v20, 0, v20, s1
	v_add_nc_u32_e32 v19, v19, v20
	s_delay_alu instid0(VALU_DEP_1) | instskip(NEXT) | instid1(VALU_DEP_1)
	v_mov_b32_dpp v20, v19 row_shr:8 row_mask:0xf bank_mask:0xf
	v_cndmask_b32_e64 v20, 0, v20, s0
	s_delay_alu instid0(VALU_DEP_1) | instskip(SKIP_3) | instid1(VALU_DEP_1)
	v_add_nc_u32_e32 v19, v19, v20
	ds_swizzle_b32 v20, v19 offset:swizzle(BROADCAST,32,15)
	s_waitcnt lgkmcnt(0)
	v_cndmask_b32_e64 v20, v20, 0, s6
	v_add_nc_u32_e32 v19, v19, v20
	s_and_saveexec_b32 s7, s5
	s_cbranch_execz .LBB659_70
; %bb.69:
	v_lshlrev_b32_e32 v20, 2, v42
	ds_store_b32 v20, v19
.LBB659_70:
	s_or_b32 exec_lo, exec_lo, s7
	s_delay_alu instid0(SALU_CYCLE_1)
	s_mov_b32 s7, exec_lo
	s_waitcnt lgkmcnt(0)
	s_barrier
	buffer_gl0_inv
	v_cmpx_gt_u32_e32 12, v0
	s_cbranch_execz .LBB659_72
; %bb.71:
	v_lshlrev_b32_e32 v20, 2, v0
	ds_load_b32 v21, v20
	s_waitcnt lgkmcnt(0)
	v_mov_b32_dpp v22, v21 row_shr:1 row_mask:0xf bank_mask:0xf
	s_delay_alu instid0(VALU_DEP_1) | instskip(NEXT) | instid1(VALU_DEP_1)
	v_cndmask_b32_e64 v22, v22, 0, s3
	v_add_nc_u32_e32 v21, v22, v21
	s_delay_alu instid0(VALU_DEP_1) | instskip(NEXT) | instid1(VALU_DEP_1)
	v_mov_b32_dpp v22, v21 row_shr:2 row_mask:0xf bank_mask:0xf
	v_cndmask_b32_e64 v22, 0, v22, s4
	s_delay_alu instid0(VALU_DEP_1) | instskip(NEXT) | instid1(VALU_DEP_1)
	v_add_nc_u32_e32 v21, v21, v22
	v_mov_b32_dpp v22, v21 row_shr:4 row_mask:0xf bank_mask:0xf
	s_delay_alu instid0(VALU_DEP_1) | instskip(NEXT) | instid1(VALU_DEP_1)
	v_cndmask_b32_e64 v22, 0, v22, s1
	v_add_nc_u32_e32 v21, v21, v22
	s_delay_alu instid0(VALU_DEP_1) | instskip(NEXT) | instid1(VALU_DEP_1)
	v_mov_b32_dpp v22, v21 row_shr:8 row_mask:0xf bank_mask:0xf
	v_cndmask_b32_e64 v22, 0, v22, s0
	s_delay_alu instid0(VALU_DEP_1)
	v_add_nc_u32_e32 v21, v21, v22
	ds_store_b32 v20, v21
.LBB659_72:
	s_or_b32 exec_lo, exec_lo, s7
	v_cmp_gt_u32_e32 vcc_lo, 32, v0
	s_mov_b32 s8, exec_lo
	s_waitcnt lgkmcnt(0)
	s_barrier
	buffer_gl0_inv
                                        ; implicit-def: $vgpr27
	v_cmpx_lt_u32_e32 31, v0
	s_cbranch_execz .LBB659_74
; %bb.73:
	v_lshl_add_u32 v20, v42, 2, -4
	ds_load_b32 v27, v20
	s_waitcnt lgkmcnt(0)
	v_add_nc_u32_e32 v19, v27, v19
.LBB659_74:
	s_or_b32 exec_lo, exec_lo, s8
	v_add_nc_u32_e32 v20, -1, v41
	s_delay_alu instid0(VALU_DEP_1) | instskip(NEXT) | instid1(VALU_DEP_1)
	v_cmp_gt_i32_e64 s7, 0, v20
	v_cndmask_b32_e64 v20, v20, v41, s7
	v_cmp_eq_u32_e64 s7, 0, v41
	s_delay_alu instid0(VALU_DEP_2)
	v_lshlrev_b32_e32 v20, 2, v20
	ds_bpermute_b32 v29, v20, v19
	s_and_saveexec_b32 s8, vcc_lo
	s_cbranch_execz .LBB659_92
; %bb.75:
	v_mov_b32_e32 v23, 0
	ds_load_b32 v19, v23 offset:44
	s_and_saveexec_b32 s9, s7
	s_cbranch_execz .LBB659_77
; %bb.76:
	s_add_i32 s14, s24, 32
	s_mov_b32 s15, 0
	v_mov_b32_e32 v20, 1
	s_lshl_b64 s[14:15], s[14:15], 3
	s_delay_alu instid0(SALU_CYCLE_1)
	s_add_u32 s14, s20, s14
	s_addc_u32 s15, s21, s15
	s_waitcnt lgkmcnt(0)
	global_store_b64 v23, v[19:20], s[14:15]
.LBB659_77:
	s_or_b32 exec_lo, exec_lo, s9
	v_xad_u32 v21, v41, -1, s24
	s_mov_b32 s14, 0
	s_mov_b32 s9, exec_lo
	s_delay_alu instid0(VALU_DEP_1) | instskip(NEXT) | instid1(VALU_DEP_1)
	v_add_nc_u32_e32 v22, 32, v21
	v_lshlrev_b64 v[22:23], 3, v[22:23]
	s_delay_alu instid0(VALU_DEP_1) | instskip(NEXT) | instid1(VALU_DEP_2)
	v_add_co_u32 v25, vcc_lo, s20, v22
	v_add_co_ci_u32_e32 v26, vcc_lo, s21, v23, vcc_lo
	global_load_b64 v[23:24], v[25:26], off glc
	s_waitcnt vmcnt(0)
	v_and_b32_e32 v20, 0xff, v24
	s_delay_alu instid0(VALU_DEP_1)
	v_cmpx_eq_u16_e32 0, v20
	s_cbranch_execz .LBB659_80
.LBB659_78:                             ; =>This Inner Loop Header: Depth=1
	global_load_b64 v[23:24], v[25:26], off glc
	s_waitcnt vmcnt(0)
	v_and_b32_e32 v20, 0xff, v24
	s_delay_alu instid0(VALU_DEP_1) | instskip(SKIP_1) | instid1(SALU_CYCLE_1)
	v_cmp_ne_u16_e32 vcc_lo, 0, v20
	s_or_b32 s14, vcc_lo, s14
	s_and_not1_b32 exec_lo, exec_lo, s14
	s_cbranch_execnz .LBB659_78
; %bb.79:
	s_or_b32 exec_lo, exec_lo, s14
.LBB659_80:
	s_delay_alu instid0(SALU_CYCLE_1)
	s_or_b32 exec_lo, exec_lo, s9
	v_cmp_ne_u32_e32 vcc_lo, 31, v41
	v_lshlrev_b32_e64 v33, v41, -1
	v_add_nc_u32_e32 v37, 2, v41
	v_add_nc_u32_e32 v45, 4, v41
	;; [unrolled: 1-line block ×3, first 2 shown]
	v_add_co_ci_u32_e32 v20, vcc_lo, 0, v41, vcc_lo
	v_add_nc_u32_e32 v49, 16, v41
	s_delay_alu instid0(VALU_DEP_2)
	v_lshlrev_b32_e32 v31, 2, v20
	v_and_b32_e32 v20, 0xff, v24
	ds_bpermute_b32 v22, v31, v23
	v_cmp_eq_u16_e32 vcc_lo, 2, v20
	v_and_or_b32 v20, vcc_lo, v33, 0x80000000
	v_cmp_gt_u32_e32 vcc_lo, 30, v41
	s_delay_alu instid0(VALU_DEP_2) | instskip(SKIP_1) | instid1(VALU_DEP_2)
	v_ctz_i32_b32_e32 v20, v20
	v_cndmask_b32_e64 v25, 0, 1, vcc_lo
	v_cmp_lt_u32_e32 vcc_lo, v41, v20
	s_waitcnt lgkmcnt(0)
	s_delay_alu instid0(VALU_DEP_2) | instskip(NEXT) | instid1(VALU_DEP_1)
	v_dual_cndmask_b32 v22, 0, v22 :: v_dual_lshlrev_b32 v25, 1, v25
	v_add_lshl_u32 v35, v25, v41, 2
	v_cmp_gt_u32_e32 vcc_lo, 28, v41
	s_delay_alu instid0(VALU_DEP_3) | instskip(SKIP_4) | instid1(VALU_DEP_1)
	v_add_nc_u32_e32 v22, v22, v23
	v_cndmask_b32_e64 v25, 0, 1, vcc_lo
	v_cmp_le_u32_e32 vcc_lo, v37, v20
	ds_bpermute_b32 v23, v35, v22
	v_lshlrev_b32_e32 v25, 2, v25
	v_add_lshl_u32 v44, v25, v41, 2
	s_waitcnt lgkmcnt(0)
	v_cndmask_b32_e32 v23, 0, v23, vcc_lo
	v_cmp_gt_u32_e32 vcc_lo, 24, v41
	s_delay_alu instid0(VALU_DEP_2) | instskip(SKIP_4) | instid1(VALU_DEP_1)
	v_add_nc_u32_e32 v22, v22, v23
	v_cndmask_b32_e64 v25, 0, 1, vcc_lo
	v_cmp_le_u32_e32 vcc_lo, v45, v20
	ds_bpermute_b32 v23, v44, v22
	v_lshlrev_b32_e32 v25, 3, v25
	v_add_lshl_u32 v46, v25, v41, 2
	s_waitcnt lgkmcnt(0)
	v_cndmask_b32_e32 v23, 0, v23, vcc_lo
	v_cmp_gt_u32_e32 vcc_lo, 16, v41
	s_delay_alu instid0(VALU_DEP_2) | instskip(SKIP_4) | instid1(VALU_DEP_1)
	v_add_nc_u32_e32 v22, v22, v23
	v_cndmask_b32_e64 v25, 0, 1, vcc_lo
	v_cmp_le_u32_e32 vcc_lo, v47, v20
	ds_bpermute_b32 v23, v46, v22
	v_lshlrev_b32_e32 v25, 4, v25
	v_add_lshl_u32 v48, v25, v41, 2
	s_waitcnt lgkmcnt(0)
	v_cndmask_b32_e32 v23, 0, v23, vcc_lo
	v_cmp_le_u32_e32 vcc_lo, v49, v20
	s_delay_alu instid0(VALU_DEP_2) | instskip(SKIP_3) | instid1(VALU_DEP_1)
	v_add_nc_u32_e32 v22, v22, v23
	ds_bpermute_b32 v23, v48, v22
	s_waitcnt lgkmcnt(0)
	v_cndmask_b32_e32 v20, 0, v23, vcc_lo
	v_dual_mov_b32 v22, 0 :: v_dual_add_nc_u32 v23, v22, v20
	s_branch .LBB659_82
.LBB659_81:                             ;   in Loop: Header=BB659_82 Depth=1
	s_or_b32 exec_lo, exec_lo, s9
	ds_bpermute_b32 v26, v31, v23
	v_and_b32_e32 v25, 0xff, v24
	v_subrev_nc_u32_e32 v21, 32, v21
	s_delay_alu instid0(VALU_DEP_2) | instskip(SKIP_1) | instid1(VALU_DEP_1)
	v_cmp_eq_u16_e32 vcc_lo, 2, v25
	v_and_or_b32 v25, vcc_lo, v33, 0x80000000
	v_ctz_i32_b32_e32 v25, v25
	s_delay_alu instid0(VALU_DEP_1) | instskip(SKIP_3) | instid1(VALU_DEP_2)
	v_cmp_lt_u32_e32 vcc_lo, v41, v25
	s_waitcnt lgkmcnt(0)
	v_cndmask_b32_e32 v26, 0, v26, vcc_lo
	v_cmp_le_u32_e32 vcc_lo, v37, v25
	v_add_nc_u32_e32 v23, v26, v23
	ds_bpermute_b32 v26, v35, v23
	s_waitcnt lgkmcnt(0)
	v_cndmask_b32_e32 v26, 0, v26, vcc_lo
	v_cmp_le_u32_e32 vcc_lo, v45, v25
	s_delay_alu instid0(VALU_DEP_2) | instskip(SKIP_4) | instid1(VALU_DEP_2)
	v_add_nc_u32_e32 v23, v23, v26
	ds_bpermute_b32 v26, v44, v23
	s_waitcnt lgkmcnt(0)
	v_cndmask_b32_e32 v26, 0, v26, vcc_lo
	v_cmp_le_u32_e32 vcc_lo, v47, v25
	v_add_nc_u32_e32 v23, v23, v26
	ds_bpermute_b32 v26, v46, v23
	s_waitcnt lgkmcnt(0)
	v_cndmask_b32_e32 v26, 0, v26, vcc_lo
	v_cmp_le_u32_e32 vcc_lo, v49, v25
	s_delay_alu instid0(VALU_DEP_2) | instskip(SKIP_3) | instid1(VALU_DEP_1)
	v_add_nc_u32_e32 v23, v23, v26
	ds_bpermute_b32 v26, v48, v23
	s_waitcnt lgkmcnt(0)
	v_cndmask_b32_e32 v25, 0, v26, vcc_lo
	v_add3_u32 v23, v25, v20, v23
.LBB659_82:                             ; =>This Loop Header: Depth=1
                                        ;     Child Loop BB659_85 Depth 2
	v_and_b32_e32 v20, 0xff, v24
	s_delay_alu instid0(VALU_DEP_1) | instskip(SKIP_2) | instid1(VALU_DEP_1)
	v_cmp_ne_u16_e32 vcc_lo, 2, v20
	v_cndmask_b32_e64 v20, 0, 1, vcc_lo
	;;#ASMSTART
	;;#ASMEND
	v_cmp_ne_u32_e32 vcc_lo, 0, v20
	v_mov_b32_e32 v20, v23
	s_cmp_lg_u32 vcc_lo, exec_lo
	s_cbranch_scc1 .LBB659_87
; %bb.83:                               ;   in Loop: Header=BB659_82 Depth=1
	v_lshlrev_b64 v[23:24], 3, v[21:22]
	s_mov_b32 s9, exec_lo
	s_delay_alu instid0(VALU_DEP_1) | instskip(NEXT) | instid1(VALU_DEP_2)
	v_add_co_u32 v25, vcc_lo, s20, v23
	v_add_co_ci_u32_e32 v26, vcc_lo, s21, v24, vcc_lo
	global_load_b64 v[23:24], v[25:26], off glc
	s_waitcnt vmcnt(0)
	v_and_b32_e32 v50, 0xff, v24
	s_delay_alu instid0(VALU_DEP_1)
	v_cmpx_eq_u16_e32 0, v50
	s_cbranch_execz .LBB659_81
; %bb.84:                               ;   in Loop: Header=BB659_82 Depth=1
	s_mov_b32 s14, 0
.LBB659_85:                             ;   Parent Loop BB659_82 Depth=1
                                        ; =>  This Inner Loop Header: Depth=2
	global_load_b64 v[23:24], v[25:26], off glc
	s_waitcnt vmcnt(0)
	v_and_b32_e32 v50, 0xff, v24
	s_delay_alu instid0(VALU_DEP_1) | instskip(SKIP_1) | instid1(SALU_CYCLE_1)
	v_cmp_ne_u16_e32 vcc_lo, 0, v50
	s_or_b32 s14, vcc_lo, s14
	s_and_not1_b32 exec_lo, exec_lo, s14
	s_cbranch_execnz .LBB659_85
; %bb.86:                               ;   in Loop: Header=BB659_82 Depth=1
	s_or_b32 exec_lo, exec_lo, s14
	s_branch .LBB659_81
.LBB659_87:                             ;   in Loop: Header=BB659_82 Depth=1
                                        ; implicit-def: $vgpr23
                                        ; implicit-def: $vgpr24
	s_cbranch_execz .LBB659_82
; %bb.88:
	s_and_saveexec_b32 s9, s7
	s_cbranch_execz .LBB659_90
; %bb.89:
	s_add_i32 s14, s24, 32
	s_mov_b32 s15, 0
	v_dual_mov_b32 v22, 2 :: v_dual_add_nc_u32 v21, v20, v19
	s_lshl_b64 s[14:15], s[14:15], 3
	v_mov_b32_e32 v23, 0
	s_add_u32 s14, s20, s14
	s_addc_u32 s15, s21, s15
	global_store_b64 v23, v[21:22], s[14:15]
	ds_store_b64 v23, v[19:20] offset:12672
.LBB659_90:
	s_or_b32 exec_lo, exec_lo, s9
	s_delay_alu instid0(SALU_CYCLE_1)
	s_and_b32 exec_lo, exec_lo, s2
	s_cbranch_execz .LBB659_92
; %bb.91:
	v_mov_b32_e32 v19, 0
	ds_store_b32 v19, v20 offset:44
.LBB659_92:
	s_or_b32 exec_lo, exec_lo, s8
	v_mov_b32_e32 v19, 0
	s_waitcnt lgkmcnt(0)
	s_waitcnt_vscnt null, 0x0
	s_barrier
	buffer_gl0_inv
	v_cndmask_b32_e64 v21, v29, v27, s7
	ds_load_b32 v20, v19 offset:44
	s_waitcnt lgkmcnt(0)
	s_barrier
	buffer_gl0_inv
	v_cndmask_b32_e64 v21, v21, 0, s2
	s_delay_alu instid0(VALU_DEP_1) | instskip(SKIP_2) | instid1(VALU_DEP_1)
	v_add_nc_u32_e32 v37, v20, v21
	ds_load_b64 v[19:20], v19 offset:12672
	v_add_nc_u32_e32 v35, v37, v28
	v_add_nc_u32_e32 v33, v35, v30
	s_delay_alu instid0(VALU_DEP_1) | instskip(NEXT) | instid1(VALU_DEP_1)
	v_add_nc_u32_e32 v31, v33, v32
	v_add_nc_u32_e32 v29, v31, v34
	s_delay_alu instid0(VALU_DEP_1) | instskip(NEXT) | instid1(VALU_DEP_1)
	v_add_nc_u32_e32 v27, v29, v36
	v_add_nc_u32_e32 v25, v27, v38
	s_delay_alu instid0(VALU_DEP_1)
	v_add_nc_u32_e32 v23, v25, v40
	v_lshrrev_b64 v[21:22], 24, v[17:18]
	s_branch .LBB659_103
.LBB659_93:
                                        ; implicit-def: $vgpr23
                                        ; implicit-def: $vgpr25
                                        ; implicit-def: $vgpr27
                                        ; implicit-def: $vgpr29
                                        ; implicit-def: $vgpr31
                                        ; implicit-def: $vgpr33
                                        ; implicit-def: $vgpr35
                                        ; implicit-def: $vgpr37
                                        ; implicit-def: $vgpr20
	v_lshrrev_b64 v[21:22], 24, v[17:18]
	s_and_b32 vcc_lo, exec_lo, s7
	s_cbranch_vccz .LBB659_103
; %bb.94:
	s_waitcnt lgkmcnt(0)
	v_mov_b32_dpp v19, v43 row_shr:1 row_mask:0xf bank_mask:0xf
	s_delay_alu instid0(VALU_DEP_1) | instskip(NEXT) | instid1(VALU_DEP_1)
	v_cndmask_b32_e64 v19, v19, 0, s3
	v_add_nc_u32_e32 v19, v19, v43
	s_delay_alu instid0(VALU_DEP_1) | instskip(NEXT) | instid1(VALU_DEP_1)
	v_mov_b32_dpp v20, v19 row_shr:2 row_mask:0xf bank_mask:0xf
	v_cndmask_b32_e64 v20, 0, v20, s4
	s_delay_alu instid0(VALU_DEP_1) | instskip(NEXT) | instid1(VALU_DEP_1)
	v_add_nc_u32_e32 v19, v19, v20
	v_mov_b32_dpp v20, v19 row_shr:4 row_mask:0xf bank_mask:0xf
	s_delay_alu instid0(VALU_DEP_1) | instskip(NEXT) | instid1(VALU_DEP_1)
	v_cndmask_b32_e64 v20, 0, v20, s1
	v_add_nc_u32_e32 v19, v19, v20
	s_delay_alu instid0(VALU_DEP_1) | instskip(NEXT) | instid1(VALU_DEP_1)
	v_mov_b32_dpp v20, v19 row_shr:8 row_mask:0xf bank_mask:0xf
	v_cndmask_b32_e64 v20, 0, v20, s0
	s_delay_alu instid0(VALU_DEP_1) | instskip(SKIP_3) | instid1(VALU_DEP_1)
	v_add_nc_u32_e32 v19, v19, v20
	ds_swizzle_b32 v20, v19 offset:swizzle(BROADCAST,32,15)
	s_waitcnt lgkmcnt(0)
	v_cndmask_b32_e64 v20, v20, 0, s6
	v_add_nc_u32_e32 v19, v19, v20
	s_and_saveexec_b32 s6, s5
	s_cbranch_execz .LBB659_96
; %bb.95:
	v_lshlrev_b32_e32 v20, 2, v42
	ds_store_b32 v20, v19
.LBB659_96:
	s_or_b32 exec_lo, exec_lo, s6
	s_delay_alu instid0(SALU_CYCLE_1)
	s_mov_b32 s5, exec_lo
	s_waitcnt lgkmcnt(0)
	s_barrier
	buffer_gl0_inv
	v_cmpx_gt_u32_e32 12, v0
	s_cbranch_execz .LBB659_98
; %bb.97:
	v_lshlrev_b32_e32 v20, 2, v0
	ds_load_b32 v22, v20
	s_waitcnt lgkmcnt(0)
	v_mov_b32_dpp v23, v22 row_shr:1 row_mask:0xf bank_mask:0xf
	s_delay_alu instid0(VALU_DEP_1) | instskip(NEXT) | instid1(VALU_DEP_1)
	v_cndmask_b32_e64 v23, v23, 0, s3
	v_add_nc_u32_e32 v22, v23, v22
	s_delay_alu instid0(VALU_DEP_1) | instskip(NEXT) | instid1(VALU_DEP_1)
	v_mov_b32_dpp v23, v22 row_shr:2 row_mask:0xf bank_mask:0xf
	v_cndmask_b32_e64 v23, 0, v23, s4
	s_delay_alu instid0(VALU_DEP_1) | instskip(NEXT) | instid1(VALU_DEP_1)
	v_add_nc_u32_e32 v22, v22, v23
	v_mov_b32_dpp v23, v22 row_shr:4 row_mask:0xf bank_mask:0xf
	s_delay_alu instid0(VALU_DEP_1) | instskip(NEXT) | instid1(VALU_DEP_1)
	v_cndmask_b32_e64 v23, 0, v23, s1
	v_add_nc_u32_e32 v22, v22, v23
	s_delay_alu instid0(VALU_DEP_1) | instskip(NEXT) | instid1(VALU_DEP_1)
	v_mov_b32_dpp v23, v22 row_shr:8 row_mask:0xf bank_mask:0xf
	v_cndmask_b32_e64 v23, 0, v23, s0
	s_delay_alu instid0(VALU_DEP_1)
	v_add_nc_u32_e32 v22, v22, v23
	ds_store_b32 v20, v22
.LBB659_98:
	s_or_b32 exec_lo, exec_lo, s5
	v_mov_b32_e32 v20, 0
	v_mov_b32_e32 v22, 0
	s_mov_b32 s0, exec_lo
	s_waitcnt lgkmcnt(0)
	s_barrier
	buffer_gl0_inv
	v_cmpx_lt_u32_e32 31, v0
	s_cbranch_execz .LBB659_100
; %bb.99:
	v_lshl_add_u32 v22, v42, 2, -4
	ds_load_b32 v22, v22
.LBB659_100:
	s_or_b32 exec_lo, exec_lo, s0
	v_add_nc_u32_e32 v23, -1, v41
	s_waitcnt lgkmcnt(0)
	v_add_nc_u32_e32 v19, v22, v19
	s_delay_alu instid0(VALU_DEP_2) | instskip(SKIP_1) | instid1(VALU_DEP_1)
	v_cmp_gt_i32_e32 vcc_lo, 0, v23
	v_cndmask_b32_e32 v23, v23, v41, vcc_lo
	v_lshlrev_b32_e32 v23, 2, v23
	ds_bpermute_b32 v23, v23, v19
	ds_load_b32 v19, v20 offset:44
	s_and_saveexec_b32 s0, s2
	s_cbranch_execz .LBB659_102
; %bb.101:
	v_mov_b32_e32 v24, 0
	v_mov_b32_e32 v20, 2
	s_waitcnt lgkmcnt(0)
	global_store_b64 v24, v[19:20], s[20:21] offset:256
.LBB659_102:
	s_or_b32 exec_lo, exec_lo, s0
	v_cmp_eq_u32_e32 vcc_lo, 0, v41
	s_waitcnt lgkmcnt(0)
	s_waitcnt_vscnt null, 0x0
	s_barrier
	buffer_gl0_inv
	v_cndmask_b32_e32 v20, v23, v22, vcc_lo
	s_delay_alu instid0(VALU_DEP_1) | instskip(NEXT) | instid1(VALU_DEP_1)
	v_cndmask_b32_e64 v37, v20, 0, s2
	v_dual_mov_b32 v20, 0 :: v_dual_add_nc_u32 v35, v37, v28
	s_delay_alu instid0(VALU_DEP_1) | instskip(NEXT) | instid1(VALU_DEP_1)
	v_add_nc_u32_e32 v33, v35, v30
	v_add_nc_u32_e32 v31, v33, v32
	s_delay_alu instid0(VALU_DEP_1) | instskip(NEXT) | instid1(VALU_DEP_1)
	v_add_nc_u32_e32 v29, v31, v34
	v_add_nc_u32_e32 v27, v29, v36
	s_delay_alu instid0(VALU_DEP_1) | instskip(NEXT) | instid1(VALU_DEP_1)
	v_add_nc_u32_e32 v25, v27, v38
	v_add_nc_u32_e32 v23, v25, v40
.LBB659_103:
	s_waitcnt lgkmcnt(0)
	v_add_nc_u32_e32 v43, v20, v19
	v_cmp_gt_u32_e64 s0, 0x181, v19
	v_lshrrev_b32_e32 v42, 8, v17
	v_lshrrev_b32_e32 v41, 16, v17
	;; [unrolled: 1-line block ×4, first 2 shown]
	v_cmp_lt_u32_e64 s1, v37, v43
	s_and_b32 vcc_lo, exec_lo, s0
	s_mov_b32 s3, -1
	s_cbranch_vccz .LBB659_129
; %bb.104:
	s_lshl_b64 s[4:5], s[10:11], 2
	s_delay_alu instid0(SALU_CYCLE_1) | instskip(SKIP_2) | instid1(SALU_CYCLE_1)
	s_add_u32 s3, s16, s4
	s_addc_u32 s4, s17, s5
	s_or_b32 s5, s23, s1
	s_and_saveexec_b32 s1, s5
	s_cbranch_execz .LBB659_107
; %bb.105:
	v_and_b32_e32 v24, 1, v17
	s_delay_alu instid0(VALU_DEP_1)
	v_cmp_eq_u32_e32 vcc_lo, 1, v24
	s_and_b32 exec_lo, exec_lo, vcc_lo
	s_cbranch_execz .LBB659_107
; %bb.106:
	v_mov_b32_e32 v38, 0
	s_delay_alu instid0(VALU_DEP_1) | instskip(NEXT) | instid1(VALU_DEP_1)
	v_lshlrev_b64 v[44:45], 2, v[37:38]
	v_add_co_u32 v44, vcc_lo, s3, v44
	s_delay_alu instid0(VALU_DEP_2)
	v_add_co_ci_u32_e32 v45, vcc_lo, s4, v45, vcc_lo
	global_store_b32 v[44:45], v15, off
.LBB659_107:
	s_or_b32 exec_lo, exec_lo, s1
	v_cmp_lt_u32_e32 vcc_lo, v35, v43
	s_or_b32 s5, s23, vcc_lo
	s_delay_alu instid0(SALU_CYCLE_1)
	s_and_saveexec_b32 s1, s5
	s_cbranch_execz .LBB659_110
; %bb.108:
	v_and_b32_e32 v24, 1, v42
	s_delay_alu instid0(VALU_DEP_1)
	v_cmp_eq_u32_e32 vcc_lo, 1, v24
	s_and_b32 exec_lo, exec_lo, vcc_lo
	s_cbranch_execz .LBB659_110
; %bb.109:
	v_mov_b32_e32 v36, 0
	s_delay_alu instid0(VALU_DEP_1) | instskip(NEXT) | instid1(VALU_DEP_1)
	v_lshlrev_b64 v[44:45], 2, v[35:36]
	v_add_co_u32 v44, vcc_lo, s3, v44
	s_delay_alu instid0(VALU_DEP_2)
	v_add_co_ci_u32_e32 v45, vcc_lo, s4, v45, vcc_lo
	global_store_b32 v[44:45], v16, off
.LBB659_110:
	s_or_b32 exec_lo, exec_lo, s1
	v_cmp_lt_u32_e32 vcc_lo, v33, v43
	s_or_b32 s5, s23, vcc_lo
	s_delay_alu instid0(SALU_CYCLE_1)
	;; [unrolled: 21-line block ×7, first 2 shown]
	s_and_saveexec_b32 s1, s5
	s_cbranch_execz .LBB659_128
; %bb.126:
	v_and_b32_e32 v24, 1, v39
	s_delay_alu instid0(VALU_DEP_1)
	v_cmp_eq_u32_e32 vcc_lo, 1, v24
	s_and_b32 exec_lo, exec_lo, vcc_lo
	s_cbranch_execz .LBB659_128
; %bb.127:
	v_mov_b32_e32 v24, 0
	s_delay_alu instid0(VALU_DEP_1) | instskip(NEXT) | instid1(VALU_DEP_1)
	v_lshlrev_b64 v[44:45], 2, v[23:24]
	v_add_co_u32 v44, vcc_lo, s3, v44
	s_delay_alu instid0(VALU_DEP_2)
	v_add_co_ci_u32_e32 v45, vcc_lo, s4, v45, vcc_lo
	global_store_b32 v[44:45], v10, off
.LBB659_128:
	s_or_b32 exec_lo, exec_lo, s1
	s_mov_b32 s3, 0
.LBB659_129:
	v_and_b32_e32 v17, 1, v17
	s_and_b32 vcc_lo, exec_lo, s3
	s_delay_alu instid0(VALU_DEP_1)
	v_cmp_eq_u32_e64 s1, 1, v17
	s_cbranch_vccz .LBB659_150
; %bb.130:
	s_delay_alu instid0(VALU_DEP_1)
	s_and_saveexec_b32 s3, s1
	s_cbranch_execz .LBB659_132
; %bb.131:
	v_sub_nc_u32_e32 v24, v37, v20
	s_delay_alu instid0(VALU_DEP_1)
	v_lshlrev_b32_e32 v24, 2, v24
	ds_store_b32 v24, v15
.LBB659_132:
	s_or_b32 exec_lo, exec_lo, s3
	v_and_b32_e32 v15, 1, v42
	s_mov_b32 s1, exec_lo
	s_delay_alu instid0(VALU_DEP_1)
	v_cmpx_eq_u32_e32 1, v15
	s_cbranch_execz .LBB659_134
; %bb.133:
	v_sub_nc_u32_e32 v15, v35, v20
	s_delay_alu instid0(VALU_DEP_1)
	v_lshlrev_b32_e32 v15, 2, v15
	ds_store_b32 v15, v16
.LBB659_134:
	s_or_b32 exec_lo, exec_lo, s1
	v_and_b32_e32 v15, 1, v41
	s_mov_b32 s1, exec_lo
	s_delay_alu instid0(VALU_DEP_1)
	v_cmpx_eq_u32_e32 1, v15
	;; [unrolled: 12-line block ×7, first 2 shown]
	s_cbranch_execz .LBB659_146
; %bb.145:
	v_sub_nc_u32_e32 v9, v23, v20
	s_delay_alu instid0(VALU_DEP_1)
	v_lshlrev_b32_e32 v9, 2, v9
	ds_store_b32 v9, v10
.LBB659_146:
	s_or_b32 exec_lo, exec_lo, s1
	s_delay_alu instid0(SALU_CYCLE_1)
	s_mov_b32 s3, exec_lo
	s_waitcnt lgkmcnt(0)
	s_waitcnt_vscnt null, 0x0
	s_barrier
	buffer_gl0_inv
	v_cmpx_lt_u32_e64 v0, v19
	s_cbranch_execz .LBB659_149
; %bb.147:
	v_dual_mov_b32 v10, 0 :: v_dual_mov_b32 v9, v20
	s_lshl_b64 s[4:5], s[10:11], 2
	v_lshlrev_b32_e32 v11, 2, v0
	s_add_u32 s1, s16, s4
	s_addc_u32 s4, s17, s5
	v_lshlrev_b64 v[12:13], 2, v[9:10]
	v_mov_b32_e32 v9, v0
	s_delay_alu instid0(VALU_DEP_2) | instskip(NEXT) | instid1(VALU_DEP_3)
	v_add_co_u32 v12, vcc_lo, s1, v12
	v_add_co_ci_u32_e32 v13, vcc_lo, s4, v13, vcc_lo
	s_mov_b32 s4, 0
	.p2align	6
.LBB659_148:                            ; =>This Inner Loop Header: Depth=1
	ds_load_b32 v16, v11
	v_lshlrev_b64 v[14:15], 2, v[9:10]
	v_add_nc_u32_e32 v9, 0x180, v9
	v_add_nc_u32_e32 v11, 0x600, v11
	s_delay_alu instid0(VALU_DEP_2) | instskip(NEXT) | instid1(VALU_DEP_4)
	v_cmp_ge_u32_e32 vcc_lo, v9, v19
	v_add_co_u32 v14, s1, v12, v14
	s_delay_alu instid0(VALU_DEP_1)
	v_add_co_ci_u32_e64 v15, s1, v13, v15, s1
	s_or_b32 s4, vcc_lo, s4
	s_waitcnt lgkmcnt(0)
	global_store_b32 v[14:15], v16, off
	s_and_not1_b32 exec_lo, exec_lo, s4
	s_cbranch_execnz .LBB659_148
.LBB659_149:
	s_or_b32 exec_lo, exec_lo, s3
.LBB659_150:
	s_delay_alu instid0(SALU_CYCLE_1)
	s_and_b32 vcc_lo, exec_lo, s0
	s_mov_b32 s0, -1
	s_waitcnt_vscnt null, 0x0
	s_barrier
	buffer_gl0_inv
	s_cbranch_vccz .LBB659_178
; %bb.151:
	v_cmp_lt_u32_e32 vcc_lo, v37, v43
	s_lshl_b64 s[0:1], s[10:11], 2
	s_delay_alu instid0(SALU_CYCLE_1) | instskip(SKIP_2) | instid1(SALU_CYCLE_1)
	s_add_u32 s0, s18, s0
	s_addc_u32 s1, s19, s1
	s_or_b32 s4, s23, vcc_lo
	s_and_saveexec_b32 s3, s4
	s_cbranch_execz .LBB659_154
; %bb.152:
	v_cmp_eq_u32_e32 vcc_lo, 1, v17
	s_and_b32 exec_lo, exec_lo, vcc_lo
	s_cbranch_execz .LBB659_154
; %bb.153:
	v_mov_b32_e32 v38, 0
	s_delay_alu instid0(VALU_DEP_1) | instskip(NEXT) | instid1(VALU_DEP_1)
	v_lshlrev_b64 v[9:10], 2, v[37:38]
	v_add_co_u32 v9, vcc_lo, s0, v9
	s_delay_alu instid0(VALU_DEP_2)
	v_add_co_ci_u32_e32 v10, vcc_lo, s1, v10, vcc_lo
	global_store_b32 v[9:10], v7, off
.LBB659_154:
	s_or_b32 exec_lo, exec_lo, s3
	v_cmp_lt_u32_e32 vcc_lo, v35, v43
	s_or_b32 s4, s23, vcc_lo
	s_delay_alu instid0(SALU_CYCLE_1)
	s_and_saveexec_b32 s3, s4
	s_cbranch_execz .LBB659_157
; %bb.155:
	v_and_b32_e32 v9, 1, v42
	s_delay_alu instid0(VALU_DEP_1)
	v_cmp_eq_u32_e32 vcc_lo, 1, v9
	s_and_b32 exec_lo, exec_lo, vcc_lo
	s_cbranch_execz .LBB659_157
; %bb.156:
	v_mov_b32_e32 v36, 0
	s_delay_alu instid0(VALU_DEP_1) | instskip(NEXT) | instid1(VALU_DEP_1)
	v_lshlrev_b64 v[9:10], 2, v[35:36]
	v_add_co_u32 v9, vcc_lo, s0, v9
	s_delay_alu instid0(VALU_DEP_2)
	v_add_co_ci_u32_e32 v10, vcc_lo, s1, v10, vcc_lo
	global_store_b32 v[9:10], v8, off
.LBB659_157:
	s_or_b32 exec_lo, exec_lo, s3
	v_cmp_lt_u32_e32 vcc_lo, v33, v43
	s_or_b32 s4, s23, vcc_lo
	s_delay_alu instid0(SALU_CYCLE_1)
	s_and_saveexec_b32 s3, s4
	s_cbranch_execz .LBB659_160
; %bb.158:
	v_and_b32_e32 v9, 1, v41
	s_delay_alu instid0(VALU_DEP_1)
	v_cmp_eq_u32_e32 vcc_lo, 1, v9
	s_and_b32 exec_lo, exec_lo, vcc_lo
	s_cbranch_execz .LBB659_160
; %bb.159:
	v_mov_b32_e32 v34, 0
	s_delay_alu instid0(VALU_DEP_1) | instskip(NEXT) | instid1(VALU_DEP_1)
	v_lshlrev_b64 v[9:10], 2, v[33:34]
	v_add_co_u32 v9, vcc_lo, s0, v9
	s_delay_alu instid0(VALU_DEP_2)
	v_add_co_ci_u32_e32 v10, vcc_lo, s1, v10, vcc_lo
	global_store_b32 v[9:10], v5, off
.LBB659_160:
	;; [unrolled: 21-line block ×7, first 2 shown]
	s_or_b32 exec_lo, exec_lo, s3
.LBB659_176:
	s_and_b32 s0, s2, s22
	s_delay_alu instid0(SALU_CYCLE_1)
	s_and_saveexec_b32 s1, s0
	s_cbranch_execz .LBB659_199
.LBB659_177:
	v_add_co_u32 v0, s0, s10, v19
	s_delay_alu instid0(VALU_DEP_1) | instskip(SKIP_1) | instid1(VALU_DEP_3)
	v_add_co_ci_u32_e64 v1, null, s11, 0, s0
	v_mov_b32_e32 v2, 0
	v_add_co_u32 v0, vcc_lo, v0, v20
	s_delay_alu instid0(VALU_DEP_3)
	v_add_co_ci_u32_e32 v1, vcc_lo, 0, v1, vcc_lo
	global_store_b64 v2, v[0:1], s[12:13]
	s_nop 0
	s_sendmsg sendmsg(MSG_DEALLOC_VGPRS)
	s_endpgm
.LBB659_178:
	s_and_b32 vcc_lo, exec_lo, s0
	s_cbranch_vccz .LBB659_176
; %bb.179:
	s_mov_b32 s0, exec_lo
	v_cmpx_eq_u32_e32 1, v17
	s_cbranch_execz .LBB659_181
; %bb.180:
	v_sub_nc_u32_e32 v9, v37, v20
	s_delay_alu instid0(VALU_DEP_1)
	v_lshlrev_b32_e32 v9, 2, v9
	ds_store_b32 v9, v7
.LBB659_181:
	s_or_b32 exec_lo, exec_lo, s0
	v_and_b32_e32 v7, 1, v42
	s_mov_b32 s0, exec_lo
	s_delay_alu instid0(VALU_DEP_1)
	v_cmpx_eq_u32_e32 1, v7
	s_cbranch_execz .LBB659_183
; %bb.182:
	v_sub_nc_u32_e32 v7, v35, v20
	s_delay_alu instid0(VALU_DEP_1)
	v_lshlrev_b32_e32 v7, 2, v7
	ds_store_b32 v7, v8
.LBB659_183:
	s_or_b32 exec_lo, exec_lo, s0
	v_and_b32_e32 v7, 1, v41
	s_mov_b32 s0, exec_lo
	s_delay_alu instid0(VALU_DEP_1)
	;; [unrolled: 12-line block ×7, first 2 shown]
	v_cmpx_eq_u32_e32 1, v1
	s_cbranch_execz .LBB659_195
; %bb.194:
	v_sub_nc_u32_e32 v1, v23, v20
	s_delay_alu instid0(VALU_DEP_1)
	v_lshlrev_b32_e32 v1, 2, v1
	ds_store_b32 v1, v2
.LBB659_195:
	s_or_b32 exec_lo, exec_lo, s0
	s_delay_alu instid0(SALU_CYCLE_1)
	s_mov_b32 s1, exec_lo
	s_waitcnt lgkmcnt(0)
	s_waitcnt_vscnt null, 0x0
	s_barrier
	buffer_gl0_inv
	v_cmpx_lt_u32_e64 v0, v19
	s_cbranch_execz .LBB659_198
; %bb.196:
	v_dual_mov_b32 v1, 0 :: v_dual_mov_b32 v2, v20
	s_lshl_b64 s[4:5], s[10:11], 2
	v_lshlrev_b32_e32 v4, 2, v0
	s_add_u32 s0, s18, s4
	s_delay_alu instid0(VALU_DEP_2) | instskip(SKIP_1) | instid1(VALU_DEP_1)
	v_mov_b32_e32 v3, v1
	s_addc_u32 s3, s19, s5
	v_lshlrev_b64 v[2:3], 2, v[2:3]
	s_delay_alu instid0(VALU_DEP_1) | instskip(NEXT) | instid1(VALU_DEP_2)
	v_add_co_u32 v2, vcc_lo, s0, v2
	v_add_co_ci_u32_e32 v3, vcc_lo, s3, v3, vcc_lo
	s_mov_b32 s3, 0
	.p2align	6
.LBB659_197:                            ; =>This Inner Loop Header: Depth=1
	ds_load_b32 v7, v4
	v_lshlrev_b64 v[5:6], 2, v[0:1]
	v_add_nc_u32_e32 v0, 0x180, v0
	v_add_nc_u32_e32 v4, 0x600, v4
	s_delay_alu instid0(VALU_DEP_2) | instskip(NEXT) | instid1(VALU_DEP_4)
	v_cmp_ge_u32_e32 vcc_lo, v0, v19
	v_add_co_u32 v5, s0, v2, v5
	s_delay_alu instid0(VALU_DEP_1)
	v_add_co_ci_u32_e64 v6, s0, v3, v6, s0
	s_or_b32 s3, vcc_lo, s3
	s_waitcnt lgkmcnt(0)
	global_store_b32 v[5:6], v7, off
	s_and_not1_b32 exec_lo, exec_lo, s3
	s_cbranch_execnz .LBB659_197
.LBB659_198:
	s_or_b32 exec_lo, exec_lo, s1
	s_and_b32 s0, s2, s22
	s_delay_alu instid0(SALU_CYCLE_1)
	s_and_saveexec_b32 s1, s0
	s_cbranch_execnz .LBB659_177
.LBB659_199:
	s_nop 0
	s_sendmsg sendmsg(MSG_DEALLOC_VGPRS)
	s_endpgm
	.section	.rodata,"a",@progbits
	.p2align	6, 0x0
	.amdhsa_kernel _ZN7rocprim17ROCPRIM_400000_NS6detail17trampoline_kernelINS0_14default_configENS1_25partition_config_selectorILNS1_17partition_subalgoE9EijbEEZZNS1_14partition_implILS5_9ELb0ES3_jN6thrust23THRUST_200600_302600_NS6detail15normal_iteratorINS9_10device_ptrIiEEEENSB_INSC_IjEEEEPNS0_10empty_typeENS0_5tupleIJSE_SH_EEENSJ_IJSG_SI_EEENS0_18inequality_wrapperINS9_8equal_toIiEEEEPmJSH_EEE10hipError_tPvRmT3_T4_T5_T6_T7_T9_mT8_P12ihipStream_tbDpT10_ENKUlT_T0_E_clISt17integral_constantIbLb0EES19_IbLb1EEEEDaS15_S16_EUlS15_E_NS1_11comp_targetILNS1_3genE9ELNS1_11target_archE1100ELNS1_3gpuE3ELNS1_3repE0EEENS1_30default_config_static_selectorELNS0_4arch9wavefront6targetE0EEEvT1_
		.amdhsa_group_segment_fixed_size 12680
		.amdhsa_private_segment_fixed_size 0
		.amdhsa_kernarg_size 128
		.amdhsa_user_sgpr_count 15
		.amdhsa_user_sgpr_dispatch_ptr 0
		.amdhsa_user_sgpr_queue_ptr 0
		.amdhsa_user_sgpr_kernarg_segment_ptr 1
		.amdhsa_user_sgpr_dispatch_id 0
		.amdhsa_user_sgpr_private_segment_size 0
		.amdhsa_wavefront_size32 1
		.amdhsa_uses_dynamic_stack 0
		.amdhsa_enable_private_segment 0
		.amdhsa_system_sgpr_workgroup_id_x 1
		.amdhsa_system_sgpr_workgroup_id_y 0
		.amdhsa_system_sgpr_workgroup_id_z 0
		.amdhsa_system_sgpr_workgroup_info 0
		.amdhsa_system_vgpr_workitem_id 0
		.amdhsa_next_free_vgpr 51
		.amdhsa_next_free_sgpr 29
		.amdhsa_reserve_vcc 1
		.amdhsa_float_round_mode_32 0
		.amdhsa_float_round_mode_16_64 0
		.amdhsa_float_denorm_mode_32 3
		.amdhsa_float_denorm_mode_16_64 3
		.amdhsa_dx10_clamp 1
		.amdhsa_ieee_mode 1
		.amdhsa_fp16_overflow 0
		.amdhsa_workgroup_processor_mode 1
		.amdhsa_memory_ordered 1
		.amdhsa_forward_progress 0
		.amdhsa_shared_vgpr_count 0
		.amdhsa_exception_fp_ieee_invalid_op 0
		.amdhsa_exception_fp_denorm_src 0
		.amdhsa_exception_fp_ieee_div_zero 0
		.amdhsa_exception_fp_ieee_overflow 0
		.amdhsa_exception_fp_ieee_underflow 0
		.amdhsa_exception_fp_ieee_inexact 0
		.amdhsa_exception_int_div_zero 0
	.end_amdhsa_kernel
	.section	.text._ZN7rocprim17ROCPRIM_400000_NS6detail17trampoline_kernelINS0_14default_configENS1_25partition_config_selectorILNS1_17partition_subalgoE9EijbEEZZNS1_14partition_implILS5_9ELb0ES3_jN6thrust23THRUST_200600_302600_NS6detail15normal_iteratorINS9_10device_ptrIiEEEENSB_INSC_IjEEEEPNS0_10empty_typeENS0_5tupleIJSE_SH_EEENSJ_IJSG_SI_EEENS0_18inequality_wrapperINS9_8equal_toIiEEEEPmJSH_EEE10hipError_tPvRmT3_T4_T5_T6_T7_T9_mT8_P12ihipStream_tbDpT10_ENKUlT_T0_E_clISt17integral_constantIbLb0EES19_IbLb1EEEEDaS15_S16_EUlS15_E_NS1_11comp_targetILNS1_3genE9ELNS1_11target_archE1100ELNS1_3gpuE3ELNS1_3repE0EEENS1_30default_config_static_selectorELNS0_4arch9wavefront6targetE0EEEvT1_,"axG",@progbits,_ZN7rocprim17ROCPRIM_400000_NS6detail17trampoline_kernelINS0_14default_configENS1_25partition_config_selectorILNS1_17partition_subalgoE9EijbEEZZNS1_14partition_implILS5_9ELb0ES3_jN6thrust23THRUST_200600_302600_NS6detail15normal_iteratorINS9_10device_ptrIiEEEENSB_INSC_IjEEEEPNS0_10empty_typeENS0_5tupleIJSE_SH_EEENSJ_IJSG_SI_EEENS0_18inequality_wrapperINS9_8equal_toIiEEEEPmJSH_EEE10hipError_tPvRmT3_T4_T5_T6_T7_T9_mT8_P12ihipStream_tbDpT10_ENKUlT_T0_E_clISt17integral_constantIbLb0EES19_IbLb1EEEEDaS15_S16_EUlS15_E_NS1_11comp_targetILNS1_3genE9ELNS1_11target_archE1100ELNS1_3gpuE3ELNS1_3repE0EEENS1_30default_config_static_selectorELNS0_4arch9wavefront6targetE0EEEvT1_,comdat
.Lfunc_end659:
	.size	_ZN7rocprim17ROCPRIM_400000_NS6detail17trampoline_kernelINS0_14default_configENS1_25partition_config_selectorILNS1_17partition_subalgoE9EijbEEZZNS1_14partition_implILS5_9ELb0ES3_jN6thrust23THRUST_200600_302600_NS6detail15normal_iteratorINS9_10device_ptrIiEEEENSB_INSC_IjEEEEPNS0_10empty_typeENS0_5tupleIJSE_SH_EEENSJ_IJSG_SI_EEENS0_18inequality_wrapperINS9_8equal_toIiEEEEPmJSH_EEE10hipError_tPvRmT3_T4_T5_T6_T7_T9_mT8_P12ihipStream_tbDpT10_ENKUlT_T0_E_clISt17integral_constantIbLb0EES19_IbLb1EEEEDaS15_S16_EUlS15_E_NS1_11comp_targetILNS1_3genE9ELNS1_11target_archE1100ELNS1_3gpuE3ELNS1_3repE0EEENS1_30default_config_static_selectorELNS0_4arch9wavefront6targetE0EEEvT1_, .Lfunc_end659-_ZN7rocprim17ROCPRIM_400000_NS6detail17trampoline_kernelINS0_14default_configENS1_25partition_config_selectorILNS1_17partition_subalgoE9EijbEEZZNS1_14partition_implILS5_9ELb0ES3_jN6thrust23THRUST_200600_302600_NS6detail15normal_iteratorINS9_10device_ptrIiEEEENSB_INSC_IjEEEEPNS0_10empty_typeENS0_5tupleIJSE_SH_EEENSJ_IJSG_SI_EEENS0_18inequality_wrapperINS9_8equal_toIiEEEEPmJSH_EEE10hipError_tPvRmT3_T4_T5_T6_T7_T9_mT8_P12ihipStream_tbDpT10_ENKUlT_T0_E_clISt17integral_constantIbLb0EES19_IbLb1EEEEDaS15_S16_EUlS15_E_NS1_11comp_targetILNS1_3genE9ELNS1_11target_archE1100ELNS1_3gpuE3ELNS1_3repE0EEENS1_30default_config_static_selectorELNS0_4arch9wavefront6targetE0EEEvT1_
                                        ; -- End function
	.section	.AMDGPU.csdata,"",@progbits
; Kernel info:
; codeLenInByte = 9360
; NumSgprs: 31
; NumVgprs: 51
; ScratchSize: 0
; MemoryBound: 0
; FloatMode: 240
; IeeeMode: 1
; LDSByteSize: 12680 bytes/workgroup (compile time only)
; SGPRBlocks: 3
; VGPRBlocks: 6
; NumSGPRsForWavesPerEU: 31
; NumVGPRsForWavesPerEU: 51
; Occupancy: 15
; WaveLimiterHint : 1
; COMPUTE_PGM_RSRC2:SCRATCH_EN: 0
; COMPUTE_PGM_RSRC2:USER_SGPR: 15
; COMPUTE_PGM_RSRC2:TRAP_HANDLER: 0
; COMPUTE_PGM_RSRC2:TGID_X_EN: 1
; COMPUTE_PGM_RSRC2:TGID_Y_EN: 0
; COMPUTE_PGM_RSRC2:TGID_Z_EN: 0
; COMPUTE_PGM_RSRC2:TIDIG_COMP_CNT: 0
	.section	.text._ZN7rocprim17ROCPRIM_400000_NS6detail17trampoline_kernelINS0_14default_configENS1_25partition_config_selectorILNS1_17partition_subalgoE9EijbEEZZNS1_14partition_implILS5_9ELb0ES3_jN6thrust23THRUST_200600_302600_NS6detail15normal_iteratorINS9_10device_ptrIiEEEENSB_INSC_IjEEEEPNS0_10empty_typeENS0_5tupleIJSE_SH_EEENSJ_IJSG_SI_EEENS0_18inequality_wrapperINS9_8equal_toIiEEEEPmJSH_EEE10hipError_tPvRmT3_T4_T5_T6_T7_T9_mT8_P12ihipStream_tbDpT10_ENKUlT_T0_E_clISt17integral_constantIbLb0EES19_IbLb1EEEEDaS15_S16_EUlS15_E_NS1_11comp_targetILNS1_3genE8ELNS1_11target_archE1030ELNS1_3gpuE2ELNS1_3repE0EEENS1_30default_config_static_selectorELNS0_4arch9wavefront6targetE0EEEvT1_,"axG",@progbits,_ZN7rocprim17ROCPRIM_400000_NS6detail17trampoline_kernelINS0_14default_configENS1_25partition_config_selectorILNS1_17partition_subalgoE9EijbEEZZNS1_14partition_implILS5_9ELb0ES3_jN6thrust23THRUST_200600_302600_NS6detail15normal_iteratorINS9_10device_ptrIiEEEENSB_INSC_IjEEEEPNS0_10empty_typeENS0_5tupleIJSE_SH_EEENSJ_IJSG_SI_EEENS0_18inequality_wrapperINS9_8equal_toIiEEEEPmJSH_EEE10hipError_tPvRmT3_T4_T5_T6_T7_T9_mT8_P12ihipStream_tbDpT10_ENKUlT_T0_E_clISt17integral_constantIbLb0EES19_IbLb1EEEEDaS15_S16_EUlS15_E_NS1_11comp_targetILNS1_3genE8ELNS1_11target_archE1030ELNS1_3gpuE2ELNS1_3repE0EEENS1_30default_config_static_selectorELNS0_4arch9wavefront6targetE0EEEvT1_,comdat
	.protected	_ZN7rocprim17ROCPRIM_400000_NS6detail17trampoline_kernelINS0_14default_configENS1_25partition_config_selectorILNS1_17partition_subalgoE9EijbEEZZNS1_14partition_implILS5_9ELb0ES3_jN6thrust23THRUST_200600_302600_NS6detail15normal_iteratorINS9_10device_ptrIiEEEENSB_INSC_IjEEEEPNS0_10empty_typeENS0_5tupleIJSE_SH_EEENSJ_IJSG_SI_EEENS0_18inequality_wrapperINS9_8equal_toIiEEEEPmJSH_EEE10hipError_tPvRmT3_T4_T5_T6_T7_T9_mT8_P12ihipStream_tbDpT10_ENKUlT_T0_E_clISt17integral_constantIbLb0EES19_IbLb1EEEEDaS15_S16_EUlS15_E_NS1_11comp_targetILNS1_3genE8ELNS1_11target_archE1030ELNS1_3gpuE2ELNS1_3repE0EEENS1_30default_config_static_selectorELNS0_4arch9wavefront6targetE0EEEvT1_ ; -- Begin function _ZN7rocprim17ROCPRIM_400000_NS6detail17trampoline_kernelINS0_14default_configENS1_25partition_config_selectorILNS1_17partition_subalgoE9EijbEEZZNS1_14partition_implILS5_9ELb0ES3_jN6thrust23THRUST_200600_302600_NS6detail15normal_iteratorINS9_10device_ptrIiEEEENSB_INSC_IjEEEEPNS0_10empty_typeENS0_5tupleIJSE_SH_EEENSJ_IJSG_SI_EEENS0_18inequality_wrapperINS9_8equal_toIiEEEEPmJSH_EEE10hipError_tPvRmT3_T4_T5_T6_T7_T9_mT8_P12ihipStream_tbDpT10_ENKUlT_T0_E_clISt17integral_constantIbLb0EES19_IbLb1EEEEDaS15_S16_EUlS15_E_NS1_11comp_targetILNS1_3genE8ELNS1_11target_archE1030ELNS1_3gpuE2ELNS1_3repE0EEENS1_30default_config_static_selectorELNS0_4arch9wavefront6targetE0EEEvT1_
	.globl	_ZN7rocprim17ROCPRIM_400000_NS6detail17trampoline_kernelINS0_14default_configENS1_25partition_config_selectorILNS1_17partition_subalgoE9EijbEEZZNS1_14partition_implILS5_9ELb0ES3_jN6thrust23THRUST_200600_302600_NS6detail15normal_iteratorINS9_10device_ptrIiEEEENSB_INSC_IjEEEEPNS0_10empty_typeENS0_5tupleIJSE_SH_EEENSJ_IJSG_SI_EEENS0_18inequality_wrapperINS9_8equal_toIiEEEEPmJSH_EEE10hipError_tPvRmT3_T4_T5_T6_T7_T9_mT8_P12ihipStream_tbDpT10_ENKUlT_T0_E_clISt17integral_constantIbLb0EES19_IbLb1EEEEDaS15_S16_EUlS15_E_NS1_11comp_targetILNS1_3genE8ELNS1_11target_archE1030ELNS1_3gpuE2ELNS1_3repE0EEENS1_30default_config_static_selectorELNS0_4arch9wavefront6targetE0EEEvT1_
	.p2align	8
	.type	_ZN7rocprim17ROCPRIM_400000_NS6detail17trampoline_kernelINS0_14default_configENS1_25partition_config_selectorILNS1_17partition_subalgoE9EijbEEZZNS1_14partition_implILS5_9ELb0ES3_jN6thrust23THRUST_200600_302600_NS6detail15normal_iteratorINS9_10device_ptrIiEEEENSB_INSC_IjEEEEPNS0_10empty_typeENS0_5tupleIJSE_SH_EEENSJ_IJSG_SI_EEENS0_18inequality_wrapperINS9_8equal_toIiEEEEPmJSH_EEE10hipError_tPvRmT3_T4_T5_T6_T7_T9_mT8_P12ihipStream_tbDpT10_ENKUlT_T0_E_clISt17integral_constantIbLb0EES19_IbLb1EEEEDaS15_S16_EUlS15_E_NS1_11comp_targetILNS1_3genE8ELNS1_11target_archE1030ELNS1_3gpuE2ELNS1_3repE0EEENS1_30default_config_static_selectorELNS0_4arch9wavefront6targetE0EEEvT1_,@function
_ZN7rocprim17ROCPRIM_400000_NS6detail17trampoline_kernelINS0_14default_configENS1_25partition_config_selectorILNS1_17partition_subalgoE9EijbEEZZNS1_14partition_implILS5_9ELb0ES3_jN6thrust23THRUST_200600_302600_NS6detail15normal_iteratorINS9_10device_ptrIiEEEENSB_INSC_IjEEEEPNS0_10empty_typeENS0_5tupleIJSE_SH_EEENSJ_IJSG_SI_EEENS0_18inequality_wrapperINS9_8equal_toIiEEEEPmJSH_EEE10hipError_tPvRmT3_T4_T5_T6_T7_T9_mT8_P12ihipStream_tbDpT10_ENKUlT_T0_E_clISt17integral_constantIbLb0EES19_IbLb1EEEEDaS15_S16_EUlS15_E_NS1_11comp_targetILNS1_3genE8ELNS1_11target_archE1030ELNS1_3gpuE2ELNS1_3repE0EEENS1_30default_config_static_selectorELNS0_4arch9wavefront6targetE0EEEvT1_: ; @_ZN7rocprim17ROCPRIM_400000_NS6detail17trampoline_kernelINS0_14default_configENS1_25partition_config_selectorILNS1_17partition_subalgoE9EijbEEZZNS1_14partition_implILS5_9ELb0ES3_jN6thrust23THRUST_200600_302600_NS6detail15normal_iteratorINS9_10device_ptrIiEEEENSB_INSC_IjEEEEPNS0_10empty_typeENS0_5tupleIJSE_SH_EEENSJ_IJSG_SI_EEENS0_18inequality_wrapperINS9_8equal_toIiEEEEPmJSH_EEE10hipError_tPvRmT3_T4_T5_T6_T7_T9_mT8_P12ihipStream_tbDpT10_ENKUlT_T0_E_clISt17integral_constantIbLb0EES19_IbLb1EEEEDaS15_S16_EUlS15_E_NS1_11comp_targetILNS1_3genE8ELNS1_11target_archE1030ELNS1_3gpuE2ELNS1_3repE0EEENS1_30default_config_static_selectorELNS0_4arch9wavefront6targetE0EEEvT1_
; %bb.0:
	.section	.rodata,"a",@progbits
	.p2align	6, 0x0
	.amdhsa_kernel _ZN7rocprim17ROCPRIM_400000_NS6detail17trampoline_kernelINS0_14default_configENS1_25partition_config_selectorILNS1_17partition_subalgoE9EijbEEZZNS1_14partition_implILS5_9ELb0ES3_jN6thrust23THRUST_200600_302600_NS6detail15normal_iteratorINS9_10device_ptrIiEEEENSB_INSC_IjEEEEPNS0_10empty_typeENS0_5tupleIJSE_SH_EEENSJ_IJSG_SI_EEENS0_18inequality_wrapperINS9_8equal_toIiEEEEPmJSH_EEE10hipError_tPvRmT3_T4_T5_T6_T7_T9_mT8_P12ihipStream_tbDpT10_ENKUlT_T0_E_clISt17integral_constantIbLb0EES19_IbLb1EEEEDaS15_S16_EUlS15_E_NS1_11comp_targetILNS1_3genE8ELNS1_11target_archE1030ELNS1_3gpuE2ELNS1_3repE0EEENS1_30default_config_static_selectorELNS0_4arch9wavefront6targetE0EEEvT1_
		.amdhsa_group_segment_fixed_size 0
		.amdhsa_private_segment_fixed_size 0
		.amdhsa_kernarg_size 128
		.amdhsa_user_sgpr_count 15
		.amdhsa_user_sgpr_dispatch_ptr 0
		.amdhsa_user_sgpr_queue_ptr 0
		.amdhsa_user_sgpr_kernarg_segment_ptr 1
		.amdhsa_user_sgpr_dispatch_id 0
		.amdhsa_user_sgpr_private_segment_size 0
		.amdhsa_wavefront_size32 1
		.amdhsa_uses_dynamic_stack 0
		.amdhsa_enable_private_segment 0
		.amdhsa_system_sgpr_workgroup_id_x 1
		.amdhsa_system_sgpr_workgroup_id_y 0
		.amdhsa_system_sgpr_workgroup_id_z 0
		.amdhsa_system_sgpr_workgroup_info 0
		.amdhsa_system_vgpr_workitem_id 0
		.amdhsa_next_free_vgpr 1
		.amdhsa_next_free_sgpr 1
		.amdhsa_reserve_vcc 0
		.amdhsa_float_round_mode_32 0
		.amdhsa_float_round_mode_16_64 0
		.amdhsa_float_denorm_mode_32 3
		.amdhsa_float_denorm_mode_16_64 3
		.amdhsa_dx10_clamp 1
		.amdhsa_ieee_mode 1
		.amdhsa_fp16_overflow 0
		.amdhsa_workgroup_processor_mode 1
		.amdhsa_memory_ordered 1
		.amdhsa_forward_progress 0
		.amdhsa_shared_vgpr_count 0
		.amdhsa_exception_fp_ieee_invalid_op 0
		.amdhsa_exception_fp_denorm_src 0
		.amdhsa_exception_fp_ieee_div_zero 0
		.amdhsa_exception_fp_ieee_overflow 0
		.amdhsa_exception_fp_ieee_underflow 0
		.amdhsa_exception_fp_ieee_inexact 0
		.amdhsa_exception_int_div_zero 0
	.end_amdhsa_kernel
	.section	.text._ZN7rocprim17ROCPRIM_400000_NS6detail17trampoline_kernelINS0_14default_configENS1_25partition_config_selectorILNS1_17partition_subalgoE9EijbEEZZNS1_14partition_implILS5_9ELb0ES3_jN6thrust23THRUST_200600_302600_NS6detail15normal_iteratorINS9_10device_ptrIiEEEENSB_INSC_IjEEEEPNS0_10empty_typeENS0_5tupleIJSE_SH_EEENSJ_IJSG_SI_EEENS0_18inequality_wrapperINS9_8equal_toIiEEEEPmJSH_EEE10hipError_tPvRmT3_T4_T5_T6_T7_T9_mT8_P12ihipStream_tbDpT10_ENKUlT_T0_E_clISt17integral_constantIbLb0EES19_IbLb1EEEEDaS15_S16_EUlS15_E_NS1_11comp_targetILNS1_3genE8ELNS1_11target_archE1030ELNS1_3gpuE2ELNS1_3repE0EEENS1_30default_config_static_selectorELNS0_4arch9wavefront6targetE0EEEvT1_,"axG",@progbits,_ZN7rocprim17ROCPRIM_400000_NS6detail17trampoline_kernelINS0_14default_configENS1_25partition_config_selectorILNS1_17partition_subalgoE9EijbEEZZNS1_14partition_implILS5_9ELb0ES3_jN6thrust23THRUST_200600_302600_NS6detail15normal_iteratorINS9_10device_ptrIiEEEENSB_INSC_IjEEEEPNS0_10empty_typeENS0_5tupleIJSE_SH_EEENSJ_IJSG_SI_EEENS0_18inequality_wrapperINS9_8equal_toIiEEEEPmJSH_EEE10hipError_tPvRmT3_T4_T5_T6_T7_T9_mT8_P12ihipStream_tbDpT10_ENKUlT_T0_E_clISt17integral_constantIbLb0EES19_IbLb1EEEEDaS15_S16_EUlS15_E_NS1_11comp_targetILNS1_3genE8ELNS1_11target_archE1030ELNS1_3gpuE2ELNS1_3repE0EEENS1_30default_config_static_selectorELNS0_4arch9wavefront6targetE0EEEvT1_,comdat
.Lfunc_end660:
	.size	_ZN7rocprim17ROCPRIM_400000_NS6detail17trampoline_kernelINS0_14default_configENS1_25partition_config_selectorILNS1_17partition_subalgoE9EijbEEZZNS1_14partition_implILS5_9ELb0ES3_jN6thrust23THRUST_200600_302600_NS6detail15normal_iteratorINS9_10device_ptrIiEEEENSB_INSC_IjEEEEPNS0_10empty_typeENS0_5tupleIJSE_SH_EEENSJ_IJSG_SI_EEENS0_18inequality_wrapperINS9_8equal_toIiEEEEPmJSH_EEE10hipError_tPvRmT3_T4_T5_T6_T7_T9_mT8_P12ihipStream_tbDpT10_ENKUlT_T0_E_clISt17integral_constantIbLb0EES19_IbLb1EEEEDaS15_S16_EUlS15_E_NS1_11comp_targetILNS1_3genE8ELNS1_11target_archE1030ELNS1_3gpuE2ELNS1_3repE0EEENS1_30default_config_static_selectorELNS0_4arch9wavefront6targetE0EEEvT1_, .Lfunc_end660-_ZN7rocprim17ROCPRIM_400000_NS6detail17trampoline_kernelINS0_14default_configENS1_25partition_config_selectorILNS1_17partition_subalgoE9EijbEEZZNS1_14partition_implILS5_9ELb0ES3_jN6thrust23THRUST_200600_302600_NS6detail15normal_iteratorINS9_10device_ptrIiEEEENSB_INSC_IjEEEEPNS0_10empty_typeENS0_5tupleIJSE_SH_EEENSJ_IJSG_SI_EEENS0_18inequality_wrapperINS9_8equal_toIiEEEEPmJSH_EEE10hipError_tPvRmT3_T4_T5_T6_T7_T9_mT8_P12ihipStream_tbDpT10_ENKUlT_T0_E_clISt17integral_constantIbLb0EES19_IbLb1EEEEDaS15_S16_EUlS15_E_NS1_11comp_targetILNS1_3genE8ELNS1_11target_archE1030ELNS1_3gpuE2ELNS1_3repE0EEENS1_30default_config_static_selectorELNS0_4arch9wavefront6targetE0EEEvT1_
                                        ; -- End function
	.section	.AMDGPU.csdata,"",@progbits
; Kernel info:
; codeLenInByte = 0
; NumSgprs: 0
; NumVgprs: 0
; ScratchSize: 0
; MemoryBound: 0
; FloatMode: 240
; IeeeMode: 1
; LDSByteSize: 0 bytes/workgroup (compile time only)
; SGPRBlocks: 0
; VGPRBlocks: 0
; NumSGPRsForWavesPerEU: 1
; NumVGPRsForWavesPerEU: 1
; Occupancy: 16
; WaveLimiterHint : 0
; COMPUTE_PGM_RSRC2:SCRATCH_EN: 0
; COMPUTE_PGM_RSRC2:USER_SGPR: 15
; COMPUTE_PGM_RSRC2:TRAP_HANDLER: 0
; COMPUTE_PGM_RSRC2:TGID_X_EN: 1
; COMPUTE_PGM_RSRC2:TGID_Y_EN: 0
; COMPUTE_PGM_RSRC2:TGID_Z_EN: 0
; COMPUTE_PGM_RSRC2:TIDIG_COMP_CNT: 0
	.section	.text._ZN7rocprim17ROCPRIM_400000_NS6detail17trampoline_kernelINS0_14default_configENS1_25partition_config_selectorILNS1_17partition_subalgoE9EsjbEEZZNS1_14partition_implILS5_9ELb0ES3_jN6thrust23THRUST_200600_302600_NS6detail15normal_iteratorINS9_10device_ptrIsEEEENSB_INSC_IjEEEEPNS0_10empty_typeENS0_5tupleIJSE_SH_EEENSJ_IJSG_SI_EEENS0_18inequality_wrapperINS9_8equal_toIsEEEEPmJSH_EEE10hipError_tPvRmT3_T4_T5_T6_T7_T9_mT8_P12ihipStream_tbDpT10_ENKUlT_T0_E_clISt17integral_constantIbLb0EES1A_EEDaS15_S16_EUlS15_E_NS1_11comp_targetILNS1_3genE0ELNS1_11target_archE4294967295ELNS1_3gpuE0ELNS1_3repE0EEENS1_30default_config_static_selectorELNS0_4arch9wavefront6targetE0EEEvT1_,"axG",@progbits,_ZN7rocprim17ROCPRIM_400000_NS6detail17trampoline_kernelINS0_14default_configENS1_25partition_config_selectorILNS1_17partition_subalgoE9EsjbEEZZNS1_14partition_implILS5_9ELb0ES3_jN6thrust23THRUST_200600_302600_NS6detail15normal_iteratorINS9_10device_ptrIsEEEENSB_INSC_IjEEEEPNS0_10empty_typeENS0_5tupleIJSE_SH_EEENSJ_IJSG_SI_EEENS0_18inequality_wrapperINS9_8equal_toIsEEEEPmJSH_EEE10hipError_tPvRmT3_T4_T5_T6_T7_T9_mT8_P12ihipStream_tbDpT10_ENKUlT_T0_E_clISt17integral_constantIbLb0EES1A_EEDaS15_S16_EUlS15_E_NS1_11comp_targetILNS1_3genE0ELNS1_11target_archE4294967295ELNS1_3gpuE0ELNS1_3repE0EEENS1_30default_config_static_selectorELNS0_4arch9wavefront6targetE0EEEvT1_,comdat
	.protected	_ZN7rocprim17ROCPRIM_400000_NS6detail17trampoline_kernelINS0_14default_configENS1_25partition_config_selectorILNS1_17partition_subalgoE9EsjbEEZZNS1_14partition_implILS5_9ELb0ES3_jN6thrust23THRUST_200600_302600_NS6detail15normal_iteratorINS9_10device_ptrIsEEEENSB_INSC_IjEEEEPNS0_10empty_typeENS0_5tupleIJSE_SH_EEENSJ_IJSG_SI_EEENS0_18inequality_wrapperINS9_8equal_toIsEEEEPmJSH_EEE10hipError_tPvRmT3_T4_T5_T6_T7_T9_mT8_P12ihipStream_tbDpT10_ENKUlT_T0_E_clISt17integral_constantIbLb0EES1A_EEDaS15_S16_EUlS15_E_NS1_11comp_targetILNS1_3genE0ELNS1_11target_archE4294967295ELNS1_3gpuE0ELNS1_3repE0EEENS1_30default_config_static_selectorELNS0_4arch9wavefront6targetE0EEEvT1_ ; -- Begin function _ZN7rocprim17ROCPRIM_400000_NS6detail17trampoline_kernelINS0_14default_configENS1_25partition_config_selectorILNS1_17partition_subalgoE9EsjbEEZZNS1_14partition_implILS5_9ELb0ES3_jN6thrust23THRUST_200600_302600_NS6detail15normal_iteratorINS9_10device_ptrIsEEEENSB_INSC_IjEEEEPNS0_10empty_typeENS0_5tupleIJSE_SH_EEENSJ_IJSG_SI_EEENS0_18inequality_wrapperINS9_8equal_toIsEEEEPmJSH_EEE10hipError_tPvRmT3_T4_T5_T6_T7_T9_mT8_P12ihipStream_tbDpT10_ENKUlT_T0_E_clISt17integral_constantIbLb0EES1A_EEDaS15_S16_EUlS15_E_NS1_11comp_targetILNS1_3genE0ELNS1_11target_archE4294967295ELNS1_3gpuE0ELNS1_3repE0EEENS1_30default_config_static_selectorELNS0_4arch9wavefront6targetE0EEEvT1_
	.globl	_ZN7rocprim17ROCPRIM_400000_NS6detail17trampoline_kernelINS0_14default_configENS1_25partition_config_selectorILNS1_17partition_subalgoE9EsjbEEZZNS1_14partition_implILS5_9ELb0ES3_jN6thrust23THRUST_200600_302600_NS6detail15normal_iteratorINS9_10device_ptrIsEEEENSB_INSC_IjEEEEPNS0_10empty_typeENS0_5tupleIJSE_SH_EEENSJ_IJSG_SI_EEENS0_18inequality_wrapperINS9_8equal_toIsEEEEPmJSH_EEE10hipError_tPvRmT3_T4_T5_T6_T7_T9_mT8_P12ihipStream_tbDpT10_ENKUlT_T0_E_clISt17integral_constantIbLb0EES1A_EEDaS15_S16_EUlS15_E_NS1_11comp_targetILNS1_3genE0ELNS1_11target_archE4294967295ELNS1_3gpuE0ELNS1_3repE0EEENS1_30default_config_static_selectorELNS0_4arch9wavefront6targetE0EEEvT1_
	.p2align	8
	.type	_ZN7rocprim17ROCPRIM_400000_NS6detail17trampoline_kernelINS0_14default_configENS1_25partition_config_selectorILNS1_17partition_subalgoE9EsjbEEZZNS1_14partition_implILS5_9ELb0ES3_jN6thrust23THRUST_200600_302600_NS6detail15normal_iteratorINS9_10device_ptrIsEEEENSB_INSC_IjEEEEPNS0_10empty_typeENS0_5tupleIJSE_SH_EEENSJ_IJSG_SI_EEENS0_18inequality_wrapperINS9_8equal_toIsEEEEPmJSH_EEE10hipError_tPvRmT3_T4_T5_T6_T7_T9_mT8_P12ihipStream_tbDpT10_ENKUlT_T0_E_clISt17integral_constantIbLb0EES1A_EEDaS15_S16_EUlS15_E_NS1_11comp_targetILNS1_3genE0ELNS1_11target_archE4294967295ELNS1_3gpuE0ELNS1_3repE0EEENS1_30default_config_static_selectorELNS0_4arch9wavefront6targetE0EEEvT1_,@function
_ZN7rocprim17ROCPRIM_400000_NS6detail17trampoline_kernelINS0_14default_configENS1_25partition_config_selectorILNS1_17partition_subalgoE9EsjbEEZZNS1_14partition_implILS5_9ELb0ES3_jN6thrust23THRUST_200600_302600_NS6detail15normal_iteratorINS9_10device_ptrIsEEEENSB_INSC_IjEEEEPNS0_10empty_typeENS0_5tupleIJSE_SH_EEENSJ_IJSG_SI_EEENS0_18inequality_wrapperINS9_8equal_toIsEEEEPmJSH_EEE10hipError_tPvRmT3_T4_T5_T6_T7_T9_mT8_P12ihipStream_tbDpT10_ENKUlT_T0_E_clISt17integral_constantIbLb0EES1A_EEDaS15_S16_EUlS15_E_NS1_11comp_targetILNS1_3genE0ELNS1_11target_archE4294967295ELNS1_3gpuE0ELNS1_3repE0EEENS1_30default_config_static_selectorELNS0_4arch9wavefront6targetE0EEEvT1_: ; @_ZN7rocprim17ROCPRIM_400000_NS6detail17trampoline_kernelINS0_14default_configENS1_25partition_config_selectorILNS1_17partition_subalgoE9EsjbEEZZNS1_14partition_implILS5_9ELb0ES3_jN6thrust23THRUST_200600_302600_NS6detail15normal_iteratorINS9_10device_ptrIsEEEENSB_INSC_IjEEEEPNS0_10empty_typeENS0_5tupleIJSE_SH_EEENSJ_IJSG_SI_EEENS0_18inequality_wrapperINS9_8equal_toIsEEEEPmJSH_EEE10hipError_tPvRmT3_T4_T5_T6_T7_T9_mT8_P12ihipStream_tbDpT10_ENKUlT_T0_E_clISt17integral_constantIbLb0EES1A_EEDaS15_S16_EUlS15_E_NS1_11comp_targetILNS1_3genE0ELNS1_11target_archE4294967295ELNS1_3gpuE0ELNS1_3repE0EEENS1_30default_config_static_selectorELNS0_4arch9wavefront6targetE0EEEvT1_
; %bb.0:
	.section	.rodata,"a",@progbits
	.p2align	6, 0x0
	.amdhsa_kernel _ZN7rocprim17ROCPRIM_400000_NS6detail17trampoline_kernelINS0_14default_configENS1_25partition_config_selectorILNS1_17partition_subalgoE9EsjbEEZZNS1_14partition_implILS5_9ELb0ES3_jN6thrust23THRUST_200600_302600_NS6detail15normal_iteratorINS9_10device_ptrIsEEEENSB_INSC_IjEEEEPNS0_10empty_typeENS0_5tupleIJSE_SH_EEENSJ_IJSG_SI_EEENS0_18inequality_wrapperINS9_8equal_toIsEEEEPmJSH_EEE10hipError_tPvRmT3_T4_T5_T6_T7_T9_mT8_P12ihipStream_tbDpT10_ENKUlT_T0_E_clISt17integral_constantIbLb0EES1A_EEDaS15_S16_EUlS15_E_NS1_11comp_targetILNS1_3genE0ELNS1_11target_archE4294967295ELNS1_3gpuE0ELNS1_3repE0EEENS1_30default_config_static_selectorELNS0_4arch9wavefront6targetE0EEEvT1_
		.amdhsa_group_segment_fixed_size 0
		.amdhsa_private_segment_fixed_size 0
		.amdhsa_kernarg_size 112
		.amdhsa_user_sgpr_count 15
		.amdhsa_user_sgpr_dispatch_ptr 0
		.amdhsa_user_sgpr_queue_ptr 0
		.amdhsa_user_sgpr_kernarg_segment_ptr 1
		.amdhsa_user_sgpr_dispatch_id 0
		.amdhsa_user_sgpr_private_segment_size 0
		.amdhsa_wavefront_size32 1
		.amdhsa_uses_dynamic_stack 0
		.amdhsa_enable_private_segment 0
		.amdhsa_system_sgpr_workgroup_id_x 1
		.amdhsa_system_sgpr_workgroup_id_y 0
		.amdhsa_system_sgpr_workgroup_id_z 0
		.amdhsa_system_sgpr_workgroup_info 0
		.amdhsa_system_vgpr_workitem_id 0
		.amdhsa_next_free_vgpr 1
		.amdhsa_next_free_sgpr 1
		.amdhsa_reserve_vcc 0
		.amdhsa_float_round_mode_32 0
		.amdhsa_float_round_mode_16_64 0
		.amdhsa_float_denorm_mode_32 3
		.amdhsa_float_denorm_mode_16_64 3
		.amdhsa_dx10_clamp 1
		.amdhsa_ieee_mode 1
		.amdhsa_fp16_overflow 0
		.amdhsa_workgroup_processor_mode 1
		.amdhsa_memory_ordered 1
		.amdhsa_forward_progress 0
		.amdhsa_shared_vgpr_count 0
		.amdhsa_exception_fp_ieee_invalid_op 0
		.amdhsa_exception_fp_denorm_src 0
		.amdhsa_exception_fp_ieee_div_zero 0
		.amdhsa_exception_fp_ieee_overflow 0
		.amdhsa_exception_fp_ieee_underflow 0
		.amdhsa_exception_fp_ieee_inexact 0
		.amdhsa_exception_int_div_zero 0
	.end_amdhsa_kernel
	.section	.text._ZN7rocprim17ROCPRIM_400000_NS6detail17trampoline_kernelINS0_14default_configENS1_25partition_config_selectorILNS1_17partition_subalgoE9EsjbEEZZNS1_14partition_implILS5_9ELb0ES3_jN6thrust23THRUST_200600_302600_NS6detail15normal_iteratorINS9_10device_ptrIsEEEENSB_INSC_IjEEEEPNS0_10empty_typeENS0_5tupleIJSE_SH_EEENSJ_IJSG_SI_EEENS0_18inequality_wrapperINS9_8equal_toIsEEEEPmJSH_EEE10hipError_tPvRmT3_T4_T5_T6_T7_T9_mT8_P12ihipStream_tbDpT10_ENKUlT_T0_E_clISt17integral_constantIbLb0EES1A_EEDaS15_S16_EUlS15_E_NS1_11comp_targetILNS1_3genE0ELNS1_11target_archE4294967295ELNS1_3gpuE0ELNS1_3repE0EEENS1_30default_config_static_selectorELNS0_4arch9wavefront6targetE0EEEvT1_,"axG",@progbits,_ZN7rocprim17ROCPRIM_400000_NS6detail17trampoline_kernelINS0_14default_configENS1_25partition_config_selectorILNS1_17partition_subalgoE9EsjbEEZZNS1_14partition_implILS5_9ELb0ES3_jN6thrust23THRUST_200600_302600_NS6detail15normal_iteratorINS9_10device_ptrIsEEEENSB_INSC_IjEEEEPNS0_10empty_typeENS0_5tupleIJSE_SH_EEENSJ_IJSG_SI_EEENS0_18inequality_wrapperINS9_8equal_toIsEEEEPmJSH_EEE10hipError_tPvRmT3_T4_T5_T6_T7_T9_mT8_P12ihipStream_tbDpT10_ENKUlT_T0_E_clISt17integral_constantIbLb0EES1A_EEDaS15_S16_EUlS15_E_NS1_11comp_targetILNS1_3genE0ELNS1_11target_archE4294967295ELNS1_3gpuE0ELNS1_3repE0EEENS1_30default_config_static_selectorELNS0_4arch9wavefront6targetE0EEEvT1_,comdat
.Lfunc_end661:
	.size	_ZN7rocprim17ROCPRIM_400000_NS6detail17trampoline_kernelINS0_14default_configENS1_25partition_config_selectorILNS1_17partition_subalgoE9EsjbEEZZNS1_14partition_implILS5_9ELb0ES3_jN6thrust23THRUST_200600_302600_NS6detail15normal_iteratorINS9_10device_ptrIsEEEENSB_INSC_IjEEEEPNS0_10empty_typeENS0_5tupleIJSE_SH_EEENSJ_IJSG_SI_EEENS0_18inequality_wrapperINS9_8equal_toIsEEEEPmJSH_EEE10hipError_tPvRmT3_T4_T5_T6_T7_T9_mT8_P12ihipStream_tbDpT10_ENKUlT_T0_E_clISt17integral_constantIbLb0EES1A_EEDaS15_S16_EUlS15_E_NS1_11comp_targetILNS1_3genE0ELNS1_11target_archE4294967295ELNS1_3gpuE0ELNS1_3repE0EEENS1_30default_config_static_selectorELNS0_4arch9wavefront6targetE0EEEvT1_, .Lfunc_end661-_ZN7rocprim17ROCPRIM_400000_NS6detail17trampoline_kernelINS0_14default_configENS1_25partition_config_selectorILNS1_17partition_subalgoE9EsjbEEZZNS1_14partition_implILS5_9ELb0ES3_jN6thrust23THRUST_200600_302600_NS6detail15normal_iteratorINS9_10device_ptrIsEEEENSB_INSC_IjEEEEPNS0_10empty_typeENS0_5tupleIJSE_SH_EEENSJ_IJSG_SI_EEENS0_18inequality_wrapperINS9_8equal_toIsEEEEPmJSH_EEE10hipError_tPvRmT3_T4_T5_T6_T7_T9_mT8_P12ihipStream_tbDpT10_ENKUlT_T0_E_clISt17integral_constantIbLb0EES1A_EEDaS15_S16_EUlS15_E_NS1_11comp_targetILNS1_3genE0ELNS1_11target_archE4294967295ELNS1_3gpuE0ELNS1_3repE0EEENS1_30default_config_static_selectorELNS0_4arch9wavefront6targetE0EEEvT1_
                                        ; -- End function
	.section	.AMDGPU.csdata,"",@progbits
; Kernel info:
; codeLenInByte = 0
; NumSgprs: 0
; NumVgprs: 0
; ScratchSize: 0
; MemoryBound: 0
; FloatMode: 240
; IeeeMode: 1
; LDSByteSize: 0 bytes/workgroup (compile time only)
; SGPRBlocks: 0
; VGPRBlocks: 0
; NumSGPRsForWavesPerEU: 1
; NumVGPRsForWavesPerEU: 1
; Occupancy: 16
; WaveLimiterHint : 0
; COMPUTE_PGM_RSRC2:SCRATCH_EN: 0
; COMPUTE_PGM_RSRC2:USER_SGPR: 15
; COMPUTE_PGM_RSRC2:TRAP_HANDLER: 0
; COMPUTE_PGM_RSRC2:TGID_X_EN: 1
; COMPUTE_PGM_RSRC2:TGID_Y_EN: 0
; COMPUTE_PGM_RSRC2:TGID_Z_EN: 0
; COMPUTE_PGM_RSRC2:TIDIG_COMP_CNT: 0
	.section	.text._ZN7rocprim17ROCPRIM_400000_NS6detail17trampoline_kernelINS0_14default_configENS1_25partition_config_selectorILNS1_17partition_subalgoE9EsjbEEZZNS1_14partition_implILS5_9ELb0ES3_jN6thrust23THRUST_200600_302600_NS6detail15normal_iteratorINS9_10device_ptrIsEEEENSB_INSC_IjEEEEPNS0_10empty_typeENS0_5tupleIJSE_SH_EEENSJ_IJSG_SI_EEENS0_18inequality_wrapperINS9_8equal_toIsEEEEPmJSH_EEE10hipError_tPvRmT3_T4_T5_T6_T7_T9_mT8_P12ihipStream_tbDpT10_ENKUlT_T0_E_clISt17integral_constantIbLb0EES1A_EEDaS15_S16_EUlS15_E_NS1_11comp_targetILNS1_3genE5ELNS1_11target_archE942ELNS1_3gpuE9ELNS1_3repE0EEENS1_30default_config_static_selectorELNS0_4arch9wavefront6targetE0EEEvT1_,"axG",@progbits,_ZN7rocprim17ROCPRIM_400000_NS6detail17trampoline_kernelINS0_14default_configENS1_25partition_config_selectorILNS1_17partition_subalgoE9EsjbEEZZNS1_14partition_implILS5_9ELb0ES3_jN6thrust23THRUST_200600_302600_NS6detail15normal_iteratorINS9_10device_ptrIsEEEENSB_INSC_IjEEEEPNS0_10empty_typeENS0_5tupleIJSE_SH_EEENSJ_IJSG_SI_EEENS0_18inequality_wrapperINS9_8equal_toIsEEEEPmJSH_EEE10hipError_tPvRmT3_T4_T5_T6_T7_T9_mT8_P12ihipStream_tbDpT10_ENKUlT_T0_E_clISt17integral_constantIbLb0EES1A_EEDaS15_S16_EUlS15_E_NS1_11comp_targetILNS1_3genE5ELNS1_11target_archE942ELNS1_3gpuE9ELNS1_3repE0EEENS1_30default_config_static_selectorELNS0_4arch9wavefront6targetE0EEEvT1_,comdat
	.protected	_ZN7rocprim17ROCPRIM_400000_NS6detail17trampoline_kernelINS0_14default_configENS1_25partition_config_selectorILNS1_17partition_subalgoE9EsjbEEZZNS1_14partition_implILS5_9ELb0ES3_jN6thrust23THRUST_200600_302600_NS6detail15normal_iteratorINS9_10device_ptrIsEEEENSB_INSC_IjEEEEPNS0_10empty_typeENS0_5tupleIJSE_SH_EEENSJ_IJSG_SI_EEENS0_18inequality_wrapperINS9_8equal_toIsEEEEPmJSH_EEE10hipError_tPvRmT3_T4_T5_T6_T7_T9_mT8_P12ihipStream_tbDpT10_ENKUlT_T0_E_clISt17integral_constantIbLb0EES1A_EEDaS15_S16_EUlS15_E_NS1_11comp_targetILNS1_3genE5ELNS1_11target_archE942ELNS1_3gpuE9ELNS1_3repE0EEENS1_30default_config_static_selectorELNS0_4arch9wavefront6targetE0EEEvT1_ ; -- Begin function _ZN7rocprim17ROCPRIM_400000_NS6detail17trampoline_kernelINS0_14default_configENS1_25partition_config_selectorILNS1_17partition_subalgoE9EsjbEEZZNS1_14partition_implILS5_9ELb0ES3_jN6thrust23THRUST_200600_302600_NS6detail15normal_iteratorINS9_10device_ptrIsEEEENSB_INSC_IjEEEEPNS0_10empty_typeENS0_5tupleIJSE_SH_EEENSJ_IJSG_SI_EEENS0_18inequality_wrapperINS9_8equal_toIsEEEEPmJSH_EEE10hipError_tPvRmT3_T4_T5_T6_T7_T9_mT8_P12ihipStream_tbDpT10_ENKUlT_T0_E_clISt17integral_constantIbLb0EES1A_EEDaS15_S16_EUlS15_E_NS1_11comp_targetILNS1_3genE5ELNS1_11target_archE942ELNS1_3gpuE9ELNS1_3repE0EEENS1_30default_config_static_selectorELNS0_4arch9wavefront6targetE0EEEvT1_
	.globl	_ZN7rocprim17ROCPRIM_400000_NS6detail17trampoline_kernelINS0_14default_configENS1_25partition_config_selectorILNS1_17partition_subalgoE9EsjbEEZZNS1_14partition_implILS5_9ELb0ES3_jN6thrust23THRUST_200600_302600_NS6detail15normal_iteratorINS9_10device_ptrIsEEEENSB_INSC_IjEEEEPNS0_10empty_typeENS0_5tupleIJSE_SH_EEENSJ_IJSG_SI_EEENS0_18inequality_wrapperINS9_8equal_toIsEEEEPmJSH_EEE10hipError_tPvRmT3_T4_T5_T6_T7_T9_mT8_P12ihipStream_tbDpT10_ENKUlT_T0_E_clISt17integral_constantIbLb0EES1A_EEDaS15_S16_EUlS15_E_NS1_11comp_targetILNS1_3genE5ELNS1_11target_archE942ELNS1_3gpuE9ELNS1_3repE0EEENS1_30default_config_static_selectorELNS0_4arch9wavefront6targetE0EEEvT1_
	.p2align	8
	.type	_ZN7rocprim17ROCPRIM_400000_NS6detail17trampoline_kernelINS0_14default_configENS1_25partition_config_selectorILNS1_17partition_subalgoE9EsjbEEZZNS1_14partition_implILS5_9ELb0ES3_jN6thrust23THRUST_200600_302600_NS6detail15normal_iteratorINS9_10device_ptrIsEEEENSB_INSC_IjEEEEPNS0_10empty_typeENS0_5tupleIJSE_SH_EEENSJ_IJSG_SI_EEENS0_18inequality_wrapperINS9_8equal_toIsEEEEPmJSH_EEE10hipError_tPvRmT3_T4_T5_T6_T7_T9_mT8_P12ihipStream_tbDpT10_ENKUlT_T0_E_clISt17integral_constantIbLb0EES1A_EEDaS15_S16_EUlS15_E_NS1_11comp_targetILNS1_3genE5ELNS1_11target_archE942ELNS1_3gpuE9ELNS1_3repE0EEENS1_30default_config_static_selectorELNS0_4arch9wavefront6targetE0EEEvT1_,@function
_ZN7rocprim17ROCPRIM_400000_NS6detail17trampoline_kernelINS0_14default_configENS1_25partition_config_selectorILNS1_17partition_subalgoE9EsjbEEZZNS1_14partition_implILS5_9ELb0ES3_jN6thrust23THRUST_200600_302600_NS6detail15normal_iteratorINS9_10device_ptrIsEEEENSB_INSC_IjEEEEPNS0_10empty_typeENS0_5tupleIJSE_SH_EEENSJ_IJSG_SI_EEENS0_18inequality_wrapperINS9_8equal_toIsEEEEPmJSH_EEE10hipError_tPvRmT3_T4_T5_T6_T7_T9_mT8_P12ihipStream_tbDpT10_ENKUlT_T0_E_clISt17integral_constantIbLb0EES1A_EEDaS15_S16_EUlS15_E_NS1_11comp_targetILNS1_3genE5ELNS1_11target_archE942ELNS1_3gpuE9ELNS1_3repE0EEENS1_30default_config_static_selectorELNS0_4arch9wavefront6targetE0EEEvT1_: ; @_ZN7rocprim17ROCPRIM_400000_NS6detail17trampoline_kernelINS0_14default_configENS1_25partition_config_selectorILNS1_17partition_subalgoE9EsjbEEZZNS1_14partition_implILS5_9ELb0ES3_jN6thrust23THRUST_200600_302600_NS6detail15normal_iteratorINS9_10device_ptrIsEEEENSB_INSC_IjEEEEPNS0_10empty_typeENS0_5tupleIJSE_SH_EEENSJ_IJSG_SI_EEENS0_18inequality_wrapperINS9_8equal_toIsEEEEPmJSH_EEE10hipError_tPvRmT3_T4_T5_T6_T7_T9_mT8_P12ihipStream_tbDpT10_ENKUlT_T0_E_clISt17integral_constantIbLb0EES1A_EEDaS15_S16_EUlS15_E_NS1_11comp_targetILNS1_3genE5ELNS1_11target_archE942ELNS1_3gpuE9ELNS1_3repE0EEENS1_30default_config_static_selectorELNS0_4arch9wavefront6targetE0EEEvT1_
; %bb.0:
	.section	.rodata,"a",@progbits
	.p2align	6, 0x0
	.amdhsa_kernel _ZN7rocprim17ROCPRIM_400000_NS6detail17trampoline_kernelINS0_14default_configENS1_25partition_config_selectorILNS1_17partition_subalgoE9EsjbEEZZNS1_14partition_implILS5_9ELb0ES3_jN6thrust23THRUST_200600_302600_NS6detail15normal_iteratorINS9_10device_ptrIsEEEENSB_INSC_IjEEEEPNS0_10empty_typeENS0_5tupleIJSE_SH_EEENSJ_IJSG_SI_EEENS0_18inequality_wrapperINS9_8equal_toIsEEEEPmJSH_EEE10hipError_tPvRmT3_T4_T5_T6_T7_T9_mT8_P12ihipStream_tbDpT10_ENKUlT_T0_E_clISt17integral_constantIbLb0EES1A_EEDaS15_S16_EUlS15_E_NS1_11comp_targetILNS1_3genE5ELNS1_11target_archE942ELNS1_3gpuE9ELNS1_3repE0EEENS1_30default_config_static_selectorELNS0_4arch9wavefront6targetE0EEEvT1_
		.amdhsa_group_segment_fixed_size 0
		.amdhsa_private_segment_fixed_size 0
		.amdhsa_kernarg_size 112
		.amdhsa_user_sgpr_count 15
		.amdhsa_user_sgpr_dispatch_ptr 0
		.amdhsa_user_sgpr_queue_ptr 0
		.amdhsa_user_sgpr_kernarg_segment_ptr 1
		.amdhsa_user_sgpr_dispatch_id 0
		.amdhsa_user_sgpr_private_segment_size 0
		.amdhsa_wavefront_size32 1
		.amdhsa_uses_dynamic_stack 0
		.amdhsa_enable_private_segment 0
		.amdhsa_system_sgpr_workgroup_id_x 1
		.amdhsa_system_sgpr_workgroup_id_y 0
		.amdhsa_system_sgpr_workgroup_id_z 0
		.amdhsa_system_sgpr_workgroup_info 0
		.amdhsa_system_vgpr_workitem_id 0
		.amdhsa_next_free_vgpr 1
		.amdhsa_next_free_sgpr 1
		.amdhsa_reserve_vcc 0
		.amdhsa_float_round_mode_32 0
		.amdhsa_float_round_mode_16_64 0
		.amdhsa_float_denorm_mode_32 3
		.amdhsa_float_denorm_mode_16_64 3
		.amdhsa_dx10_clamp 1
		.amdhsa_ieee_mode 1
		.amdhsa_fp16_overflow 0
		.amdhsa_workgroup_processor_mode 1
		.amdhsa_memory_ordered 1
		.amdhsa_forward_progress 0
		.amdhsa_shared_vgpr_count 0
		.amdhsa_exception_fp_ieee_invalid_op 0
		.amdhsa_exception_fp_denorm_src 0
		.amdhsa_exception_fp_ieee_div_zero 0
		.amdhsa_exception_fp_ieee_overflow 0
		.amdhsa_exception_fp_ieee_underflow 0
		.amdhsa_exception_fp_ieee_inexact 0
		.amdhsa_exception_int_div_zero 0
	.end_amdhsa_kernel
	.section	.text._ZN7rocprim17ROCPRIM_400000_NS6detail17trampoline_kernelINS0_14default_configENS1_25partition_config_selectorILNS1_17partition_subalgoE9EsjbEEZZNS1_14partition_implILS5_9ELb0ES3_jN6thrust23THRUST_200600_302600_NS6detail15normal_iteratorINS9_10device_ptrIsEEEENSB_INSC_IjEEEEPNS0_10empty_typeENS0_5tupleIJSE_SH_EEENSJ_IJSG_SI_EEENS0_18inequality_wrapperINS9_8equal_toIsEEEEPmJSH_EEE10hipError_tPvRmT3_T4_T5_T6_T7_T9_mT8_P12ihipStream_tbDpT10_ENKUlT_T0_E_clISt17integral_constantIbLb0EES1A_EEDaS15_S16_EUlS15_E_NS1_11comp_targetILNS1_3genE5ELNS1_11target_archE942ELNS1_3gpuE9ELNS1_3repE0EEENS1_30default_config_static_selectorELNS0_4arch9wavefront6targetE0EEEvT1_,"axG",@progbits,_ZN7rocprim17ROCPRIM_400000_NS6detail17trampoline_kernelINS0_14default_configENS1_25partition_config_selectorILNS1_17partition_subalgoE9EsjbEEZZNS1_14partition_implILS5_9ELb0ES3_jN6thrust23THRUST_200600_302600_NS6detail15normal_iteratorINS9_10device_ptrIsEEEENSB_INSC_IjEEEEPNS0_10empty_typeENS0_5tupleIJSE_SH_EEENSJ_IJSG_SI_EEENS0_18inequality_wrapperINS9_8equal_toIsEEEEPmJSH_EEE10hipError_tPvRmT3_T4_T5_T6_T7_T9_mT8_P12ihipStream_tbDpT10_ENKUlT_T0_E_clISt17integral_constantIbLb0EES1A_EEDaS15_S16_EUlS15_E_NS1_11comp_targetILNS1_3genE5ELNS1_11target_archE942ELNS1_3gpuE9ELNS1_3repE0EEENS1_30default_config_static_selectorELNS0_4arch9wavefront6targetE0EEEvT1_,comdat
.Lfunc_end662:
	.size	_ZN7rocprim17ROCPRIM_400000_NS6detail17trampoline_kernelINS0_14default_configENS1_25partition_config_selectorILNS1_17partition_subalgoE9EsjbEEZZNS1_14partition_implILS5_9ELb0ES3_jN6thrust23THRUST_200600_302600_NS6detail15normal_iteratorINS9_10device_ptrIsEEEENSB_INSC_IjEEEEPNS0_10empty_typeENS0_5tupleIJSE_SH_EEENSJ_IJSG_SI_EEENS0_18inequality_wrapperINS9_8equal_toIsEEEEPmJSH_EEE10hipError_tPvRmT3_T4_T5_T6_T7_T9_mT8_P12ihipStream_tbDpT10_ENKUlT_T0_E_clISt17integral_constantIbLb0EES1A_EEDaS15_S16_EUlS15_E_NS1_11comp_targetILNS1_3genE5ELNS1_11target_archE942ELNS1_3gpuE9ELNS1_3repE0EEENS1_30default_config_static_selectorELNS0_4arch9wavefront6targetE0EEEvT1_, .Lfunc_end662-_ZN7rocprim17ROCPRIM_400000_NS6detail17trampoline_kernelINS0_14default_configENS1_25partition_config_selectorILNS1_17partition_subalgoE9EsjbEEZZNS1_14partition_implILS5_9ELb0ES3_jN6thrust23THRUST_200600_302600_NS6detail15normal_iteratorINS9_10device_ptrIsEEEENSB_INSC_IjEEEEPNS0_10empty_typeENS0_5tupleIJSE_SH_EEENSJ_IJSG_SI_EEENS0_18inequality_wrapperINS9_8equal_toIsEEEEPmJSH_EEE10hipError_tPvRmT3_T4_T5_T6_T7_T9_mT8_P12ihipStream_tbDpT10_ENKUlT_T0_E_clISt17integral_constantIbLb0EES1A_EEDaS15_S16_EUlS15_E_NS1_11comp_targetILNS1_3genE5ELNS1_11target_archE942ELNS1_3gpuE9ELNS1_3repE0EEENS1_30default_config_static_selectorELNS0_4arch9wavefront6targetE0EEEvT1_
                                        ; -- End function
	.section	.AMDGPU.csdata,"",@progbits
; Kernel info:
; codeLenInByte = 0
; NumSgprs: 0
; NumVgprs: 0
; ScratchSize: 0
; MemoryBound: 0
; FloatMode: 240
; IeeeMode: 1
; LDSByteSize: 0 bytes/workgroup (compile time only)
; SGPRBlocks: 0
; VGPRBlocks: 0
; NumSGPRsForWavesPerEU: 1
; NumVGPRsForWavesPerEU: 1
; Occupancy: 16
; WaveLimiterHint : 0
; COMPUTE_PGM_RSRC2:SCRATCH_EN: 0
; COMPUTE_PGM_RSRC2:USER_SGPR: 15
; COMPUTE_PGM_RSRC2:TRAP_HANDLER: 0
; COMPUTE_PGM_RSRC2:TGID_X_EN: 1
; COMPUTE_PGM_RSRC2:TGID_Y_EN: 0
; COMPUTE_PGM_RSRC2:TGID_Z_EN: 0
; COMPUTE_PGM_RSRC2:TIDIG_COMP_CNT: 0
	.section	.text._ZN7rocprim17ROCPRIM_400000_NS6detail17trampoline_kernelINS0_14default_configENS1_25partition_config_selectorILNS1_17partition_subalgoE9EsjbEEZZNS1_14partition_implILS5_9ELb0ES3_jN6thrust23THRUST_200600_302600_NS6detail15normal_iteratorINS9_10device_ptrIsEEEENSB_INSC_IjEEEEPNS0_10empty_typeENS0_5tupleIJSE_SH_EEENSJ_IJSG_SI_EEENS0_18inequality_wrapperINS9_8equal_toIsEEEEPmJSH_EEE10hipError_tPvRmT3_T4_T5_T6_T7_T9_mT8_P12ihipStream_tbDpT10_ENKUlT_T0_E_clISt17integral_constantIbLb0EES1A_EEDaS15_S16_EUlS15_E_NS1_11comp_targetILNS1_3genE4ELNS1_11target_archE910ELNS1_3gpuE8ELNS1_3repE0EEENS1_30default_config_static_selectorELNS0_4arch9wavefront6targetE0EEEvT1_,"axG",@progbits,_ZN7rocprim17ROCPRIM_400000_NS6detail17trampoline_kernelINS0_14default_configENS1_25partition_config_selectorILNS1_17partition_subalgoE9EsjbEEZZNS1_14partition_implILS5_9ELb0ES3_jN6thrust23THRUST_200600_302600_NS6detail15normal_iteratorINS9_10device_ptrIsEEEENSB_INSC_IjEEEEPNS0_10empty_typeENS0_5tupleIJSE_SH_EEENSJ_IJSG_SI_EEENS0_18inequality_wrapperINS9_8equal_toIsEEEEPmJSH_EEE10hipError_tPvRmT3_T4_T5_T6_T7_T9_mT8_P12ihipStream_tbDpT10_ENKUlT_T0_E_clISt17integral_constantIbLb0EES1A_EEDaS15_S16_EUlS15_E_NS1_11comp_targetILNS1_3genE4ELNS1_11target_archE910ELNS1_3gpuE8ELNS1_3repE0EEENS1_30default_config_static_selectorELNS0_4arch9wavefront6targetE0EEEvT1_,comdat
	.protected	_ZN7rocprim17ROCPRIM_400000_NS6detail17trampoline_kernelINS0_14default_configENS1_25partition_config_selectorILNS1_17partition_subalgoE9EsjbEEZZNS1_14partition_implILS5_9ELb0ES3_jN6thrust23THRUST_200600_302600_NS6detail15normal_iteratorINS9_10device_ptrIsEEEENSB_INSC_IjEEEEPNS0_10empty_typeENS0_5tupleIJSE_SH_EEENSJ_IJSG_SI_EEENS0_18inequality_wrapperINS9_8equal_toIsEEEEPmJSH_EEE10hipError_tPvRmT3_T4_T5_T6_T7_T9_mT8_P12ihipStream_tbDpT10_ENKUlT_T0_E_clISt17integral_constantIbLb0EES1A_EEDaS15_S16_EUlS15_E_NS1_11comp_targetILNS1_3genE4ELNS1_11target_archE910ELNS1_3gpuE8ELNS1_3repE0EEENS1_30default_config_static_selectorELNS0_4arch9wavefront6targetE0EEEvT1_ ; -- Begin function _ZN7rocprim17ROCPRIM_400000_NS6detail17trampoline_kernelINS0_14default_configENS1_25partition_config_selectorILNS1_17partition_subalgoE9EsjbEEZZNS1_14partition_implILS5_9ELb0ES3_jN6thrust23THRUST_200600_302600_NS6detail15normal_iteratorINS9_10device_ptrIsEEEENSB_INSC_IjEEEEPNS0_10empty_typeENS0_5tupleIJSE_SH_EEENSJ_IJSG_SI_EEENS0_18inequality_wrapperINS9_8equal_toIsEEEEPmJSH_EEE10hipError_tPvRmT3_T4_T5_T6_T7_T9_mT8_P12ihipStream_tbDpT10_ENKUlT_T0_E_clISt17integral_constantIbLb0EES1A_EEDaS15_S16_EUlS15_E_NS1_11comp_targetILNS1_3genE4ELNS1_11target_archE910ELNS1_3gpuE8ELNS1_3repE0EEENS1_30default_config_static_selectorELNS0_4arch9wavefront6targetE0EEEvT1_
	.globl	_ZN7rocprim17ROCPRIM_400000_NS6detail17trampoline_kernelINS0_14default_configENS1_25partition_config_selectorILNS1_17partition_subalgoE9EsjbEEZZNS1_14partition_implILS5_9ELb0ES3_jN6thrust23THRUST_200600_302600_NS6detail15normal_iteratorINS9_10device_ptrIsEEEENSB_INSC_IjEEEEPNS0_10empty_typeENS0_5tupleIJSE_SH_EEENSJ_IJSG_SI_EEENS0_18inequality_wrapperINS9_8equal_toIsEEEEPmJSH_EEE10hipError_tPvRmT3_T4_T5_T6_T7_T9_mT8_P12ihipStream_tbDpT10_ENKUlT_T0_E_clISt17integral_constantIbLb0EES1A_EEDaS15_S16_EUlS15_E_NS1_11comp_targetILNS1_3genE4ELNS1_11target_archE910ELNS1_3gpuE8ELNS1_3repE0EEENS1_30default_config_static_selectorELNS0_4arch9wavefront6targetE0EEEvT1_
	.p2align	8
	.type	_ZN7rocprim17ROCPRIM_400000_NS6detail17trampoline_kernelINS0_14default_configENS1_25partition_config_selectorILNS1_17partition_subalgoE9EsjbEEZZNS1_14partition_implILS5_9ELb0ES3_jN6thrust23THRUST_200600_302600_NS6detail15normal_iteratorINS9_10device_ptrIsEEEENSB_INSC_IjEEEEPNS0_10empty_typeENS0_5tupleIJSE_SH_EEENSJ_IJSG_SI_EEENS0_18inequality_wrapperINS9_8equal_toIsEEEEPmJSH_EEE10hipError_tPvRmT3_T4_T5_T6_T7_T9_mT8_P12ihipStream_tbDpT10_ENKUlT_T0_E_clISt17integral_constantIbLb0EES1A_EEDaS15_S16_EUlS15_E_NS1_11comp_targetILNS1_3genE4ELNS1_11target_archE910ELNS1_3gpuE8ELNS1_3repE0EEENS1_30default_config_static_selectorELNS0_4arch9wavefront6targetE0EEEvT1_,@function
_ZN7rocprim17ROCPRIM_400000_NS6detail17trampoline_kernelINS0_14default_configENS1_25partition_config_selectorILNS1_17partition_subalgoE9EsjbEEZZNS1_14partition_implILS5_9ELb0ES3_jN6thrust23THRUST_200600_302600_NS6detail15normal_iteratorINS9_10device_ptrIsEEEENSB_INSC_IjEEEEPNS0_10empty_typeENS0_5tupleIJSE_SH_EEENSJ_IJSG_SI_EEENS0_18inequality_wrapperINS9_8equal_toIsEEEEPmJSH_EEE10hipError_tPvRmT3_T4_T5_T6_T7_T9_mT8_P12ihipStream_tbDpT10_ENKUlT_T0_E_clISt17integral_constantIbLb0EES1A_EEDaS15_S16_EUlS15_E_NS1_11comp_targetILNS1_3genE4ELNS1_11target_archE910ELNS1_3gpuE8ELNS1_3repE0EEENS1_30default_config_static_selectorELNS0_4arch9wavefront6targetE0EEEvT1_: ; @_ZN7rocprim17ROCPRIM_400000_NS6detail17trampoline_kernelINS0_14default_configENS1_25partition_config_selectorILNS1_17partition_subalgoE9EsjbEEZZNS1_14partition_implILS5_9ELb0ES3_jN6thrust23THRUST_200600_302600_NS6detail15normal_iteratorINS9_10device_ptrIsEEEENSB_INSC_IjEEEEPNS0_10empty_typeENS0_5tupleIJSE_SH_EEENSJ_IJSG_SI_EEENS0_18inequality_wrapperINS9_8equal_toIsEEEEPmJSH_EEE10hipError_tPvRmT3_T4_T5_T6_T7_T9_mT8_P12ihipStream_tbDpT10_ENKUlT_T0_E_clISt17integral_constantIbLb0EES1A_EEDaS15_S16_EUlS15_E_NS1_11comp_targetILNS1_3genE4ELNS1_11target_archE910ELNS1_3gpuE8ELNS1_3repE0EEENS1_30default_config_static_selectorELNS0_4arch9wavefront6targetE0EEEvT1_
; %bb.0:
	.section	.rodata,"a",@progbits
	.p2align	6, 0x0
	.amdhsa_kernel _ZN7rocprim17ROCPRIM_400000_NS6detail17trampoline_kernelINS0_14default_configENS1_25partition_config_selectorILNS1_17partition_subalgoE9EsjbEEZZNS1_14partition_implILS5_9ELb0ES3_jN6thrust23THRUST_200600_302600_NS6detail15normal_iteratorINS9_10device_ptrIsEEEENSB_INSC_IjEEEEPNS0_10empty_typeENS0_5tupleIJSE_SH_EEENSJ_IJSG_SI_EEENS0_18inequality_wrapperINS9_8equal_toIsEEEEPmJSH_EEE10hipError_tPvRmT3_T4_T5_T6_T7_T9_mT8_P12ihipStream_tbDpT10_ENKUlT_T0_E_clISt17integral_constantIbLb0EES1A_EEDaS15_S16_EUlS15_E_NS1_11comp_targetILNS1_3genE4ELNS1_11target_archE910ELNS1_3gpuE8ELNS1_3repE0EEENS1_30default_config_static_selectorELNS0_4arch9wavefront6targetE0EEEvT1_
		.amdhsa_group_segment_fixed_size 0
		.amdhsa_private_segment_fixed_size 0
		.amdhsa_kernarg_size 112
		.amdhsa_user_sgpr_count 15
		.amdhsa_user_sgpr_dispatch_ptr 0
		.amdhsa_user_sgpr_queue_ptr 0
		.amdhsa_user_sgpr_kernarg_segment_ptr 1
		.amdhsa_user_sgpr_dispatch_id 0
		.amdhsa_user_sgpr_private_segment_size 0
		.amdhsa_wavefront_size32 1
		.amdhsa_uses_dynamic_stack 0
		.amdhsa_enable_private_segment 0
		.amdhsa_system_sgpr_workgroup_id_x 1
		.amdhsa_system_sgpr_workgroup_id_y 0
		.amdhsa_system_sgpr_workgroup_id_z 0
		.amdhsa_system_sgpr_workgroup_info 0
		.amdhsa_system_vgpr_workitem_id 0
		.amdhsa_next_free_vgpr 1
		.amdhsa_next_free_sgpr 1
		.amdhsa_reserve_vcc 0
		.amdhsa_float_round_mode_32 0
		.amdhsa_float_round_mode_16_64 0
		.amdhsa_float_denorm_mode_32 3
		.amdhsa_float_denorm_mode_16_64 3
		.amdhsa_dx10_clamp 1
		.amdhsa_ieee_mode 1
		.amdhsa_fp16_overflow 0
		.amdhsa_workgroup_processor_mode 1
		.amdhsa_memory_ordered 1
		.amdhsa_forward_progress 0
		.amdhsa_shared_vgpr_count 0
		.amdhsa_exception_fp_ieee_invalid_op 0
		.amdhsa_exception_fp_denorm_src 0
		.amdhsa_exception_fp_ieee_div_zero 0
		.amdhsa_exception_fp_ieee_overflow 0
		.amdhsa_exception_fp_ieee_underflow 0
		.amdhsa_exception_fp_ieee_inexact 0
		.amdhsa_exception_int_div_zero 0
	.end_amdhsa_kernel
	.section	.text._ZN7rocprim17ROCPRIM_400000_NS6detail17trampoline_kernelINS0_14default_configENS1_25partition_config_selectorILNS1_17partition_subalgoE9EsjbEEZZNS1_14partition_implILS5_9ELb0ES3_jN6thrust23THRUST_200600_302600_NS6detail15normal_iteratorINS9_10device_ptrIsEEEENSB_INSC_IjEEEEPNS0_10empty_typeENS0_5tupleIJSE_SH_EEENSJ_IJSG_SI_EEENS0_18inequality_wrapperINS9_8equal_toIsEEEEPmJSH_EEE10hipError_tPvRmT3_T4_T5_T6_T7_T9_mT8_P12ihipStream_tbDpT10_ENKUlT_T0_E_clISt17integral_constantIbLb0EES1A_EEDaS15_S16_EUlS15_E_NS1_11comp_targetILNS1_3genE4ELNS1_11target_archE910ELNS1_3gpuE8ELNS1_3repE0EEENS1_30default_config_static_selectorELNS0_4arch9wavefront6targetE0EEEvT1_,"axG",@progbits,_ZN7rocprim17ROCPRIM_400000_NS6detail17trampoline_kernelINS0_14default_configENS1_25partition_config_selectorILNS1_17partition_subalgoE9EsjbEEZZNS1_14partition_implILS5_9ELb0ES3_jN6thrust23THRUST_200600_302600_NS6detail15normal_iteratorINS9_10device_ptrIsEEEENSB_INSC_IjEEEEPNS0_10empty_typeENS0_5tupleIJSE_SH_EEENSJ_IJSG_SI_EEENS0_18inequality_wrapperINS9_8equal_toIsEEEEPmJSH_EEE10hipError_tPvRmT3_T4_T5_T6_T7_T9_mT8_P12ihipStream_tbDpT10_ENKUlT_T0_E_clISt17integral_constantIbLb0EES1A_EEDaS15_S16_EUlS15_E_NS1_11comp_targetILNS1_3genE4ELNS1_11target_archE910ELNS1_3gpuE8ELNS1_3repE0EEENS1_30default_config_static_selectorELNS0_4arch9wavefront6targetE0EEEvT1_,comdat
.Lfunc_end663:
	.size	_ZN7rocprim17ROCPRIM_400000_NS6detail17trampoline_kernelINS0_14default_configENS1_25partition_config_selectorILNS1_17partition_subalgoE9EsjbEEZZNS1_14partition_implILS5_9ELb0ES3_jN6thrust23THRUST_200600_302600_NS6detail15normal_iteratorINS9_10device_ptrIsEEEENSB_INSC_IjEEEEPNS0_10empty_typeENS0_5tupleIJSE_SH_EEENSJ_IJSG_SI_EEENS0_18inequality_wrapperINS9_8equal_toIsEEEEPmJSH_EEE10hipError_tPvRmT3_T4_T5_T6_T7_T9_mT8_P12ihipStream_tbDpT10_ENKUlT_T0_E_clISt17integral_constantIbLb0EES1A_EEDaS15_S16_EUlS15_E_NS1_11comp_targetILNS1_3genE4ELNS1_11target_archE910ELNS1_3gpuE8ELNS1_3repE0EEENS1_30default_config_static_selectorELNS0_4arch9wavefront6targetE0EEEvT1_, .Lfunc_end663-_ZN7rocprim17ROCPRIM_400000_NS6detail17trampoline_kernelINS0_14default_configENS1_25partition_config_selectorILNS1_17partition_subalgoE9EsjbEEZZNS1_14partition_implILS5_9ELb0ES3_jN6thrust23THRUST_200600_302600_NS6detail15normal_iteratorINS9_10device_ptrIsEEEENSB_INSC_IjEEEEPNS0_10empty_typeENS0_5tupleIJSE_SH_EEENSJ_IJSG_SI_EEENS0_18inequality_wrapperINS9_8equal_toIsEEEEPmJSH_EEE10hipError_tPvRmT3_T4_T5_T6_T7_T9_mT8_P12ihipStream_tbDpT10_ENKUlT_T0_E_clISt17integral_constantIbLb0EES1A_EEDaS15_S16_EUlS15_E_NS1_11comp_targetILNS1_3genE4ELNS1_11target_archE910ELNS1_3gpuE8ELNS1_3repE0EEENS1_30default_config_static_selectorELNS0_4arch9wavefront6targetE0EEEvT1_
                                        ; -- End function
	.section	.AMDGPU.csdata,"",@progbits
; Kernel info:
; codeLenInByte = 0
; NumSgprs: 0
; NumVgprs: 0
; ScratchSize: 0
; MemoryBound: 0
; FloatMode: 240
; IeeeMode: 1
; LDSByteSize: 0 bytes/workgroup (compile time only)
; SGPRBlocks: 0
; VGPRBlocks: 0
; NumSGPRsForWavesPerEU: 1
; NumVGPRsForWavesPerEU: 1
; Occupancy: 15
; WaveLimiterHint : 0
; COMPUTE_PGM_RSRC2:SCRATCH_EN: 0
; COMPUTE_PGM_RSRC2:USER_SGPR: 15
; COMPUTE_PGM_RSRC2:TRAP_HANDLER: 0
; COMPUTE_PGM_RSRC2:TGID_X_EN: 1
; COMPUTE_PGM_RSRC2:TGID_Y_EN: 0
; COMPUTE_PGM_RSRC2:TGID_Z_EN: 0
; COMPUTE_PGM_RSRC2:TIDIG_COMP_CNT: 0
	.section	.text._ZN7rocprim17ROCPRIM_400000_NS6detail17trampoline_kernelINS0_14default_configENS1_25partition_config_selectorILNS1_17partition_subalgoE9EsjbEEZZNS1_14partition_implILS5_9ELb0ES3_jN6thrust23THRUST_200600_302600_NS6detail15normal_iteratorINS9_10device_ptrIsEEEENSB_INSC_IjEEEEPNS0_10empty_typeENS0_5tupleIJSE_SH_EEENSJ_IJSG_SI_EEENS0_18inequality_wrapperINS9_8equal_toIsEEEEPmJSH_EEE10hipError_tPvRmT3_T4_T5_T6_T7_T9_mT8_P12ihipStream_tbDpT10_ENKUlT_T0_E_clISt17integral_constantIbLb0EES1A_EEDaS15_S16_EUlS15_E_NS1_11comp_targetILNS1_3genE3ELNS1_11target_archE908ELNS1_3gpuE7ELNS1_3repE0EEENS1_30default_config_static_selectorELNS0_4arch9wavefront6targetE0EEEvT1_,"axG",@progbits,_ZN7rocprim17ROCPRIM_400000_NS6detail17trampoline_kernelINS0_14default_configENS1_25partition_config_selectorILNS1_17partition_subalgoE9EsjbEEZZNS1_14partition_implILS5_9ELb0ES3_jN6thrust23THRUST_200600_302600_NS6detail15normal_iteratorINS9_10device_ptrIsEEEENSB_INSC_IjEEEEPNS0_10empty_typeENS0_5tupleIJSE_SH_EEENSJ_IJSG_SI_EEENS0_18inequality_wrapperINS9_8equal_toIsEEEEPmJSH_EEE10hipError_tPvRmT3_T4_T5_T6_T7_T9_mT8_P12ihipStream_tbDpT10_ENKUlT_T0_E_clISt17integral_constantIbLb0EES1A_EEDaS15_S16_EUlS15_E_NS1_11comp_targetILNS1_3genE3ELNS1_11target_archE908ELNS1_3gpuE7ELNS1_3repE0EEENS1_30default_config_static_selectorELNS0_4arch9wavefront6targetE0EEEvT1_,comdat
	.protected	_ZN7rocprim17ROCPRIM_400000_NS6detail17trampoline_kernelINS0_14default_configENS1_25partition_config_selectorILNS1_17partition_subalgoE9EsjbEEZZNS1_14partition_implILS5_9ELb0ES3_jN6thrust23THRUST_200600_302600_NS6detail15normal_iteratorINS9_10device_ptrIsEEEENSB_INSC_IjEEEEPNS0_10empty_typeENS0_5tupleIJSE_SH_EEENSJ_IJSG_SI_EEENS0_18inequality_wrapperINS9_8equal_toIsEEEEPmJSH_EEE10hipError_tPvRmT3_T4_T5_T6_T7_T9_mT8_P12ihipStream_tbDpT10_ENKUlT_T0_E_clISt17integral_constantIbLb0EES1A_EEDaS15_S16_EUlS15_E_NS1_11comp_targetILNS1_3genE3ELNS1_11target_archE908ELNS1_3gpuE7ELNS1_3repE0EEENS1_30default_config_static_selectorELNS0_4arch9wavefront6targetE0EEEvT1_ ; -- Begin function _ZN7rocprim17ROCPRIM_400000_NS6detail17trampoline_kernelINS0_14default_configENS1_25partition_config_selectorILNS1_17partition_subalgoE9EsjbEEZZNS1_14partition_implILS5_9ELb0ES3_jN6thrust23THRUST_200600_302600_NS6detail15normal_iteratorINS9_10device_ptrIsEEEENSB_INSC_IjEEEEPNS0_10empty_typeENS0_5tupleIJSE_SH_EEENSJ_IJSG_SI_EEENS0_18inequality_wrapperINS9_8equal_toIsEEEEPmJSH_EEE10hipError_tPvRmT3_T4_T5_T6_T7_T9_mT8_P12ihipStream_tbDpT10_ENKUlT_T0_E_clISt17integral_constantIbLb0EES1A_EEDaS15_S16_EUlS15_E_NS1_11comp_targetILNS1_3genE3ELNS1_11target_archE908ELNS1_3gpuE7ELNS1_3repE0EEENS1_30default_config_static_selectorELNS0_4arch9wavefront6targetE0EEEvT1_
	.globl	_ZN7rocprim17ROCPRIM_400000_NS6detail17trampoline_kernelINS0_14default_configENS1_25partition_config_selectorILNS1_17partition_subalgoE9EsjbEEZZNS1_14partition_implILS5_9ELb0ES3_jN6thrust23THRUST_200600_302600_NS6detail15normal_iteratorINS9_10device_ptrIsEEEENSB_INSC_IjEEEEPNS0_10empty_typeENS0_5tupleIJSE_SH_EEENSJ_IJSG_SI_EEENS0_18inequality_wrapperINS9_8equal_toIsEEEEPmJSH_EEE10hipError_tPvRmT3_T4_T5_T6_T7_T9_mT8_P12ihipStream_tbDpT10_ENKUlT_T0_E_clISt17integral_constantIbLb0EES1A_EEDaS15_S16_EUlS15_E_NS1_11comp_targetILNS1_3genE3ELNS1_11target_archE908ELNS1_3gpuE7ELNS1_3repE0EEENS1_30default_config_static_selectorELNS0_4arch9wavefront6targetE0EEEvT1_
	.p2align	8
	.type	_ZN7rocprim17ROCPRIM_400000_NS6detail17trampoline_kernelINS0_14default_configENS1_25partition_config_selectorILNS1_17partition_subalgoE9EsjbEEZZNS1_14partition_implILS5_9ELb0ES3_jN6thrust23THRUST_200600_302600_NS6detail15normal_iteratorINS9_10device_ptrIsEEEENSB_INSC_IjEEEEPNS0_10empty_typeENS0_5tupleIJSE_SH_EEENSJ_IJSG_SI_EEENS0_18inequality_wrapperINS9_8equal_toIsEEEEPmJSH_EEE10hipError_tPvRmT3_T4_T5_T6_T7_T9_mT8_P12ihipStream_tbDpT10_ENKUlT_T0_E_clISt17integral_constantIbLb0EES1A_EEDaS15_S16_EUlS15_E_NS1_11comp_targetILNS1_3genE3ELNS1_11target_archE908ELNS1_3gpuE7ELNS1_3repE0EEENS1_30default_config_static_selectorELNS0_4arch9wavefront6targetE0EEEvT1_,@function
_ZN7rocprim17ROCPRIM_400000_NS6detail17trampoline_kernelINS0_14default_configENS1_25partition_config_selectorILNS1_17partition_subalgoE9EsjbEEZZNS1_14partition_implILS5_9ELb0ES3_jN6thrust23THRUST_200600_302600_NS6detail15normal_iteratorINS9_10device_ptrIsEEEENSB_INSC_IjEEEEPNS0_10empty_typeENS0_5tupleIJSE_SH_EEENSJ_IJSG_SI_EEENS0_18inequality_wrapperINS9_8equal_toIsEEEEPmJSH_EEE10hipError_tPvRmT3_T4_T5_T6_T7_T9_mT8_P12ihipStream_tbDpT10_ENKUlT_T0_E_clISt17integral_constantIbLb0EES1A_EEDaS15_S16_EUlS15_E_NS1_11comp_targetILNS1_3genE3ELNS1_11target_archE908ELNS1_3gpuE7ELNS1_3repE0EEENS1_30default_config_static_selectorELNS0_4arch9wavefront6targetE0EEEvT1_: ; @_ZN7rocprim17ROCPRIM_400000_NS6detail17trampoline_kernelINS0_14default_configENS1_25partition_config_selectorILNS1_17partition_subalgoE9EsjbEEZZNS1_14partition_implILS5_9ELb0ES3_jN6thrust23THRUST_200600_302600_NS6detail15normal_iteratorINS9_10device_ptrIsEEEENSB_INSC_IjEEEEPNS0_10empty_typeENS0_5tupleIJSE_SH_EEENSJ_IJSG_SI_EEENS0_18inequality_wrapperINS9_8equal_toIsEEEEPmJSH_EEE10hipError_tPvRmT3_T4_T5_T6_T7_T9_mT8_P12ihipStream_tbDpT10_ENKUlT_T0_E_clISt17integral_constantIbLb0EES1A_EEDaS15_S16_EUlS15_E_NS1_11comp_targetILNS1_3genE3ELNS1_11target_archE908ELNS1_3gpuE7ELNS1_3repE0EEENS1_30default_config_static_selectorELNS0_4arch9wavefront6targetE0EEEvT1_
; %bb.0:
	.section	.rodata,"a",@progbits
	.p2align	6, 0x0
	.amdhsa_kernel _ZN7rocprim17ROCPRIM_400000_NS6detail17trampoline_kernelINS0_14default_configENS1_25partition_config_selectorILNS1_17partition_subalgoE9EsjbEEZZNS1_14partition_implILS5_9ELb0ES3_jN6thrust23THRUST_200600_302600_NS6detail15normal_iteratorINS9_10device_ptrIsEEEENSB_INSC_IjEEEEPNS0_10empty_typeENS0_5tupleIJSE_SH_EEENSJ_IJSG_SI_EEENS0_18inequality_wrapperINS9_8equal_toIsEEEEPmJSH_EEE10hipError_tPvRmT3_T4_T5_T6_T7_T9_mT8_P12ihipStream_tbDpT10_ENKUlT_T0_E_clISt17integral_constantIbLb0EES1A_EEDaS15_S16_EUlS15_E_NS1_11comp_targetILNS1_3genE3ELNS1_11target_archE908ELNS1_3gpuE7ELNS1_3repE0EEENS1_30default_config_static_selectorELNS0_4arch9wavefront6targetE0EEEvT1_
		.amdhsa_group_segment_fixed_size 0
		.amdhsa_private_segment_fixed_size 0
		.amdhsa_kernarg_size 112
		.amdhsa_user_sgpr_count 15
		.amdhsa_user_sgpr_dispatch_ptr 0
		.amdhsa_user_sgpr_queue_ptr 0
		.amdhsa_user_sgpr_kernarg_segment_ptr 1
		.amdhsa_user_sgpr_dispatch_id 0
		.amdhsa_user_sgpr_private_segment_size 0
		.amdhsa_wavefront_size32 1
		.amdhsa_uses_dynamic_stack 0
		.amdhsa_enable_private_segment 0
		.amdhsa_system_sgpr_workgroup_id_x 1
		.amdhsa_system_sgpr_workgroup_id_y 0
		.amdhsa_system_sgpr_workgroup_id_z 0
		.amdhsa_system_sgpr_workgroup_info 0
		.amdhsa_system_vgpr_workitem_id 0
		.amdhsa_next_free_vgpr 1
		.amdhsa_next_free_sgpr 1
		.amdhsa_reserve_vcc 0
		.amdhsa_float_round_mode_32 0
		.amdhsa_float_round_mode_16_64 0
		.amdhsa_float_denorm_mode_32 3
		.amdhsa_float_denorm_mode_16_64 3
		.amdhsa_dx10_clamp 1
		.amdhsa_ieee_mode 1
		.amdhsa_fp16_overflow 0
		.amdhsa_workgroup_processor_mode 1
		.amdhsa_memory_ordered 1
		.amdhsa_forward_progress 0
		.amdhsa_shared_vgpr_count 0
		.amdhsa_exception_fp_ieee_invalid_op 0
		.amdhsa_exception_fp_denorm_src 0
		.amdhsa_exception_fp_ieee_div_zero 0
		.amdhsa_exception_fp_ieee_overflow 0
		.amdhsa_exception_fp_ieee_underflow 0
		.amdhsa_exception_fp_ieee_inexact 0
		.amdhsa_exception_int_div_zero 0
	.end_amdhsa_kernel
	.section	.text._ZN7rocprim17ROCPRIM_400000_NS6detail17trampoline_kernelINS0_14default_configENS1_25partition_config_selectorILNS1_17partition_subalgoE9EsjbEEZZNS1_14partition_implILS5_9ELb0ES3_jN6thrust23THRUST_200600_302600_NS6detail15normal_iteratorINS9_10device_ptrIsEEEENSB_INSC_IjEEEEPNS0_10empty_typeENS0_5tupleIJSE_SH_EEENSJ_IJSG_SI_EEENS0_18inequality_wrapperINS9_8equal_toIsEEEEPmJSH_EEE10hipError_tPvRmT3_T4_T5_T6_T7_T9_mT8_P12ihipStream_tbDpT10_ENKUlT_T0_E_clISt17integral_constantIbLb0EES1A_EEDaS15_S16_EUlS15_E_NS1_11comp_targetILNS1_3genE3ELNS1_11target_archE908ELNS1_3gpuE7ELNS1_3repE0EEENS1_30default_config_static_selectorELNS0_4arch9wavefront6targetE0EEEvT1_,"axG",@progbits,_ZN7rocprim17ROCPRIM_400000_NS6detail17trampoline_kernelINS0_14default_configENS1_25partition_config_selectorILNS1_17partition_subalgoE9EsjbEEZZNS1_14partition_implILS5_9ELb0ES3_jN6thrust23THRUST_200600_302600_NS6detail15normal_iteratorINS9_10device_ptrIsEEEENSB_INSC_IjEEEEPNS0_10empty_typeENS0_5tupleIJSE_SH_EEENSJ_IJSG_SI_EEENS0_18inequality_wrapperINS9_8equal_toIsEEEEPmJSH_EEE10hipError_tPvRmT3_T4_T5_T6_T7_T9_mT8_P12ihipStream_tbDpT10_ENKUlT_T0_E_clISt17integral_constantIbLb0EES1A_EEDaS15_S16_EUlS15_E_NS1_11comp_targetILNS1_3genE3ELNS1_11target_archE908ELNS1_3gpuE7ELNS1_3repE0EEENS1_30default_config_static_selectorELNS0_4arch9wavefront6targetE0EEEvT1_,comdat
.Lfunc_end664:
	.size	_ZN7rocprim17ROCPRIM_400000_NS6detail17trampoline_kernelINS0_14default_configENS1_25partition_config_selectorILNS1_17partition_subalgoE9EsjbEEZZNS1_14partition_implILS5_9ELb0ES3_jN6thrust23THRUST_200600_302600_NS6detail15normal_iteratorINS9_10device_ptrIsEEEENSB_INSC_IjEEEEPNS0_10empty_typeENS0_5tupleIJSE_SH_EEENSJ_IJSG_SI_EEENS0_18inequality_wrapperINS9_8equal_toIsEEEEPmJSH_EEE10hipError_tPvRmT3_T4_T5_T6_T7_T9_mT8_P12ihipStream_tbDpT10_ENKUlT_T0_E_clISt17integral_constantIbLb0EES1A_EEDaS15_S16_EUlS15_E_NS1_11comp_targetILNS1_3genE3ELNS1_11target_archE908ELNS1_3gpuE7ELNS1_3repE0EEENS1_30default_config_static_selectorELNS0_4arch9wavefront6targetE0EEEvT1_, .Lfunc_end664-_ZN7rocprim17ROCPRIM_400000_NS6detail17trampoline_kernelINS0_14default_configENS1_25partition_config_selectorILNS1_17partition_subalgoE9EsjbEEZZNS1_14partition_implILS5_9ELb0ES3_jN6thrust23THRUST_200600_302600_NS6detail15normal_iteratorINS9_10device_ptrIsEEEENSB_INSC_IjEEEEPNS0_10empty_typeENS0_5tupleIJSE_SH_EEENSJ_IJSG_SI_EEENS0_18inequality_wrapperINS9_8equal_toIsEEEEPmJSH_EEE10hipError_tPvRmT3_T4_T5_T6_T7_T9_mT8_P12ihipStream_tbDpT10_ENKUlT_T0_E_clISt17integral_constantIbLb0EES1A_EEDaS15_S16_EUlS15_E_NS1_11comp_targetILNS1_3genE3ELNS1_11target_archE908ELNS1_3gpuE7ELNS1_3repE0EEENS1_30default_config_static_selectorELNS0_4arch9wavefront6targetE0EEEvT1_
                                        ; -- End function
	.section	.AMDGPU.csdata,"",@progbits
; Kernel info:
; codeLenInByte = 0
; NumSgprs: 0
; NumVgprs: 0
; ScratchSize: 0
; MemoryBound: 0
; FloatMode: 240
; IeeeMode: 1
; LDSByteSize: 0 bytes/workgroup (compile time only)
; SGPRBlocks: 0
; VGPRBlocks: 0
; NumSGPRsForWavesPerEU: 1
; NumVGPRsForWavesPerEU: 1
; Occupancy: 16
; WaveLimiterHint : 0
; COMPUTE_PGM_RSRC2:SCRATCH_EN: 0
; COMPUTE_PGM_RSRC2:USER_SGPR: 15
; COMPUTE_PGM_RSRC2:TRAP_HANDLER: 0
; COMPUTE_PGM_RSRC2:TGID_X_EN: 1
; COMPUTE_PGM_RSRC2:TGID_Y_EN: 0
; COMPUTE_PGM_RSRC2:TGID_Z_EN: 0
; COMPUTE_PGM_RSRC2:TIDIG_COMP_CNT: 0
	.section	.text._ZN7rocprim17ROCPRIM_400000_NS6detail17trampoline_kernelINS0_14default_configENS1_25partition_config_selectorILNS1_17partition_subalgoE9EsjbEEZZNS1_14partition_implILS5_9ELb0ES3_jN6thrust23THRUST_200600_302600_NS6detail15normal_iteratorINS9_10device_ptrIsEEEENSB_INSC_IjEEEEPNS0_10empty_typeENS0_5tupleIJSE_SH_EEENSJ_IJSG_SI_EEENS0_18inequality_wrapperINS9_8equal_toIsEEEEPmJSH_EEE10hipError_tPvRmT3_T4_T5_T6_T7_T9_mT8_P12ihipStream_tbDpT10_ENKUlT_T0_E_clISt17integral_constantIbLb0EES1A_EEDaS15_S16_EUlS15_E_NS1_11comp_targetILNS1_3genE2ELNS1_11target_archE906ELNS1_3gpuE6ELNS1_3repE0EEENS1_30default_config_static_selectorELNS0_4arch9wavefront6targetE0EEEvT1_,"axG",@progbits,_ZN7rocprim17ROCPRIM_400000_NS6detail17trampoline_kernelINS0_14default_configENS1_25partition_config_selectorILNS1_17partition_subalgoE9EsjbEEZZNS1_14partition_implILS5_9ELb0ES3_jN6thrust23THRUST_200600_302600_NS6detail15normal_iteratorINS9_10device_ptrIsEEEENSB_INSC_IjEEEEPNS0_10empty_typeENS0_5tupleIJSE_SH_EEENSJ_IJSG_SI_EEENS0_18inequality_wrapperINS9_8equal_toIsEEEEPmJSH_EEE10hipError_tPvRmT3_T4_T5_T6_T7_T9_mT8_P12ihipStream_tbDpT10_ENKUlT_T0_E_clISt17integral_constantIbLb0EES1A_EEDaS15_S16_EUlS15_E_NS1_11comp_targetILNS1_3genE2ELNS1_11target_archE906ELNS1_3gpuE6ELNS1_3repE0EEENS1_30default_config_static_selectorELNS0_4arch9wavefront6targetE0EEEvT1_,comdat
	.protected	_ZN7rocprim17ROCPRIM_400000_NS6detail17trampoline_kernelINS0_14default_configENS1_25partition_config_selectorILNS1_17partition_subalgoE9EsjbEEZZNS1_14partition_implILS5_9ELb0ES3_jN6thrust23THRUST_200600_302600_NS6detail15normal_iteratorINS9_10device_ptrIsEEEENSB_INSC_IjEEEEPNS0_10empty_typeENS0_5tupleIJSE_SH_EEENSJ_IJSG_SI_EEENS0_18inequality_wrapperINS9_8equal_toIsEEEEPmJSH_EEE10hipError_tPvRmT3_T4_T5_T6_T7_T9_mT8_P12ihipStream_tbDpT10_ENKUlT_T0_E_clISt17integral_constantIbLb0EES1A_EEDaS15_S16_EUlS15_E_NS1_11comp_targetILNS1_3genE2ELNS1_11target_archE906ELNS1_3gpuE6ELNS1_3repE0EEENS1_30default_config_static_selectorELNS0_4arch9wavefront6targetE0EEEvT1_ ; -- Begin function _ZN7rocprim17ROCPRIM_400000_NS6detail17trampoline_kernelINS0_14default_configENS1_25partition_config_selectorILNS1_17partition_subalgoE9EsjbEEZZNS1_14partition_implILS5_9ELb0ES3_jN6thrust23THRUST_200600_302600_NS6detail15normal_iteratorINS9_10device_ptrIsEEEENSB_INSC_IjEEEEPNS0_10empty_typeENS0_5tupleIJSE_SH_EEENSJ_IJSG_SI_EEENS0_18inequality_wrapperINS9_8equal_toIsEEEEPmJSH_EEE10hipError_tPvRmT3_T4_T5_T6_T7_T9_mT8_P12ihipStream_tbDpT10_ENKUlT_T0_E_clISt17integral_constantIbLb0EES1A_EEDaS15_S16_EUlS15_E_NS1_11comp_targetILNS1_3genE2ELNS1_11target_archE906ELNS1_3gpuE6ELNS1_3repE0EEENS1_30default_config_static_selectorELNS0_4arch9wavefront6targetE0EEEvT1_
	.globl	_ZN7rocprim17ROCPRIM_400000_NS6detail17trampoline_kernelINS0_14default_configENS1_25partition_config_selectorILNS1_17partition_subalgoE9EsjbEEZZNS1_14partition_implILS5_9ELb0ES3_jN6thrust23THRUST_200600_302600_NS6detail15normal_iteratorINS9_10device_ptrIsEEEENSB_INSC_IjEEEEPNS0_10empty_typeENS0_5tupleIJSE_SH_EEENSJ_IJSG_SI_EEENS0_18inequality_wrapperINS9_8equal_toIsEEEEPmJSH_EEE10hipError_tPvRmT3_T4_T5_T6_T7_T9_mT8_P12ihipStream_tbDpT10_ENKUlT_T0_E_clISt17integral_constantIbLb0EES1A_EEDaS15_S16_EUlS15_E_NS1_11comp_targetILNS1_3genE2ELNS1_11target_archE906ELNS1_3gpuE6ELNS1_3repE0EEENS1_30default_config_static_selectorELNS0_4arch9wavefront6targetE0EEEvT1_
	.p2align	8
	.type	_ZN7rocprim17ROCPRIM_400000_NS6detail17trampoline_kernelINS0_14default_configENS1_25partition_config_selectorILNS1_17partition_subalgoE9EsjbEEZZNS1_14partition_implILS5_9ELb0ES3_jN6thrust23THRUST_200600_302600_NS6detail15normal_iteratorINS9_10device_ptrIsEEEENSB_INSC_IjEEEEPNS0_10empty_typeENS0_5tupleIJSE_SH_EEENSJ_IJSG_SI_EEENS0_18inequality_wrapperINS9_8equal_toIsEEEEPmJSH_EEE10hipError_tPvRmT3_T4_T5_T6_T7_T9_mT8_P12ihipStream_tbDpT10_ENKUlT_T0_E_clISt17integral_constantIbLb0EES1A_EEDaS15_S16_EUlS15_E_NS1_11comp_targetILNS1_3genE2ELNS1_11target_archE906ELNS1_3gpuE6ELNS1_3repE0EEENS1_30default_config_static_selectorELNS0_4arch9wavefront6targetE0EEEvT1_,@function
_ZN7rocprim17ROCPRIM_400000_NS6detail17trampoline_kernelINS0_14default_configENS1_25partition_config_selectorILNS1_17partition_subalgoE9EsjbEEZZNS1_14partition_implILS5_9ELb0ES3_jN6thrust23THRUST_200600_302600_NS6detail15normal_iteratorINS9_10device_ptrIsEEEENSB_INSC_IjEEEEPNS0_10empty_typeENS0_5tupleIJSE_SH_EEENSJ_IJSG_SI_EEENS0_18inequality_wrapperINS9_8equal_toIsEEEEPmJSH_EEE10hipError_tPvRmT3_T4_T5_T6_T7_T9_mT8_P12ihipStream_tbDpT10_ENKUlT_T0_E_clISt17integral_constantIbLb0EES1A_EEDaS15_S16_EUlS15_E_NS1_11comp_targetILNS1_3genE2ELNS1_11target_archE906ELNS1_3gpuE6ELNS1_3repE0EEENS1_30default_config_static_selectorELNS0_4arch9wavefront6targetE0EEEvT1_: ; @_ZN7rocprim17ROCPRIM_400000_NS6detail17trampoline_kernelINS0_14default_configENS1_25partition_config_selectorILNS1_17partition_subalgoE9EsjbEEZZNS1_14partition_implILS5_9ELb0ES3_jN6thrust23THRUST_200600_302600_NS6detail15normal_iteratorINS9_10device_ptrIsEEEENSB_INSC_IjEEEEPNS0_10empty_typeENS0_5tupleIJSE_SH_EEENSJ_IJSG_SI_EEENS0_18inequality_wrapperINS9_8equal_toIsEEEEPmJSH_EEE10hipError_tPvRmT3_T4_T5_T6_T7_T9_mT8_P12ihipStream_tbDpT10_ENKUlT_T0_E_clISt17integral_constantIbLb0EES1A_EEDaS15_S16_EUlS15_E_NS1_11comp_targetILNS1_3genE2ELNS1_11target_archE906ELNS1_3gpuE6ELNS1_3repE0EEENS1_30default_config_static_selectorELNS0_4arch9wavefront6targetE0EEEvT1_
; %bb.0:
	.section	.rodata,"a",@progbits
	.p2align	6, 0x0
	.amdhsa_kernel _ZN7rocprim17ROCPRIM_400000_NS6detail17trampoline_kernelINS0_14default_configENS1_25partition_config_selectorILNS1_17partition_subalgoE9EsjbEEZZNS1_14partition_implILS5_9ELb0ES3_jN6thrust23THRUST_200600_302600_NS6detail15normal_iteratorINS9_10device_ptrIsEEEENSB_INSC_IjEEEEPNS0_10empty_typeENS0_5tupleIJSE_SH_EEENSJ_IJSG_SI_EEENS0_18inequality_wrapperINS9_8equal_toIsEEEEPmJSH_EEE10hipError_tPvRmT3_T4_T5_T6_T7_T9_mT8_P12ihipStream_tbDpT10_ENKUlT_T0_E_clISt17integral_constantIbLb0EES1A_EEDaS15_S16_EUlS15_E_NS1_11comp_targetILNS1_3genE2ELNS1_11target_archE906ELNS1_3gpuE6ELNS1_3repE0EEENS1_30default_config_static_selectorELNS0_4arch9wavefront6targetE0EEEvT1_
		.amdhsa_group_segment_fixed_size 0
		.amdhsa_private_segment_fixed_size 0
		.amdhsa_kernarg_size 112
		.amdhsa_user_sgpr_count 15
		.amdhsa_user_sgpr_dispatch_ptr 0
		.amdhsa_user_sgpr_queue_ptr 0
		.amdhsa_user_sgpr_kernarg_segment_ptr 1
		.amdhsa_user_sgpr_dispatch_id 0
		.amdhsa_user_sgpr_private_segment_size 0
		.amdhsa_wavefront_size32 1
		.amdhsa_uses_dynamic_stack 0
		.amdhsa_enable_private_segment 0
		.amdhsa_system_sgpr_workgroup_id_x 1
		.amdhsa_system_sgpr_workgroup_id_y 0
		.amdhsa_system_sgpr_workgroup_id_z 0
		.amdhsa_system_sgpr_workgroup_info 0
		.amdhsa_system_vgpr_workitem_id 0
		.amdhsa_next_free_vgpr 1
		.amdhsa_next_free_sgpr 1
		.amdhsa_reserve_vcc 0
		.amdhsa_float_round_mode_32 0
		.amdhsa_float_round_mode_16_64 0
		.amdhsa_float_denorm_mode_32 3
		.amdhsa_float_denorm_mode_16_64 3
		.amdhsa_dx10_clamp 1
		.amdhsa_ieee_mode 1
		.amdhsa_fp16_overflow 0
		.amdhsa_workgroup_processor_mode 1
		.amdhsa_memory_ordered 1
		.amdhsa_forward_progress 0
		.amdhsa_shared_vgpr_count 0
		.amdhsa_exception_fp_ieee_invalid_op 0
		.amdhsa_exception_fp_denorm_src 0
		.amdhsa_exception_fp_ieee_div_zero 0
		.amdhsa_exception_fp_ieee_overflow 0
		.amdhsa_exception_fp_ieee_underflow 0
		.amdhsa_exception_fp_ieee_inexact 0
		.amdhsa_exception_int_div_zero 0
	.end_amdhsa_kernel
	.section	.text._ZN7rocprim17ROCPRIM_400000_NS6detail17trampoline_kernelINS0_14default_configENS1_25partition_config_selectorILNS1_17partition_subalgoE9EsjbEEZZNS1_14partition_implILS5_9ELb0ES3_jN6thrust23THRUST_200600_302600_NS6detail15normal_iteratorINS9_10device_ptrIsEEEENSB_INSC_IjEEEEPNS0_10empty_typeENS0_5tupleIJSE_SH_EEENSJ_IJSG_SI_EEENS0_18inequality_wrapperINS9_8equal_toIsEEEEPmJSH_EEE10hipError_tPvRmT3_T4_T5_T6_T7_T9_mT8_P12ihipStream_tbDpT10_ENKUlT_T0_E_clISt17integral_constantIbLb0EES1A_EEDaS15_S16_EUlS15_E_NS1_11comp_targetILNS1_3genE2ELNS1_11target_archE906ELNS1_3gpuE6ELNS1_3repE0EEENS1_30default_config_static_selectorELNS0_4arch9wavefront6targetE0EEEvT1_,"axG",@progbits,_ZN7rocprim17ROCPRIM_400000_NS6detail17trampoline_kernelINS0_14default_configENS1_25partition_config_selectorILNS1_17partition_subalgoE9EsjbEEZZNS1_14partition_implILS5_9ELb0ES3_jN6thrust23THRUST_200600_302600_NS6detail15normal_iteratorINS9_10device_ptrIsEEEENSB_INSC_IjEEEEPNS0_10empty_typeENS0_5tupleIJSE_SH_EEENSJ_IJSG_SI_EEENS0_18inequality_wrapperINS9_8equal_toIsEEEEPmJSH_EEE10hipError_tPvRmT3_T4_T5_T6_T7_T9_mT8_P12ihipStream_tbDpT10_ENKUlT_T0_E_clISt17integral_constantIbLb0EES1A_EEDaS15_S16_EUlS15_E_NS1_11comp_targetILNS1_3genE2ELNS1_11target_archE906ELNS1_3gpuE6ELNS1_3repE0EEENS1_30default_config_static_selectorELNS0_4arch9wavefront6targetE0EEEvT1_,comdat
.Lfunc_end665:
	.size	_ZN7rocprim17ROCPRIM_400000_NS6detail17trampoline_kernelINS0_14default_configENS1_25partition_config_selectorILNS1_17partition_subalgoE9EsjbEEZZNS1_14partition_implILS5_9ELb0ES3_jN6thrust23THRUST_200600_302600_NS6detail15normal_iteratorINS9_10device_ptrIsEEEENSB_INSC_IjEEEEPNS0_10empty_typeENS0_5tupleIJSE_SH_EEENSJ_IJSG_SI_EEENS0_18inequality_wrapperINS9_8equal_toIsEEEEPmJSH_EEE10hipError_tPvRmT3_T4_T5_T6_T7_T9_mT8_P12ihipStream_tbDpT10_ENKUlT_T0_E_clISt17integral_constantIbLb0EES1A_EEDaS15_S16_EUlS15_E_NS1_11comp_targetILNS1_3genE2ELNS1_11target_archE906ELNS1_3gpuE6ELNS1_3repE0EEENS1_30default_config_static_selectorELNS0_4arch9wavefront6targetE0EEEvT1_, .Lfunc_end665-_ZN7rocprim17ROCPRIM_400000_NS6detail17trampoline_kernelINS0_14default_configENS1_25partition_config_selectorILNS1_17partition_subalgoE9EsjbEEZZNS1_14partition_implILS5_9ELb0ES3_jN6thrust23THRUST_200600_302600_NS6detail15normal_iteratorINS9_10device_ptrIsEEEENSB_INSC_IjEEEEPNS0_10empty_typeENS0_5tupleIJSE_SH_EEENSJ_IJSG_SI_EEENS0_18inequality_wrapperINS9_8equal_toIsEEEEPmJSH_EEE10hipError_tPvRmT3_T4_T5_T6_T7_T9_mT8_P12ihipStream_tbDpT10_ENKUlT_T0_E_clISt17integral_constantIbLb0EES1A_EEDaS15_S16_EUlS15_E_NS1_11comp_targetILNS1_3genE2ELNS1_11target_archE906ELNS1_3gpuE6ELNS1_3repE0EEENS1_30default_config_static_selectorELNS0_4arch9wavefront6targetE0EEEvT1_
                                        ; -- End function
	.section	.AMDGPU.csdata,"",@progbits
; Kernel info:
; codeLenInByte = 0
; NumSgprs: 0
; NumVgprs: 0
; ScratchSize: 0
; MemoryBound: 0
; FloatMode: 240
; IeeeMode: 1
; LDSByteSize: 0 bytes/workgroup (compile time only)
; SGPRBlocks: 0
; VGPRBlocks: 0
; NumSGPRsForWavesPerEU: 1
; NumVGPRsForWavesPerEU: 1
; Occupancy: 16
; WaveLimiterHint : 0
; COMPUTE_PGM_RSRC2:SCRATCH_EN: 0
; COMPUTE_PGM_RSRC2:USER_SGPR: 15
; COMPUTE_PGM_RSRC2:TRAP_HANDLER: 0
; COMPUTE_PGM_RSRC2:TGID_X_EN: 1
; COMPUTE_PGM_RSRC2:TGID_Y_EN: 0
; COMPUTE_PGM_RSRC2:TGID_Z_EN: 0
; COMPUTE_PGM_RSRC2:TIDIG_COMP_CNT: 0
	.section	.text._ZN7rocprim17ROCPRIM_400000_NS6detail17trampoline_kernelINS0_14default_configENS1_25partition_config_selectorILNS1_17partition_subalgoE9EsjbEEZZNS1_14partition_implILS5_9ELb0ES3_jN6thrust23THRUST_200600_302600_NS6detail15normal_iteratorINS9_10device_ptrIsEEEENSB_INSC_IjEEEEPNS0_10empty_typeENS0_5tupleIJSE_SH_EEENSJ_IJSG_SI_EEENS0_18inequality_wrapperINS9_8equal_toIsEEEEPmJSH_EEE10hipError_tPvRmT3_T4_T5_T6_T7_T9_mT8_P12ihipStream_tbDpT10_ENKUlT_T0_E_clISt17integral_constantIbLb0EES1A_EEDaS15_S16_EUlS15_E_NS1_11comp_targetILNS1_3genE10ELNS1_11target_archE1200ELNS1_3gpuE4ELNS1_3repE0EEENS1_30default_config_static_selectorELNS0_4arch9wavefront6targetE0EEEvT1_,"axG",@progbits,_ZN7rocprim17ROCPRIM_400000_NS6detail17trampoline_kernelINS0_14default_configENS1_25partition_config_selectorILNS1_17partition_subalgoE9EsjbEEZZNS1_14partition_implILS5_9ELb0ES3_jN6thrust23THRUST_200600_302600_NS6detail15normal_iteratorINS9_10device_ptrIsEEEENSB_INSC_IjEEEEPNS0_10empty_typeENS0_5tupleIJSE_SH_EEENSJ_IJSG_SI_EEENS0_18inequality_wrapperINS9_8equal_toIsEEEEPmJSH_EEE10hipError_tPvRmT3_T4_T5_T6_T7_T9_mT8_P12ihipStream_tbDpT10_ENKUlT_T0_E_clISt17integral_constantIbLb0EES1A_EEDaS15_S16_EUlS15_E_NS1_11comp_targetILNS1_3genE10ELNS1_11target_archE1200ELNS1_3gpuE4ELNS1_3repE0EEENS1_30default_config_static_selectorELNS0_4arch9wavefront6targetE0EEEvT1_,comdat
	.protected	_ZN7rocprim17ROCPRIM_400000_NS6detail17trampoline_kernelINS0_14default_configENS1_25partition_config_selectorILNS1_17partition_subalgoE9EsjbEEZZNS1_14partition_implILS5_9ELb0ES3_jN6thrust23THRUST_200600_302600_NS6detail15normal_iteratorINS9_10device_ptrIsEEEENSB_INSC_IjEEEEPNS0_10empty_typeENS0_5tupleIJSE_SH_EEENSJ_IJSG_SI_EEENS0_18inequality_wrapperINS9_8equal_toIsEEEEPmJSH_EEE10hipError_tPvRmT3_T4_T5_T6_T7_T9_mT8_P12ihipStream_tbDpT10_ENKUlT_T0_E_clISt17integral_constantIbLb0EES1A_EEDaS15_S16_EUlS15_E_NS1_11comp_targetILNS1_3genE10ELNS1_11target_archE1200ELNS1_3gpuE4ELNS1_3repE0EEENS1_30default_config_static_selectorELNS0_4arch9wavefront6targetE0EEEvT1_ ; -- Begin function _ZN7rocprim17ROCPRIM_400000_NS6detail17trampoline_kernelINS0_14default_configENS1_25partition_config_selectorILNS1_17partition_subalgoE9EsjbEEZZNS1_14partition_implILS5_9ELb0ES3_jN6thrust23THRUST_200600_302600_NS6detail15normal_iteratorINS9_10device_ptrIsEEEENSB_INSC_IjEEEEPNS0_10empty_typeENS0_5tupleIJSE_SH_EEENSJ_IJSG_SI_EEENS0_18inequality_wrapperINS9_8equal_toIsEEEEPmJSH_EEE10hipError_tPvRmT3_T4_T5_T6_T7_T9_mT8_P12ihipStream_tbDpT10_ENKUlT_T0_E_clISt17integral_constantIbLb0EES1A_EEDaS15_S16_EUlS15_E_NS1_11comp_targetILNS1_3genE10ELNS1_11target_archE1200ELNS1_3gpuE4ELNS1_3repE0EEENS1_30default_config_static_selectorELNS0_4arch9wavefront6targetE0EEEvT1_
	.globl	_ZN7rocprim17ROCPRIM_400000_NS6detail17trampoline_kernelINS0_14default_configENS1_25partition_config_selectorILNS1_17partition_subalgoE9EsjbEEZZNS1_14partition_implILS5_9ELb0ES3_jN6thrust23THRUST_200600_302600_NS6detail15normal_iteratorINS9_10device_ptrIsEEEENSB_INSC_IjEEEEPNS0_10empty_typeENS0_5tupleIJSE_SH_EEENSJ_IJSG_SI_EEENS0_18inequality_wrapperINS9_8equal_toIsEEEEPmJSH_EEE10hipError_tPvRmT3_T4_T5_T6_T7_T9_mT8_P12ihipStream_tbDpT10_ENKUlT_T0_E_clISt17integral_constantIbLb0EES1A_EEDaS15_S16_EUlS15_E_NS1_11comp_targetILNS1_3genE10ELNS1_11target_archE1200ELNS1_3gpuE4ELNS1_3repE0EEENS1_30default_config_static_selectorELNS0_4arch9wavefront6targetE0EEEvT1_
	.p2align	8
	.type	_ZN7rocprim17ROCPRIM_400000_NS6detail17trampoline_kernelINS0_14default_configENS1_25partition_config_selectorILNS1_17partition_subalgoE9EsjbEEZZNS1_14partition_implILS5_9ELb0ES3_jN6thrust23THRUST_200600_302600_NS6detail15normal_iteratorINS9_10device_ptrIsEEEENSB_INSC_IjEEEEPNS0_10empty_typeENS0_5tupleIJSE_SH_EEENSJ_IJSG_SI_EEENS0_18inequality_wrapperINS9_8equal_toIsEEEEPmJSH_EEE10hipError_tPvRmT3_T4_T5_T6_T7_T9_mT8_P12ihipStream_tbDpT10_ENKUlT_T0_E_clISt17integral_constantIbLb0EES1A_EEDaS15_S16_EUlS15_E_NS1_11comp_targetILNS1_3genE10ELNS1_11target_archE1200ELNS1_3gpuE4ELNS1_3repE0EEENS1_30default_config_static_selectorELNS0_4arch9wavefront6targetE0EEEvT1_,@function
_ZN7rocprim17ROCPRIM_400000_NS6detail17trampoline_kernelINS0_14default_configENS1_25partition_config_selectorILNS1_17partition_subalgoE9EsjbEEZZNS1_14partition_implILS5_9ELb0ES3_jN6thrust23THRUST_200600_302600_NS6detail15normal_iteratorINS9_10device_ptrIsEEEENSB_INSC_IjEEEEPNS0_10empty_typeENS0_5tupleIJSE_SH_EEENSJ_IJSG_SI_EEENS0_18inequality_wrapperINS9_8equal_toIsEEEEPmJSH_EEE10hipError_tPvRmT3_T4_T5_T6_T7_T9_mT8_P12ihipStream_tbDpT10_ENKUlT_T0_E_clISt17integral_constantIbLb0EES1A_EEDaS15_S16_EUlS15_E_NS1_11comp_targetILNS1_3genE10ELNS1_11target_archE1200ELNS1_3gpuE4ELNS1_3repE0EEENS1_30default_config_static_selectorELNS0_4arch9wavefront6targetE0EEEvT1_: ; @_ZN7rocprim17ROCPRIM_400000_NS6detail17trampoline_kernelINS0_14default_configENS1_25partition_config_selectorILNS1_17partition_subalgoE9EsjbEEZZNS1_14partition_implILS5_9ELb0ES3_jN6thrust23THRUST_200600_302600_NS6detail15normal_iteratorINS9_10device_ptrIsEEEENSB_INSC_IjEEEEPNS0_10empty_typeENS0_5tupleIJSE_SH_EEENSJ_IJSG_SI_EEENS0_18inequality_wrapperINS9_8equal_toIsEEEEPmJSH_EEE10hipError_tPvRmT3_T4_T5_T6_T7_T9_mT8_P12ihipStream_tbDpT10_ENKUlT_T0_E_clISt17integral_constantIbLb0EES1A_EEDaS15_S16_EUlS15_E_NS1_11comp_targetILNS1_3genE10ELNS1_11target_archE1200ELNS1_3gpuE4ELNS1_3repE0EEENS1_30default_config_static_selectorELNS0_4arch9wavefront6targetE0EEEvT1_
; %bb.0:
	.section	.rodata,"a",@progbits
	.p2align	6, 0x0
	.amdhsa_kernel _ZN7rocprim17ROCPRIM_400000_NS6detail17trampoline_kernelINS0_14default_configENS1_25partition_config_selectorILNS1_17partition_subalgoE9EsjbEEZZNS1_14partition_implILS5_9ELb0ES3_jN6thrust23THRUST_200600_302600_NS6detail15normal_iteratorINS9_10device_ptrIsEEEENSB_INSC_IjEEEEPNS0_10empty_typeENS0_5tupleIJSE_SH_EEENSJ_IJSG_SI_EEENS0_18inequality_wrapperINS9_8equal_toIsEEEEPmJSH_EEE10hipError_tPvRmT3_T4_T5_T6_T7_T9_mT8_P12ihipStream_tbDpT10_ENKUlT_T0_E_clISt17integral_constantIbLb0EES1A_EEDaS15_S16_EUlS15_E_NS1_11comp_targetILNS1_3genE10ELNS1_11target_archE1200ELNS1_3gpuE4ELNS1_3repE0EEENS1_30default_config_static_selectorELNS0_4arch9wavefront6targetE0EEEvT1_
		.amdhsa_group_segment_fixed_size 0
		.amdhsa_private_segment_fixed_size 0
		.amdhsa_kernarg_size 112
		.amdhsa_user_sgpr_count 15
		.amdhsa_user_sgpr_dispatch_ptr 0
		.amdhsa_user_sgpr_queue_ptr 0
		.amdhsa_user_sgpr_kernarg_segment_ptr 1
		.amdhsa_user_sgpr_dispatch_id 0
		.amdhsa_user_sgpr_private_segment_size 0
		.amdhsa_wavefront_size32 1
		.amdhsa_uses_dynamic_stack 0
		.amdhsa_enable_private_segment 0
		.amdhsa_system_sgpr_workgroup_id_x 1
		.amdhsa_system_sgpr_workgroup_id_y 0
		.amdhsa_system_sgpr_workgroup_id_z 0
		.amdhsa_system_sgpr_workgroup_info 0
		.amdhsa_system_vgpr_workitem_id 0
		.amdhsa_next_free_vgpr 1
		.amdhsa_next_free_sgpr 1
		.amdhsa_reserve_vcc 0
		.amdhsa_float_round_mode_32 0
		.amdhsa_float_round_mode_16_64 0
		.amdhsa_float_denorm_mode_32 3
		.amdhsa_float_denorm_mode_16_64 3
		.amdhsa_dx10_clamp 1
		.amdhsa_ieee_mode 1
		.amdhsa_fp16_overflow 0
		.amdhsa_workgroup_processor_mode 1
		.amdhsa_memory_ordered 1
		.amdhsa_forward_progress 0
		.amdhsa_shared_vgpr_count 0
		.amdhsa_exception_fp_ieee_invalid_op 0
		.amdhsa_exception_fp_denorm_src 0
		.amdhsa_exception_fp_ieee_div_zero 0
		.amdhsa_exception_fp_ieee_overflow 0
		.amdhsa_exception_fp_ieee_underflow 0
		.amdhsa_exception_fp_ieee_inexact 0
		.amdhsa_exception_int_div_zero 0
	.end_amdhsa_kernel
	.section	.text._ZN7rocprim17ROCPRIM_400000_NS6detail17trampoline_kernelINS0_14default_configENS1_25partition_config_selectorILNS1_17partition_subalgoE9EsjbEEZZNS1_14partition_implILS5_9ELb0ES3_jN6thrust23THRUST_200600_302600_NS6detail15normal_iteratorINS9_10device_ptrIsEEEENSB_INSC_IjEEEEPNS0_10empty_typeENS0_5tupleIJSE_SH_EEENSJ_IJSG_SI_EEENS0_18inequality_wrapperINS9_8equal_toIsEEEEPmJSH_EEE10hipError_tPvRmT3_T4_T5_T6_T7_T9_mT8_P12ihipStream_tbDpT10_ENKUlT_T0_E_clISt17integral_constantIbLb0EES1A_EEDaS15_S16_EUlS15_E_NS1_11comp_targetILNS1_3genE10ELNS1_11target_archE1200ELNS1_3gpuE4ELNS1_3repE0EEENS1_30default_config_static_selectorELNS0_4arch9wavefront6targetE0EEEvT1_,"axG",@progbits,_ZN7rocprim17ROCPRIM_400000_NS6detail17trampoline_kernelINS0_14default_configENS1_25partition_config_selectorILNS1_17partition_subalgoE9EsjbEEZZNS1_14partition_implILS5_9ELb0ES3_jN6thrust23THRUST_200600_302600_NS6detail15normal_iteratorINS9_10device_ptrIsEEEENSB_INSC_IjEEEEPNS0_10empty_typeENS0_5tupleIJSE_SH_EEENSJ_IJSG_SI_EEENS0_18inequality_wrapperINS9_8equal_toIsEEEEPmJSH_EEE10hipError_tPvRmT3_T4_T5_T6_T7_T9_mT8_P12ihipStream_tbDpT10_ENKUlT_T0_E_clISt17integral_constantIbLb0EES1A_EEDaS15_S16_EUlS15_E_NS1_11comp_targetILNS1_3genE10ELNS1_11target_archE1200ELNS1_3gpuE4ELNS1_3repE0EEENS1_30default_config_static_selectorELNS0_4arch9wavefront6targetE0EEEvT1_,comdat
.Lfunc_end666:
	.size	_ZN7rocprim17ROCPRIM_400000_NS6detail17trampoline_kernelINS0_14default_configENS1_25partition_config_selectorILNS1_17partition_subalgoE9EsjbEEZZNS1_14partition_implILS5_9ELb0ES3_jN6thrust23THRUST_200600_302600_NS6detail15normal_iteratorINS9_10device_ptrIsEEEENSB_INSC_IjEEEEPNS0_10empty_typeENS0_5tupleIJSE_SH_EEENSJ_IJSG_SI_EEENS0_18inequality_wrapperINS9_8equal_toIsEEEEPmJSH_EEE10hipError_tPvRmT3_T4_T5_T6_T7_T9_mT8_P12ihipStream_tbDpT10_ENKUlT_T0_E_clISt17integral_constantIbLb0EES1A_EEDaS15_S16_EUlS15_E_NS1_11comp_targetILNS1_3genE10ELNS1_11target_archE1200ELNS1_3gpuE4ELNS1_3repE0EEENS1_30default_config_static_selectorELNS0_4arch9wavefront6targetE0EEEvT1_, .Lfunc_end666-_ZN7rocprim17ROCPRIM_400000_NS6detail17trampoline_kernelINS0_14default_configENS1_25partition_config_selectorILNS1_17partition_subalgoE9EsjbEEZZNS1_14partition_implILS5_9ELb0ES3_jN6thrust23THRUST_200600_302600_NS6detail15normal_iteratorINS9_10device_ptrIsEEEENSB_INSC_IjEEEEPNS0_10empty_typeENS0_5tupleIJSE_SH_EEENSJ_IJSG_SI_EEENS0_18inequality_wrapperINS9_8equal_toIsEEEEPmJSH_EEE10hipError_tPvRmT3_T4_T5_T6_T7_T9_mT8_P12ihipStream_tbDpT10_ENKUlT_T0_E_clISt17integral_constantIbLb0EES1A_EEDaS15_S16_EUlS15_E_NS1_11comp_targetILNS1_3genE10ELNS1_11target_archE1200ELNS1_3gpuE4ELNS1_3repE0EEENS1_30default_config_static_selectorELNS0_4arch9wavefront6targetE0EEEvT1_
                                        ; -- End function
	.section	.AMDGPU.csdata,"",@progbits
; Kernel info:
; codeLenInByte = 0
; NumSgprs: 0
; NumVgprs: 0
; ScratchSize: 0
; MemoryBound: 0
; FloatMode: 240
; IeeeMode: 1
; LDSByteSize: 0 bytes/workgroup (compile time only)
; SGPRBlocks: 0
; VGPRBlocks: 0
; NumSGPRsForWavesPerEU: 1
; NumVGPRsForWavesPerEU: 1
; Occupancy: 16
; WaveLimiterHint : 0
; COMPUTE_PGM_RSRC2:SCRATCH_EN: 0
; COMPUTE_PGM_RSRC2:USER_SGPR: 15
; COMPUTE_PGM_RSRC2:TRAP_HANDLER: 0
; COMPUTE_PGM_RSRC2:TGID_X_EN: 1
; COMPUTE_PGM_RSRC2:TGID_Y_EN: 0
; COMPUTE_PGM_RSRC2:TGID_Z_EN: 0
; COMPUTE_PGM_RSRC2:TIDIG_COMP_CNT: 0
	.section	.text._ZN7rocprim17ROCPRIM_400000_NS6detail17trampoline_kernelINS0_14default_configENS1_25partition_config_selectorILNS1_17partition_subalgoE9EsjbEEZZNS1_14partition_implILS5_9ELb0ES3_jN6thrust23THRUST_200600_302600_NS6detail15normal_iteratorINS9_10device_ptrIsEEEENSB_INSC_IjEEEEPNS0_10empty_typeENS0_5tupleIJSE_SH_EEENSJ_IJSG_SI_EEENS0_18inequality_wrapperINS9_8equal_toIsEEEEPmJSH_EEE10hipError_tPvRmT3_T4_T5_T6_T7_T9_mT8_P12ihipStream_tbDpT10_ENKUlT_T0_E_clISt17integral_constantIbLb0EES1A_EEDaS15_S16_EUlS15_E_NS1_11comp_targetILNS1_3genE9ELNS1_11target_archE1100ELNS1_3gpuE3ELNS1_3repE0EEENS1_30default_config_static_selectorELNS0_4arch9wavefront6targetE0EEEvT1_,"axG",@progbits,_ZN7rocprim17ROCPRIM_400000_NS6detail17trampoline_kernelINS0_14default_configENS1_25partition_config_selectorILNS1_17partition_subalgoE9EsjbEEZZNS1_14partition_implILS5_9ELb0ES3_jN6thrust23THRUST_200600_302600_NS6detail15normal_iteratorINS9_10device_ptrIsEEEENSB_INSC_IjEEEEPNS0_10empty_typeENS0_5tupleIJSE_SH_EEENSJ_IJSG_SI_EEENS0_18inequality_wrapperINS9_8equal_toIsEEEEPmJSH_EEE10hipError_tPvRmT3_T4_T5_T6_T7_T9_mT8_P12ihipStream_tbDpT10_ENKUlT_T0_E_clISt17integral_constantIbLb0EES1A_EEDaS15_S16_EUlS15_E_NS1_11comp_targetILNS1_3genE9ELNS1_11target_archE1100ELNS1_3gpuE3ELNS1_3repE0EEENS1_30default_config_static_selectorELNS0_4arch9wavefront6targetE0EEEvT1_,comdat
	.protected	_ZN7rocprim17ROCPRIM_400000_NS6detail17trampoline_kernelINS0_14default_configENS1_25partition_config_selectorILNS1_17partition_subalgoE9EsjbEEZZNS1_14partition_implILS5_9ELb0ES3_jN6thrust23THRUST_200600_302600_NS6detail15normal_iteratorINS9_10device_ptrIsEEEENSB_INSC_IjEEEEPNS0_10empty_typeENS0_5tupleIJSE_SH_EEENSJ_IJSG_SI_EEENS0_18inequality_wrapperINS9_8equal_toIsEEEEPmJSH_EEE10hipError_tPvRmT3_T4_T5_T6_T7_T9_mT8_P12ihipStream_tbDpT10_ENKUlT_T0_E_clISt17integral_constantIbLb0EES1A_EEDaS15_S16_EUlS15_E_NS1_11comp_targetILNS1_3genE9ELNS1_11target_archE1100ELNS1_3gpuE3ELNS1_3repE0EEENS1_30default_config_static_selectorELNS0_4arch9wavefront6targetE0EEEvT1_ ; -- Begin function _ZN7rocprim17ROCPRIM_400000_NS6detail17trampoline_kernelINS0_14default_configENS1_25partition_config_selectorILNS1_17partition_subalgoE9EsjbEEZZNS1_14partition_implILS5_9ELb0ES3_jN6thrust23THRUST_200600_302600_NS6detail15normal_iteratorINS9_10device_ptrIsEEEENSB_INSC_IjEEEEPNS0_10empty_typeENS0_5tupleIJSE_SH_EEENSJ_IJSG_SI_EEENS0_18inequality_wrapperINS9_8equal_toIsEEEEPmJSH_EEE10hipError_tPvRmT3_T4_T5_T6_T7_T9_mT8_P12ihipStream_tbDpT10_ENKUlT_T0_E_clISt17integral_constantIbLb0EES1A_EEDaS15_S16_EUlS15_E_NS1_11comp_targetILNS1_3genE9ELNS1_11target_archE1100ELNS1_3gpuE3ELNS1_3repE0EEENS1_30default_config_static_selectorELNS0_4arch9wavefront6targetE0EEEvT1_
	.globl	_ZN7rocprim17ROCPRIM_400000_NS6detail17trampoline_kernelINS0_14default_configENS1_25partition_config_selectorILNS1_17partition_subalgoE9EsjbEEZZNS1_14partition_implILS5_9ELb0ES3_jN6thrust23THRUST_200600_302600_NS6detail15normal_iteratorINS9_10device_ptrIsEEEENSB_INSC_IjEEEEPNS0_10empty_typeENS0_5tupleIJSE_SH_EEENSJ_IJSG_SI_EEENS0_18inequality_wrapperINS9_8equal_toIsEEEEPmJSH_EEE10hipError_tPvRmT3_T4_T5_T6_T7_T9_mT8_P12ihipStream_tbDpT10_ENKUlT_T0_E_clISt17integral_constantIbLb0EES1A_EEDaS15_S16_EUlS15_E_NS1_11comp_targetILNS1_3genE9ELNS1_11target_archE1100ELNS1_3gpuE3ELNS1_3repE0EEENS1_30default_config_static_selectorELNS0_4arch9wavefront6targetE0EEEvT1_
	.p2align	8
	.type	_ZN7rocprim17ROCPRIM_400000_NS6detail17trampoline_kernelINS0_14default_configENS1_25partition_config_selectorILNS1_17partition_subalgoE9EsjbEEZZNS1_14partition_implILS5_9ELb0ES3_jN6thrust23THRUST_200600_302600_NS6detail15normal_iteratorINS9_10device_ptrIsEEEENSB_INSC_IjEEEEPNS0_10empty_typeENS0_5tupleIJSE_SH_EEENSJ_IJSG_SI_EEENS0_18inequality_wrapperINS9_8equal_toIsEEEEPmJSH_EEE10hipError_tPvRmT3_T4_T5_T6_T7_T9_mT8_P12ihipStream_tbDpT10_ENKUlT_T0_E_clISt17integral_constantIbLb0EES1A_EEDaS15_S16_EUlS15_E_NS1_11comp_targetILNS1_3genE9ELNS1_11target_archE1100ELNS1_3gpuE3ELNS1_3repE0EEENS1_30default_config_static_selectorELNS0_4arch9wavefront6targetE0EEEvT1_,@function
_ZN7rocprim17ROCPRIM_400000_NS6detail17trampoline_kernelINS0_14default_configENS1_25partition_config_selectorILNS1_17partition_subalgoE9EsjbEEZZNS1_14partition_implILS5_9ELb0ES3_jN6thrust23THRUST_200600_302600_NS6detail15normal_iteratorINS9_10device_ptrIsEEEENSB_INSC_IjEEEEPNS0_10empty_typeENS0_5tupleIJSE_SH_EEENSJ_IJSG_SI_EEENS0_18inequality_wrapperINS9_8equal_toIsEEEEPmJSH_EEE10hipError_tPvRmT3_T4_T5_T6_T7_T9_mT8_P12ihipStream_tbDpT10_ENKUlT_T0_E_clISt17integral_constantIbLb0EES1A_EEDaS15_S16_EUlS15_E_NS1_11comp_targetILNS1_3genE9ELNS1_11target_archE1100ELNS1_3gpuE3ELNS1_3repE0EEENS1_30default_config_static_selectorELNS0_4arch9wavefront6targetE0EEEvT1_: ; @_ZN7rocprim17ROCPRIM_400000_NS6detail17trampoline_kernelINS0_14default_configENS1_25partition_config_selectorILNS1_17partition_subalgoE9EsjbEEZZNS1_14partition_implILS5_9ELb0ES3_jN6thrust23THRUST_200600_302600_NS6detail15normal_iteratorINS9_10device_ptrIsEEEENSB_INSC_IjEEEEPNS0_10empty_typeENS0_5tupleIJSE_SH_EEENSJ_IJSG_SI_EEENS0_18inequality_wrapperINS9_8equal_toIsEEEEPmJSH_EEE10hipError_tPvRmT3_T4_T5_T6_T7_T9_mT8_P12ihipStream_tbDpT10_ENKUlT_T0_E_clISt17integral_constantIbLb0EES1A_EEDaS15_S16_EUlS15_E_NS1_11comp_targetILNS1_3genE9ELNS1_11target_archE1100ELNS1_3gpuE3ELNS1_3repE0EEENS1_30default_config_static_selectorELNS0_4arch9wavefront6targetE0EEEvT1_
; %bb.0:
	s_clause 0x4
	s_load_b128 s[4:7], s[0:1], 0x8
	s_load_b32 s14, s[0:1], 0x68
	s_load_b128 s[16:19], s[0:1], 0x40
	s_load_b64 s[2:3], s[0:1], 0x50
	s_load_b64 s[8:9], s[0:1], 0x18
	s_waitcnt lgkmcnt(0)
	s_lshl_b64 s[10:11], s[6:7], 1
	s_mul_i32 s20, s14, 0x580
	s_add_u32 s10, s4, s10
	s_addc_u32 s11, s5, s11
	s_add_i32 s4, s20, s6
	s_load_b64 s[12:13], s[18:19], 0x0
	s_sub_i32 s19, s2, s4
	s_add_i32 s14, s14, -1
	s_addk_i32 s19, 0x580
	s_add_u32 s4, s6, s20
	s_addc_u32 s5, s7, 0
	s_cmp_eq_u32 s15, s14
	v_cmp_ge_u64_e64 s2, s[4:5], s[2:3]
	s_cselect_b32 s14, -1, 0
	s_mov_b32 s5, 0
	s_mul_i32 s4, s15, 0x580
	s_delay_alu instid0(VALU_DEP_1)
	s_and_b32 s20, s14, s2
	s_lshl_b64 s[2:3], s[4:5], 1
	s_xor_b32 s18, s20, -1
	s_add_u32 s10, s10, s2
	s_addc_u32 s3, s11, s3
	s_and_b32 vcc_lo, exec_lo, s18
	s_mov_b32 s11, -1
	s_cbranch_vccz .LBB667_2
; %bb.1:
	v_lshlrev_b32_e32 v3, 1, v0
	s_mov_b32 s11, s5
	s_delay_alu instid0(VALU_DEP_1) | instskip(NEXT) | instid1(VALU_DEP_1)
	v_add_co_u32 v1, s2, s10, v3
	v_add_co_ci_u32_e64 v2, null, s3, 0, s2
	s_clause 0xa
	flat_load_u16 v4, v[1:2]
	flat_load_u16 v5, v[1:2] offset:256
	flat_load_u16 v6, v[1:2] offset:512
	;; [unrolled: 1-line block ×10, first 2 shown]
	s_waitcnt vmcnt(10) lgkmcnt(0)
	ds_store_b16 v3, v4
	s_waitcnt vmcnt(9)
	ds_store_b16 v3, v5 offset:256
	s_waitcnt vmcnt(8)
	ds_store_b16 v3, v6 offset:512
	s_waitcnt vmcnt(7)
	ds_store_b16 v3, v7 offset:768
	s_waitcnt vmcnt(6)
	ds_store_b16 v3, v8 offset:1024
	s_waitcnt vmcnt(5)
	ds_store_b16 v3, v9 offset:1280
	s_waitcnt vmcnt(4)
	ds_store_b16 v3, v10 offset:1536
	s_waitcnt vmcnt(3)
	ds_store_b16 v3, v11 offset:1792
	s_waitcnt vmcnt(2)
	ds_store_b16 v3, v12 offset:2048
	s_waitcnt vmcnt(1)
	ds_store_b16 v3, v13 offset:2304
	s_waitcnt vmcnt(0)
	ds_store_b16 v3, v1 offset:2560
	s_waitcnt lgkmcnt(0)
	s_barrier
.LBB667_2:
	v_cmp_gt_u32_e64 s2, s19, v0
	s_and_not1_b32 vcc_lo, exec_lo, s11
	s_cbranch_vccnz .LBB667_26
; %bb.3:
                                        ; implicit-def: $vgpr1_vgpr2_vgpr3_vgpr4_vgpr5_vgpr6_vgpr7_vgpr8
	s_delay_alu instid0(VALU_DEP_1)
	s_and_saveexec_b32 s11, s2
	s_cbranch_execz .LBB667_5
; %bb.4:
	v_lshlrev_b32_e32 v1, 1, v0
	s_delay_alu instid0(VALU_DEP_1) | instskip(NEXT) | instid1(VALU_DEP_1)
	v_add_co_u32 v1, s2, s10, v1
	v_add_co_ci_u32_e64 v2, null, s3, 0, s2
	flat_load_d16_b16 v1, v[1:2]
.LBB667_5:
	s_or_b32 exec_lo, exec_lo, s11
	v_or_b32_e32 v7, 0x80, v0
	s_mov_b32 s2, exec_lo
	s_delay_alu instid0(VALU_DEP_1)
	v_cmpx_gt_u32_e64 s19, v7
	s_cbranch_execz .LBB667_7
; %bb.6:
	v_lshlrev_b32_e32 v7, 1, v0
	s_delay_alu instid0(VALU_DEP_1) | instskip(NEXT) | instid1(VALU_DEP_1)
	v_add_co_u32 v7, s11, s10, v7
	v_add_co_ci_u32_e64 v8, null, s3, 0, s11
	s_waitcnt vmcnt(0) lgkmcnt(0)
	flat_load_d16_hi_b16 v1, v[7:8] offset:256
.LBB667_7:
	s_or_b32 exec_lo, exec_lo, s2
	v_or_b32_e32 v7, 0x100, v0
	s_mov_b32 s2, exec_lo
	s_delay_alu instid0(VALU_DEP_1)
	v_cmpx_gt_u32_e64 s19, v7
	s_cbranch_execz .LBB667_9
; %bb.8:
	v_lshlrev_b32_e32 v7, 1, v0
	s_delay_alu instid0(VALU_DEP_1) | instskip(NEXT) | instid1(VALU_DEP_1)
	v_add_co_u32 v7, s11, s10, v7
	v_add_co_ci_u32_e64 v8, null, s3, 0, s11
	flat_load_d16_b16 v2, v[7:8] offset:512
.LBB667_9:
	s_or_b32 exec_lo, exec_lo, s2
	v_or_b32_e32 v7, 0x180, v0
	s_mov_b32 s2, exec_lo
	s_delay_alu instid0(VALU_DEP_1)
	v_cmpx_gt_u32_e64 s19, v7
	s_cbranch_execz .LBB667_11
; %bb.10:
	v_lshlrev_b32_e32 v7, 1, v0
	s_delay_alu instid0(VALU_DEP_1) | instskip(NEXT) | instid1(VALU_DEP_1)
	v_add_co_u32 v7, s11, s10, v7
	v_add_co_ci_u32_e64 v8, null, s3, 0, s11
	s_waitcnt vmcnt(0) lgkmcnt(0)
	flat_load_d16_hi_b16 v2, v[7:8] offset:768
.LBB667_11:
	s_or_b32 exec_lo, exec_lo, s2
	v_or_b32_e32 v7, 0x200, v0
	s_mov_b32 s2, exec_lo
	s_delay_alu instid0(VALU_DEP_1)
	v_cmpx_gt_u32_e64 s19, v7
	s_cbranch_execz .LBB667_13
; %bb.12:
	v_lshlrev_b32_e32 v7, 1, v0
	s_delay_alu instid0(VALU_DEP_1) | instskip(NEXT) | instid1(VALU_DEP_1)
	v_add_co_u32 v7, s11, s10, v7
	v_add_co_ci_u32_e64 v8, null, s3, 0, s11
	flat_load_d16_b16 v3, v[7:8] offset:1024
.LBB667_13:
	;; [unrolled: 27-line block ×5, first 2 shown]
	s_or_b32 exec_lo, exec_lo, s2
	v_lshlrev_b32_e32 v7, 1, v0
	s_waitcnt vmcnt(0) lgkmcnt(0)
	ds_store_b16 v7, v1
	ds_store_b16_d16_hi v7, v1 offset:256
	ds_store_b16 v7, v2 offset:512
	ds_store_b16_d16_hi v7, v2 offset:768
	ds_store_b16 v7, v3 offset:1024
	;; [unrolled: 2-line block ×5, first 2 shown]
	s_waitcnt lgkmcnt(0)
	s_barrier
.LBB667_26:
	v_mul_u32_u24_e32 v1, 11, v0
	s_waitcnt lgkmcnt(0)
	buffer_gl0_inv
	s_lshl_b64 s[22:23], s[6:7], 2
	s_delay_alu instid0(SALU_CYCLE_1)
	s_add_u32 s2, s8, s22
	v_lshlrev_b32_e32 v2, 1, v1
	s_addc_u32 s8, s9, s23
	s_lshl_b64 s[4:5], s[4:5], 2
	ds_load_b128 v[13:16], v2
	ds_load_u16 v38, v2 offset:16
	ds_load_u16 v37, v2 offset:18
	;; [unrolled: 1-line block ×3, first 2 shown]
	s_add_u32 s2, s2, s4
	s_addc_u32 s4, s8, s5
	s_and_b32 vcc_lo, exec_lo, s18
	s_mov_b32 s5, -1
	s_waitcnt lgkmcnt(0)
	s_barrier
	buffer_gl0_inv
	s_cbranch_vccz .LBB667_28
; %bb.27:
	v_lshlrev_b32_e32 v7, 2, v0
	s_delay_alu instid0(VALU_DEP_1) | instskip(NEXT) | instid1(VALU_DEP_1)
	v_add_co_u32 v3, s5, s2, v7
	v_add_co_ci_u32_e64 v4, null, s4, 0, s5
	s_mov_b32 s5, 0
	s_delay_alu instid0(VALU_DEP_2) | instskip(NEXT) | instid1(VALU_DEP_2)
	v_add_co_u32 v5, vcc_lo, 0x1000, v3
	v_add_co_ci_u32_e32 v6, vcc_lo, 0, v4, vcc_lo
	s_clause 0xa
	flat_load_b32 v8, v[3:4]
	flat_load_b32 v9, v[3:4] offset:512
	flat_load_b32 v10, v[3:4] offset:1024
	;; [unrolled: 1-line block ×7, first 2 shown]
	flat_load_b32 v4, v[5:6]
	flat_load_b32 v19, v[5:6] offset:512
	flat_load_b32 v5, v[5:6] offset:1024
	s_waitcnt vmcnt(9) lgkmcnt(9)
	ds_store_2addr_stride64_b32 v7, v8, v9 offset1:2
	s_waitcnt vmcnt(7) lgkmcnt(8)
	ds_store_2addr_stride64_b32 v7, v10, v11 offset0:4 offset1:6
	s_waitcnt vmcnt(5) lgkmcnt(7)
	ds_store_2addr_stride64_b32 v7, v12, v17 offset0:8 offset1:10
	;; [unrolled: 2-line block ×4, first 2 shown]
	s_waitcnt vmcnt(0) lgkmcnt(5)
	ds_store_b32 v7, v5 offset:5120
	s_waitcnt lgkmcnt(0)
	s_barrier
.LBB667_28:
	s_and_not1_b32 vcc_lo, exec_lo, s5
	s_cbranch_vccnz .LBB667_52
; %bb.29:
	s_mov_b32 s5, exec_lo
                                        ; implicit-def: $vgpr3
	v_cmpx_gt_u32_e64 s19, v0
	s_cbranch_execz .LBB667_31
; %bb.30:
	v_lshlrev_b32_e32 v3, 2, v0
	s_delay_alu instid0(VALU_DEP_1) | instskip(NEXT) | instid1(VALU_DEP_1)
	v_add_co_u32 v3, s8, s2, v3
	v_add_co_ci_u32_e64 v4, null, s4, 0, s8
	flat_load_b32 v3, v[3:4]
.LBB667_31:
	s_or_b32 exec_lo, exec_lo, s5
	v_or_b32_e32 v4, 0x80, v0
	s_delay_alu instid0(VALU_DEP_1)
	v_cmp_gt_u32_e32 vcc_lo, s19, v4
                                        ; implicit-def: $vgpr4
	s_and_saveexec_b32 s5, vcc_lo
	s_cbranch_execz .LBB667_33
; %bb.32:
	v_lshlrev_b32_e32 v4, 2, v0
	s_delay_alu instid0(VALU_DEP_1) | instskip(NEXT) | instid1(VALU_DEP_1)
	v_add_co_u32 v4, s8, s2, v4
	v_add_co_ci_u32_e64 v5, null, s4, 0, s8
	flat_load_b32 v4, v[4:5] offset:512
.LBB667_33:
	s_or_b32 exec_lo, exec_lo, s5
	v_or_b32_e32 v5, 0x100, v0
	s_delay_alu instid0(VALU_DEP_1)
	v_cmp_gt_u32_e32 vcc_lo, s19, v5
                                        ; implicit-def: $vgpr5
	s_and_saveexec_b32 s5, vcc_lo
	s_cbranch_execz .LBB667_35
; %bb.34:
	v_lshlrev_b32_e32 v5, 2, v0
	s_delay_alu instid0(VALU_DEP_1) | instskip(NEXT) | instid1(VALU_DEP_1)
	v_add_co_u32 v5, s8, s2, v5
	v_add_co_ci_u32_e64 v6, null, s4, 0, s8
	flat_load_b32 v5, v[5:6] offset:1024
.LBB667_35:
	s_or_b32 exec_lo, exec_lo, s5
	v_or_b32_e32 v6, 0x180, v0
	s_delay_alu instid0(VALU_DEP_1)
	v_cmp_gt_u32_e32 vcc_lo, s19, v6
                                        ; implicit-def: $vgpr6
	s_and_saveexec_b32 s5, vcc_lo
	s_cbranch_execz .LBB667_37
; %bb.36:
	v_lshlrev_b32_e32 v6, 2, v0
	s_delay_alu instid0(VALU_DEP_1) | instskip(NEXT) | instid1(VALU_DEP_1)
	v_add_co_u32 v6, s8, s2, v6
	v_add_co_ci_u32_e64 v7, null, s4, 0, s8
	flat_load_b32 v6, v[6:7] offset:1536
.LBB667_37:
	s_or_b32 exec_lo, exec_lo, s5
	v_or_b32_e32 v7, 0x200, v0
	s_delay_alu instid0(VALU_DEP_1)
	v_cmp_gt_u32_e32 vcc_lo, s19, v7
                                        ; implicit-def: $vgpr7
	s_and_saveexec_b32 s5, vcc_lo
	s_cbranch_execz .LBB667_39
; %bb.38:
	v_lshlrev_b32_e32 v7, 2, v0
	s_delay_alu instid0(VALU_DEP_1) | instskip(NEXT) | instid1(VALU_DEP_1)
	v_add_co_u32 v7, s8, s2, v7
	v_add_co_ci_u32_e64 v8, null, s4, 0, s8
	flat_load_b32 v7, v[7:8] offset:2048
.LBB667_39:
	s_or_b32 exec_lo, exec_lo, s5
	v_or_b32_e32 v8, 0x280, v0
	s_delay_alu instid0(VALU_DEP_1)
	v_cmp_gt_u32_e32 vcc_lo, s19, v8
                                        ; implicit-def: $vgpr8
	s_and_saveexec_b32 s5, vcc_lo
	s_cbranch_execz .LBB667_41
; %bb.40:
	v_lshlrev_b32_e32 v8, 2, v0
	s_delay_alu instid0(VALU_DEP_1) | instskip(NEXT) | instid1(VALU_DEP_1)
	v_add_co_u32 v8, s8, s2, v8
	v_add_co_ci_u32_e64 v9, null, s4, 0, s8
	flat_load_b32 v8, v[8:9] offset:2560
.LBB667_41:
	s_or_b32 exec_lo, exec_lo, s5
	v_or_b32_e32 v9, 0x300, v0
	s_delay_alu instid0(VALU_DEP_1)
	v_cmp_gt_u32_e32 vcc_lo, s19, v9
                                        ; implicit-def: $vgpr9
	s_and_saveexec_b32 s5, vcc_lo
	s_cbranch_execz .LBB667_43
; %bb.42:
	v_lshlrev_b32_e32 v9, 2, v0
	s_delay_alu instid0(VALU_DEP_1) | instskip(NEXT) | instid1(VALU_DEP_1)
	v_add_co_u32 v9, s8, s2, v9
	v_add_co_ci_u32_e64 v10, null, s4, 0, s8
	flat_load_b32 v9, v[9:10] offset:3072
.LBB667_43:
	s_or_b32 exec_lo, exec_lo, s5
	v_or_b32_e32 v10, 0x380, v0
	s_delay_alu instid0(VALU_DEP_1)
	v_cmp_gt_u32_e32 vcc_lo, s19, v10
                                        ; implicit-def: $vgpr10
	s_and_saveexec_b32 s5, vcc_lo
	s_cbranch_execz .LBB667_45
; %bb.44:
	v_lshlrev_b32_e32 v10, 2, v0
	s_delay_alu instid0(VALU_DEP_1) | instskip(NEXT) | instid1(VALU_DEP_1)
	v_add_co_u32 v10, s8, s2, v10
	v_add_co_ci_u32_e64 v11, null, s4, 0, s8
	flat_load_b32 v10, v[10:11] offset:3584
.LBB667_45:
	s_or_b32 exec_lo, exec_lo, s5
	v_or_b32_e32 v12, 0x400, v0
	s_mov_b32 s5, exec_lo
                                        ; implicit-def: $vgpr11
	s_delay_alu instid0(VALU_DEP_1)
	v_cmpx_gt_u32_e64 s19, v12
	s_cbranch_execz .LBB667_47
; %bb.46:
	v_lshlrev_b32_e32 v11, 2, v12
	s_delay_alu instid0(VALU_DEP_1) | instskip(NEXT) | instid1(VALU_DEP_1)
	v_add_co_u32 v11, s8, s2, v11
	v_add_co_ci_u32_e64 v12, null, s4, 0, s8
	flat_load_b32 v11, v[11:12]
.LBB667_47:
	s_or_b32 exec_lo, exec_lo, s5
	v_or_b32_e32 v17, 0x480, v0
	s_mov_b32 s5, exec_lo
                                        ; implicit-def: $vgpr12
	s_delay_alu instid0(VALU_DEP_1)
	v_cmpx_gt_u32_e64 s19, v17
	s_cbranch_execz .LBB667_49
; %bb.48:
	v_lshlrev_b32_e32 v12, 2, v17
	s_delay_alu instid0(VALU_DEP_1) | instskip(NEXT) | instid1(VALU_DEP_1)
	v_add_co_u32 v17, s8, s2, v12
	v_add_co_ci_u32_e64 v18, null, s4, 0, s8
	flat_load_b32 v12, v[17:18]
.LBB667_49:
	s_or_b32 exec_lo, exec_lo, s5
	v_or_b32_e32 v18, 0x500, v0
	s_mov_b32 s5, exec_lo
                                        ; implicit-def: $vgpr17
	s_delay_alu instid0(VALU_DEP_1)
	v_cmpx_gt_u32_e64 s19, v18
	s_cbranch_execz .LBB667_51
; %bb.50:
	v_lshlrev_b32_e32 v17, 2, v18
	s_delay_alu instid0(VALU_DEP_1) | instskip(NEXT) | instid1(VALU_DEP_1)
	v_add_co_u32 v17, s2, s2, v17
	v_add_co_ci_u32_e64 v18, null, s4, 0, s2
	flat_load_b32 v17, v[17:18]
.LBB667_51:
	s_or_b32 exec_lo, exec_lo, s5
	v_mad_i32_i24 v2, 0xffffffee, v0, v2
	s_waitcnt vmcnt(0) lgkmcnt(0)
	ds_store_2addr_stride64_b32 v2, v3, v4 offset1:2
	ds_store_2addr_stride64_b32 v2, v5, v6 offset0:4 offset1:6
	ds_store_2addr_stride64_b32 v2, v7, v8 offset0:8 offset1:10
	;; [unrolled: 1-line block ×4, first 2 shown]
	ds_store_b32 v2, v17 offset:5120
	s_waitcnt lgkmcnt(0)
	s_barrier
.LBB667_52:
	v_lshlrev_b32_e32 v44, 2, v1
	buffer_gl0_inv
	s_cmp_lg_u32 s15, 0
	v_lshrrev_b32_e32 v43, 16, v13
	s_cselect_b32 s21, -1, 0
	ds_load_2addr_b32 v[28:29], v44 offset1:1
	ds_load_2addr_b32 v[26:27], v44 offset0:2 offset1:3
	ds_load_2addr_b32 v[24:25], v44 offset0:4 offset1:5
	;; [unrolled: 1-line block ×4, first 2 shown]
	ds_load_b32 v36, v44 offset:40
	s_cmp_lg_u64 s[6:7], 0
	v_lshrrev_b32_e32 v42, 16, v14
	s_cselect_b32 s2, -1, 0
	v_lshrrev_b32_e32 v41, 16, v15
	v_lshrrev_b32_e32 v40, 16, v16
	v_add_nc_u32_e32 v5, 1, v1
	v_add_nc_u32_e32 v6, 2, v1
	;; [unrolled: 1-line block ×10, first 2 shown]
	s_or_b32 s2, s21, s2
	s_mov_b32 s22, 0
	s_and_b32 vcc_lo, exec_lo, s2
	s_waitcnt lgkmcnt(0)
	s_barrier
	buffer_gl0_inv
	s_cbranch_vccz .LBB667_57
; %bb.53:
	v_add_co_u32 v17, s2, -2, s10
	s_delay_alu instid0(VALU_DEP_1)
	v_add_co_ci_u32_e64 v18, null, -1, s3, s2
	s_mov_b32 s3, -1
	s_and_b32 vcc_lo, exec_lo, s18
	flat_load_u16 v17, v[17:18]
	v_lshlrev_b32_e32 v18, 1, v0
	ds_store_b16 v18, v33
	s_cbranch_vccz .LBB667_59
; %bb.54:
	s_waitcnt vmcnt(0) lgkmcnt(1)
	v_mov_b32_e32 v19, v17
	s_mov_b32 s3, 0
	s_mov_b32 s2, exec_lo
	s_waitcnt lgkmcnt(0)
	s_barrier
	buffer_gl0_inv
	v_cmpx_ne_u32_e32 0, v0
	s_cbranch_execz .LBB667_56
; %bb.55:
	v_add_nc_u32_e32 v12, -2, v18
	ds_load_u16 v19, v12
.LBB667_56:
	s_or_b32 exec_lo, exec_lo, s2
	v_cmp_ne_u16_e32 vcc_lo, v16, v40
	s_waitcnt lgkmcnt(0)
	v_cmp_ne_u16_e64 s2, v19, v13
	v_cndmask_b32_e64 v12, 0, 1, vcc_lo
	v_cmp_ne_u16_e32 vcc_lo, v41, v16
	s_delay_alu instid0(VALU_DEP_2) | instskip(SKIP_2) | instid1(VALU_DEP_2)
	v_lshlrev_b16 v12, 8, v12
	v_cndmask_b32_e64 v30, 0, 1, vcc_lo
	v_cmp_ne_u16_e32 vcc_lo, v15, v41
	v_or_b32_e32 v30, v30, v12
	v_cndmask_b32_e64 v31, 0, 1, vcc_lo
	v_cmp_ne_u16_e32 vcc_lo, v42, v15
	s_delay_alu instid0(VALU_DEP_2) | instskip(SKIP_2) | instid1(VALU_DEP_2)
	v_lshlrev_b16 v31, 8, v31
	v_cndmask_b32_e64 v32, 0, 1, vcc_lo
	v_cmp_ne_u16_e32 vcc_lo, v14, v42
	v_or_b32_e32 v31, v32, v31
	v_cndmask_b32_e64 v34, 0, 1, vcc_lo
	v_cmp_ne_u16_e32 vcc_lo, v43, v14
	s_delay_alu instid0(VALU_DEP_3) | instskip(NEXT) | instid1(VALU_DEP_3)
	v_and_b32_e32 v31, 0xffff, v31
	v_lshlrev_b16 v45, 8, v34
	v_cndmask_b32_e64 v35, 0, 1, vcc_lo
	v_cmp_ne_u16_e32 vcc_lo, v13, v43
	s_delay_alu instid0(VALU_DEP_2) | instskip(SKIP_3) | instid1(VALU_DEP_4)
	v_or_b32_e32 v35, v35, v45
	v_cndmask_b32_e64 v39, 0, 1, vcc_lo
	v_cmp_ne_u16_e32 vcc_lo, v37, v33
	v_lshlrev_b32_e32 v45, 16, v30
	v_lshlrev_b32_e32 v35, 16, v35
	s_delay_alu instid0(VALU_DEP_4) | instskip(SKIP_3) | instid1(VALU_DEP_4)
	v_lshlrev_b16 v39, 8, v39
	v_cndmask_b32_e64 v34, 0, 1, vcc_lo
	v_cmp_ne_u16_e32 vcc_lo, v38, v37
	v_or_b32_e32 v31, v31, v45
	v_and_b32_e32 v39, 0xffff, v39
	v_cndmask_b32_e64 v12, 0, 1, vcc_lo
	v_cmp_ne_u16_e32 vcc_lo, v40, v38
	s_delay_alu instid0(VALU_DEP_3)
	v_or_b32_e32 v30, v39, v35
	v_cndmask_b32_e64 v32, 0, 1, vcc_lo
	s_and_b32 vcc_lo, exec_lo, s3
	s_cbranch_vccnz .LBB667_60
	s_branch .LBB667_63
.LBB667_57:
                                        ; implicit-def: $sgpr2
                                        ; implicit-def: $vgpr34
                                        ; implicit-def: $vgpr12
                                        ; implicit-def: $vgpr32
                                        ; implicit-def: $vgpr31
	s_branch .LBB667_64
.LBB667_58:
                                        ; implicit-def: $vgpr17_vgpr18_vgpr19
	s_and_saveexec_b32 s3, s22
	s_cbranch_execnz .LBB667_72
	s_branch .LBB667_73
.LBB667_59:
                                        ; implicit-def: $sgpr2
                                        ; implicit-def: $vgpr34
                                        ; implicit-def: $vgpr12
                                        ; implicit-def: $vgpr32
                                        ; implicit-def: $vgpr31
	s_and_b32 vcc_lo, exec_lo, s3
	s_cbranch_vccz .LBB667_63
.LBB667_60:
	s_mov_b32 s2, exec_lo
	s_waitcnt vmcnt(0) lgkmcnt(0)
	s_barrier
	buffer_gl0_inv
	v_cmpx_ne_u32_e32 0, v0
	s_cbranch_execz .LBB667_62
; %bb.61:
	v_add_nc_u32_e32 v12, -2, v18
	ds_load_u16 v17, v12
.LBB667_62:
	s_or_b32 exec_lo, exec_lo, s2
	v_cmp_gt_u32_e32 vcc_lo, s19, v9
	v_cmp_ne_u16_e64 s2, v37, v33
	v_cmp_gt_u32_e64 s3, s19, v10
	v_cmp_ne_u16_e64 s4, v38, v37
	v_cmp_gt_u32_e64 s5, s19, v5
	v_cmp_ne_u16_e64 s6, v13, v43
	s_and_b32 s2, vcc_lo, s2
	v_cmp_gt_u32_e32 vcc_lo, s19, v2
	v_cndmask_b32_e64 v34, 0, 1, s2
	v_cmp_ne_u16_e64 s2, v16, v40
	s_and_b32 s3, s3, s4
	v_cmp_ne_u16_e64 s4, v41, v16
	v_cndmask_b32_e64 v12, 0, 1, s3
	v_cmp_gt_u32_e64 s3, s19, v4
	s_and_b32 s2, vcc_lo, s2
	v_cmp_gt_u32_e32 vcc_lo, s19, v7
	v_cndmask_b32_e64 v18, 0, 1, s2
	v_cmp_ne_u16_e64 s2, v15, v41
	s_and_b32 s3, s3, s4
	v_cmp_ne_u16_e64 s4, v14, v42
	v_cndmask_b32_e64 v19, 0, 1, s3
	v_cmp_gt_u32_e64 s3, s19, v3
	;; [unrolled: 8-line block ×3, first 2 shown]
	s_and_b32 s2, vcc_lo, s2
	v_lshlrev_b16 v30, 8, v30
	v_cndmask_b32_e64 v32, 0, 1, s2
	v_lshlrev_b16 v31, 8, v31
	s_and_b32 s2, s3, s4
	v_lshlrev_b16 v18, 8, v18
	v_cndmask_b32_e64 v35, 0, 1, s2
	s_and_b32 s2, s5, s6
	v_or_b32_e32 v30, v32, v30
	v_cndmask_b32_e64 v39, 0, 1, s2
	v_or_b32_e32 v18, v19, v18
	v_or_b32_e32 v31, v35, v31
	v_cmp_gt_u32_e32 vcc_lo, s19, v11
	v_cmp_ne_u16_e64 s2, v40, v38
	v_lshlrev_b16 v35, 8, v39
	v_lshlrev_b32_e32 v18, 16, v18
	v_lshlrev_b32_e32 v19, 16, v31
	s_delay_alu instid0(VALU_DEP_4) | instskip(NEXT) | instid1(VALU_DEP_3)
	s_and_b32 s2, vcc_lo, s2
	v_and_b32_e32 v31, 0xffff, v35
	v_and_b32_e32 v35, 0xffff, v30
	v_cndmask_b32_e64 v32, 0, 1, s2
	v_cmp_gt_u32_e32 vcc_lo, s19, v1
	s_waitcnt lgkmcnt(0)
	v_cmp_ne_u16_e64 s2, v17, v13
	v_or_b32_e32 v30, v31, v19
	v_or_b32_e32 v31, v35, v18
	s_delay_alu instid0(VALU_DEP_3)
	s_and_b32 s2, vcc_lo, s2
.LBB667_63:
	s_mov_b32 s22, -1
	s_cbranch_execnz .LBB667_58
.LBB667_64:
	v_mad_i32_i24 v35, 0xffffffd6, v0, v44
	v_cmp_ne_u16_e64 s2, v37, v33
	v_cmp_ne_u16_e64 s9, v38, v37
	v_cmp_ne_u16_e64 s10, v40, v38
	v_cmp_ne_u16_e64 s5, v16, v40
	v_cmp_ne_u16_e64 s6, v41, v16
	v_cmp_ne_u16_e64 s11, v15, v41
	v_cmp_ne_u16_e64 s7, v42, v15
	v_cmp_ne_u16_e64 s8, v14, v42
	v_cmp_ne_u16_e64 s3, v43, v14
	v_cmp_ne_u16_e64 s4, v13, v43
	s_and_b32 vcc_lo, exec_lo, s18
	ds_store_b16 v35, v33
	s_cbranch_vccz .LBB667_68
; %bb.65:
	s_waitcnt vmcnt(0) lgkmcnt(2)
	v_cndmask_b32_e64 v17, 0, 1, s11
	v_cndmask_b32_e64 v12, 0, 1, s9
	;; [unrolled: 1-line block ×5, first 2 shown]
	v_lshlrev_b16 v17, 8, v17
	v_cndmask_b32_e64 v39, 0, 1, s4
	v_cndmask_b32_e64 v32, 0, 1, s10
	;; [unrolled: 1-line block ×4, first 2 shown]
	v_lshlrev_b16 v18, 8, v18
	v_lshlrev_b16 v45, 8, v12
	v_or_b32_e32 v17, v30, v17
	v_lshlrev_b16 v30, 8, v31
	v_lshlrev_b16 v31, 8, v39
	v_or_b32_e32 v18, v19, v18
	v_or_b32_e32 v19, v32, v45
	v_and_b32_e32 v17, 0xffff, v17
	v_or_b32_e32 v30, v34, v30
	v_or_b32_e32 v31, 1, v31
	v_lshlrev_b32_e32 v18, 16, v18
	v_and_b32_e32 v19, 0xffff, v19
	v_cndmask_b32_e64 v34, 0, 1, s2
	v_lshlrev_b32_e32 v30, 16, v30
	v_and_b32_e32 v39, 0xffff, v31
	v_or_b32_e32 v31, v17, v18
	s_mov_b32 s3, 0
	v_lshl_or_b32 v19, v34, 16, v19
	s_mov_b32 s4, exec_lo
	v_or_b32_e32 v30, v39, v30
	s_waitcnt lgkmcnt(0)
	s_barrier
	buffer_gl0_inv
                                        ; implicit-def: $sgpr2
	v_cmpx_ne_u32_e32 0, v0
	s_xor_b32 s4, exec_lo, s4
	s_cbranch_execz .LBB667_67
; %bb.66:
	v_add_nc_u32_e32 v17, -2, v35
	s_or_b32 s22, s22, exec_lo
	ds_load_u16 v17, v17
	s_waitcnt lgkmcnt(0)
	v_cmp_ne_u16_e32 vcc_lo, v17, v13
                                        ; implicit-def: $vgpr17_vgpr18_vgpr19
	s_and_b32 s2, vcc_lo, exec_lo
.LBB667_67:
	s_or_b32 exec_lo, exec_lo, s4
	s_delay_alu instid0(SALU_CYCLE_1)
	s_and_b32 vcc_lo, exec_lo, s3
	s_cbranch_vccnz .LBB667_69
	s_branch .LBB667_71
.LBB667_68:
                                        ; implicit-def: $sgpr2
                                        ; implicit-def: $vgpr34
                                        ; implicit-def: $vgpr12
                                        ; implicit-def: $vgpr32
                                        ; implicit-def: $vgpr31
                                        ; implicit-def: $vgpr17_vgpr18_vgpr19
	s_cbranch_execz .LBB667_71
.LBB667_69:
	v_cmp_gt_u32_e32 vcc_lo, s19, v10
	v_cmp_ne_u16_e64 s2, v38, v37
	v_cmp_gt_u32_e64 s5, s19, v11
	v_cmp_ne_u16_e64 s6, v40, v38
	v_cmp_gt_u32_e64 s3, s19, v9
	v_cmp_ne_u16_e64 s4, v37, v33
	s_and_b32 s2, vcc_lo, s2
	v_cmp_gt_u32_e32 vcc_lo, s19, v2
	v_cndmask_b32_e64 v12, 0, 1, s2
	v_cmp_ne_u16_e64 s2, v16, v40
	s_and_b32 s5, s5, s6
	v_cmp_ne_u16_e64 s6, v41, v16
	v_cndmask_b32_e64 v32, 0, 1, s5
	v_cmp_gt_u32_e64 s5, s19, v4
	s_and_b32 s2, vcc_lo, s2
	v_cmp_gt_u32_e32 vcc_lo, s19, v7
	s_waitcnt vmcnt(0) lgkmcnt(2)
	v_cndmask_b32_e64 v17, 0, 1, s2
	v_cmp_ne_u16_e64 s2, v15, v41
	s_and_b32 s5, s5, s6
	v_cmp_ne_u16_e64 s6, v42, v15
	v_cndmask_b32_e64 v18, 0, 1, s5
	v_cmp_gt_u32_e64 s5, s19, v8
	s_and_b32 s2, vcc_lo, s2
	v_cmp_gt_u32_e32 vcc_lo, s19, v3
	v_cndmask_b32_e64 v19, 0, 1, s2
	v_cmp_ne_u16_e64 s2, v14, v42
	s_and_b32 s5, s5, s6
	v_cmp_ne_u16_e64 s6, v43, v14
	v_cndmask_b32_e64 v30, 0, 1, s5
	v_cmp_gt_u32_e64 s5, s19, v6
	s_and_b32 s2, vcc_lo, s2
	v_cmp_gt_u32_e32 vcc_lo, s19, v5
	v_cndmask_b32_e64 v31, 0, 1, s2
	v_cmp_ne_u16_e64 s2, v13, v43
	v_lshlrev_b16 v19, 8, v19
	v_lshlrev_b16 v17, 8, v17
	s_and_b32 s5, s5, s6
	v_lshlrev_b16 v45, 8, v12
	s_and_b32 s2, vcc_lo, s2
	v_cndmask_b32_e64 v34, 0, 1, s5
	v_cndmask_b32_e64 v39, 0, 1, s2
	v_or_b32_e32 v19, v30, v19
	v_or_b32_e32 v17, v18, v17
	v_lshlrev_b16 v18, 8, v31
	v_or_b32_e32 v31, v32, v45
	v_lshlrev_b16 v30, 8, v39
	s_and_b32 s2, s3, s4
	v_and_b32_e32 v19, 0xffff, v19
	v_or_b32_e32 v18, v34, v18
	v_lshlrev_b32_e32 v17, 16, v17
	v_or_b32_e32 v30, 1, v30
	v_and_b32_e32 v39, 0xffff, v31
	v_cndmask_b32_e64 v34, 0, 1, s2
	v_lshlrev_b32_e32 v18, 16, v18
	v_or_b32_e32 v31, v19, v17
	v_and_b32_e32 v30, 0xffff, v30
	s_mov_b32 s3, exec_lo
	v_lshl_or_b32 v19, v34, 16, v39
	s_waitcnt lgkmcnt(0)
	s_barrier
	v_or_b32_e32 v30, v30, v18
	buffer_gl0_inv
                                        ; implicit-def: $sgpr2
	v_cmpx_ne_u32_e32 0, v0
	s_cbranch_execz .LBB667_250
; %bb.70:
	v_add_nc_u32_e32 v17, -2, v35
	v_cmp_gt_u32_e32 vcc_lo, s19, v1
	s_or_b32 s22, s22, exec_lo
	ds_load_u16 v17, v17
	s_waitcnt lgkmcnt(0)
	v_cmp_ne_u16_e64 s2, v17, v13
                                        ; implicit-def: $vgpr17_vgpr18_vgpr19
	s_delay_alu instid0(VALU_DEP_1) | instskip(NEXT) | instid1(SALU_CYCLE_1)
	s_and_b32 s2, vcc_lo, s2
	s_and_b32 s2, s2, exec_lo
	s_or_b32 exec_lo, exec_lo, s3
.LBB667_71:
	s_and_saveexec_b32 s3, s22
	s_cbranch_execz .LBB667_73
.LBB667_72:
	v_lshrrev_b32_e32 v18, 24, v30
	v_lshrrev_b32_e32 v19, 16, v30
	;; [unrolled: 1-line block ×3, first 2 shown]
	s_waitcnt vmcnt(0) lgkmcnt(1)
	v_cndmask_b32_e64 v17, 0, 1, s2
	v_lshlrev_b16 v12, 8, v12
	v_and_b32_e32 v32, 0xff, v32
	v_lshlrev_b16 v18, 8, v18
	v_and_b32_e32 v19, 0xff, v19
	;; [unrolled: 2-line block ×3, first 2 shown]
	v_or_b32_e32 v12, v32, v12
	s_delay_alu instid0(VALU_DEP_4) | instskip(NEXT) | instid1(VALU_DEP_4)
	v_or_b32_e32 v18, v19, v18
	v_or_b32_e32 v17, v17, v30
	s_delay_alu instid0(VALU_DEP_4) | instskip(NEXT) | instid1(VALU_DEP_4)
	v_lshlrev_b32_e32 v19, 16, v34
	v_and_b32_e32 v12, 0xffff, v12
	s_delay_alu instid0(VALU_DEP_4) | instskip(NEXT) | instid1(VALU_DEP_4)
	v_lshlrev_b32_e32 v18, 16, v18
	v_and_b32_e32 v17, 0xffff, v17
	s_delay_alu instid0(VALU_DEP_3) | instskip(NEXT) | instid1(VALU_DEP_2)
	v_or_b32_e32 v19, v12, v19
	v_or_b32_e32 v30, v17, v18
.LBB667_73:
	s_or_b32 exec_lo, exec_lo, s3
	s_load_b64 s[10:11], s[0:1], 0x60
	s_and_not1_b32 vcc_lo, exec_lo, s20
	s_cbranch_vccnz .LBB667_75
; %bb.74:
	v_cmp_gt_u32_e32 vcc_lo, s19, v1
	v_cmp_gt_u32_e64 s2, s19, v5
	v_cmp_gt_u32_e64 s4, s19, v6
	v_and_b32_e32 v5, 0xffffff00, v31
	v_cmp_gt_u32_e64 s3, s19, v10
	v_dual_cndmask_b32 v1, 0, v30 :: v_dual_and_b32 v12, 0xff000000, v19
	v_cmp_gt_u32_e32 vcc_lo, s19, v11
	v_cmp_gt_u32_e64 s6, s19, v3
	v_cmp_gt_u32_e64 s5, s19, v9
	s_delay_alu instid0(VALU_DEP_4) | instskip(SKIP_1) | instid1(VALU_DEP_2)
	v_and_b32_e32 v1, 0xff, v1
	v_cndmask_b32_e32 v11, v12, v19, vcc_lo
	v_cndmask_b32_e64 v1, v1, v30, s2
	v_cmp_gt_u32_e64 s2, s19, v8
	s_delay_alu instid0(VALU_DEP_3) | instskip(NEXT) | instid1(VALU_DEP_3)
	v_and_b32_e32 v11, 0xff0000ff, v11
	v_and_b32_e32 v1, 0xffff, v1
	s_delay_alu instid0(VALU_DEP_3) | instskip(NEXT) | instid1(VALU_DEP_3)
	v_cndmask_b32_e64 v5, v5, v31, s2
	v_cndmask_b32_e64 v8, v11, v19, s3
	s_or_b32 s3, s5, s3
	s_delay_alu instid0(VALU_DEP_3) | instskip(NEXT) | instid1(VALU_DEP_3)
	v_cndmask_b32_e64 v1, v1, v30, s4
	v_and_b32_e32 v5, 0xffff00ff, v5
	s_delay_alu instid0(VALU_DEP_3) | instskip(SKIP_1) | instid1(VALU_DEP_4)
	v_and_b32_e32 v6, 0xff00ffff, v8
	v_cmp_gt_u32_e64 s4, s19, v7
	v_and_b32_e32 v1, 0xffffff, v1
	s_delay_alu instid0(VALU_DEP_3) | instskip(NEXT) | instid1(VALU_DEP_3)
	v_cndmask_b32_e64 v6, v6, v19, s5
	v_cndmask_b32_e64 v5, v5, v31, s4
	s_delay_alu instid0(VALU_DEP_3) | instskip(NEXT) | instid1(VALU_DEP_2)
	v_cndmask_b32_e64 v1, v1, v30, s6
	v_and_b32_e32 v3, 0xff00ffff, v5
	s_delay_alu instid0(VALU_DEP_4) | instskip(NEXT) | instid1(VALU_DEP_3)
	v_lshrrev_b32_e32 v5, 8, v6
	v_cndmask_b32_e64 v1, v1, v30, s2
	v_cmp_gt_u32_e64 s2, s19, v4
	s_delay_alu instid0(VALU_DEP_3) | instskip(NEXT) | instid1(VALU_DEP_3)
	v_lshlrev_b16 v5, 8, v5
	v_cndmask_b32_e64 v1, v1, v30, s4
	v_cmp_gt_u32_e64 s4, s19, v2
	s_delay_alu instid0(VALU_DEP_4) | instskip(NEXT) | instid1(VALU_DEP_3)
	v_cndmask_b32_e64 v3, v3, v31, s2
	v_cndmask_b32_e64 v1, v1, v30, s2
	s_or_b32 s2, s3, vcc_lo
	s_delay_alu instid0(VALU_DEP_3) | instid1(SALU_CYCLE_1)
	s_or_b32 vcc_lo, s2, s4
	s_delay_alu instid0(VALU_DEP_1) | instskip(NEXT) | instid1(VALU_DEP_1)
	v_dual_cndmask_b32 v1, v1, v30 :: v_dual_and_b32 v2, 0xffffff, v3
	v_dual_cndmask_b32 v31, v2, v31 :: v_dual_and_b32 v4, 0xff, v6
	s_delay_alu instid0(VALU_DEP_2) | instskip(NEXT) | instid1(VALU_DEP_2)
	v_perm_b32 v30, v1, v1, 0x3020104
	v_or_b32_e32 v3, v4, v5
	s_delay_alu instid0(VALU_DEP_1) | instskip(NEXT) | instid1(VALU_DEP_1)
	v_and_b32_e32 v2, 0xffff, v3
	v_and_or_b32 v19, 0xff0000, v6, v2
.LBB667_75:
	s_delay_alu instid0(VALU_DEP_4)
	v_and_b32_e32 v45, 0xff, v30
	v_bfe_u32 v46, v30, 8, 8
	v_alignbit_b32 v1, v31, v30, 24
	v_bfe_u32 v47, v30, 16, 8
	v_and_b32_e32 v48, 0xff, v31
	v_bfe_u32 v50, v31, 8, 8
	v_bfe_u32 v51, v31, 16, 8
	v_and_b32_e32 v49, 0xff, v1
	v_add3_u32 v1, v46, v45, v47
	v_lshrrev_b32_e32 v39, 24, v31
	v_mbcnt_lo_u32_b32 v54, -1, 0
	v_and_b32_e32 v52, 0xff, v19
	v_bfe_u32 v53, v19, 8, 8
	v_add3_u32 v1, v1, v49, v48
	v_bfe_u32 v3, v19, 16, 8
	v_and_b32_e32 v2, 15, v54
	v_or_b32_e32 v4, 31, v0
	v_and_b32_e32 v5, 16, v54
	v_add3_u32 v1, v1, v50, v51
	v_lshrrev_b32_e32 v55, 5, v0
	v_cmp_eq_u32_e64 s7, 0, v2
	v_cmp_lt_u32_e64 s6, 1, v2
	v_cmp_lt_u32_e64 s5, 3, v2
	v_add3_u32 v1, v1, v39, v52
	v_cmp_lt_u32_e64 s4, 7, v2
	v_cmp_eq_u32_e64 s3, 0, v5
	v_cmp_eq_u32_e64 s2, v4, v0
	s_and_b32 vcc_lo, exec_lo, s21
	v_add3_u32 v56, v1, v53, v3
	s_mov_b32 s8, -1
	s_waitcnt vmcnt(0) lgkmcnt(0)
	s_barrier
	buffer_gl0_inv
	s_cbranch_vccz .LBB667_101
; %bb.76:
	v_mov_b32_dpp v1, v56 row_shr:1 row_mask:0xf bank_mask:0xf
	s_delay_alu instid0(VALU_DEP_1) | instskip(NEXT) | instid1(VALU_DEP_1)
	v_cndmask_b32_e64 v1, v1, 0, s7
	v_add_nc_u32_e32 v1, v1, v56
	s_delay_alu instid0(VALU_DEP_1) | instskip(NEXT) | instid1(VALU_DEP_1)
	v_mov_b32_dpp v2, v1 row_shr:2 row_mask:0xf bank_mask:0xf
	v_cndmask_b32_e64 v2, 0, v2, s6
	s_delay_alu instid0(VALU_DEP_1) | instskip(NEXT) | instid1(VALU_DEP_1)
	v_add_nc_u32_e32 v1, v1, v2
	v_mov_b32_dpp v2, v1 row_shr:4 row_mask:0xf bank_mask:0xf
	s_delay_alu instid0(VALU_DEP_1) | instskip(NEXT) | instid1(VALU_DEP_1)
	v_cndmask_b32_e64 v2, 0, v2, s5
	v_add_nc_u32_e32 v1, v1, v2
	s_delay_alu instid0(VALU_DEP_1) | instskip(NEXT) | instid1(VALU_DEP_1)
	v_mov_b32_dpp v2, v1 row_shr:8 row_mask:0xf bank_mask:0xf
	v_cndmask_b32_e64 v2, 0, v2, s4
	s_delay_alu instid0(VALU_DEP_1) | instskip(SKIP_3) | instid1(VALU_DEP_1)
	v_add_nc_u32_e32 v1, v1, v2
	ds_swizzle_b32 v2, v1 offset:swizzle(BROADCAST,32,15)
	s_waitcnt lgkmcnt(0)
	v_cndmask_b32_e64 v2, v2, 0, s3
	v_add_nc_u32_e32 v1, v1, v2
	s_and_saveexec_b32 s8, s2
	s_cbranch_execz .LBB667_78
; %bb.77:
	v_lshlrev_b32_e32 v2, 2, v55
	ds_store_b32 v2, v1
.LBB667_78:
	s_or_b32 exec_lo, exec_lo, s8
	s_delay_alu instid0(SALU_CYCLE_1)
	s_mov_b32 s8, exec_lo
	s_waitcnt lgkmcnt(0)
	s_barrier
	buffer_gl0_inv
	v_cmpx_gt_u32_e32 4, v0
	s_cbranch_execz .LBB667_80
; %bb.79:
	v_and_b32_e32 v4, 3, v54
	s_delay_alu instid0(VALU_DEP_1) | instskip(SKIP_4) | instid1(VALU_DEP_1)
	v_cmp_ne_u32_e32 vcc_lo, 0, v4
	v_lshlrev_b32_e32 v2, 2, v0
	ds_load_b32 v3, v2
	s_waitcnt lgkmcnt(0)
	v_mov_b32_dpp v5, v3 row_shr:1 row_mask:0xf bank_mask:0xf
	v_cndmask_b32_e32 v5, 0, v5, vcc_lo
	v_cmp_lt_u32_e32 vcc_lo, 1, v4
	s_delay_alu instid0(VALU_DEP_2) | instskip(NEXT) | instid1(VALU_DEP_1)
	v_add_nc_u32_e32 v3, v5, v3
	v_mov_b32_dpp v5, v3 row_shr:2 row_mask:0xf bank_mask:0xf
	s_delay_alu instid0(VALU_DEP_1) | instskip(NEXT) | instid1(VALU_DEP_1)
	v_cndmask_b32_e32 v4, 0, v5, vcc_lo
	v_add_nc_u32_e32 v3, v3, v4
	ds_store_b32 v2, v3
.LBB667_80:
	s_or_b32 exec_lo, exec_lo, s8
	v_cmp_gt_u32_e32 vcc_lo, 32, v0
	s_mov_b32 s9, exec_lo
	s_waitcnt lgkmcnt(0)
	s_barrier
	buffer_gl0_inv
                                        ; implicit-def: $vgpr9
	v_cmpx_lt_u32_e32 31, v0
	s_cbranch_execz .LBB667_82
; %bb.81:
	v_lshl_add_u32 v2, v55, 2, -4
	ds_load_b32 v9, v2
	s_waitcnt lgkmcnt(0)
	v_add_nc_u32_e32 v1, v9, v1
.LBB667_82:
	s_or_b32 exec_lo, exec_lo, s9
	v_add_nc_u32_e32 v2, -1, v54
	s_delay_alu instid0(VALU_DEP_1) | instskip(NEXT) | instid1(VALU_DEP_1)
	v_cmp_gt_i32_e64 s8, 0, v2
	v_cndmask_b32_e64 v2, v2, v54, s8
	v_cmp_eq_u32_e64 s8, 0, v54
	s_delay_alu instid0(VALU_DEP_2)
	v_lshlrev_b32_e32 v2, 2, v2
	ds_bpermute_b32 v10, v2, v1
	s_and_saveexec_b32 s9, vcc_lo
	s_cbranch_execz .LBB667_100
; %bb.83:
	v_mov_b32_e32 v5, 0
	ds_load_b32 v1, v5 offset:12
	s_and_saveexec_b32 s19, s8
	s_cbranch_execz .LBB667_85
; %bb.84:
	s_add_i32 s20, s15, 32
	s_mov_b32 s21, 0
	v_mov_b32_e32 v2, 1
	s_lshl_b64 s[20:21], s[20:21], 3
	s_delay_alu instid0(SALU_CYCLE_1)
	s_add_u32 s20, s10, s20
	s_addc_u32 s21, s11, s21
	s_waitcnt lgkmcnt(0)
	global_store_b64 v5, v[1:2], s[20:21]
.LBB667_85:
	s_or_b32 exec_lo, exec_lo, s19
	v_xad_u32 v3, v54, -1, s15
	s_mov_b32 s20, 0
	s_mov_b32 s19, exec_lo
	s_delay_alu instid0(VALU_DEP_1) | instskip(NEXT) | instid1(VALU_DEP_1)
	v_add_nc_u32_e32 v4, 32, v3
	v_lshlrev_b64 v[4:5], 3, v[4:5]
	s_delay_alu instid0(VALU_DEP_1) | instskip(NEXT) | instid1(VALU_DEP_2)
	v_add_co_u32 v7, vcc_lo, s10, v4
	v_add_co_ci_u32_e32 v8, vcc_lo, s11, v5, vcc_lo
	global_load_b64 v[5:6], v[7:8], off glc
	s_waitcnt vmcnt(0)
	v_and_b32_e32 v2, 0xff, v6
	s_delay_alu instid0(VALU_DEP_1)
	v_cmpx_eq_u16_e32 0, v2
	s_cbranch_execz .LBB667_88
.LBB667_86:                             ; =>This Inner Loop Header: Depth=1
	global_load_b64 v[5:6], v[7:8], off glc
	s_waitcnt vmcnt(0)
	v_and_b32_e32 v2, 0xff, v6
	s_delay_alu instid0(VALU_DEP_1) | instskip(SKIP_1) | instid1(SALU_CYCLE_1)
	v_cmp_ne_u16_e32 vcc_lo, 0, v2
	s_or_b32 s20, vcc_lo, s20
	s_and_not1_b32 exec_lo, exec_lo, s20
	s_cbranch_execnz .LBB667_86
; %bb.87:
	s_or_b32 exec_lo, exec_lo, s20
.LBB667_88:
	s_delay_alu instid0(SALU_CYCLE_1)
	s_or_b32 exec_lo, exec_lo, s19
	v_cmp_ne_u32_e32 vcc_lo, 31, v54
	v_lshlrev_b32_e64 v12, v54, -1
	v_add_nc_u32_e32 v18, 2, v54
	v_add_nc_u32_e32 v34, 4, v54
	;; [unrolled: 1-line block ×3, first 2 shown]
	v_add_co_ci_u32_e32 v2, vcc_lo, 0, v54, vcc_lo
	v_add_nc_u32_e32 v59, 16, v54
	s_delay_alu instid0(VALU_DEP_2)
	v_lshlrev_b32_e32 v11, 2, v2
	v_and_b32_e32 v2, 0xff, v6
	ds_bpermute_b32 v4, v11, v5
	v_cmp_eq_u16_e32 vcc_lo, 2, v2
	v_and_or_b32 v2, vcc_lo, v12, 0x80000000
	v_cmp_gt_u32_e32 vcc_lo, 30, v54
	s_delay_alu instid0(VALU_DEP_2) | instskip(SKIP_1) | instid1(VALU_DEP_2)
	v_ctz_i32_b32_e32 v2, v2
	v_cndmask_b32_e64 v7, 0, 1, vcc_lo
	v_cmp_lt_u32_e32 vcc_lo, v54, v2
	s_waitcnt lgkmcnt(0)
	s_delay_alu instid0(VALU_DEP_2) | instskip(NEXT) | instid1(VALU_DEP_1)
	v_dual_cndmask_b32 v4, 0, v4 :: v_dual_lshlrev_b32 v7, 1, v7
	v_add_lshl_u32 v17, v7, v54, 2
	v_cmp_gt_u32_e32 vcc_lo, 28, v54
	s_delay_alu instid0(VALU_DEP_3) | instskip(SKIP_4) | instid1(VALU_DEP_1)
	v_add_nc_u32_e32 v4, v4, v5
	v_cndmask_b32_e64 v7, 0, 1, vcc_lo
	v_cmp_le_u32_e32 vcc_lo, v18, v2
	ds_bpermute_b32 v5, v17, v4
	v_lshlrev_b32_e32 v7, 2, v7
	v_add_lshl_u32 v32, v7, v54, 2
	s_waitcnt lgkmcnt(0)
	v_cndmask_b32_e32 v5, 0, v5, vcc_lo
	v_cmp_gt_u32_e32 vcc_lo, 24, v54
	s_delay_alu instid0(VALU_DEP_2) | instskip(SKIP_4) | instid1(VALU_DEP_1)
	v_add_nc_u32_e32 v4, v4, v5
	v_cndmask_b32_e64 v7, 0, 1, vcc_lo
	v_cmp_le_u32_e32 vcc_lo, v34, v2
	ds_bpermute_b32 v5, v32, v4
	v_lshlrev_b32_e32 v7, 3, v7
	v_add_lshl_u32 v35, v7, v54, 2
	s_waitcnt lgkmcnt(0)
	v_cndmask_b32_e32 v5, 0, v5, vcc_lo
	v_cmp_gt_u32_e32 vcc_lo, 16, v54
	s_delay_alu instid0(VALU_DEP_2) | instskip(SKIP_4) | instid1(VALU_DEP_1)
	v_add_nc_u32_e32 v4, v4, v5
	v_cndmask_b32_e64 v7, 0, 1, vcc_lo
	v_cmp_le_u32_e32 vcc_lo, v57, v2
	ds_bpermute_b32 v5, v35, v4
	v_lshlrev_b32_e32 v7, 4, v7
	v_add_lshl_u32 v58, v7, v54, 2
	s_waitcnt lgkmcnt(0)
	v_cndmask_b32_e32 v5, 0, v5, vcc_lo
	v_cmp_le_u32_e32 vcc_lo, v59, v2
	s_delay_alu instid0(VALU_DEP_2) | instskip(SKIP_3) | instid1(VALU_DEP_1)
	v_add_nc_u32_e32 v4, v4, v5
	ds_bpermute_b32 v5, v58, v4
	s_waitcnt lgkmcnt(0)
	v_cndmask_b32_e32 v2, 0, v5, vcc_lo
	v_dual_mov_b32 v4, 0 :: v_dual_add_nc_u32 v5, v4, v2
	s_branch .LBB667_90
.LBB667_89:                             ;   in Loop: Header=BB667_90 Depth=1
	s_or_b32 exec_lo, exec_lo, s19
	ds_bpermute_b32 v8, v11, v5
	v_and_b32_e32 v7, 0xff, v6
	v_subrev_nc_u32_e32 v3, 32, v3
	s_delay_alu instid0(VALU_DEP_2) | instskip(SKIP_1) | instid1(VALU_DEP_1)
	v_cmp_eq_u16_e32 vcc_lo, 2, v7
	v_and_or_b32 v7, vcc_lo, v12, 0x80000000
	v_ctz_i32_b32_e32 v7, v7
	s_delay_alu instid0(VALU_DEP_1) | instskip(SKIP_3) | instid1(VALU_DEP_2)
	v_cmp_lt_u32_e32 vcc_lo, v54, v7
	s_waitcnt lgkmcnt(0)
	v_cndmask_b32_e32 v8, 0, v8, vcc_lo
	v_cmp_le_u32_e32 vcc_lo, v18, v7
	v_add_nc_u32_e32 v5, v8, v5
	ds_bpermute_b32 v8, v17, v5
	s_waitcnt lgkmcnt(0)
	v_cndmask_b32_e32 v8, 0, v8, vcc_lo
	v_cmp_le_u32_e32 vcc_lo, v34, v7
	s_delay_alu instid0(VALU_DEP_2) | instskip(SKIP_4) | instid1(VALU_DEP_2)
	v_add_nc_u32_e32 v5, v5, v8
	ds_bpermute_b32 v8, v32, v5
	s_waitcnt lgkmcnt(0)
	v_cndmask_b32_e32 v8, 0, v8, vcc_lo
	v_cmp_le_u32_e32 vcc_lo, v57, v7
	v_add_nc_u32_e32 v5, v5, v8
	ds_bpermute_b32 v8, v35, v5
	s_waitcnt lgkmcnt(0)
	v_cndmask_b32_e32 v8, 0, v8, vcc_lo
	v_cmp_le_u32_e32 vcc_lo, v59, v7
	s_delay_alu instid0(VALU_DEP_2) | instskip(SKIP_3) | instid1(VALU_DEP_1)
	v_add_nc_u32_e32 v5, v5, v8
	ds_bpermute_b32 v8, v58, v5
	s_waitcnt lgkmcnt(0)
	v_cndmask_b32_e32 v7, 0, v8, vcc_lo
	v_add3_u32 v5, v7, v2, v5
.LBB667_90:                             ; =>This Loop Header: Depth=1
                                        ;     Child Loop BB667_93 Depth 2
	v_and_b32_e32 v2, 0xff, v6
	s_delay_alu instid0(VALU_DEP_1) | instskip(SKIP_2) | instid1(VALU_DEP_1)
	v_cmp_ne_u16_e32 vcc_lo, 2, v2
	v_cndmask_b32_e64 v2, 0, 1, vcc_lo
	;;#ASMSTART
	;;#ASMEND
	v_cmp_ne_u32_e32 vcc_lo, 0, v2
	v_mov_b32_e32 v2, v5
	s_cmp_lg_u32 vcc_lo, exec_lo
	s_cbranch_scc1 .LBB667_95
; %bb.91:                               ;   in Loop: Header=BB667_90 Depth=1
	v_lshlrev_b64 v[5:6], 3, v[3:4]
	s_mov_b32 s19, exec_lo
	s_delay_alu instid0(VALU_DEP_1) | instskip(NEXT) | instid1(VALU_DEP_2)
	v_add_co_u32 v7, vcc_lo, s10, v5
	v_add_co_ci_u32_e32 v8, vcc_lo, s11, v6, vcc_lo
	global_load_b64 v[5:6], v[7:8], off glc
	s_waitcnt vmcnt(0)
	v_and_b32_e32 v60, 0xff, v6
	s_delay_alu instid0(VALU_DEP_1)
	v_cmpx_eq_u16_e32 0, v60
	s_cbranch_execz .LBB667_89
; %bb.92:                               ;   in Loop: Header=BB667_90 Depth=1
	s_mov_b32 s20, 0
.LBB667_93:                             ;   Parent Loop BB667_90 Depth=1
                                        ; =>  This Inner Loop Header: Depth=2
	global_load_b64 v[5:6], v[7:8], off glc
	s_waitcnt vmcnt(0)
	v_and_b32_e32 v60, 0xff, v6
	s_delay_alu instid0(VALU_DEP_1) | instskip(SKIP_1) | instid1(SALU_CYCLE_1)
	v_cmp_ne_u16_e32 vcc_lo, 0, v60
	s_or_b32 s20, vcc_lo, s20
	s_and_not1_b32 exec_lo, exec_lo, s20
	s_cbranch_execnz .LBB667_93
; %bb.94:                               ;   in Loop: Header=BB667_90 Depth=1
	s_or_b32 exec_lo, exec_lo, s20
	s_branch .LBB667_89
.LBB667_95:                             ;   in Loop: Header=BB667_90 Depth=1
                                        ; implicit-def: $vgpr5
                                        ; implicit-def: $vgpr6
	s_cbranch_execz .LBB667_90
; %bb.96:
	s_and_saveexec_b32 s19, s8
	s_cbranch_execz .LBB667_98
; %bb.97:
	s_add_i32 s20, s15, 32
	s_mov_b32 s21, 0
	v_dual_mov_b32 v4, 2 :: v_dual_add_nc_u32 v3, v2, v1
	s_lshl_b64 s[20:21], s[20:21], 3
	v_mov_b32_e32 v5, 0
	s_add_u32 s20, s10, s20
	s_addc_u32 s21, s11, s21
	global_store_b64 v5, v[3:4], s[20:21]
	ds_store_b64 v5, v[1:2] offset:5632
.LBB667_98:
	s_or_b32 exec_lo, exec_lo, s19
	v_cmp_eq_u32_e32 vcc_lo, 0, v0
	s_and_b32 exec_lo, exec_lo, vcc_lo
	s_cbranch_execz .LBB667_100
; %bb.99:
	v_mov_b32_e32 v1, 0
	ds_store_b32 v1, v2 offset:12
.LBB667_100:
	s_or_b32 exec_lo, exec_lo, s9
	s_waitcnt lgkmcnt(0)
	v_cndmask_b32_e64 v3, v10, v9, s8
	v_cmp_ne_u32_e32 vcc_lo, 0, v0
	s_waitcnt_vscnt null, 0x0
	s_barrier
	buffer_gl0_inv
	v_cndmask_b32_e32 v3, 0, v3, vcc_lo
	v_mov_b32_e32 v1, 0
	ds_load_b32 v2, v1 offset:12
	s_waitcnt lgkmcnt(0)
	s_barrier
	buffer_gl0_inv
	v_add_nc_u32_e32 v2, v2, v3
	ds_load_b64 v[17:18], v1 offset:5632
	v_add_nc_u32_e32 v3, v2, v45
	s_delay_alu instid0(VALU_DEP_1) | instskip(SKIP_1) | instid1(VALU_DEP_1)
	v_add_nc_u32_e32 v4, v3, v46
	s_waitcnt lgkmcnt(0)
	v_dual_mov_b32 v32, v18 :: v_dual_add_nc_u32 v5, v4, v47
	s_delay_alu instid0(VALU_DEP_1) | instskip(NEXT) | instid1(VALU_DEP_1)
	v_add_nc_u32_e32 v6, v5, v49
	v_add_nc_u32_e32 v7, v6, v48
	s_delay_alu instid0(VALU_DEP_1) | instskip(NEXT) | instid1(VALU_DEP_1)
	v_add_nc_u32_e32 v8, v7, v50
	v_add_nc_u32_e32 v9, v8, v51
	s_delay_alu instid0(VALU_DEP_1) | instskip(NEXT) | instid1(VALU_DEP_1)
	v_add_nc_u32_e32 v10, v9, v39
	v_add_nc_u32_e32 v11, v10, v52
	s_delay_alu instid0(VALU_DEP_1)
	v_add_nc_u32_e32 v12, v11, v53
	v_lshrrev_b64 v[34:35], 24, v[30:31]
	s_branch .LBB667_111
.LBB667_101:
                                        ; implicit-def: $vgpr32
                                        ; implicit-def: $vgpr2_vgpr3_vgpr4_vgpr5_vgpr6_vgpr7_vgpr8_vgpr9_vgpr10_vgpr11_vgpr12
                                        ; implicit-def: $vgpr17
	v_lshrrev_b64 v[34:35], 24, v[30:31]
	s_and_b32 vcc_lo, exec_lo, s8
	s_cbranch_vccz .LBB667_111
; %bb.102:
	v_mov_b32_dpp v1, v56 row_shr:1 row_mask:0xf bank_mask:0xf
	s_delay_alu instid0(VALU_DEP_1) | instskip(NEXT) | instid1(VALU_DEP_1)
	v_cndmask_b32_e64 v1, v1, 0, s7
	v_add_nc_u32_e32 v1, v1, v56
	s_delay_alu instid0(VALU_DEP_1) | instskip(NEXT) | instid1(VALU_DEP_1)
	v_mov_b32_dpp v2, v1 row_shr:2 row_mask:0xf bank_mask:0xf
	v_cndmask_b32_e64 v2, 0, v2, s6
	s_delay_alu instid0(VALU_DEP_1) | instskip(NEXT) | instid1(VALU_DEP_1)
	v_add_nc_u32_e32 v1, v1, v2
	v_mov_b32_dpp v2, v1 row_shr:4 row_mask:0xf bank_mask:0xf
	s_delay_alu instid0(VALU_DEP_1) | instskip(NEXT) | instid1(VALU_DEP_1)
	v_cndmask_b32_e64 v2, 0, v2, s5
	v_add_nc_u32_e32 v1, v1, v2
	s_delay_alu instid0(VALU_DEP_1) | instskip(NEXT) | instid1(VALU_DEP_1)
	v_mov_b32_dpp v2, v1 row_shr:8 row_mask:0xf bank_mask:0xf
	v_cndmask_b32_e64 v2, 0, v2, s4
	s_delay_alu instid0(VALU_DEP_1) | instskip(SKIP_3) | instid1(VALU_DEP_1)
	v_add_nc_u32_e32 v1, v1, v2
	ds_swizzle_b32 v2, v1 offset:swizzle(BROADCAST,32,15)
	s_waitcnt lgkmcnt(0)
	v_cndmask_b32_e64 v2, v2, 0, s3
	v_add_nc_u32_e32 v1, v1, v2
	s_and_saveexec_b32 s3, s2
	s_cbranch_execz .LBB667_104
; %bb.103:
	v_lshlrev_b32_e32 v2, 2, v55
	ds_store_b32 v2, v1
.LBB667_104:
	s_or_b32 exec_lo, exec_lo, s3
	s_delay_alu instid0(SALU_CYCLE_1)
	s_mov_b32 s2, exec_lo
	s_waitcnt lgkmcnt(0)
	s_barrier
	buffer_gl0_inv
	v_cmpx_gt_u32_e32 4, v0
	s_cbranch_execz .LBB667_106
; %bb.105:
	v_mad_i32_i24 v2, 0xffffffd8, v0, v44
	ds_load_b32 v3, v2
	s_waitcnt lgkmcnt(0)
	v_mov_b32_dpp v5, v3 row_shr:1 row_mask:0xf bank_mask:0xf
	v_and_b32_e32 v4, 3, v54
	s_delay_alu instid0(VALU_DEP_1) | instskip(NEXT) | instid1(VALU_DEP_3)
	v_cmp_ne_u32_e32 vcc_lo, 0, v4
	v_cndmask_b32_e32 v5, 0, v5, vcc_lo
	v_cmp_lt_u32_e32 vcc_lo, 1, v4
	s_delay_alu instid0(VALU_DEP_2) | instskip(NEXT) | instid1(VALU_DEP_1)
	v_add_nc_u32_e32 v3, v5, v3
	v_mov_b32_dpp v5, v3 row_shr:2 row_mask:0xf bank_mask:0xf
	s_delay_alu instid0(VALU_DEP_1) | instskip(NEXT) | instid1(VALU_DEP_1)
	v_cndmask_b32_e32 v4, 0, v5, vcc_lo
	v_add_nc_u32_e32 v3, v3, v4
	ds_store_b32 v2, v3
.LBB667_106:
	s_or_b32 exec_lo, exec_lo, s2
	v_dual_mov_b32 v3, 0 :: v_dual_mov_b32 v2, 0
	s_mov_b32 s2, exec_lo
	s_waitcnt lgkmcnt(0)
	s_barrier
	buffer_gl0_inv
	v_cmpx_lt_u32_e32 31, v0
	s_cbranch_execz .LBB667_108
; %bb.107:
	v_lshl_add_u32 v2, v55, 2, -4
	ds_load_b32 v2, v2
.LBB667_108:
	s_or_b32 exec_lo, exec_lo, s2
	v_add_nc_u32_e32 v4, -1, v54
	ds_load_b32 v17, v3 offset:12
	s_waitcnt lgkmcnt(1)
	v_add_nc_u32_e32 v1, v2, v1
	v_cmp_gt_i32_e32 vcc_lo, 0, v4
	v_cndmask_b32_e32 v4, v4, v54, vcc_lo
	v_cmp_eq_u32_e32 vcc_lo, 0, v0
	s_delay_alu instid0(VALU_DEP_2)
	v_lshlrev_b32_e32 v4, 2, v4
	ds_bpermute_b32 v1, v4, v1
	s_and_saveexec_b32 s2, vcc_lo
	s_cbranch_execz .LBB667_110
; %bb.109:
	v_dual_mov_b32 v3, 0 :: v_dual_mov_b32 v18, 2
	s_waitcnt lgkmcnt(1)
	global_store_b64 v3, v[17:18], s[10:11] offset:256
.LBB667_110:
	s_or_b32 exec_lo, exec_lo, s2
	v_cmp_eq_u32_e64 s2, 0, v54
	s_waitcnt lgkmcnt(0)
	s_waitcnt_vscnt null, 0x0
	s_barrier
	buffer_gl0_inv
	v_mov_b32_e32 v32, 0
	v_cndmask_b32_e64 v1, v1, v2, s2
	s_delay_alu instid0(VALU_DEP_1) | instskip(NEXT) | instid1(VALU_DEP_1)
	v_cndmask_b32_e64 v2, v1, 0, vcc_lo
	v_add_nc_u32_e32 v3, v2, v45
	s_delay_alu instid0(VALU_DEP_1) | instskip(NEXT) | instid1(VALU_DEP_1)
	v_add_nc_u32_e32 v4, v3, v46
	v_add_nc_u32_e32 v5, v4, v47
	s_delay_alu instid0(VALU_DEP_1) | instskip(NEXT) | instid1(VALU_DEP_1)
	v_add_nc_u32_e32 v6, v5, v49
	;; [unrolled: 3-line block ×4, first 2 shown]
	v_add_nc_u32_e32 v11, v10, v52
	s_delay_alu instid0(VALU_DEP_1)
	v_add_nc_u32_e32 v12, v11, v53
.LBB667_111:
	s_load_b128 s[4:7], s[0:1], 0x28
	v_add_nc_u32_e32 v48, v32, v17
	v_cmp_gt_u32_e64 s0, 0x81, v17
	v_lshrrev_b32_e32 v18, 16, v19
	v_lshrrev_b32_e32 v46, 16, v30
	;; [unrolled: 1-line block ×6, first 2 shown]
	v_cmp_lt_u32_e64 s1, v2, v48
	s_and_b32 vcc_lo, exec_lo, s0
	s_mov_b32 s2, -1
	s_cbranch_vccz .LBB667_146
; %bb.112:
	s_lshl_b64 s[2:3], s[12:13], 1
	s_waitcnt lgkmcnt(0)
	s_add_u32 s2, s4, s2
	s_addc_u32 s3, s5, s3
	s_or_b32 s8, s18, s1
	s_delay_alu instid0(SALU_CYCLE_1)
	s_and_saveexec_b32 s1, s8
	s_cbranch_execz .LBB667_115
; %bb.113:
	v_and_b32_e32 v1, 1, v30
	s_delay_alu instid0(VALU_DEP_1)
	v_cmp_eq_u32_e32 vcc_lo, 1, v1
	s_and_b32 exec_lo, exec_lo, vcc_lo
	s_cbranch_execz .LBB667_115
; %bb.114:
	v_dual_mov_b32 v50, 0 :: v_dual_mov_b32 v49, v2
	s_delay_alu instid0(VALU_DEP_1) | instskip(NEXT) | instid1(VALU_DEP_1)
	v_lshlrev_b64 v[49:50], 1, v[49:50]
	v_add_co_u32 v49, vcc_lo, s2, v49
	s_delay_alu instid0(VALU_DEP_2)
	v_add_co_ci_u32_e32 v50, vcc_lo, s3, v50, vcc_lo
	global_store_b16 v[49:50], v13, off
.LBB667_115:
	s_or_b32 exec_lo, exec_lo, s1
	v_cmp_lt_u32_e32 vcc_lo, v3, v48
	s_or_b32 s8, s18, vcc_lo
	s_delay_alu instid0(SALU_CYCLE_1)
	s_and_saveexec_b32 s1, s8
	s_cbranch_execz .LBB667_118
; %bb.116:
	v_and_b32_e32 v1, 1, v47
	s_delay_alu instid0(VALU_DEP_1)
	v_cmp_eq_u32_e32 vcc_lo, 1, v1
	s_and_b32 exec_lo, exec_lo, vcc_lo
	s_cbranch_execz .LBB667_118
; %bb.117:
	v_dual_mov_b32 v50, 0 :: v_dual_mov_b32 v49, v3
	s_delay_alu instid0(VALU_DEP_1) | instskip(NEXT) | instid1(VALU_DEP_1)
	v_lshlrev_b64 v[49:50], 1, v[49:50]
	v_add_co_u32 v49, vcc_lo, s2, v49
	s_delay_alu instid0(VALU_DEP_2)
	v_add_co_ci_u32_e32 v50, vcc_lo, s3, v50, vcc_lo
	global_store_b16 v[49:50], v43, off
.LBB667_118:
	s_or_b32 exec_lo, exec_lo, s1
	v_cmp_lt_u32_e32 vcc_lo, v4, v48
	s_or_b32 s8, s18, vcc_lo
	s_delay_alu instid0(SALU_CYCLE_1)
	s_and_saveexec_b32 s1, s8
	s_cbranch_execz .LBB667_121
; %bb.119:
	v_and_b32_e32 v1, 1, v46
	s_delay_alu instid0(VALU_DEP_1)
	v_cmp_eq_u32_e32 vcc_lo, 1, v1
	s_and_b32 exec_lo, exec_lo, vcc_lo
	s_cbranch_execz .LBB667_121
; %bb.120:
	v_dual_mov_b32 v50, 0 :: v_dual_mov_b32 v49, v4
	s_delay_alu instid0(VALU_DEP_1) | instskip(NEXT) | instid1(VALU_DEP_1)
	v_lshlrev_b64 v[49:50], 1, v[49:50]
	v_add_co_u32 v49, vcc_lo, s2, v49
	s_delay_alu instid0(VALU_DEP_2)
	v_add_co_ci_u32_e32 v50, vcc_lo, s3, v50, vcc_lo
	global_store_b16 v[49:50], v14, off
.LBB667_121:
	s_or_b32 exec_lo, exec_lo, s1
	v_cmp_lt_u32_e32 vcc_lo, v5, v48
	s_or_b32 s8, s18, vcc_lo
	s_delay_alu instid0(SALU_CYCLE_1)
	s_and_saveexec_b32 s1, s8
	s_cbranch_execz .LBB667_124
; %bb.122:
	v_and_b32_e32 v1, 1, v34
	s_delay_alu instid0(VALU_DEP_1)
	v_cmp_eq_u32_e32 vcc_lo, 1, v1
	s_and_b32 exec_lo, exec_lo, vcc_lo
	s_cbranch_execz .LBB667_124
; %bb.123:
	v_dual_mov_b32 v50, 0 :: v_dual_mov_b32 v49, v5
	s_delay_alu instid0(VALU_DEP_1) | instskip(NEXT) | instid1(VALU_DEP_1)
	v_lshlrev_b64 v[49:50], 1, v[49:50]
	v_add_co_u32 v49, vcc_lo, s2, v49
	s_delay_alu instid0(VALU_DEP_2)
	v_add_co_ci_u32_e32 v50, vcc_lo, s3, v50, vcc_lo
	global_store_b16 v[49:50], v42, off
.LBB667_124:
	s_or_b32 exec_lo, exec_lo, s1
	v_cmp_lt_u32_e32 vcc_lo, v6, v48
	s_or_b32 s8, s18, vcc_lo
	s_delay_alu instid0(SALU_CYCLE_1)
	s_and_saveexec_b32 s1, s8
	s_cbranch_execz .LBB667_127
; %bb.125:
	v_and_b32_e32 v1, 1, v31
	s_delay_alu instid0(VALU_DEP_1)
	v_cmp_eq_u32_e32 vcc_lo, 1, v1
	s_and_b32 exec_lo, exec_lo, vcc_lo
	s_cbranch_execz .LBB667_127
; %bb.126:
	v_dual_mov_b32 v50, 0 :: v_dual_mov_b32 v49, v6
	s_delay_alu instid0(VALU_DEP_1) | instskip(NEXT) | instid1(VALU_DEP_1)
	v_lshlrev_b64 v[49:50], 1, v[49:50]
	v_add_co_u32 v49, vcc_lo, s2, v49
	s_delay_alu instid0(VALU_DEP_2)
	v_add_co_ci_u32_e32 v50, vcc_lo, s3, v50, vcc_lo
	global_store_b16 v[49:50], v15, off
.LBB667_127:
	s_or_b32 exec_lo, exec_lo, s1
	v_cmp_lt_u32_e32 vcc_lo, v7, v48
	s_or_b32 s8, s18, vcc_lo
	s_delay_alu instid0(SALU_CYCLE_1)
	s_and_saveexec_b32 s1, s8
	s_cbranch_execz .LBB667_130
; %bb.128:
	v_and_b32_e32 v1, 1, v45
	s_delay_alu instid0(VALU_DEP_1)
	v_cmp_eq_u32_e32 vcc_lo, 1, v1
	s_and_b32 exec_lo, exec_lo, vcc_lo
	s_cbranch_execz .LBB667_130
; %bb.129:
	v_dual_mov_b32 v50, 0 :: v_dual_mov_b32 v49, v7
	s_delay_alu instid0(VALU_DEP_1) | instskip(NEXT) | instid1(VALU_DEP_1)
	v_lshlrev_b64 v[49:50], 1, v[49:50]
	v_add_co_u32 v49, vcc_lo, s2, v49
	s_delay_alu instid0(VALU_DEP_2)
	v_add_co_ci_u32_e32 v50, vcc_lo, s3, v50, vcc_lo
	global_store_b16 v[49:50], v41, off
.LBB667_130:
	s_or_b32 exec_lo, exec_lo, s1
	v_cmp_lt_u32_e32 vcc_lo, v8, v48
	s_or_b32 s8, s18, vcc_lo
	s_delay_alu instid0(SALU_CYCLE_1)
	s_and_saveexec_b32 s1, s8
	s_cbranch_execz .LBB667_133
; %bb.131:
	v_and_b32_e32 v1, 1, v44
	s_delay_alu instid0(VALU_DEP_1)
	v_cmp_eq_u32_e32 vcc_lo, 1, v1
	s_and_b32 exec_lo, exec_lo, vcc_lo
	s_cbranch_execz .LBB667_133
; %bb.132:
	v_dual_mov_b32 v50, 0 :: v_dual_mov_b32 v49, v8
	s_delay_alu instid0(VALU_DEP_1) | instskip(NEXT) | instid1(VALU_DEP_1)
	v_lshlrev_b64 v[49:50], 1, v[49:50]
	v_add_co_u32 v49, vcc_lo, s2, v49
	s_delay_alu instid0(VALU_DEP_2)
	v_add_co_ci_u32_e32 v50, vcc_lo, s3, v50, vcc_lo
	global_store_b16 v[49:50], v16, off
.LBB667_133:
	s_or_b32 exec_lo, exec_lo, s1
	v_cmp_lt_u32_e32 vcc_lo, v9, v48
	s_or_b32 s8, s18, vcc_lo
	s_delay_alu instid0(SALU_CYCLE_1)
	s_and_saveexec_b32 s1, s8
	s_cbranch_execz .LBB667_136
; %bb.134:
	v_and_b32_e32 v1, 1, v39
	s_delay_alu instid0(VALU_DEP_1)
	v_cmp_eq_u32_e32 vcc_lo, 1, v1
	s_and_b32 exec_lo, exec_lo, vcc_lo
	s_cbranch_execz .LBB667_136
; %bb.135:
	v_dual_mov_b32 v50, 0 :: v_dual_mov_b32 v49, v9
	s_delay_alu instid0(VALU_DEP_1) | instskip(NEXT) | instid1(VALU_DEP_1)
	v_lshlrev_b64 v[49:50], 1, v[49:50]
	v_add_co_u32 v49, vcc_lo, s2, v49
	s_delay_alu instid0(VALU_DEP_2)
	v_add_co_ci_u32_e32 v50, vcc_lo, s3, v50, vcc_lo
	global_store_b16 v[49:50], v40, off
.LBB667_136:
	s_or_b32 exec_lo, exec_lo, s1
	v_cmp_lt_u32_e32 vcc_lo, v10, v48
	s_or_b32 s8, s18, vcc_lo
	s_delay_alu instid0(SALU_CYCLE_1)
	s_and_saveexec_b32 s1, s8
	s_cbranch_execz .LBB667_139
; %bb.137:
	v_and_b32_e32 v1, 1, v19
	s_delay_alu instid0(VALU_DEP_1)
	v_cmp_eq_u32_e32 vcc_lo, 1, v1
	s_and_b32 exec_lo, exec_lo, vcc_lo
	s_cbranch_execz .LBB667_139
; %bb.138:
	v_dual_mov_b32 v50, 0 :: v_dual_mov_b32 v49, v10
	s_delay_alu instid0(VALU_DEP_1) | instskip(NEXT) | instid1(VALU_DEP_1)
	v_lshlrev_b64 v[49:50], 1, v[49:50]
	v_add_co_u32 v49, vcc_lo, s2, v49
	s_delay_alu instid0(VALU_DEP_2)
	v_add_co_ci_u32_e32 v50, vcc_lo, s3, v50, vcc_lo
	global_store_b16 v[49:50], v38, off
.LBB667_139:
	s_or_b32 exec_lo, exec_lo, s1
	v_cmp_lt_u32_e32 vcc_lo, v11, v48
	s_or_b32 s8, s18, vcc_lo
	s_delay_alu instid0(SALU_CYCLE_1)
	s_and_saveexec_b32 s1, s8
	s_cbranch_execz .LBB667_142
; %bb.140:
	v_and_b32_e32 v1, 1, v35
	s_delay_alu instid0(VALU_DEP_1)
	v_cmp_eq_u32_e32 vcc_lo, 1, v1
	s_and_b32 exec_lo, exec_lo, vcc_lo
	s_cbranch_execz .LBB667_142
; %bb.141:
	v_dual_mov_b32 v50, 0 :: v_dual_mov_b32 v49, v11
	s_delay_alu instid0(VALU_DEP_1) | instskip(NEXT) | instid1(VALU_DEP_1)
	v_lshlrev_b64 v[49:50], 1, v[49:50]
	v_add_co_u32 v49, vcc_lo, s2, v49
	s_delay_alu instid0(VALU_DEP_2)
	v_add_co_ci_u32_e32 v50, vcc_lo, s3, v50, vcc_lo
	global_store_b16 v[49:50], v37, off
.LBB667_142:
	s_or_b32 exec_lo, exec_lo, s1
	v_cmp_lt_u32_e32 vcc_lo, v12, v48
	s_or_b32 s8, s18, vcc_lo
	s_delay_alu instid0(SALU_CYCLE_1)
	s_and_saveexec_b32 s1, s8
	s_cbranch_execz .LBB667_145
; %bb.143:
	v_and_b32_e32 v1, 1, v18
	s_delay_alu instid0(VALU_DEP_1)
	v_cmp_eq_u32_e32 vcc_lo, 1, v1
	s_and_b32 exec_lo, exec_lo, vcc_lo
	s_cbranch_execz .LBB667_145
; %bb.144:
	v_dual_mov_b32 v50, 0 :: v_dual_mov_b32 v49, v12
	s_delay_alu instid0(VALU_DEP_1) | instskip(NEXT) | instid1(VALU_DEP_1)
	v_lshlrev_b64 v[49:50], 1, v[49:50]
	v_add_co_u32 v49, vcc_lo, s2, v49
	s_delay_alu instid0(VALU_DEP_2)
	v_add_co_ci_u32_e32 v50, vcc_lo, s3, v50, vcc_lo
	global_store_b16 v[49:50], v33, off
.LBB667_145:
	s_or_b32 exec_lo, exec_lo, s1
	s_mov_b32 s2, 0
.LBB667_146:
	v_and_b32_e32 v30, 1, v30
	s_and_b32 vcc_lo, exec_lo, s2
	s_delay_alu instid0(VALU_DEP_1)
	v_cmp_eq_u32_e64 s1, 1, v30
	s_cbranch_vccz .LBB667_185
; %bb.147:
	s_delay_alu instid0(VALU_DEP_1)
	s_and_saveexec_b32 s2, s1
	s_cbranch_execz .LBB667_149
; %bb.148:
	v_sub_nc_u32_e32 v1, v2, v32
	s_delay_alu instid0(VALU_DEP_1)
	v_lshlrev_b32_e32 v1, 1, v1
	ds_store_b16 v1, v13
.LBB667_149:
	s_or_b32 exec_lo, exec_lo, s2
	v_and_b32_e32 v1, 1, v47
	s_mov_b32 s1, exec_lo
	s_delay_alu instid0(VALU_DEP_1)
	v_cmpx_eq_u32_e32 1, v1
	s_cbranch_execz .LBB667_151
; %bb.150:
	v_sub_nc_u32_e32 v1, v3, v32
	s_delay_alu instid0(VALU_DEP_1)
	v_lshlrev_b32_e32 v1, 1, v1
	ds_store_b16 v1, v43
.LBB667_151:
	s_or_b32 exec_lo, exec_lo, s1
	v_and_b32_e32 v1, 1, v46
	s_mov_b32 s1, exec_lo
	s_delay_alu instid0(VALU_DEP_1)
	v_cmpx_eq_u32_e32 1, v1
	s_cbranch_execz .LBB667_153
; %bb.152:
	v_sub_nc_u32_e32 v1, v4, v32
	s_delay_alu instid0(VALU_DEP_1)
	v_lshlrev_b32_e32 v1, 1, v1
	ds_store_b16 v1, v14
.LBB667_153:
	s_or_b32 exec_lo, exec_lo, s1
	v_and_b32_e32 v1, 1, v34
	s_mov_b32 s1, exec_lo
	s_delay_alu instid0(VALU_DEP_1)
	v_cmpx_eq_u32_e32 1, v1
	s_cbranch_execz .LBB667_155
; %bb.154:
	v_sub_nc_u32_e32 v1, v5, v32
	s_delay_alu instid0(VALU_DEP_1)
	v_lshlrev_b32_e32 v1, 1, v1
	ds_store_b16 v1, v42
.LBB667_155:
	s_or_b32 exec_lo, exec_lo, s1
	v_and_b32_e32 v1, 1, v31
	s_mov_b32 s1, exec_lo
	s_delay_alu instid0(VALU_DEP_1)
	v_cmpx_eq_u32_e32 1, v1
	s_cbranch_execz .LBB667_157
; %bb.156:
	v_sub_nc_u32_e32 v1, v6, v32
	s_delay_alu instid0(VALU_DEP_1)
	v_lshlrev_b32_e32 v1, 1, v1
	ds_store_b16 v1, v15
.LBB667_157:
	s_or_b32 exec_lo, exec_lo, s1
	v_and_b32_e32 v1, 1, v45
	s_mov_b32 s1, exec_lo
	s_delay_alu instid0(VALU_DEP_1)
	v_cmpx_eq_u32_e32 1, v1
	s_cbranch_execz .LBB667_159
; %bb.158:
	v_sub_nc_u32_e32 v1, v7, v32
	s_delay_alu instid0(VALU_DEP_1)
	v_lshlrev_b32_e32 v1, 1, v1
	ds_store_b16 v1, v41
.LBB667_159:
	s_or_b32 exec_lo, exec_lo, s1
	v_and_b32_e32 v1, 1, v44
	s_mov_b32 s1, exec_lo
	s_delay_alu instid0(VALU_DEP_1)
	v_cmpx_eq_u32_e32 1, v1
	s_cbranch_execz .LBB667_161
; %bb.160:
	v_sub_nc_u32_e32 v1, v8, v32
	s_delay_alu instid0(VALU_DEP_1)
	v_lshlrev_b32_e32 v1, 1, v1
	ds_store_b16 v1, v16
.LBB667_161:
	s_or_b32 exec_lo, exec_lo, s1
	v_and_b32_e32 v1, 1, v39
	s_mov_b32 s1, exec_lo
	s_delay_alu instid0(VALU_DEP_1)
	v_cmpx_eq_u32_e32 1, v1
	s_cbranch_execz .LBB667_163
; %bb.162:
	v_sub_nc_u32_e32 v1, v9, v32
	s_delay_alu instid0(VALU_DEP_1)
	v_lshlrev_b32_e32 v1, 1, v1
	ds_store_b16 v1, v40
.LBB667_163:
	s_or_b32 exec_lo, exec_lo, s1
	v_and_b32_e32 v1, 1, v19
	s_mov_b32 s1, exec_lo
	s_delay_alu instid0(VALU_DEP_1)
	v_cmpx_eq_u32_e32 1, v1
	s_cbranch_execz .LBB667_165
; %bb.164:
	v_sub_nc_u32_e32 v1, v10, v32
	s_delay_alu instid0(VALU_DEP_1)
	v_lshlrev_b32_e32 v1, 1, v1
	ds_store_b16 v1, v38
.LBB667_165:
	s_or_b32 exec_lo, exec_lo, s1
	v_and_b32_e32 v1, 1, v35
	s_mov_b32 s1, exec_lo
	s_delay_alu instid0(VALU_DEP_1)
	v_cmpx_eq_u32_e32 1, v1
	s_cbranch_execz .LBB667_167
; %bb.166:
	v_sub_nc_u32_e32 v1, v11, v32
	s_delay_alu instid0(VALU_DEP_1)
	v_lshlrev_b32_e32 v1, 1, v1
	ds_store_b16 v1, v37
.LBB667_167:
	s_or_b32 exec_lo, exec_lo, s1
	v_and_b32_e32 v1, 1, v18
	s_mov_b32 s1, exec_lo
	s_delay_alu instid0(VALU_DEP_1)
	v_cmpx_eq_u32_e32 1, v1
	s_cbranch_execz .LBB667_169
; %bb.168:
	v_sub_nc_u32_e32 v1, v12, v32
	s_delay_alu instid0(VALU_DEP_1)
	v_lshlrev_b32_e32 v1, 1, v1
	ds_store_b16 v1, v33
.LBB667_169:
	s_or_b32 exec_lo, exec_lo, s1
	s_delay_alu instid0(SALU_CYCLE_1)
	s_mov_b32 s3, exec_lo
	s_waitcnt lgkmcnt(0)
	s_waitcnt_vscnt null, 0x0
	s_barrier
	buffer_gl0_inv
	v_cmpx_lt_u32_e64 v0, v17
	s_cbranch_execz .LBB667_184
; %bb.170:
	v_mov_b32_e32 v33, 0
	s_lshl_b64 s[8:9], s[12:13], 1
	v_xad_u32 v1, v0, -1, v17
	s_add_u32 s2, s4, s8
	s_addc_u32 s4, s5, s9
	v_lshlrev_b64 v[13:14], 1, v[32:33]
	s_delay_alu instid0(VALU_DEP_2) | instskip(NEXT) | instid1(VALU_DEP_2)
	v_cmp_gt_u32_e32 vcc_lo, 0xc80, v1
	v_add_co_u32 v33, s2, s2, v13
	s_delay_alu instid0(VALU_DEP_1)
	v_add_co_ci_u32_e64 v37, s2, s4, v14, s2
	v_mov_b32_e32 v13, v0
	s_mov_b32 s2, -1
	s_mov_b32 s4, exec_lo
	v_cmpx_lt_u32_e32 0xc7f, v1
	s_cbranch_execz .LBB667_181
; %bb.171:
	v_sub_nc_u32_e32 v13, v0, v17
	s_delay_alu instid0(VALU_DEP_1) | instskip(NEXT) | instid1(VALU_DEP_1)
	v_or_b32_e32 v13, 0x7f, v13
	v_cmp_ge_u32_e64 s1, v13, v0
	v_mov_b32_e32 v13, v0
	s_delay_alu instid0(VALU_DEP_2)
	s_and_saveexec_b32 s5, s1
	s_cbranch_execz .LBB667_180
; %bb.172:
	v_lshrrev_b32_e32 v38, 7, v1
	v_or_b32_e32 v1, 0x80, v0
	v_dual_mov_b32 v49, 0 :: v_dual_lshlrev_b32 v40, 1, v0
	s_delay_alu instid0(VALU_DEP_3) | instskip(NEXT) | instid1(VALU_DEP_1)
	v_add_nc_u32_e32 v13, -1, v38
	v_lshrrev_b32_e32 v14, 1, v13
	v_cmp_lt_u32_e64 s1, 13, v13
	s_delay_alu instid0(VALU_DEP_2) | instskip(SKIP_1) | instid1(VALU_DEP_3)
	v_dual_mov_b32 v14, v1 :: v_dual_add_nc_u32 v41, 1, v14
	v_mov_b32_e32 v13, v0
	s_and_saveexec_b32 s2, s1
	s_cbranch_execz .LBB667_176
; %bb.173:
	v_mov_b32_e32 v14, v1
	v_dual_mov_b32 v43, v40 :: v_dual_and_b32 v42, -8, v41
	v_dual_mov_b32 v16, 0 :: v_dual_mov_b32 v13, v0
	s_mov_b32 s8, 0
	s_mov_b32 s9, 0
.LBB667_174:                            ; =>This Inner Loop Header: Depth=1
	s_delay_alu instid0(VALU_DEP_1) | instskip(NEXT) | instid1(VALU_DEP_2)
	v_dual_mov_b32 v15, v13 :: v_dual_add_nc_u32 v50, 0x100, v14
	v_dual_mov_b32 v63, v16 :: v_dual_add_nc_u32 v42, -8, v42
	v_dual_mov_b32 v51, v16 :: v_dual_add_nc_u32 v52, 0x200, v14
	s_delay_alu instid0(VALU_DEP_3) | instskip(SKIP_1) | instid1(VALU_DEP_4)
	v_lshlrev_b64 v[64:65], 1, v[15:16]
	v_dual_mov_b32 v53, v16 :: v_dual_add_nc_u32 v54, 0x300, v14
	v_cmp_eq_u32_e64 s1, 0, v42
	s_delay_alu instid0(VALU_DEP_4)
	v_lshlrev_b64 v[50:51], 1, v[50:51]
	v_dual_mov_b32 v55, v16 :: v_dual_add_nc_u32 v56, 0x400, v14
	s_add_i32 s9, s9, 16
	v_lshlrev_b64 v[52:53], 1, v[52:53]
	s_or_b32 s8, s1, s8
	v_add_co_u32 v64, s1, v33, v64
	v_dual_mov_b32 v57, v16 :: v_dual_add_nc_u32 v58, 0x500, v14
	v_add_co_ci_u32_e64 v65, s1, v37, v65, s1
	v_lshlrev_b64 v[54:55], 1, v[54:55]
	v_add_co_u32 v50, s1, v33, v50
	v_dual_mov_b32 v59, v16 :: v_dual_add_nc_u32 v60, 0x600, v14
	v_add_co_ci_u32_e64 v51, s1, v37, v51, s1
	v_lshlrev_b64 v[56:57], 1, v[56:57]
	;; [unrolled: 4-line block ×3, first 2 shown]
	v_add_co_u32 v54, s1, v33, v54
	v_mov_b32_e32 v15, v14
	v_add_co_ci_u32_e64 v55, s1, v37, v55, s1
	v_lshlrev_b64 v[60:61], 1, v[60:61]
	v_add_co_u32 v56, s1, v33, v56
	ds_load_u16 v1, v43
	ds_load_u16 v70, v43 offset:256
	ds_load_u16 v71, v43 offset:512
	;; [unrolled: 1-line block ×7, first 2 shown]
	v_add_co_ci_u32_e64 v57, s1, v37, v57, s1
	v_lshlrev_b64 v[62:63], 1, v[62:63]
	v_add_co_u32 v58, s1, v33, v58
	v_lshlrev_b64 v[66:67], 1, v[15:16]
	v_add_nc_u32_e32 v15, 0x100, v13
	v_add_co_ci_u32_e64 v59, s1, v37, v59, s1
	v_add_co_u32 v60, s1, v33, v60
	s_delay_alu instid0(VALU_DEP_1)
	v_add_co_ci_u32_e64 v61, s1, v37, v61, s1
	v_add_co_u32 v62, s1, v33, v62
	v_lshlrev_b64 v[68:69], 1, v[15:16]
	v_add_nc_u32_e32 v15, 0x200, v13
	v_add_co_ci_u32_e64 v63, s1, v37, v63, s1
	v_add_co_u32 v66, s1, v33, v66
	ds_load_u16 v77, v43 offset:2048
	ds_load_u16 v78, v43 offset:2304
	;; [unrolled: 1-line block ×8, first 2 shown]
	v_add_co_ci_u32_e64 v67, s1, v37, v67, s1
	s_waitcnt lgkmcnt(15)
	global_store_b16 v[64:65], v1, off
	v_lshlrev_b64 v[64:65], 1, v[15:16]
	v_add_nc_u32_e32 v15, 0x300, v13
	v_add_co_u32 v68, s1, v33, v68
	s_delay_alu instid0(VALU_DEP_1)
	v_add_co_ci_u32_e64 v69, s1, v37, v69, s1
	s_waitcnt lgkmcnt(14)
	global_store_b16 v[66:67], v70, off
	v_lshlrev_b64 v[66:67], 1, v[15:16]
	v_add_nc_u32_e32 v15, 0x400, v13
	s_waitcnt lgkmcnt(13)
	global_store_b16 v[68:69], v71, off
	s_waitcnt lgkmcnt(12)
	global_store_b16 v[50:51], v72, off
	v_add_co_u32 v50, s1, v33, v64
	s_delay_alu instid0(VALU_DEP_1) | instskip(SKIP_3) | instid1(VALU_DEP_1)
	v_add_co_ci_u32_e64 v51, s1, v37, v65, s1
	v_lshlrev_b64 v[64:65], 1, v[15:16]
	v_add_nc_u32_e32 v15, 0x500, v13
	v_add_co_u32 v66, s1, v33, v66
	v_add_co_ci_u32_e64 v67, s1, v37, v67, s1
	s_waitcnt lgkmcnt(11)
	global_store_b16 v[50:51], v73, off
	s_waitcnt lgkmcnt(10)
	global_store_b16 v[52:53], v74, off
	v_lshlrev_b64 v[50:51], 1, v[15:16]
	v_add_nc_u32_e32 v15, 0x600, v13
	v_add_co_u32 v52, s1, v33, v64
	s_waitcnt lgkmcnt(9)
	global_store_b16 v[66:67], v75, off
	s_waitcnt lgkmcnt(8)
	global_store_b16 v[54:55], v76, off
	v_add_co_ci_u32_e64 v53, s1, v37, v65, s1
	v_lshlrev_b64 v[54:55], 1, v[15:16]
	v_add_nc_u32_e32 v15, 0x700, v13
	v_add_co_u32 v50, s1, v33, v50
	s_delay_alu instid0(VALU_DEP_1)
	v_add_co_ci_u32_e64 v51, s1, v37, v51, s1
	s_waitcnt lgkmcnt(7)
	global_store_b16 v[52:53], v77, off
	s_waitcnt lgkmcnt(6)
	global_store_b16 v[56:57], v78, off
	v_lshlrev_b64 v[52:53], 1, v[15:16]
	v_add_nc_u32_e32 v43, 0x1000, v43
	s_waitcnt lgkmcnt(5)
	global_store_b16 v[50:51], v79, off
	v_add_co_u32 v50, s1, v33, v54
	v_dual_mov_b32 v49, s9 :: v_dual_add_nc_u32 v14, 0x800, v14
	v_add_nc_u32_e32 v13, 0x800, v13
	v_add_co_ci_u32_e64 v51, s1, v37, v55, s1
	v_add_co_u32 v52, s1, v33, v52
	s_delay_alu instid0(VALU_DEP_1)
	v_add_co_ci_u32_e64 v53, s1, v37, v53, s1
	s_waitcnt lgkmcnt(4)
	global_store_b16 v[58:59], v80, off
	s_waitcnt lgkmcnt(3)
	global_store_b16 v[50:51], v81, off
	;; [unrolled: 2-line block ×5, first 2 shown]
	s_and_not1_b32 exec_lo, exec_lo, s8
	s_cbranch_execnz .LBB667_174
; %bb.175:
	s_or_b32 exec_lo, exec_lo, s8
.LBB667_176:
	s_delay_alu instid0(SALU_CYCLE_1) | instskip(SKIP_3) | instid1(VALU_DEP_1)
	s_or_b32 exec_lo, exec_lo, s2
	v_and_b32_e32 v1, 7, v41
	s_mov_b32 s9, 0
	s_mov_b32 s8, exec_lo
	v_cmpx_ne_u32_e32 0, v1
	s_cbranch_execz .LBB667_179
; %bb.177:
	v_lshl_or_b32 v40, v49, 8, v40
	v_mov_b32_e32 v16, 0
	s_set_inst_prefetch_distance 0x1
	.p2align	6
.LBB667_178:                            ; =>This Inner Loop Header: Depth=1
	v_mov_b32_e32 v15, v13
	ds_load_u16 v43, v40
	ds_load_u16 v51, v40 offset:256
	v_add_nc_u32_e32 v40, 0x200, v40
	v_add_nc_u32_e32 v1, -1, v1
	v_add_nc_u32_e32 v13, 0x100, v13
	v_lshlrev_b64 v[41:42], 1, v[15:16]
	v_dual_mov_b32 v15, v14 :: v_dual_add_nc_u32 v14, 0x100, v14
	s_delay_alu instid0(VALU_DEP_4) | instskip(NEXT) | instid1(VALU_DEP_2)
	v_cmp_eq_u32_e64 s1, 0, v1
	v_lshlrev_b64 v[49:50], 1, v[15:16]
	s_delay_alu instid0(VALU_DEP_4) | instskip(NEXT) | instid1(VALU_DEP_1)
	v_add_co_u32 v41, s2, v33, v41
	v_add_co_ci_u32_e64 v42, s2, v37, v42, s2
	s_delay_alu instid0(VALU_DEP_4) | instskip(NEXT) | instid1(VALU_DEP_3)
	s_or_b32 s9, s1, s9
	v_add_co_u32 v49, s2, v33, v49
	s_delay_alu instid0(VALU_DEP_1)
	v_add_co_ci_u32_e64 v50, s2, v37, v50, s2
	s_waitcnt lgkmcnt(1)
	global_store_b16 v[41:42], v43, off
	s_waitcnt lgkmcnt(0)
	global_store_b16 v[49:50], v51, off
	s_and_not1_b32 exec_lo, exec_lo, s9
	s_cbranch_execnz .LBB667_178
.LBB667_179:
	s_set_inst_prefetch_distance 0x2
	s_or_b32 exec_lo, exec_lo, s8
	v_add_nc_u32_e32 v1, 1, v38
	s_delay_alu instid0(VALU_DEP_1) | instskip(NEXT) | instid1(VALU_DEP_1)
	v_and_b32_e32 v13, 0x3fffffe, v1
	v_cmp_ne_u32_e64 s1, v1, v13
	v_lshl_or_b32 v13, v13, 7, v0
	s_delay_alu instid0(VALU_DEP_2)
	s_or_not1_b32 s2, s1, exec_lo
.LBB667_180:
	s_or_b32 exec_lo, exec_lo, s5
	s_delay_alu instid0(SALU_CYCLE_1) | instskip(SKIP_1) | instid1(SALU_CYCLE_1)
	s_and_not1_b32 s1, vcc_lo, exec_lo
	s_and_b32 s2, s2, exec_lo
	s_or_b32 vcc_lo, s1, s2
.LBB667_181:
	s_or_b32 exec_lo, exec_lo, s4
	s_delay_alu instid0(SALU_CYCLE_1)
	s_and_b32 exec_lo, exec_lo, vcc_lo
	s_cbranch_execz .LBB667_184
; %bb.182:
	v_dual_mov_b32 v14, 0 :: v_dual_lshlrev_b32 v1, 1, v13
	s_mov_b32 s2, 0
	.p2align	6
.LBB667_183:                            ; =>This Inner Loop Header: Depth=1
	ds_load_u16 v38, v1
	v_lshlrev_b64 v[15:16], 1, v[13:14]
	v_add_nc_u32_e32 v13, 0x80, v13
	v_add_nc_u32_e32 v1, 0x100, v1
	s_delay_alu instid0(VALU_DEP_2) | instskip(NEXT) | instid1(VALU_DEP_4)
	v_cmp_ge_u32_e32 vcc_lo, v13, v17
	v_add_co_u32 v15, s1, v33, v15
	s_delay_alu instid0(VALU_DEP_1)
	v_add_co_ci_u32_e64 v16, s1, v37, v16, s1
	s_or_b32 s2, vcc_lo, s2
	s_waitcnt lgkmcnt(0)
	global_store_b16 v[15:16], v38, off
	s_and_not1_b32 exec_lo, exec_lo, s2
	s_cbranch_execnz .LBB667_183
.LBB667_184:
	s_or_b32 exec_lo, exec_lo, s3
.LBB667_185:
	s_delay_alu instid0(SALU_CYCLE_1)
	s_and_b32 vcc_lo, exec_lo, s0
	s_mov_b32 s0, -1
	s_waitcnt lgkmcnt(0)
	s_waitcnt_vscnt null, 0x0
	s_barrier
	buffer_gl0_inv
	s_cbranch_vccnz .LBB667_189
; %bb.186:
	s_and_b32 vcc_lo, exec_lo, s0
	s_cbranch_vccnz .LBB667_223
.LBB667_187:
	v_cmp_eq_u32_e32 vcc_lo, 0, v0
	s_and_b32 s0, vcc_lo, s14
	s_delay_alu instid0(SALU_CYCLE_1)
	s_and_saveexec_b32 s1, s0
	s_cbranch_execnz .LBB667_249
.LBB667_188:
	s_nop 0
	s_sendmsg sendmsg(MSG_DEALLOC_VGPRS)
	s_endpgm
.LBB667_189:
	v_cmp_lt_u32_e32 vcc_lo, v2, v48
	s_lshl_b64 s[0:1], s[12:13], 2
	s_delay_alu instid0(SALU_CYCLE_1) | instskip(SKIP_2) | instid1(SALU_CYCLE_1)
	s_add_u32 s0, s6, s0
	s_addc_u32 s1, s7, s1
	s_or_b32 s3, s18, vcc_lo
	s_and_saveexec_b32 s2, s3
	s_cbranch_execz .LBB667_192
; %bb.190:
	v_cmp_eq_u32_e32 vcc_lo, 1, v30
	s_and_b32 exec_lo, exec_lo, vcc_lo
	s_cbranch_execz .LBB667_192
; %bb.191:
	v_dual_mov_b32 v14, 0 :: v_dual_mov_b32 v13, v2
	s_delay_alu instid0(VALU_DEP_1) | instskip(NEXT) | instid1(VALU_DEP_1)
	v_lshlrev_b64 v[13:14], 2, v[13:14]
	v_add_co_u32 v13, vcc_lo, s0, v13
	s_delay_alu instid0(VALU_DEP_2)
	v_add_co_ci_u32_e32 v14, vcc_lo, s1, v14, vcc_lo
	global_store_b32 v[13:14], v28, off
.LBB667_192:
	s_or_b32 exec_lo, exec_lo, s2
	v_cmp_lt_u32_e32 vcc_lo, v3, v48
	s_or_b32 s3, s18, vcc_lo
	s_delay_alu instid0(SALU_CYCLE_1)
	s_and_saveexec_b32 s2, s3
	s_cbranch_execz .LBB667_195
; %bb.193:
	v_and_b32_e32 v1, 1, v47
	s_delay_alu instid0(VALU_DEP_1)
	v_cmp_eq_u32_e32 vcc_lo, 1, v1
	s_and_b32 exec_lo, exec_lo, vcc_lo
	s_cbranch_execz .LBB667_195
; %bb.194:
	v_dual_mov_b32 v14, 0 :: v_dual_mov_b32 v13, v3
	s_delay_alu instid0(VALU_DEP_1) | instskip(NEXT) | instid1(VALU_DEP_1)
	v_lshlrev_b64 v[13:14], 2, v[13:14]
	v_add_co_u32 v13, vcc_lo, s0, v13
	s_delay_alu instid0(VALU_DEP_2)
	v_add_co_ci_u32_e32 v14, vcc_lo, s1, v14, vcc_lo
	global_store_b32 v[13:14], v29, off
.LBB667_195:
	s_or_b32 exec_lo, exec_lo, s2
	v_cmp_lt_u32_e32 vcc_lo, v4, v48
	s_or_b32 s3, s18, vcc_lo
	s_delay_alu instid0(SALU_CYCLE_1)
	s_and_saveexec_b32 s2, s3
	s_cbranch_execz .LBB667_198
; %bb.196:
	v_and_b32_e32 v1, 1, v46
	s_delay_alu instid0(VALU_DEP_1)
	v_cmp_eq_u32_e32 vcc_lo, 1, v1
	s_and_b32 exec_lo, exec_lo, vcc_lo
	s_cbranch_execz .LBB667_198
; %bb.197:
	v_dual_mov_b32 v14, 0 :: v_dual_mov_b32 v13, v4
	s_delay_alu instid0(VALU_DEP_1) | instskip(NEXT) | instid1(VALU_DEP_1)
	v_lshlrev_b64 v[13:14], 2, v[13:14]
	v_add_co_u32 v13, vcc_lo, s0, v13
	s_delay_alu instid0(VALU_DEP_2)
	v_add_co_ci_u32_e32 v14, vcc_lo, s1, v14, vcc_lo
	global_store_b32 v[13:14], v26, off
.LBB667_198:
	;; [unrolled: 21-line block ×10, first 2 shown]
	s_or_b32 exec_lo, exec_lo, s2
	s_branch .LBB667_187
.LBB667_223:
	s_mov_b32 s0, exec_lo
	v_cmpx_eq_u32_e32 1, v30
	s_cbranch_execz .LBB667_225
; %bb.224:
	v_sub_nc_u32_e32 v1, v2, v32
	s_delay_alu instid0(VALU_DEP_1)
	v_lshlrev_b32_e32 v1, 2, v1
	ds_store_b32 v1, v28
.LBB667_225:
	s_or_b32 exec_lo, exec_lo, s0
	v_and_b32_e32 v1, 1, v47
	s_mov_b32 s0, exec_lo
	s_delay_alu instid0(VALU_DEP_1)
	v_cmpx_eq_u32_e32 1, v1
	s_cbranch_execz .LBB667_227
; %bb.226:
	v_sub_nc_u32_e32 v1, v3, v32
	s_delay_alu instid0(VALU_DEP_1)
	v_lshlrev_b32_e32 v1, 2, v1
	ds_store_b32 v1, v29
.LBB667_227:
	s_or_b32 exec_lo, exec_lo, s0
	v_and_b32_e32 v1, 1, v46
	s_mov_b32 s0, exec_lo
	s_delay_alu instid0(VALU_DEP_1)
	;; [unrolled: 12-line block ×10, first 2 shown]
	v_cmpx_eq_u32_e32 1, v1
	s_cbranch_execz .LBB667_245
; %bb.244:
	v_sub_nc_u32_e32 v1, v12, v32
	s_delay_alu instid0(VALU_DEP_1)
	v_lshlrev_b32_e32 v1, 2, v1
	ds_store_b32 v1, v36
.LBB667_245:
	s_or_b32 exec_lo, exec_lo, s0
	s_delay_alu instid0(SALU_CYCLE_1)
	s_mov_b32 s1, exec_lo
	s_waitcnt lgkmcnt(0)
	s_waitcnt_vscnt null, 0x0
	s_barrier
	buffer_gl0_inv
	v_cmpx_lt_u32_e64 v0, v17
	s_cbranch_execz .LBB667_248
; %bb.246:
	v_dual_mov_b32 v2, 0 :: v_dual_lshlrev_b32 v3, 2, v0
	s_lshl_b64 s[2:3], s[12:13], 2
	v_mov_b32_e32 v1, v0
	s_add_u32 s0, s6, s2
	s_delay_alu instid0(VALU_DEP_2) | instskip(SKIP_1) | instid1(VALU_DEP_1)
	v_mov_b32_e32 v33, v2
	s_addc_u32 s2, s7, s3
	v_lshlrev_b64 v[4:5], 2, v[32:33]
	s_delay_alu instid0(VALU_DEP_1) | instskip(NEXT) | instid1(VALU_DEP_2)
	v_add_co_u32 v4, vcc_lo, s0, v4
	v_add_co_ci_u32_e32 v5, vcc_lo, s2, v5, vcc_lo
	s_mov_b32 s2, 0
	.p2align	6
.LBB667_247:                            ; =>This Inner Loop Header: Depth=1
	ds_load_b32 v8, v3
	v_lshlrev_b64 v[6:7], 2, v[1:2]
	v_add_nc_u32_e32 v1, 0x80, v1
	v_add_nc_u32_e32 v3, 0x200, v3
	s_delay_alu instid0(VALU_DEP_2) | instskip(NEXT) | instid1(VALU_DEP_4)
	v_cmp_ge_u32_e32 vcc_lo, v1, v17
	v_add_co_u32 v6, s0, v4, v6
	s_delay_alu instid0(VALU_DEP_1)
	v_add_co_ci_u32_e64 v7, s0, v5, v7, s0
	s_or_b32 s2, vcc_lo, s2
	s_waitcnt lgkmcnt(0)
	global_store_b32 v[6:7], v8, off
	s_and_not1_b32 exec_lo, exec_lo, s2
	s_cbranch_execnz .LBB667_247
.LBB667_248:
	s_or_b32 exec_lo, exec_lo, s1
	v_cmp_eq_u32_e32 vcc_lo, 0, v0
	s_and_b32 s0, vcc_lo, s14
	s_delay_alu instid0(SALU_CYCLE_1)
	s_and_saveexec_b32 s1, s0
	s_cbranch_execz .LBB667_188
.LBB667_249:
	v_add_co_u32 v0, s0, s12, v17
	s_delay_alu instid0(VALU_DEP_1) | instskip(SKIP_1) | instid1(VALU_DEP_3)
	v_add_co_ci_u32_e64 v1, null, s13, 0, s0
	v_mov_b32_e32 v2, 0
	v_add_co_u32 v0, vcc_lo, v0, v32
	s_delay_alu instid0(VALU_DEP_3)
	v_add_co_ci_u32_e32 v1, vcc_lo, 0, v1, vcc_lo
	global_store_b64 v2, v[0:1], s[16:17]
	s_nop 0
	s_sendmsg sendmsg(MSG_DEALLOC_VGPRS)
	s_endpgm
.LBB667_250:
	s_or_b32 exec_lo, exec_lo, s3
	s_and_saveexec_b32 s3, s22
	s_cbranch_execnz .LBB667_72
	s_branch .LBB667_73
	.section	.rodata,"a",@progbits
	.p2align	6, 0x0
	.amdhsa_kernel _ZN7rocprim17ROCPRIM_400000_NS6detail17trampoline_kernelINS0_14default_configENS1_25partition_config_selectorILNS1_17partition_subalgoE9EsjbEEZZNS1_14partition_implILS5_9ELb0ES3_jN6thrust23THRUST_200600_302600_NS6detail15normal_iteratorINS9_10device_ptrIsEEEENSB_INSC_IjEEEEPNS0_10empty_typeENS0_5tupleIJSE_SH_EEENSJ_IJSG_SI_EEENS0_18inequality_wrapperINS9_8equal_toIsEEEEPmJSH_EEE10hipError_tPvRmT3_T4_T5_T6_T7_T9_mT8_P12ihipStream_tbDpT10_ENKUlT_T0_E_clISt17integral_constantIbLb0EES1A_EEDaS15_S16_EUlS15_E_NS1_11comp_targetILNS1_3genE9ELNS1_11target_archE1100ELNS1_3gpuE3ELNS1_3repE0EEENS1_30default_config_static_selectorELNS0_4arch9wavefront6targetE0EEEvT1_
		.amdhsa_group_segment_fixed_size 5640
		.amdhsa_private_segment_fixed_size 0
		.amdhsa_kernarg_size 112
		.amdhsa_user_sgpr_count 15
		.amdhsa_user_sgpr_dispatch_ptr 0
		.amdhsa_user_sgpr_queue_ptr 0
		.amdhsa_user_sgpr_kernarg_segment_ptr 1
		.amdhsa_user_sgpr_dispatch_id 0
		.amdhsa_user_sgpr_private_segment_size 0
		.amdhsa_wavefront_size32 1
		.amdhsa_uses_dynamic_stack 0
		.amdhsa_enable_private_segment 0
		.amdhsa_system_sgpr_workgroup_id_x 1
		.amdhsa_system_sgpr_workgroup_id_y 0
		.amdhsa_system_sgpr_workgroup_id_z 0
		.amdhsa_system_sgpr_workgroup_info 0
		.amdhsa_system_vgpr_workitem_id 0
		.amdhsa_next_free_vgpr 85
		.amdhsa_next_free_sgpr 24
		.amdhsa_reserve_vcc 1
		.amdhsa_float_round_mode_32 0
		.amdhsa_float_round_mode_16_64 0
		.amdhsa_float_denorm_mode_32 3
		.amdhsa_float_denorm_mode_16_64 3
		.amdhsa_dx10_clamp 1
		.amdhsa_ieee_mode 1
		.amdhsa_fp16_overflow 0
		.amdhsa_workgroup_processor_mode 1
		.amdhsa_memory_ordered 1
		.amdhsa_forward_progress 0
		.amdhsa_shared_vgpr_count 0
		.amdhsa_exception_fp_ieee_invalid_op 0
		.amdhsa_exception_fp_denorm_src 0
		.amdhsa_exception_fp_ieee_div_zero 0
		.amdhsa_exception_fp_ieee_overflow 0
		.amdhsa_exception_fp_ieee_underflow 0
		.amdhsa_exception_fp_ieee_inexact 0
		.amdhsa_exception_int_div_zero 0
	.end_amdhsa_kernel
	.section	.text._ZN7rocprim17ROCPRIM_400000_NS6detail17trampoline_kernelINS0_14default_configENS1_25partition_config_selectorILNS1_17partition_subalgoE9EsjbEEZZNS1_14partition_implILS5_9ELb0ES3_jN6thrust23THRUST_200600_302600_NS6detail15normal_iteratorINS9_10device_ptrIsEEEENSB_INSC_IjEEEEPNS0_10empty_typeENS0_5tupleIJSE_SH_EEENSJ_IJSG_SI_EEENS0_18inequality_wrapperINS9_8equal_toIsEEEEPmJSH_EEE10hipError_tPvRmT3_T4_T5_T6_T7_T9_mT8_P12ihipStream_tbDpT10_ENKUlT_T0_E_clISt17integral_constantIbLb0EES1A_EEDaS15_S16_EUlS15_E_NS1_11comp_targetILNS1_3genE9ELNS1_11target_archE1100ELNS1_3gpuE3ELNS1_3repE0EEENS1_30default_config_static_selectorELNS0_4arch9wavefront6targetE0EEEvT1_,"axG",@progbits,_ZN7rocprim17ROCPRIM_400000_NS6detail17trampoline_kernelINS0_14default_configENS1_25partition_config_selectorILNS1_17partition_subalgoE9EsjbEEZZNS1_14partition_implILS5_9ELb0ES3_jN6thrust23THRUST_200600_302600_NS6detail15normal_iteratorINS9_10device_ptrIsEEEENSB_INSC_IjEEEEPNS0_10empty_typeENS0_5tupleIJSE_SH_EEENSJ_IJSG_SI_EEENS0_18inequality_wrapperINS9_8equal_toIsEEEEPmJSH_EEE10hipError_tPvRmT3_T4_T5_T6_T7_T9_mT8_P12ihipStream_tbDpT10_ENKUlT_T0_E_clISt17integral_constantIbLb0EES1A_EEDaS15_S16_EUlS15_E_NS1_11comp_targetILNS1_3genE9ELNS1_11target_archE1100ELNS1_3gpuE3ELNS1_3repE0EEENS1_30default_config_static_selectorELNS0_4arch9wavefront6targetE0EEEvT1_,comdat
.Lfunc_end667:
	.size	_ZN7rocprim17ROCPRIM_400000_NS6detail17trampoline_kernelINS0_14default_configENS1_25partition_config_selectorILNS1_17partition_subalgoE9EsjbEEZZNS1_14partition_implILS5_9ELb0ES3_jN6thrust23THRUST_200600_302600_NS6detail15normal_iteratorINS9_10device_ptrIsEEEENSB_INSC_IjEEEEPNS0_10empty_typeENS0_5tupleIJSE_SH_EEENSJ_IJSG_SI_EEENS0_18inequality_wrapperINS9_8equal_toIsEEEEPmJSH_EEE10hipError_tPvRmT3_T4_T5_T6_T7_T9_mT8_P12ihipStream_tbDpT10_ENKUlT_T0_E_clISt17integral_constantIbLb0EES1A_EEDaS15_S16_EUlS15_E_NS1_11comp_targetILNS1_3genE9ELNS1_11target_archE1100ELNS1_3gpuE3ELNS1_3repE0EEENS1_30default_config_static_selectorELNS0_4arch9wavefront6targetE0EEEvT1_, .Lfunc_end667-_ZN7rocprim17ROCPRIM_400000_NS6detail17trampoline_kernelINS0_14default_configENS1_25partition_config_selectorILNS1_17partition_subalgoE9EsjbEEZZNS1_14partition_implILS5_9ELb0ES3_jN6thrust23THRUST_200600_302600_NS6detail15normal_iteratorINS9_10device_ptrIsEEEENSB_INSC_IjEEEEPNS0_10empty_typeENS0_5tupleIJSE_SH_EEENSJ_IJSG_SI_EEENS0_18inequality_wrapperINS9_8equal_toIsEEEEPmJSH_EEE10hipError_tPvRmT3_T4_T5_T6_T7_T9_mT8_P12ihipStream_tbDpT10_ENKUlT_T0_E_clISt17integral_constantIbLb0EES1A_EEDaS15_S16_EUlS15_E_NS1_11comp_targetILNS1_3genE9ELNS1_11target_archE1100ELNS1_3gpuE3ELNS1_3repE0EEENS1_30default_config_static_selectorELNS0_4arch9wavefront6targetE0EEEvT1_
                                        ; -- End function
	.section	.AMDGPU.csdata,"",@progbits
; Kernel info:
; codeLenInByte = 11868
; NumSgprs: 26
; NumVgprs: 85
; ScratchSize: 0
; MemoryBound: 0
; FloatMode: 240
; IeeeMode: 1
; LDSByteSize: 5640 bytes/workgroup (compile time only)
; SGPRBlocks: 3
; VGPRBlocks: 10
; NumSGPRsForWavesPerEU: 26
; NumVGPRsForWavesPerEU: 85
; Occupancy: 16
; WaveLimiterHint : 1
; COMPUTE_PGM_RSRC2:SCRATCH_EN: 0
; COMPUTE_PGM_RSRC2:USER_SGPR: 15
; COMPUTE_PGM_RSRC2:TRAP_HANDLER: 0
; COMPUTE_PGM_RSRC2:TGID_X_EN: 1
; COMPUTE_PGM_RSRC2:TGID_Y_EN: 0
; COMPUTE_PGM_RSRC2:TGID_Z_EN: 0
; COMPUTE_PGM_RSRC2:TIDIG_COMP_CNT: 0
	.section	.text._ZN7rocprim17ROCPRIM_400000_NS6detail17trampoline_kernelINS0_14default_configENS1_25partition_config_selectorILNS1_17partition_subalgoE9EsjbEEZZNS1_14partition_implILS5_9ELb0ES3_jN6thrust23THRUST_200600_302600_NS6detail15normal_iteratorINS9_10device_ptrIsEEEENSB_INSC_IjEEEEPNS0_10empty_typeENS0_5tupleIJSE_SH_EEENSJ_IJSG_SI_EEENS0_18inequality_wrapperINS9_8equal_toIsEEEEPmJSH_EEE10hipError_tPvRmT3_T4_T5_T6_T7_T9_mT8_P12ihipStream_tbDpT10_ENKUlT_T0_E_clISt17integral_constantIbLb0EES1A_EEDaS15_S16_EUlS15_E_NS1_11comp_targetILNS1_3genE8ELNS1_11target_archE1030ELNS1_3gpuE2ELNS1_3repE0EEENS1_30default_config_static_selectorELNS0_4arch9wavefront6targetE0EEEvT1_,"axG",@progbits,_ZN7rocprim17ROCPRIM_400000_NS6detail17trampoline_kernelINS0_14default_configENS1_25partition_config_selectorILNS1_17partition_subalgoE9EsjbEEZZNS1_14partition_implILS5_9ELb0ES3_jN6thrust23THRUST_200600_302600_NS6detail15normal_iteratorINS9_10device_ptrIsEEEENSB_INSC_IjEEEEPNS0_10empty_typeENS0_5tupleIJSE_SH_EEENSJ_IJSG_SI_EEENS0_18inequality_wrapperINS9_8equal_toIsEEEEPmJSH_EEE10hipError_tPvRmT3_T4_T5_T6_T7_T9_mT8_P12ihipStream_tbDpT10_ENKUlT_T0_E_clISt17integral_constantIbLb0EES1A_EEDaS15_S16_EUlS15_E_NS1_11comp_targetILNS1_3genE8ELNS1_11target_archE1030ELNS1_3gpuE2ELNS1_3repE0EEENS1_30default_config_static_selectorELNS0_4arch9wavefront6targetE0EEEvT1_,comdat
	.protected	_ZN7rocprim17ROCPRIM_400000_NS6detail17trampoline_kernelINS0_14default_configENS1_25partition_config_selectorILNS1_17partition_subalgoE9EsjbEEZZNS1_14partition_implILS5_9ELb0ES3_jN6thrust23THRUST_200600_302600_NS6detail15normal_iteratorINS9_10device_ptrIsEEEENSB_INSC_IjEEEEPNS0_10empty_typeENS0_5tupleIJSE_SH_EEENSJ_IJSG_SI_EEENS0_18inequality_wrapperINS9_8equal_toIsEEEEPmJSH_EEE10hipError_tPvRmT3_T4_T5_T6_T7_T9_mT8_P12ihipStream_tbDpT10_ENKUlT_T0_E_clISt17integral_constantIbLb0EES1A_EEDaS15_S16_EUlS15_E_NS1_11comp_targetILNS1_3genE8ELNS1_11target_archE1030ELNS1_3gpuE2ELNS1_3repE0EEENS1_30default_config_static_selectorELNS0_4arch9wavefront6targetE0EEEvT1_ ; -- Begin function _ZN7rocprim17ROCPRIM_400000_NS6detail17trampoline_kernelINS0_14default_configENS1_25partition_config_selectorILNS1_17partition_subalgoE9EsjbEEZZNS1_14partition_implILS5_9ELb0ES3_jN6thrust23THRUST_200600_302600_NS6detail15normal_iteratorINS9_10device_ptrIsEEEENSB_INSC_IjEEEEPNS0_10empty_typeENS0_5tupleIJSE_SH_EEENSJ_IJSG_SI_EEENS0_18inequality_wrapperINS9_8equal_toIsEEEEPmJSH_EEE10hipError_tPvRmT3_T4_T5_T6_T7_T9_mT8_P12ihipStream_tbDpT10_ENKUlT_T0_E_clISt17integral_constantIbLb0EES1A_EEDaS15_S16_EUlS15_E_NS1_11comp_targetILNS1_3genE8ELNS1_11target_archE1030ELNS1_3gpuE2ELNS1_3repE0EEENS1_30default_config_static_selectorELNS0_4arch9wavefront6targetE0EEEvT1_
	.globl	_ZN7rocprim17ROCPRIM_400000_NS6detail17trampoline_kernelINS0_14default_configENS1_25partition_config_selectorILNS1_17partition_subalgoE9EsjbEEZZNS1_14partition_implILS5_9ELb0ES3_jN6thrust23THRUST_200600_302600_NS6detail15normal_iteratorINS9_10device_ptrIsEEEENSB_INSC_IjEEEEPNS0_10empty_typeENS0_5tupleIJSE_SH_EEENSJ_IJSG_SI_EEENS0_18inequality_wrapperINS9_8equal_toIsEEEEPmJSH_EEE10hipError_tPvRmT3_T4_T5_T6_T7_T9_mT8_P12ihipStream_tbDpT10_ENKUlT_T0_E_clISt17integral_constantIbLb0EES1A_EEDaS15_S16_EUlS15_E_NS1_11comp_targetILNS1_3genE8ELNS1_11target_archE1030ELNS1_3gpuE2ELNS1_3repE0EEENS1_30default_config_static_selectorELNS0_4arch9wavefront6targetE0EEEvT1_
	.p2align	8
	.type	_ZN7rocprim17ROCPRIM_400000_NS6detail17trampoline_kernelINS0_14default_configENS1_25partition_config_selectorILNS1_17partition_subalgoE9EsjbEEZZNS1_14partition_implILS5_9ELb0ES3_jN6thrust23THRUST_200600_302600_NS6detail15normal_iteratorINS9_10device_ptrIsEEEENSB_INSC_IjEEEEPNS0_10empty_typeENS0_5tupleIJSE_SH_EEENSJ_IJSG_SI_EEENS0_18inequality_wrapperINS9_8equal_toIsEEEEPmJSH_EEE10hipError_tPvRmT3_T4_T5_T6_T7_T9_mT8_P12ihipStream_tbDpT10_ENKUlT_T0_E_clISt17integral_constantIbLb0EES1A_EEDaS15_S16_EUlS15_E_NS1_11comp_targetILNS1_3genE8ELNS1_11target_archE1030ELNS1_3gpuE2ELNS1_3repE0EEENS1_30default_config_static_selectorELNS0_4arch9wavefront6targetE0EEEvT1_,@function
_ZN7rocprim17ROCPRIM_400000_NS6detail17trampoline_kernelINS0_14default_configENS1_25partition_config_selectorILNS1_17partition_subalgoE9EsjbEEZZNS1_14partition_implILS5_9ELb0ES3_jN6thrust23THRUST_200600_302600_NS6detail15normal_iteratorINS9_10device_ptrIsEEEENSB_INSC_IjEEEEPNS0_10empty_typeENS0_5tupleIJSE_SH_EEENSJ_IJSG_SI_EEENS0_18inequality_wrapperINS9_8equal_toIsEEEEPmJSH_EEE10hipError_tPvRmT3_T4_T5_T6_T7_T9_mT8_P12ihipStream_tbDpT10_ENKUlT_T0_E_clISt17integral_constantIbLb0EES1A_EEDaS15_S16_EUlS15_E_NS1_11comp_targetILNS1_3genE8ELNS1_11target_archE1030ELNS1_3gpuE2ELNS1_3repE0EEENS1_30default_config_static_selectorELNS0_4arch9wavefront6targetE0EEEvT1_: ; @_ZN7rocprim17ROCPRIM_400000_NS6detail17trampoline_kernelINS0_14default_configENS1_25partition_config_selectorILNS1_17partition_subalgoE9EsjbEEZZNS1_14partition_implILS5_9ELb0ES3_jN6thrust23THRUST_200600_302600_NS6detail15normal_iteratorINS9_10device_ptrIsEEEENSB_INSC_IjEEEEPNS0_10empty_typeENS0_5tupleIJSE_SH_EEENSJ_IJSG_SI_EEENS0_18inequality_wrapperINS9_8equal_toIsEEEEPmJSH_EEE10hipError_tPvRmT3_T4_T5_T6_T7_T9_mT8_P12ihipStream_tbDpT10_ENKUlT_T0_E_clISt17integral_constantIbLb0EES1A_EEDaS15_S16_EUlS15_E_NS1_11comp_targetILNS1_3genE8ELNS1_11target_archE1030ELNS1_3gpuE2ELNS1_3repE0EEENS1_30default_config_static_selectorELNS0_4arch9wavefront6targetE0EEEvT1_
; %bb.0:
	.section	.rodata,"a",@progbits
	.p2align	6, 0x0
	.amdhsa_kernel _ZN7rocprim17ROCPRIM_400000_NS6detail17trampoline_kernelINS0_14default_configENS1_25partition_config_selectorILNS1_17partition_subalgoE9EsjbEEZZNS1_14partition_implILS5_9ELb0ES3_jN6thrust23THRUST_200600_302600_NS6detail15normal_iteratorINS9_10device_ptrIsEEEENSB_INSC_IjEEEEPNS0_10empty_typeENS0_5tupleIJSE_SH_EEENSJ_IJSG_SI_EEENS0_18inequality_wrapperINS9_8equal_toIsEEEEPmJSH_EEE10hipError_tPvRmT3_T4_T5_T6_T7_T9_mT8_P12ihipStream_tbDpT10_ENKUlT_T0_E_clISt17integral_constantIbLb0EES1A_EEDaS15_S16_EUlS15_E_NS1_11comp_targetILNS1_3genE8ELNS1_11target_archE1030ELNS1_3gpuE2ELNS1_3repE0EEENS1_30default_config_static_selectorELNS0_4arch9wavefront6targetE0EEEvT1_
		.amdhsa_group_segment_fixed_size 0
		.amdhsa_private_segment_fixed_size 0
		.amdhsa_kernarg_size 112
		.amdhsa_user_sgpr_count 15
		.amdhsa_user_sgpr_dispatch_ptr 0
		.amdhsa_user_sgpr_queue_ptr 0
		.amdhsa_user_sgpr_kernarg_segment_ptr 1
		.amdhsa_user_sgpr_dispatch_id 0
		.amdhsa_user_sgpr_private_segment_size 0
		.amdhsa_wavefront_size32 1
		.amdhsa_uses_dynamic_stack 0
		.amdhsa_enable_private_segment 0
		.amdhsa_system_sgpr_workgroup_id_x 1
		.amdhsa_system_sgpr_workgroup_id_y 0
		.amdhsa_system_sgpr_workgroup_id_z 0
		.amdhsa_system_sgpr_workgroup_info 0
		.amdhsa_system_vgpr_workitem_id 0
		.amdhsa_next_free_vgpr 1
		.amdhsa_next_free_sgpr 1
		.amdhsa_reserve_vcc 0
		.amdhsa_float_round_mode_32 0
		.amdhsa_float_round_mode_16_64 0
		.amdhsa_float_denorm_mode_32 3
		.amdhsa_float_denorm_mode_16_64 3
		.amdhsa_dx10_clamp 1
		.amdhsa_ieee_mode 1
		.amdhsa_fp16_overflow 0
		.amdhsa_workgroup_processor_mode 1
		.amdhsa_memory_ordered 1
		.amdhsa_forward_progress 0
		.amdhsa_shared_vgpr_count 0
		.amdhsa_exception_fp_ieee_invalid_op 0
		.amdhsa_exception_fp_denorm_src 0
		.amdhsa_exception_fp_ieee_div_zero 0
		.amdhsa_exception_fp_ieee_overflow 0
		.amdhsa_exception_fp_ieee_underflow 0
		.amdhsa_exception_fp_ieee_inexact 0
		.amdhsa_exception_int_div_zero 0
	.end_amdhsa_kernel
	.section	.text._ZN7rocprim17ROCPRIM_400000_NS6detail17trampoline_kernelINS0_14default_configENS1_25partition_config_selectorILNS1_17partition_subalgoE9EsjbEEZZNS1_14partition_implILS5_9ELb0ES3_jN6thrust23THRUST_200600_302600_NS6detail15normal_iteratorINS9_10device_ptrIsEEEENSB_INSC_IjEEEEPNS0_10empty_typeENS0_5tupleIJSE_SH_EEENSJ_IJSG_SI_EEENS0_18inequality_wrapperINS9_8equal_toIsEEEEPmJSH_EEE10hipError_tPvRmT3_T4_T5_T6_T7_T9_mT8_P12ihipStream_tbDpT10_ENKUlT_T0_E_clISt17integral_constantIbLb0EES1A_EEDaS15_S16_EUlS15_E_NS1_11comp_targetILNS1_3genE8ELNS1_11target_archE1030ELNS1_3gpuE2ELNS1_3repE0EEENS1_30default_config_static_selectorELNS0_4arch9wavefront6targetE0EEEvT1_,"axG",@progbits,_ZN7rocprim17ROCPRIM_400000_NS6detail17trampoline_kernelINS0_14default_configENS1_25partition_config_selectorILNS1_17partition_subalgoE9EsjbEEZZNS1_14partition_implILS5_9ELb0ES3_jN6thrust23THRUST_200600_302600_NS6detail15normal_iteratorINS9_10device_ptrIsEEEENSB_INSC_IjEEEEPNS0_10empty_typeENS0_5tupleIJSE_SH_EEENSJ_IJSG_SI_EEENS0_18inequality_wrapperINS9_8equal_toIsEEEEPmJSH_EEE10hipError_tPvRmT3_T4_T5_T6_T7_T9_mT8_P12ihipStream_tbDpT10_ENKUlT_T0_E_clISt17integral_constantIbLb0EES1A_EEDaS15_S16_EUlS15_E_NS1_11comp_targetILNS1_3genE8ELNS1_11target_archE1030ELNS1_3gpuE2ELNS1_3repE0EEENS1_30default_config_static_selectorELNS0_4arch9wavefront6targetE0EEEvT1_,comdat
.Lfunc_end668:
	.size	_ZN7rocprim17ROCPRIM_400000_NS6detail17trampoline_kernelINS0_14default_configENS1_25partition_config_selectorILNS1_17partition_subalgoE9EsjbEEZZNS1_14partition_implILS5_9ELb0ES3_jN6thrust23THRUST_200600_302600_NS6detail15normal_iteratorINS9_10device_ptrIsEEEENSB_INSC_IjEEEEPNS0_10empty_typeENS0_5tupleIJSE_SH_EEENSJ_IJSG_SI_EEENS0_18inequality_wrapperINS9_8equal_toIsEEEEPmJSH_EEE10hipError_tPvRmT3_T4_T5_T6_T7_T9_mT8_P12ihipStream_tbDpT10_ENKUlT_T0_E_clISt17integral_constantIbLb0EES1A_EEDaS15_S16_EUlS15_E_NS1_11comp_targetILNS1_3genE8ELNS1_11target_archE1030ELNS1_3gpuE2ELNS1_3repE0EEENS1_30default_config_static_selectorELNS0_4arch9wavefront6targetE0EEEvT1_, .Lfunc_end668-_ZN7rocprim17ROCPRIM_400000_NS6detail17trampoline_kernelINS0_14default_configENS1_25partition_config_selectorILNS1_17partition_subalgoE9EsjbEEZZNS1_14partition_implILS5_9ELb0ES3_jN6thrust23THRUST_200600_302600_NS6detail15normal_iteratorINS9_10device_ptrIsEEEENSB_INSC_IjEEEEPNS0_10empty_typeENS0_5tupleIJSE_SH_EEENSJ_IJSG_SI_EEENS0_18inequality_wrapperINS9_8equal_toIsEEEEPmJSH_EEE10hipError_tPvRmT3_T4_T5_T6_T7_T9_mT8_P12ihipStream_tbDpT10_ENKUlT_T0_E_clISt17integral_constantIbLb0EES1A_EEDaS15_S16_EUlS15_E_NS1_11comp_targetILNS1_3genE8ELNS1_11target_archE1030ELNS1_3gpuE2ELNS1_3repE0EEENS1_30default_config_static_selectorELNS0_4arch9wavefront6targetE0EEEvT1_
                                        ; -- End function
	.section	.AMDGPU.csdata,"",@progbits
; Kernel info:
; codeLenInByte = 0
; NumSgprs: 0
; NumVgprs: 0
; ScratchSize: 0
; MemoryBound: 0
; FloatMode: 240
; IeeeMode: 1
; LDSByteSize: 0 bytes/workgroup (compile time only)
; SGPRBlocks: 0
; VGPRBlocks: 0
; NumSGPRsForWavesPerEU: 1
; NumVGPRsForWavesPerEU: 1
; Occupancy: 16
; WaveLimiterHint : 0
; COMPUTE_PGM_RSRC2:SCRATCH_EN: 0
; COMPUTE_PGM_RSRC2:USER_SGPR: 15
; COMPUTE_PGM_RSRC2:TRAP_HANDLER: 0
; COMPUTE_PGM_RSRC2:TGID_X_EN: 1
; COMPUTE_PGM_RSRC2:TGID_Y_EN: 0
; COMPUTE_PGM_RSRC2:TGID_Z_EN: 0
; COMPUTE_PGM_RSRC2:TIDIG_COMP_CNT: 0
	.section	.text._ZN7rocprim17ROCPRIM_400000_NS6detail17trampoline_kernelINS0_14default_configENS1_25partition_config_selectorILNS1_17partition_subalgoE9EsjbEEZZNS1_14partition_implILS5_9ELb0ES3_jN6thrust23THRUST_200600_302600_NS6detail15normal_iteratorINS9_10device_ptrIsEEEENSB_INSC_IjEEEEPNS0_10empty_typeENS0_5tupleIJSE_SH_EEENSJ_IJSG_SI_EEENS0_18inequality_wrapperINS9_8equal_toIsEEEEPmJSH_EEE10hipError_tPvRmT3_T4_T5_T6_T7_T9_mT8_P12ihipStream_tbDpT10_ENKUlT_T0_E_clISt17integral_constantIbLb1EES1A_EEDaS15_S16_EUlS15_E_NS1_11comp_targetILNS1_3genE0ELNS1_11target_archE4294967295ELNS1_3gpuE0ELNS1_3repE0EEENS1_30default_config_static_selectorELNS0_4arch9wavefront6targetE0EEEvT1_,"axG",@progbits,_ZN7rocprim17ROCPRIM_400000_NS6detail17trampoline_kernelINS0_14default_configENS1_25partition_config_selectorILNS1_17partition_subalgoE9EsjbEEZZNS1_14partition_implILS5_9ELb0ES3_jN6thrust23THRUST_200600_302600_NS6detail15normal_iteratorINS9_10device_ptrIsEEEENSB_INSC_IjEEEEPNS0_10empty_typeENS0_5tupleIJSE_SH_EEENSJ_IJSG_SI_EEENS0_18inequality_wrapperINS9_8equal_toIsEEEEPmJSH_EEE10hipError_tPvRmT3_T4_T5_T6_T7_T9_mT8_P12ihipStream_tbDpT10_ENKUlT_T0_E_clISt17integral_constantIbLb1EES1A_EEDaS15_S16_EUlS15_E_NS1_11comp_targetILNS1_3genE0ELNS1_11target_archE4294967295ELNS1_3gpuE0ELNS1_3repE0EEENS1_30default_config_static_selectorELNS0_4arch9wavefront6targetE0EEEvT1_,comdat
	.protected	_ZN7rocprim17ROCPRIM_400000_NS6detail17trampoline_kernelINS0_14default_configENS1_25partition_config_selectorILNS1_17partition_subalgoE9EsjbEEZZNS1_14partition_implILS5_9ELb0ES3_jN6thrust23THRUST_200600_302600_NS6detail15normal_iteratorINS9_10device_ptrIsEEEENSB_INSC_IjEEEEPNS0_10empty_typeENS0_5tupleIJSE_SH_EEENSJ_IJSG_SI_EEENS0_18inequality_wrapperINS9_8equal_toIsEEEEPmJSH_EEE10hipError_tPvRmT3_T4_T5_T6_T7_T9_mT8_P12ihipStream_tbDpT10_ENKUlT_T0_E_clISt17integral_constantIbLb1EES1A_EEDaS15_S16_EUlS15_E_NS1_11comp_targetILNS1_3genE0ELNS1_11target_archE4294967295ELNS1_3gpuE0ELNS1_3repE0EEENS1_30default_config_static_selectorELNS0_4arch9wavefront6targetE0EEEvT1_ ; -- Begin function _ZN7rocprim17ROCPRIM_400000_NS6detail17trampoline_kernelINS0_14default_configENS1_25partition_config_selectorILNS1_17partition_subalgoE9EsjbEEZZNS1_14partition_implILS5_9ELb0ES3_jN6thrust23THRUST_200600_302600_NS6detail15normal_iteratorINS9_10device_ptrIsEEEENSB_INSC_IjEEEEPNS0_10empty_typeENS0_5tupleIJSE_SH_EEENSJ_IJSG_SI_EEENS0_18inequality_wrapperINS9_8equal_toIsEEEEPmJSH_EEE10hipError_tPvRmT3_T4_T5_T6_T7_T9_mT8_P12ihipStream_tbDpT10_ENKUlT_T0_E_clISt17integral_constantIbLb1EES1A_EEDaS15_S16_EUlS15_E_NS1_11comp_targetILNS1_3genE0ELNS1_11target_archE4294967295ELNS1_3gpuE0ELNS1_3repE0EEENS1_30default_config_static_selectorELNS0_4arch9wavefront6targetE0EEEvT1_
	.globl	_ZN7rocprim17ROCPRIM_400000_NS6detail17trampoline_kernelINS0_14default_configENS1_25partition_config_selectorILNS1_17partition_subalgoE9EsjbEEZZNS1_14partition_implILS5_9ELb0ES3_jN6thrust23THRUST_200600_302600_NS6detail15normal_iteratorINS9_10device_ptrIsEEEENSB_INSC_IjEEEEPNS0_10empty_typeENS0_5tupleIJSE_SH_EEENSJ_IJSG_SI_EEENS0_18inequality_wrapperINS9_8equal_toIsEEEEPmJSH_EEE10hipError_tPvRmT3_T4_T5_T6_T7_T9_mT8_P12ihipStream_tbDpT10_ENKUlT_T0_E_clISt17integral_constantIbLb1EES1A_EEDaS15_S16_EUlS15_E_NS1_11comp_targetILNS1_3genE0ELNS1_11target_archE4294967295ELNS1_3gpuE0ELNS1_3repE0EEENS1_30default_config_static_selectorELNS0_4arch9wavefront6targetE0EEEvT1_
	.p2align	8
	.type	_ZN7rocprim17ROCPRIM_400000_NS6detail17trampoline_kernelINS0_14default_configENS1_25partition_config_selectorILNS1_17partition_subalgoE9EsjbEEZZNS1_14partition_implILS5_9ELb0ES3_jN6thrust23THRUST_200600_302600_NS6detail15normal_iteratorINS9_10device_ptrIsEEEENSB_INSC_IjEEEEPNS0_10empty_typeENS0_5tupleIJSE_SH_EEENSJ_IJSG_SI_EEENS0_18inequality_wrapperINS9_8equal_toIsEEEEPmJSH_EEE10hipError_tPvRmT3_T4_T5_T6_T7_T9_mT8_P12ihipStream_tbDpT10_ENKUlT_T0_E_clISt17integral_constantIbLb1EES1A_EEDaS15_S16_EUlS15_E_NS1_11comp_targetILNS1_3genE0ELNS1_11target_archE4294967295ELNS1_3gpuE0ELNS1_3repE0EEENS1_30default_config_static_selectorELNS0_4arch9wavefront6targetE0EEEvT1_,@function
_ZN7rocprim17ROCPRIM_400000_NS6detail17trampoline_kernelINS0_14default_configENS1_25partition_config_selectorILNS1_17partition_subalgoE9EsjbEEZZNS1_14partition_implILS5_9ELb0ES3_jN6thrust23THRUST_200600_302600_NS6detail15normal_iteratorINS9_10device_ptrIsEEEENSB_INSC_IjEEEEPNS0_10empty_typeENS0_5tupleIJSE_SH_EEENSJ_IJSG_SI_EEENS0_18inequality_wrapperINS9_8equal_toIsEEEEPmJSH_EEE10hipError_tPvRmT3_T4_T5_T6_T7_T9_mT8_P12ihipStream_tbDpT10_ENKUlT_T0_E_clISt17integral_constantIbLb1EES1A_EEDaS15_S16_EUlS15_E_NS1_11comp_targetILNS1_3genE0ELNS1_11target_archE4294967295ELNS1_3gpuE0ELNS1_3repE0EEENS1_30default_config_static_selectorELNS0_4arch9wavefront6targetE0EEEvT1_: ; @_ZN7rocprim17ROCPRIM_400000_NS6detail17trampoline_kernelINS0_14default_configENS1_25partition_config_selectorILNS1_17partition_subalgoE9EsjbEEZZNS1_14partition_implILS5_9ELb0ES3_jN6thrust23THRUST_200600_302600_NS6detail15normal_iteratorINS9_10device_ptrIsEEEENSB_INSC_IjEEEEPNS0_10empty_typeENS0_5tupleIJSE_SH_EEENSJ_IJSG_SI_EEENS0_18inequality_wrapperINS9_8equal_toIsEEEEPmJSH_EEE10hipError_tPvRmT3_T4_T5_T6_T7_T9_mT8_P12ihipStream_tbDpT10_ENKUlT_T0_E_clISt17integral_constantIbLb1EES1A_EEDaS15_S16_EUlS15_E_NS1_11comp_targetILNS1_3genE0ELNS1_11target_archE4294967295ELNS1_3gpuE0ELNS1_3repE0EEENS1_30default_config_static_selectorELNS0_4arch9wavefront6targetE0EEEvT1_
; %bb.0:
	.section	.rodata,"a",@progbits
	.p2align	6, 0x0
	.amdhsa_kernel _ZN7rocprim17ROCPRIM_400000_NS6detail17trampoline_kernelINS0_14default_configENS1_25partition_config_selectorILNS1_17partition_subalgoE9EsjbEEZZNS1_14partition_implILS5_9ELb0ES3_jN6thrust23THRUST_200600_302600_NS6detail15normal_iteratorINS9_10device_ptrIsEEEENSB_INSC_IjEEEEPNS0_10empty_typeENS0_5tupleIJSE_SH_EEENSJ_IJSG_SI_EEENS0_18inequality_wrapperINS9_8equal_toIsEEEEPmJSH_EEE10hipError_tPvRmT3_T4_T5_T6_T7_T9_mT8_P12ihipStream_tbDpT10_ENKUlT_T0_E_clISt17integral_constantIbLb1EES1A_EEDaS15_S16_EUlS15_E_NS1_11comp_targetILNS1_3genE0ELNS1_11target_archE4294967295ELNS1_3gpuE0ELNS1_3repE0EEENS1_30default_config_static_selectorELNS0_4arch9wavefront6targetE0EEEvT1_
		.amdhsa_group_segment_fixed_size 0
		.amdhsa_private_segment_fixed_size 0
		.amdhsa_kernarg_size 128
		.amdhsa_user_sgpr_count 15
		.amdhsa_user_sgpr_dispatch_ptr 0
		.amdhsa_user_sgpr_queue_ptr 0
		.amdhsa_user_sgpr_kernarg_segment_ptr 1
		.amdhsa_user_sgpr_dispatch_id 0
		.amdhsa_user_sgpr_private_segment_size 0
		.amdhsa_wavefront_size32 1
		.amdhsa_uses_dynamic_stack 0
		.amdhsa_enable_private_segment 0
		.amdhsa_system_sgpr_workgroup_id_x 1
		.amdhsa_system_sgpr_workgroup_id_y 0
		.amdhsa_system_sgpr_workgroup_id_z 0
		.amdhsa_system_sgpr_workgroup_info 0
		.amdhsa_system_vgpr_workitem_id 0
		.amdhsa_next_free_vgpr 1
		.amdhsa_next_free_sgpr 1
		.amdhsa_reserve_vcc 0
		.amdhsa_float_round_mode_32 0
		.amdhsa_float_round_mode_16_64 0
		.amdhsa_float_denorm_mode_32 3
		.amdhsa_float_denorm_mode_16_64 3
		.amdhsa_dx10_clamp 1
		.amdhsa_ieee_mode 1
		.amdhsa_fp16_overflow 0
		.amdhsa_workgroup_processor_mode 1
		.amdhsa_memory_ordered 1
		.amdhsa_forward_progress 0
		.amdhsa_shared_vgpr_count 0
		.amdhsa_exception_fp_ieee_invalid_op 0
		.amdhsa_exception_fp_denorm_src 0
		.amdhsa_exception_fp_ieee_div_zero 0
		.amdhsa_exception_fp_ieee_overflow 0
		.amdhsa_exception_fp_ieee_underflow 0
		.amdhsa_exception_fp_ieee_inexact 0
		.amdhsa_exception_int_div_zero 0
	.end_amdhsa_kernel
	.section	.text._ZN7rocprim17ROCPRIM_400000_NS6detail17trampoline_kernelINS0_14default_configENS1_25partition_config_selectorILNS1_17partition_subalgoE9EsjbEEZZNS1_14partition_implILS5_9ELb0ES3_jN6thrust23THRUST_200600_302600_NS6detail15normal_iteratorINS9_10device_ptrIsEEEENSB_INSC_IjEEEEPNS0_10empty_typeENS0_5tupleIJSE_SH_EEENSJ_IJSG_SI_EEENS0_18inequality_wrapperINS9_8equal_toIsEEEEPmJSH_EEE10hipError_tPvRmT3_T4_T5_T6_T7_T9_mT8_P12ihipStream_tbDpT10_ENKUlT_T0_E_clISt17integral_constantIbLb1EES1A_EEDaS15_S16_EUlS15_E_NS1_11comp_targetILNS1_3genE0ELNS1_11target_archE4294967295ELNS1_3gpuE0ELNS1_3repE0EEENS1_30default_config_static_selectorELNS0_4arch9wavefront6targetE0EEEvT1_,"axG",@progbits,_ZN7rocprim17ROCPRIM_400000_NS6detail17trampoline_kernelINS0_14default_configENS1_25partition_config_selectorILNS1_17partition_subalgoE9EsjbEEZZNS1_14partition_implILS5_9ELb0ES3_jN6thrust23THRUST_200600_302600_NS6detail15normal_iteratorINS9_10device_ptrIsEEEENSB_INSC_IjEEEEPNS0_10empty_typeENS0_5tupleIJSE_SH_EEENSJ_IJSG_SI_EEENS0_18inequality_wrapperINS9_8equal_toIsEEEEPmJSH_EEE10hipError_tPvRmT3_T4_T5_T6_T7_T9_mT8_P12ihipStream_tbDpT10_ENKUlT_T0_E_clISt17integral_constantIbLb1EES1A_EEDaS15_S16_EUlS15_E_NS1_11comp_targetILNS1_3genE0ELNS1_11target_archE4294967295ELNS1_3gpuE0ELNS1_3repE0EEENS1_30default_config_static_selectorELNS0_4arch9wavefront6targetE0EEEvT1_,comdat
.Lfunc_end669:
	.size	_ZN7rocprim17ROCPRIM_400000_NS6detail17trampoline_kernelINS0_14default_configENS1_25partition_config_selectorILNS1_17partition_subalgoE9EsjbEEZZNS1_14partition_implILS5_9ELb0ES3_jN6thrust23THRUST_200600_302600_NS6detail15normal_iteratorINS9_10device_ptrIsEEEENSB_INSC_IjEEEEPNS0_10empty_typeENS0_5tupleIJSE_SH_EEENSJ_IJSG_SI_EEENS0_18inequality_wrapperINS9_8equal_toIsEEEEPmJSH_EEE10hipError_tPvRmT3_T4_T5_T6_T7_T9_mT8_P12ihipStream_tbDpT10_ENKUlT_T0_E_clISt17integral_constantIbLb1EES1A_EEDaS15_S16_EUlS15_E_NS1_11comp_targetILNS1_3genE0ELNS1_11target_archE4294967295ELNS1_3gpuE0ELNS1_3repE0EEENS1_30default_config_static_selectorELNS0_4arch9wavefront6targetE0EEEvT1_, .Lfunc_end669-_ZN7rocprim17ROCPRIM_400000_NS6detail17trampoline_kernelINS0_14default_configENS1_25partition_config_selectorILNS1_17partition_subalgoE9EsjbEEZZNS1_14partition_implILS5_9ELb0ES3_jN6thrust23THRUST_200600_302600_NS6detail15normal_iteratorINS9_10device_ptrIsEEEENSB_INSC_IjEEEEPNS0_10empty_typeENS0_5tupleIJSE_SH_EEENSJ_IJSG_SI_EEENS0_18inequality_wrapperINS9_8equal_toIsEEEEPmJSH_EEE10hipError_tPvRmT3_T4_T5_T6_T7_T9_mT8_P12ihipStream_tbDpT10_ENKUlT_T0_E_clISt17integral_constantIbLb1EES1A_EEDaS15_S16_EUlS15_E_NS1_11comp_targetILNS1_3genE0ELNS1_11target_archE4294967295ELNS1_3gpuE0ELNS1_3repE0EEENS1_30default_config_static_selectorELNS0_4arch9wavefront6targetE0EEEvT1_
                                        ; -- End function
	.section	.AMDGPU.csdata,"",@progbits
; Kernel info:
; codeLenInByte = 0
; NumSgprs: 0
; NumVgprs: 0
; ScratchSize: 0
; MemoryBound: 0
; FloatMode: 240
; IeeeMode: 1
; LDSByteSize: 0 bytes/workgroup (compile time only)
; SGPRBlocks: 0
; VGPRBlocks: 0
; NumSGPRsForWavesPerEU: 1
; NumVGPRsForWavesPerEU: 1
; Occupancy: 16
; WaveLimiterHint : 0
; COMPUTE_PGM_RSRC2:SCRATCH_EN: 0
; COMPUTE_PGM_RSRC2:USER_SGPR: 15
; COMPUTE_PGM_RSRC2:TRAP_HANDLER: 0
; COMPUTE_PGM_RSRC2:TGID_X_EN: 1
; COMPUTE_PGM_RSRC2:TGID_Y_EN: 0
; COMPUTE_PGM_RSRC2:TGID_Z_EN: 0
; COMPUTE_PGM_RSRC2:TIDIG_COMP_CNT: 0
	.section	.text._ZN7rocprim17ROCPRIM_400000_NS6detail17trampoline_kernelINS0_14default_configENS1_25partition_config_selectorILNS1_17partition_subalgoE9EsjbEEZZNS1_14partition_implILS5_9ELb0ES3_jN6thrust23THRUST_200600_302600_NS6detail15normal_iteratorINS9_10device_ptrIsEEEENSB_INSC_IjEEEEPNS0_10empty_typeENS0_5tupleIJSE_SH_EEENSJ_IJSG_SI_EEENS0_18inequality_wrapperINS9_8equal_toIsEEEEPmJSH_EEE10hipError_tPvRmT3_T4_T5_T6_T7_T9_mT8_P12ihipStream_tbDpT10_ENKUlT_T0_E_clISt17integral_constantIbLb1EES1A_EEDaS15_S16_EUlS15_E_NS1_11comp_targetILNS1_3genE5ELNS1_11target_archE942ELNS1_3gpuE9ELNS1_3repE0EEENS1_30default_config_static_selectorELNS0_4arch9wavefront6targetE0EEEvT1_,"axG",@progbits,_ZN7rocprim17ROCPRIM_400000_NS6detail17trampoline_kernelINS0_14default_configENS1_25partition_config_selectorILNS1_17partition_subalgoE9EsjbEEZZNS1_14partition_implILS5_9ELb0ES3_jN6thrust23THRUST_200600_302600_NS6detail15normal_iteratorINS9_10device_ptrIsEEEENSB_INSC_IjEEEEPNS0_10empty_typeENS0_5tupleIJSE_SH_EEENSJ_IJSG_SI_EEENS0_18inequality_wrapperINS9_8equal_toIsEEEEPmJSH_EEE10hipError_tPvRmT3_T4_T5_T6_T7_T9_mT8_P12ihipStream_tbDpT10_ENKUlT_T0_E_clISt17integral_constantIbLb1EES1A_EEDaS15_S16_EUlS15_E_NS1_11comp_targetILNS1_3genE5ELNS1_11target_archE942ELNS1_3gpuE9ELNS1_3repE0EEENS1_30default_config_static_selectorELNS0_4arch9wavefront6targetE0EEEvT1_,comdat
	.protected	_ZN7rocprim17ROCPRIM_400000_NS6detail17trampoline_kernelINS0_14default_configENS1_25partition_config_selectorILNS1_17partition_subalgoE9EsjbEEZZNS1_14partition_implILS5_9ELb0ES3_jN6thrust23THRUST_200600_302600_NS6detail15normal_iteratorINS9_10device_ptrIsEEEENSB_INSC_IjEEEEPNS0_10empty_typeENS0_5tupleIJSE_SH_EEENSJ_IJSG_SI_EEENS0_18inequality_wrapperINS9_8equal_toIsEEEEPmJSH_EEE10hipError_tPvRmT3_T4_T5_T6_T7_T9_mT8_P12ihipStream_tbDpT10_ENKUlT_T0_E_clISt17integral_constantIbLb1EES1A_EEDaS15_S16_EUlS15_E_NS1_11comp_targetILNS1_3genE5ELNS1_11target_archE942ELNS1_3gpuE9ELNS1_3repE0EEENS1_30default_config_static_selectorELNS0_4arch9wavefront6targetE0EEEvT1_ ; -- Begin function _ZN7rocprim17ROCPRIM_400000_NS6detail17trampoline_kernelINS0_14default_configENS1_25partition_config_selectorILNS1_17partition_subalgoE9EsjbEEZZNS1_14partition_implILS5_9ELb0ES3_jN6thrust23THRUST_200600_302600_NS6detail15normal_iteratorINS9_10device_ptrIsEEEENSB_INSC_IjEEEEPNS0_10empty_typeENS0_5tupleIJSE_SH_EEENSJ_IJSG_SI_EEENS0_18inequality_wrapperINS9_8equal_toIsEEEEPmJSH_EEE10hipError_tPvRmT3_T4_T5_T6_T7_T9_mT8_P12ihipStream_tbDpT10_ENKUlT_T0_E_clISt17integral_constantIbLb1EES1A_EEDaS15_S16_EUlS15_E_NS1_11comp_targetILNS1_3genE5ELNS1_11target_archE942ELNS1_3gpuE9ELNS1_3repE0EEENS1_30default_config_static_selectorELNS0_4arch9wavefront6targetE0EEEvT1_
	.globl	_ZN7rocprim17ROCPRIM_400000_NS6detail17trampoline_kernelINS0_14default_configENS1_25partition_config_selectorILNS1_17partition_subalgoE9EsjbEEZZNS1_14partition_implILS5_9ELb0ES3_jN6thrust23THRUST_200600_302600_NS6detail15normal_iteratorINS9_10device_ptrIsEEEENSB_INSC_IjEEEEPNS0_10empty_typeENS0_5tupleIJSE_SH_EEENSJ_IJSG_SI_EEENS0_18inequality_wrapperINS9_8equal_toIsEEEEPmJSH_EEE10hipError_tPvRmT3_T4_T5_T6_T7_T9_mT8_P12ihipStream_tbDpT10_ENKUlT_T0_E_clISt17integral_constantIbLb1EES1A_EEDaS15_S16_EUlS15_E_NS1_11comp_targetILNS1_3genE5ELNS1_11target_archE942ELNS1_3gpuE9ELNS1_3repE0EEENS1_30default_config_static_selectorELNS0_4arch9wavefront6targetE0EEEvT1_
	.p2align	8
	.type	_ZN7rocprim17ROCPRIM_400000_NS6detail17trampoline_kernelINS0_14default_configENS1_25partition_config_selectorILNS1_17partition_subalgoE9EsjbEEZZNS1_14partition_implILS5_9ELb0ES3_jN6thrust23THRUST_200600_302600_NS6detail15normal_iteratorINS9_10device_ptrIsEEEENSB_INSC_IjEEEEPNS0_10empty_typeENS0_5tupleIJSE_SH_EEENSJ_IJSG_SI_EEENS0_18inequality_wrapperINS9_8equal_toIsEEEEPmJSH_EEE10hipError_tPvRmT3_T4_T5_T6_T7_T9_mT8_P12ihipStream_tbDpT10_ENKUlT_T0_E_clISt17integral_constantIbLb1EES1A_EEDaS15_S16_EUlS15_E_NS1_11comp_targetILNS1_3genE5ELNS1_11target_archE942ELNS1_3gpuE9ELNS1_3repE0EEENS1_30default_config_static_selectorELNS0_4arch9wavefront6targetE0EEEvT1_,@function
_ZN7rocprim17ROCPRIM_400000_NS6detail17trampoline_kernelINS0_14default_configENS1_25partition_config_selectorILNS1_17partition_subalgoE9EsjbEEZZNS1_14partition_implILS5_9ELb0ES3_jN6thrust23THRUST_200600_302600_NS6detail15normal_iteratorINS9_10device_ptrIsEEEENSB_INSC_IjEEEEPNS0_10empty_typeENS0_5tupleIJSE_SH_EEENSJ_IJSG_SI_EEENS0_18inequality_wrapperINS9_8equal_toIsEEEEPmJSH_EEE10hipError_tPvRmT3_T4_T5_T6_T7_T9_mT8_P12ihipStream_tbDpT10_ENKUlT_T0_E_clISt17integral_constantIbLb1EES1A_EEDaS15_S16_EUlS15_E_NS1_11comp_targetILNS1_3genE5ELNS1_11target_archE942ELNS1_3gpuE9ELNS1_3repE0EEENS1_30default_config_static_selectorELNS0_4arch9wavefront6targetE0EEEvT1_: ; @_ZN7rocprim17ROCPRIM_400000_NS6detail17trampoline_kernelINS0_14default_configENS1_25partition_config_selectorILNS1_17partition_subalgoE9EsjbEEZZNS1_14partition_implILS5_9ELb0ES3_jN6thrust23THRUST_200600_302600_NS6detail15normal_iteratorINS9_10device_ptrIsEEEENSB_INSC_IjEEEEPNS0_10empty_typeENS0_5tupleIJSE_SH_EEENSJ_IJSG_SI_EEENS0_18inequality_wrapperINS9_8equal_toIsEEEEPmJSH_EEE10hipError_tPvRmT3_T4_T5_T6_T7_T9_mT8_P12ihipStream_tbDpT10_ENKUlT_T0_E_clISt17integral_constantIbLb1EES1A_EEDaS15_S16_EUlS15_E_NS1_11comp_targetILNS1_3genE5ELNS1_11target_archE942ELNS1_3gpuE9ELNS1_3repE0EEENS1_30default_config_static_selectorELNS0_4arch9wavefront6targetE0EEEvT1_
; %bb.0:
	.section	.rodata,"a",@progbits
	.p2align	6, 0x0
	.amdhsa_kernel _ZN7rocprim17ROCPRIM_400000_NS6detail17trampoline_kernelINS0_14default_configENS1_25partition_config_selectorILNS1_17partition_subalgoE9EsjbEEZZNS1_14partition_implILS5_9ELb0ES3_jN6thrust23THRUST_200600_302600_NS6detail15normal_iteratorINS9_10device_ptrIsEEEENSB_INSC_IjEEEEPNS0_10empty_typeENS0_5tupleIJSE_SH_EEENSJ_IJSG_SI_EEENS0_18inequality_wrapperINS9_8equal_toIsEEEEPmJSH_EEE10hipError_tPvRmT3_T4_T5_T6_T7_T9_mT8_P12ihipStream_tbDpT10_ENKUlT_T0_E_clISt17integral_constantIbLb1EES1A_EEDaS15_S16_EUlS15_E_NS1_11comp_targetILNS1_3genE5ELNS1_11target_archE942ELNS1_3gpuE9ELNS1_3repE0EEENS1_30default_config_static_selectorELNS0_4arch9wavefront6targetE0EEEvT1_
		.amdhsa_group_segment_fixed_size 0
		.amdhsa_private_segment_fixed_size 0
		.amdhsa_kernarg_size 128
		.amdhsa_user_sgpr_count 15
		.amdhsa_user_sgpr_dispatch_ptr 0
		.amdhsa_user_sgpr_queue_ptr 0
		.amdhsa_user_sgpr_kernarg_segment_ptr 1
		.amdhsa_user_sgpr_dispatch_id 0
		.amdhsa_user_sgpr_private_segment_size 0
		.amdhsa_wavefront_size32 1
		.amdhsa_uses_dynamic_stack 0
		.amdhsa_enable_private_segment 0
		.amdhsa_system_sgpr_workgroup_id_x 1
		.amdhsa_system_sgpr_workgroup_id_y 0
		.amdhsa_system_sgpr_workgroup_id_z 0
		.amdhsa_system_sgpr_workgroup_info 0
		.amdhsa_system_vgpr_workitem_id 0
		.amdhsa_next_free_vgpr 1
		.amdhsa_next_free_sgpr 1
		.amdhsa_reserve_vcc 0
		.amdhsa_float_round_mode_32 0
		.amdhsa_float_round_mode_16_64 0
		.amdhsa_float_denorm_mode_32 3
		.amdhsa_float_denorm_mode_16_64 3
		.amdhsa_dx10_clamp 1
		.amdhsa_ieee_mode 1
		.amdhsa_fp16_overflow 0
		.amdhsa_workgroup_processor_mode 1
		.amdhsa_memory_ordered 1
		.amdhsa_forward_progress 0
		.amdhsa_shared_vgpr_count 0
		.amdhsa_exception_fp_ieee_invalid_op 0
		.amdhsa_exception_fp_denorm_src 0
		.amdhsa_exception_fp_ieee_div_zero 0
		.amdhsa_exception_fp_ieee_overflow 0
		.amdhsa_exception_fp_ieee_underflow 0
		.amdhsa_exception_fp_ieee_inexact 0
		.amdhsa_exception_int_div_zero 0
	.end_amdhsa_kernel
	.section	.text._ZN7rocprim17ROCPRIM_400000_NS6detail17trampoline_kernelINS0_14default_configENS1_25partition_config_selectorILNS1_17partition_subalgoE9EsjbEEZZNS1_14partition_implILS5_9ELb0ES3_jN6thrust23THRUST_200600_302600_NS6detail15normal_iteratorINS9_10device_ptrIsEEEENSB_INSC_IjEEEEPNS0_10empty_typeENS0_5tupleIJSE_SH_EEENSJ_IJSG_SI_EEENS0_18inequality_wrapperINS9_8equal_toIsEEEEPmJSH_EEE10hipError_tPvRmT3_T4_T5_T6_T7_T9_mT8_P12ihipStream_tbDpT10_ENKUlT_T0_E_clISt17integral_constantIbLb1EES1A_EEDaS15_S16_EUlS15_E_NS1_11comp_targetILNS1_3genE5ELNS1_11target_archE942ELNS1_3gpuE9ELNS1_3repE0EEENS1_30default_config_static_selectorELNS0_4arch9wavefront6targetE0EEEvT1_,"axG",@progbits,_ZN7rocprim17ROCPRIM_400000_NS6detail17trampoline_kernelINS0_14default_configENS1_25partition_config_selectorILNS1_17partition_subalgoE9EsjbEEZZNS1_14partition_implILS5_9ELb0ES3_jN6thrust23THRUST_200600_302600_NS6detail15normal_iteratorINS9_10device_ptrIsEEEENSB_INSC_IjEEEEPNS0_10empty_typeENS0_5tupleIJSE_SH_EEENSJ_IJSG_SI_EEENS0_18inequality_wrapperINS9_8equal_toIsEEEEPmJSH_EEE10hipError_tPvRmT3_T4_T5_T6_T7_T9_mT8_P12ihipStream_tbDpT10_ENKUlT_T0_E_clISt17integral_constantIbLb1EES1A_EEDaS15_S16_EUlS15_E_NS1_11comp_targetILNS1_3genE5ELNS1_11target_archE942ELNS1_3gpuE9ELNS1_3repE0EEENS1_30default_config_static_selectorELNS0_4arch9wavefront6targetE0EEEvT1_,comdat
.Lfunc_end670:
	.size	_ZN7rocprim17ROCPRIM_400000_NS6detail17trampoline_kernelINS0_14default_configENS1_25partition_config_selectorILNS1_17partition_subalgoE9EsjbEEZZNS1_14partition_implILS5_9ELb0ES3_jN6thrust23THRUST_200600_302600_NS6detail15normal_iteratorINS9_10device_ptrIsEEEENSB_INSC_IjEEEEPNS0_10empty_typeENS0_5tupleIJSE_SH_EEENSJ_IJSG_SI_EEENS0_18inequality_wrapperINS9_8equal_toIsEEEEPmJSH_EEE10hipError_tPvRmT3_T4_T5_T6_T7_T9_mT8_P12ihipStream_tbDpT10_ENKUlT_T0_E_clISt17integral_constantIbLb1EES1A_EEDaS15_S16_EUlS15_E_NS1_11comp_targetILNS1_3genE5ELNS1_11target_archE942ELNS1_3gpuE9ELNS1_3repE0EEENS1_30default_config_static_selectorELNS0_4arch9wavefront6targetE0EEEvT1_, .Lfunc_end670-_ZN7rocprim17ROCPRIM_400000_NS6detail17trampoline_kernelINS0_14default_configENS1_25partition_config_selectorILNS1_17partition_subalgoE9EsjbEEZZNS1_14partition_implILS5_9ELb0ES3_jN6thrust23THRUST_200600_302600_NS6detail15normal_iteratorINS9_10device_ptrIsEEEENSB_INSC_IjEEEEPNS0_10empty_typeENS0_5tupleIJSE_SH_EEENSJ_IJSG_SI_EEENS0_18inequality_wrapperINS9_8equal_toIsEEEEPmJSH_EEE10hipError_tPvRmT3_T4_T5_T6_T7_T9_mT8_P12ihipStream_tbDpT10_ENKUlT_T0_E_clISt17integral_constantIbLb1EES1A_EEDaS15_S16_EUlS15_E_NS1_11comp_targetILNS1_3genE5ELNS1_11target_archE942ELNS1_3gpuE9ELNS1_3repE0EEENS1_30default_config_static_selectorELNS0_4arch9wavefront6targetE0EEEvT1_
                                        ; -- End function
	.section	.AMDGPU.csdata,"",@progbits
; Kernel info:
; codeLenInByte = 0
; NumSgprs: 0
; NumVgprs: 0
; ScratchSize: 0
; MemoryBound: 0
; FloatMode: 240
; IeeeMode: 1
; LDSByteSize: 0 bytes/workgroup (compile time only)
; SGPRBlocks: 0
; VGPRBlocks: 0
; NumSGPRsForWavesPerEU: 1
; NumVGPRsForWavesPerEU: 1
; Occupancy: 16
; WaveLimiterHint : 0
; COMPUTE_PGM_RSRC2:SCRATCH_EN: 0
; COMPUTE_PGM_RSRC2:USER_SGPR: 15
; COMPUTE_PGM_RSRC2:TRAP_HANDLER: 0
; COMPUTE_PGM_RSRC2:TGID_X_EN: 1
; COMPUTE_PGM_RSRC2:TGID_Y_EN: 0
; COMPUTE_PGM_RSRC2:TGID_Z_EN: 0
; COMPUTE_PGM_RSRC2:TIDIG_COMP_CNT: 0
	.section	.text._ZN7rocprim17ROCPRIM_400000_NS6detail17trampoline_kernelINS0_14default_configENS1_25partition_config_selectorILNS1_17partition_subalgoE9EsjbEEZZNS1_14partition_implILS5_9ELb0ES3_jN6thrust23THRUST_200600_302600_NS6detail15normal_iteratorINS9_10device_ptrIsEEEENSB_INSC_IjEEEEPNS0_10empty_typeENS0_5tupleIJSE_SH_EEENSJ_IJSG_SI_EEENS0_18inequality_wrapperINS9_8equal_toIsEEEEPmJSH_EEE10hipError_tPvRmT3_T4_T5_T6_T7_T9_mT8_P12ihipStream_tbDpT10_ENKUlT_T0_E_clISt17integral_constantIbLb1EES1A_EEDaS15_S16_EUlS15_E_NS1_11comp_targetILNS1_3genE4ELNS1_11target_archE910ELNS1_3gpuE8ELNS1_3repE0EEENS1_30default_config_static_selectorELNS0_4arch9wavefront6targetE0EEEvT1_,"axG",@progbits,_ZN7rocprim17ROCPRIM_400000_NS6detail17trampoline_kernelINS0_14default_configENS1_25partition_config_selectorILNS1_17partition_subalgoE9EsjbEEZZNS1_14partition_implILS5_9ELb0ES3_jN6thrust23THRUST_200600_302600_NS6detail15normal_iteratorINS9_10device_ptrIsEEEENSB_INSC_IjEEEEPNS0_10empty_typeENS0_5tupleIJSE_SH_EEENSJ_IJSG_SI_EEENS0_18inequality_wrapperINS9_8equal_toIsEEEEPmJSH_EEE10hipError_tPvRmT3_T4_T5_T6_T7_T9_mT8_P12ihipStream_tbDpT10_ENKUlT_T0_E_clISt17integral_constantIbLb1EES1A_EEDaS15_S16_EUlS15_E_NS1_11comp_targetILNS1_3genE4ELNS1_11target_archE910ELNS1_3gpuE8ELNS1_3repE0EEENS1_30default_config_static_selectorELNS0_4arch9wavefront6targetE0EEEvT1_,comdat
	.protected	_ZN7rocprim17ROCPRIM_400000_NS6detail17trampoline_kernelINS0_14default_configENS1_25partition_config_selectorILNS1_17partition_subalgoE9EsjbEEZZNS1_14partition_implILS5_9ELb0ES3_jN6thrust23THRUST_200600_302600_NS6detail15normal_iteratorINS9_10device_ptrIsEEEENSB_INSC_IjEEEEPNS0_10empty_typeENS0_5tupleIJSE_SH_EEENSJ_IJSG_SI_EEENS0_18inequality_wrapperINS9_8equal_toIsEEEEPmJSH_EEE10hipError_tPvRmT3_T4_T5_T6_T7_T9_mT8_P12ihipStream_tbDpT10_ENKUlT_T0_E_clISt17integral_constantIbLb1EES1A_EEDaS15_S16_EUlS15_E_NS1_11comp_targetILNS1_3genE4ELNS1_11target_archE910ELNS1_3gpuE8ELNS1_3repE0EEENS1_30default_config_static_selectorELNS0_4arch9wavefront6targetE0EEEvT1_ ; -- Begin function _ZN7rocprim17ROCPRIM_400000_NS6detail17trampoline_kernelINS0_14default_configENS1_25partition_config_selectorILNS1_17partition_subalgoE9EsjbEEZZNS1_14partition_implILS5_9ELb0ES3_jN6thrust23THRUST_200600_302600_NS6detail15normal_iteratorINS9_10device_ptrIsEEEENSB_INSC_IjEEEEPNS0_10empty_typeENS0_5tupleIJSE_SH_EEENSJ_IJSG_SI_EEENS0_18inequality_wrapperINS9_8equal_toIsEEEEPmJSH_EEE10hipError_tPvRmT3_T4_T5_T6_T7_T9_mT8_P12ihipStream_tbDpT10_ENKUlT_T0_E_clISt17integral_constantIbLb1EES1A_EEDaS15_S16_EUlS15_E_NS1_11comp_targetILNS1_3genE4ELNS1_11target_archE910ELNS1_3gpuE8ELNS1_3repE0EEENS1_30default_config_static_selectorELNS0_4arch9wavefront6targetE0EEEvT1_
	.globl	_ZN7rocprim17ROCPRIM_400000_NS6detail17trampoline_kernelINS0_14default_configENS1_25partition_config_selectorILNS1_17partition_subalgoE9EsjbEEZZNS1_14partition_implILS5_9ELb0ES3_jN6thrust23THRUST_200600_302600_NS6detail15normal_iteratorINS9_10device_ptrIsEEEENSB_INSC_IjEEEEPNS0_10empty_typeENS0_5tupleIJSE_SH_EEENSJ_IJSG_SI_EEENS0_18inequality_wrapperINS9_8equal_toIsEEEEPmJSH_EEE10hipError_tPvRmT3_T4_T5_T6_T7_T9_mT8_P12ihipStream_tbDpT10_ENKUlT_T0_E_clISt17integral_constantIbLb1EES1A_EEDaS15_S16_EUlS15_E_NS1_11comp_targetILNS1_3genE4ELNS1_11target_archE910ELNS1_3gpuE8ELNS1_3repE0EEENS1_30default_config_static_selectorELNS0_4arch9wavefront6targetE0EEEvT1_
	.p2align	8
	.type	_ZN7rocprim17ROCPRIM_400000_NS6detail17trampoline_kernelINS0_14default_configENS1_25partition_config_selectorILNS1_17partition_subalgoE9EsjbEEZZNS1_14partition_implILS5_9ELb0ES3_jN6thrust23THRUST_200600_302600_NS6detail15normal_iteratorINS9_10device_ptrIsEEEENSB_INSC_IjEEEEPNS0_10empty_typeENS0_5tupleIJSE_SH_EEENSJ_IJSG_SI_EEENS0_18inequality_wrapperINS9_8equal_toIsEEEEPmJSH_EEE10hipError_tPvRmT3_T4_T5_T6_T7_T9_mT8_P12ihipStream_tbDpT10_ENKUlT_T0_E_clISt17integral_constantIbLb1EES1A_EEDaS15_S16_EUlS15_E_NS1_11comp_targetILNS1_3genE4ELNS1_11target_archE910ELNS1_3gpuE8ELNS1_3repE0EEENS1_30default_config_static_selectorELNS0_4arch9wavefront6targetE0EEEvT1_,@function
_ZN7rocprim17ROCPRIM_400000_NS6detail17trampoline_kernelINS0_14default_configENS1_25partition_config_selectorILNS1_17partition_subalgoE9EsjbEEZZNS1_14partition_implILS5_9ELb0ES3_jN6thrust23THRUST_200600_302600_NS6detail15normal_iteratorINS9_10device_ptrIsEEEENSB_INSC_IjEEEEPNS0_10empty_typeENS0_5tupleIJSE_SH_EEENSJ_IJSG_SI_EEENS0_18inequality_wrapperINS9_8equal_toIsEEEEPmJSH_EEE10hipError_tPvRmT3_T4_T5_T6_T7_T9_mT8_P12ihipStream_tbDpT10_ENKUlT_T0_E_clISt17integral_constantIbLb1EES1A_EEDaS15_S16_EUlS15_E_NS1_11comp_targetILNS1_3genE4ELNS1_11target_archE910ELNS1_3gpuE8ELNS1_3repE0EEENS1_30default_config_static_selectorELNS0_4arch9wavefront6targetE0EEEvT1_: ; @_ZN7rocprim17ROCPRIM_400000_NS6detail17trampoline_kernelINS0_14default_configENS1_25partition_config_selectorILNS1_17partition_subalgoE9EsjbEEZZNS1_14partition_implILS5_9ELb0ES3_jN6thrust23THRUST_200600_302600_NS6detail15normal_iteratorINS9_10device_ptrIsEEEENSB_INSC_IjEEEEPNS0_10empty_typeENS0_5tupleIJSE_SH_EEENSJ_IJSG_SI_EEENS0_18inequality_wrapperINS9_8equal_toIsEEEEPmJSH_EEE10hipError_tPvRmT3_T4_T5_T6_T7_T9_mT8_P12ihipStream_tbDpT10_ENKUlT_T0_E_clISt17integral_constantIbLb1EES1A_EEDaS15_S16_EUlS15_E_NS1_11comp_targetILNS1_3genE4ELNS1_11target_archE910ELNS1_3gpuE8ELNS1_3repE0EEENS1_30default_config_static_selectorELNS0_4arch9wavefront6targetE0EEEvT1_
; %bb.0:
	.section	.rodata,"a",@progbits
	.p2align	6, 0x0
	.amdhsa_kernel _ZN7rocprim17ROCPRIM_400000_NS6detail17trampoline_kernelINS0_14default_configENS1_25partition_config_selectorILNS1_17partition_subalgoE9EsjbEEZZNS1_14partition_implILS5_9ELb0ES3_jN6thrust23THRUST_200600_302600_NS6detail15normal_iteratorINS9_10device_ptrIsEEEENSB_INSC_IjEEEEPNS0_10empty_typeENS0_5tupleIJSE_SH_EEENSJ_IJSG_SI_EEENS0_18inequality_wrapperINS9_8equal_toIsEEEEPmJSH_EEE10hipError_tPvRmT3_T4_T5_T6_T7_T9_mT8_P12ihipStream_tbDpT10_ENKUlT_T0_E_clISt17integral_constantIbLb1EES1A_EEDaS15_S16_EUlS15_E_NS1_11comp_targetILNS1_3genE4ELNS1_11target_archE910ELNS1_3gpuE8ELNS1_3repE0EEENS1_30default_config_static_selectorELNS0_4arch9wavefront6targetE0EEEvT1_
		.amdhsa_group_segment_fixed_size 0
		.amdhsa_private_segment_fixed_size 0
		.amdhsa_kernarg_size 128
		.amdhsa_user_sgpr_count 15
		.amdhsa_user_sgpr_dispatch_ptr 0
		.amdhsa_user_sgpr_queue_ptr 0
		.amdhsa_user_sgpr_kernarg_segment_ptr 1
		.amdhsa_user_sgpr_dispatch_id 0
		.amdhsa_user_sgpr_private_segment_size 0
		.amdhsa_wavefront_size32 1
		.amdhsa_uses_dynamic_stack 0
		.amdhsa_enable_private_segment 0
		.amdhsa_system_sgpr_workgroup_id_x 1
		.amdhsa_system_sgpr_workgroup_id_y 0
		.amdhsa_system_sgpr_workgroup_id_z 0
		.amdhsa_system_sgpr_workgroup_info 0
		.amdhsa_system_vgpr_workitem_id 0
		.amdhsa_next_free_vgpr 1
		.amdhsa_next_free_sgpr 1
		.amdhsa_reserve_vcc 0
		.amdhsa_float_round_mode_32 0
		.amdhsa_float_round_mode_16_64 0
		.amdhsa_float_denorm_mode_32 3
		.amdhsa_float_denorm_mode_16_64 3
		.amdhsa_dx10_clamp 1
		.amdhsa_ieee_mode 1
		.amdhsa_fp16_overflow 0
		.amdhsa_workgroup_processor_mode 1
		.amdhsa_memory_ordered 1
		.amdhsa_forward_progress 0
		.amdhsa_shared_vgpr_count 0
		.amdhsa_exception_fp_ieee_invalid_op 0
		.amdhsa_exception_fp_denorm_src 0
		.amdhsa_exception_fp_ieee_div_zero 0
		.amdhsa_exception_fp_ieee_overflow 0
		.amdhsa_exception_fp_ieee_underflow 0
		.amdhsa_exception_fp_ieee_inexact 0
		.amdhsa_exception_int_div_zero 0
	.end_amdhsa_kernel
	.section	.text._ZN7rocprim17ROCPRIM_400000_NS6detail17trampoline_kernelINS0_14default_configENS1_25partition_config_selectorILNS1_17partition_subalgoE9EsjbEEZZNS1_14partition_implILS5_9ELb0ES3_jN6thrust23THRUST_200600_302600_NS6detail15normal_iteratorINS9_10device_ptrIsEEEENSB_INSC_IjEEEEPNS0_10empty_typeENS0_5tupleIJSE_SH_EEENSJ_IJSG_SI_EEENS0_18inequality_wrapperINS9_8equal_toIsEEEEPmJSH_EEE10hipError_tPvRmT3_T4_T5_T6_T7_T9_mT8_P12ihipStream_tbDpT10_ENKUlT_T0_E_clISt17integral_constantIbLb1EES1A_EEDaS15_S16_EUlS15_E_NS1_11comp_targetILNS1_3genE4ELNS1_11target_archE910ELNS1_3gpuE8ELNS1_3repE0EEENS1_30default_config_static_selectorELNS0_4arch9wavefront6targetE0EEEvT1_,"axG",@progbits,_ZN7rocprim17ROCPRIM_400000_NS6detail17trampoline_kernelINS0_14default_configENS1_25partition_config_selectorILNS1_17partition_subalgoE9EsjbEEZZNS1_14partition_implILS5_9ELb0ES3_jN6thrust23THRUST_200600_302600_NS6detail15normal_iteratorINS9_10device_ptrIsEEEENSB_INSC_IjEEEEPNS0_10empty_typeENS0_5tupleIJSE_SH_EEENSJ_IJSG_SI_EEENS0_18inequality_wrapperINS9_8equal_toIsEEEEPmJSH_EEE10hipError_tPvRmT3_T4_T5_T6_T7_T9_mT8_P12ihipStream_tbDpT10_ENKUlT_T0_E_clISt17integral_constantIbLb1EES1A_EEDaS15_S16_EUlS15_E_NS1_11comp_targetILNS1_3genE4ELNS1_11target_archE910ELNS1_3gpuE8ELNS1_3repE0EEENS1_30default_config_static_selectorELNS0_4arch9wavefront6targetE0EEEvT1_,comdat
.Lfunc_end671:
	.size	_ZN7rocprim17ROCPRIM_400000_NS6detail17trampoline_kernelINS0_14default_configENS1_25partition_config_selectorILNS1_17partition_subalgoE9EsjbEEZZNS1_14partition_implILS5_9ELb0ES3_jN6thrust23THRUST_200600_302600_NS6detail15normal_iteratorINS9_10device_ptrIsEEEENSB_INSC_IjEEEEPNS0_10empty_typeENS0_5tupleIJSE_SH_EEENSJ_IJSG_SI_EEENS0_18inequality_wrapperINS9_8equal_toIsEEEEPmJSH_EEE10hipError_tPvRmT3_T4_T5_T6_T7_T9_mT8_P12ihipStream_tbDpT10_ENKUlT_T0_E_clISt17integral_constantIbLb1EES1A_EEDaS15_S16_EUlS15_E_NS1_11comp_targetILNS1_3genE4ELNS1_11target_archE910ELNS1_3gpuE8ELNS1_3repE0EEENS1_30default_config_static_selectorELNS0_4arch9wavefront6targetE0EEEvT1_, .Lfunc_end671-_ZN7rocprim17ROCPRIM_400000_NS6detail17trampoline_kernelINS0_14default_configENS1_25partition_config_selectorILNS1_17partition_subalgoE9EsjbEEZZNS1_14partition_implILS5_9ELb0ES3_jN6thrust23THRUST_200600_302600_NS6detail15normal_iteratorINS9_10device_ptrIsEEEENSB_INSC_IjEEEEPNS0_10empty_typeENS0_5tupleIJSE_SH_EEENSJ_IJSG_SI_EEENS0_18inequality_wrapperINS9_8equal_toIsEEEEPmJSH_EEE10hipError_tPvRmT3_T4_T5_T6_T7_T9_mT8_P12ihipStream_tbDpT10_ENKUlT_T0_E_clISt17integral_constantIbLb1EES1A_EEDaS15_S16_EUlS15_E_NS1_11comp_targetILNS1_3genE4ELNS1_11target_archE910ELNS1_3gpuE8ELNS1_3repE0EEENS1_30default_config_static_selectorELNS0_4arch9wavefront6targetE0EEEvT1_
                                        ; -- End function
	.section	.AMDGPU.csdata,"",@progbits
; Kernel info:
; codeLenInByte = 0
; NumSgprs: 0
; NumVgprs: 0
; ScratchSize: 0
; MemoryBound: 0
; FloatMode: 240
; IeeeMode: 1
; LDSByteSize: 0 bytes/workgroup (compile time only)
; SGPRBlocks: 0
; VGPRBlocks: 0
; NumSGPRsForWavesPerEU: 1
; NumVGPRsForWavesPerEU: 1
; Occupancy: 15
; WaveLimiterHint : 0
; COMPUTE_PGM_RSRC2:SCRATCH_EN: 0
; COMPUTE_PGM_RSRC2:USER_SGPR: 15
; COMPUTE_PGM_RSRC2:TRAP_HANDLER: 0
; COMPUTE_PGM_RSRC2:TGID_X_EN: 1
; COMPUTE_PGM_RSRC2:TGID_Y_EN: 0
; COMPUTE_PGM_RSRC2:TGID_Z_EN: 0
; COMPUTE_PGM_RSRC2:TIDIG_COMP_CNT: 0
	.section	.text._ZN7rocprim17ROCPRIM_400000_NS6detail17trampoline_kernelINS0_14default_configENS1_25partition_config_selectorILNS1_17partition_subalgoE9EsjbEEZZNS1_14partition_implILS5_9ELb0ES3_jN6thrust23THRUST_200600_302600_NS6detail15normal_iteratorINS9_10device_ptrIsEEEENSB_INSC_IjEEEEPNS0_10empty_typeENS0_5tupleIJSE_SH_EEENSJ_IJSG_SI_EEENS0_18inequality_wrapperINS9_8equal_toIsEEEEPmJSH_EEE10hipError_tPvRmT3_T4_T5_T6_T7_T9_mT8_P12ihipStream_tbDpT10_ENKUlT_T0_E_clISt17integral_constantIbLb1EES1A_EEDaS15_S16_EUlS15_E_NS1_11comp_targetILNS1_3genE3ELNS1_11target_archE908ELNS1_3gpuE7ELNS1_3repE0EEENS1_30default_config_static_selectorELNS0_4arch9wavefront6targetE0EEEvT1_,"axG",@progbits,_ZN7rocprim17ROCPRIM_400000_NS6detail17trampoline_kernelINS0_14default_configENS1_25partition_config_selectorILNS1_17partition_subalgoE9EsjbEEZZNS1_14partition_implILS5_9ELb0ES3_jN6thrust23THRUST_200600_302600_NS6detail15normal_iteratorINS9_10device_ptrIsEEEENSB_INSC_IjEEEEPNS0_10empty_typeENS0_5tupleIJSE_SH_EEENSJ_IJSG_SI_EEENS0_18inequality_wrapperINS9_8equal_toIsEEEEPmJSH_EEE10hipError_tPvRmT3_T4_T5_T6_T7_T9_mT8_P12ihipStream_tbDpT10_ENKUlT_T0_E_clISt17integral_constantIbLb1EES1A_EEDaS15_S16_EUlS15_E_NS1_11comp_targetILNS1_3genE3ELNS1_11target_archE908ELNS1_3gpuE7ELNS1_3repE0EEENS1_30default_config_static_selectorELNS0_4arch9wavefront6targetE0EEEvT1_,comdat
	.protected	_ZN7rocprim17ROCPRIM_400000_NS6detail17trampoline_kernelINS0_14default_configENS1_25partition_config_selectorILNS1_17partition_subalgoE9EsjbEEZZNS1_14partition_implILS5_9ELb0ES3_jN6thrust23THRUST_200600_302600_NS6detail15normal_iteratorINS9_10device_ptrIsEEEENSB_INSC_IjEEEEPNS0_10empty_typeENS0_5tupleIJSE_SH_EEENSJ_IJSG_SI_EEENS0_18inequality_wrapperINS9_8equal_toIsEEEEPmJSH_EEE10hipError_tPvRmT3_T4_T5_T6_T7_T9_mT8_P12ihipStream_tbDpT10_ENKUlT_T0_E_clISt17integral_constantIbLb1EES1A_EEDaS15_S16_EUlS15_E_NS1_11comp_targetILNS1_3genE3ELNS1_11target_archE908ELNS1_3gpuE7ELNS1_3repE0EEENS1_30default_config_static_selectorELNS0_4arch9wavefront6targetE0EEEvT1_ ; -- Begin function _ZN7rocprim17ROCPRIM_400000_NS6detail17trampoline_kernelINS0_14default_configENS1_25partition_config_selectorILNS1_17partition_subalgoE9EsjbEEZZNS1_14partition_implILS5_9ELb0ES3_jN6thrust23THRUST_200600_302600_NS6detail15normal_iteratorINS9_10device_ptrIsEEEENSB_INSC_IjEEEEPNS0_10empty_typeENS0_5tupleIJSE_SH_EEENSJ_IJSG_SI_EEENS0_18inequality_wrapperINS9_8equal_toIsEEEEPmJSH_EEE10hipError_tPvRmT3_T4_T5_T6_T7_T9_mT8_P12ihipStream_tbDpT10_ENKUlT_T0_E_clISt17integral_constantIbLb1EES1A_EEDaS15_S16_EUlS15_E_NS1_11comp_targetILNS1_3genE3ELNS1_11target_archE908ELNS1_3gpuE7ELNS1_3repE0EEENS1_30default_config_static_selectorELNS0_4arch9wavefront6targetE0EEEvT1_
	.globl	_ZN7rocprim17ROCPRIM_400000_NS6detail17trampoline_kernelINS0_14default_configENS1_25partition_config_selectorILNS1_17partition_subalgoE9EsjbEEZZNS1_14partition_implILS5_9ELb0ES3_jN6thrust23THRUST_200600_302600_NS6detail15normal_iteratorINS9_10device_ptrIsEEEENSB_INSC_IjEEEEPNS0_10empty_typeENS0_5tupleIJSE_SH_EEENSJ_IJSG_SI_EEENS0_18inequality_wrapperINS9_8equal_toIsEEEEPmJSH_EEE10hipError_tPvRmT3_T4_T5_T6_T7_T9_mT8_P12ihipStream_tbDpT10_ENKUlT_T0_E_clISt17integral_constantIbLb1EES1A_EEDaS15_S16_EUlS15_E_NS1_11comp_targetILNS1_3genE3ELNS1_11target_archE908ELNS1_3gpuE7ELNS1_3repE0EEENS1_30default_config_static_selectorELNS0_4arch9wavefront6targetE0EEEvT1_
	.p2align	8
	.type	_ZN7rocprim17ROCPRIM_400000_NS6detail17trampoline_kernelINS0_14default_configENS1_25partition_config_selectorILNS1_17partition_subalgoE9EsjbEEZZNS1_14partition_implILS5_9ELb0ES3_jN6thrust23THRUST_200600_302600_NS6detail15normal_iteratorINS9_10device_ptrIsEEEENSB_INSC_IjEEEEPNS0_10empty_typeENS0_5tupleIJSE_SH_EEENSJ_IJSG_SI_EEENS0_18inequality_wrapperINS9_8equal_toIsEEEEPmJSH_EEE10hipError_tPvRmT3_T4_T5_T6_T7_T9_mT8_P12ihipStream_tbDpT10_ENKUlT_T0_E_clISt17integral_constantIbLb1EES1A_EEDaS15_S16_EUlS15_E_NS1_11comp_targetILNS1_3genE3ELNS1_11target_archE908ELNS1_3gpuE7ELNS1_3repE0EEENS1_30default_config_static_selectorELNS0_4arch9wavefront6targetE0EEEvT1_,@function
_ZN7rocprim17ROCPRIM_400000_NS6detail17trampoline_kernelINS0_14default_configENS1_25partition_config_selectorILNS1_17partition_subalgoE9EsjbEEZZNS1_14partition_implILS5_9ELb0ES3_jN6thrust23THRUST_200600_302600_NS6detail15normal_iteratorINS9_10device_ptrIsEEEENSB_INSC_IjEEEEPNS0_10empty_typeENS0_5tupleIJSE_SH_EEENSJ_IJSG_SI_EEENS0_18inequality_wrapperINS9_8equal_toIsEEEEPmJSH_EEE10hipError_tPvRmT3_T4_T5_T6_T7_T9_mT8_P12ihipStream_tbDpT10_ENKUlT_T0_E_clISt17integral_constantIbLb1EES1A_EEDaS15_S16_EUlS15_E_NS1_11comp_targetILNS1_3genE3ELNS1_11target_archE908ELNS1_3gpuE7ELNS1_3repE0EEENS1_30default_config_static_selectorELNS0_4arch9wavefront6targetE0EEEvT1_: ; @_ZN7rocprim17ROCPRIM_400000_NS6detail17trampoline_kernelINS0_14default_configENS1_25partition_config_selectorILNS1_17partition_subalgoE9EsjbEEZZNS1_14partition_implILS5_9ELb0ES3_jN6thrust23THRUST_200600_302600_NS6detail15normal_iteratorINS9_10device_ptrIsEEEENSB_INSC_IjEEEEPNS0_10empty_typeENS0_5tupleIJSE_SH_EEENSJ_IJSG_SI_EEENS0_18inequality_wrapperINS9_8equal_toIsEEEEPmJSH_EEE10hipError_tPvRmT3_T4_T5_T6_T7_T9_mT8_P12ihipStream_tbDpT10_ENKUlT_T0_E_clISt17integral_constantIbLb1EES1A_EEDaS15_S16_EUlS15_E_NS1_11comp_targetILNS1_3genE3ELNS1_11target_archE908ELNS1_3gpuE7ELNS1_3repE0EEENS1_30default_config_static_selectorELNS0_4arch9wavefront6targetE0EEEvT1_
; %bb.0:
	.section	.rodata,"a",@progbits
	.p2align	6, 0x0
	.amdhsa_kernel _ZN7rocprim17ROCPRIM_400000_NS6detail17trampoline_kernelINS0_14default_configENS1_25partition_config_selectorILNS1_17partition_subalgoE9EsjbEEZZNS1_14partition_implILS5_9ELb0ES3_jN6thrust23THRUST_200600_302600_NS6detail15normal_iteratorINS9_10device_ptrIsEEEENSB_INSC_IjEEEEPNS0_10empty_typeENS0_5tupleIJSE_SH_EEENSJ_IJSG_SI_EEENS0_18inequality_wrapperINS9_8equal_toIsEEEEPmJSH_EEE10hipError_tPvRmT3_T4_T5_T6_T7_T9_mT8_P12ihipStream_tbDpT10_ENKUlT_T0_E_clISt17integral_constantIbLb1EES1A_EEDaS15_S16_EUlS15_E_NS1_11comp_targetILNS1_3genE3ELNS1_11target_archE908ELNS1_3gpuE7ELNS1_3repE0EEENS1_30default_config_static_selectorELNS0_4arch9wavefront6targetE0EEEvT1_
		.amdhsa_group_segment_fixed_size 0
		.amdhsa_private_segment_fixed_size 0
		.amdhsa_kernarg_size 128
		.amdhsa_user_sgpr_count 15
		.amdhsa_user_sgpr_dispatch_ptr 0
		.amdhsa_user_sgpr_queue_ptr 0
		.amdhsa_user_sgpr_kernarg_segment_ptr 1
		.amdhsa_user_sgpr_dispatch_id 0
		.amdhsa_user_sgpr_private_segment_size 0
		.amdhsa_wavefront_size32 1
		.amdhsa_uses_dynamic_stack 0
		.amdhsa_enable_private_segment 0
		.amdhsa_system_sgpr_workgroup_id_x 1
		.amdhsa_system_sgpr_workgroup_id_y 0
		.amdhsa_system_sgpr_workgroup_id_z 0
		.amdhsa_system_sgpr_workgroup_info 0
		.amdhsa_system_vgpr_workitem_id 0
		.amdhsa_next_free_vgpr 1
		.amdhsa_next_free_sgpr 1
		.amdhsa_reserve_vcc 0
		.amdhsa_float_round_mode_32 0
		.amdhsa_float_round_mode_16_64 0
		.amdhsa_float_denorm_mode_32 3
		.amdhsa_float_denorm_mode_16_64 3
		.amdhsa_dx10_clamp 1
		.amdhsa_ieee_mode 1
		.amdhsa_fp16_overflow 0
		.amdhsa_workgroup_processor_mode 1
		.amdhsa_memory_ordered 1
		.amdhsa_forward_progress 0
		.amdhsa_shared_vgpr_count 0
		.amdhsa_exception_fp_ieee_invalid_op 0
		.amdhsa_exception_fp_denorm_src 0
		.amdhsa_exception_fp_ieee_div_zero 0
		.amdhsa_exception_fp_ieee_overflow 0
		.amdhsa_exception_fp_ieee_underflow 0
		.amdhsa_exception_fp_ieee_inexact 0
		.amdhsa_exception_int_div_zero 0
	.end_amdhsa_kernel
	.section	.text._ZN7rocprim17ROCPRIM_400000_NS6detail17trampoline_kernelINS0_14default_configENS1_25partition_config_selectorILNS1_17partition_subalgoE9EsjbEEZZNS1_14partition_implILS5_9ELb0ES3_jN6thrust23THRUST_200600_302600_NS6detail15normal_iteratorINS9_10device_ptrIsEEEENSB_INSC_IjEEEEPNS0_10empty_typeENS0_5tupleIJSE_SH_EEENSJ_IJSG_SI_EEENS0_18inequality_wrapperINS9_8equal_toIsEEEEPmJSH_EEE10hipError_tPvRmT3_T4_T5_T6_T7_T9_mT8_P12ihipStream_tbDpT10_ENKUlT_T0_E_clISt17integral_constantIbLb1EES1A_EEDaS15_S16_EUlS15_E_NS1_11comp_targetILNS1_3genE3ELNS1_11target_archE908ELNS1_3gpuE7ELNS1_3repE0EEENS1_30default_config_static_selectorELNS0_4arch9wavefront6targetE0EEEvT1_,"axG",@progbits,_ZN7rocprim17ROCPRIM_400000_NS6detail17trampoline_kernelINS0_14default_configENS1_25partition_config_selectorILNS1_17partition_subalgoE9EsjbEEZZNS1_14partition_implILS5_9ELb0ES3_jN6thrust23THRUST_200600_302600_NS6detail15normal_iteratorINS9_10device_ptrIsEEEENSB_INSC_IjEEEEPNS0_10empty_typeENS0_5tupleIJSE_SH_EEENSJ_IJSG_SI_EEENS0_18inequality_wrapperINS9_8equal_toIsEEEEPmJSH_EEE10hipError_tPvRmT3_T4_T5_T6_T7_T9_mT8_P12ihipStream_tbDpT10_ENKUlT_T0_E_clISt17integral_constantIbLb1EES1A_EEDaS15_S16_EUlS15_E_NS1_11comp_targetILNS1_3genE3ELNS1_11target_archE908ELNS1_3gpuE7ELNS1_3repE0EEENS1_30default_config_static_selectorELNS0_4arch9wavefront6targetE0EEEvT1_,comdat
.Lfunc_end672:
	.size	_ZN7rocprim17ROCPRIM_400000_NS6detail17trampoline_kernelINS0_14default_configENS1_25partition_config_selectorILNS1_17partition_subalgoE9EsjbEEZZNS1_14partition_implILS5_9ELb0ES3_jN6thrust23THRUST_200600_302600_NS6detail15normal_iteratorINS9_10device_ptrIsEEEENSB_INSC_IjEEEEPNS0_10empty_typeENS0_5tupleIJSE_SH_EEENSJ_IJSG_SI_EEENS0_18inequality_wrapperINS9_8equal_toIsEEEEPmJSH_EEE10hipError_tPvRmT3_T4_T5_T6_T7_T9_mT8_P12ihipStream_tbDpT10_ENKUlT_T0_E_clISt17integral_constantIbLb1EES1A_EEDaS15_S16_EUlS15_E_NS1_11comp_targetILNS1_3genE3ELNS1_11target_archE908ELNS1_3gpuE7ELNS1_3repE0EEENS1_30default_config_static_selectorELNS0_4arch9wavefront6targetE0EEEvT1_, .Lfunc_end672-_ZN7rocprim17ROCPRIM_400000_NS6detail17trampoline_kernelINS0_14default_configENS1_25partition_config_selectorILNS1_17partition_subalgoE9EsjbEEZZNS1_14partition_implILS5_9ELb0ES3_jN6thrust23THRUST_200600_302600_NS6detail15normal_iteratorINS9_10device_ptrIsEEEENSB_INSC_IjEEEEPNS0_10empty_typeENS0_5tupleIJSE_SH_EEENSJ_IJSG_SI_EEENS0_18inequality_wrapperINS9_8equal_toIsEEEEPmJSH_EEE10hipError_tPvRmT3_T4_T5_T6_T7_T9_mT8_P12ihipStream_tbDpT10_ENKUlT_T0_E_clISt17integral_constantIbLb1EES1A_EEDaS15_S16_EUlS15_E_NS1_11comp_targetILNS1_3genE3ELNS1_11target_archE908ELNS1_3gpuE7ELNS1_3repE0EEENS1_30default_config_static_selectorELNS0_4arch9wavefront6targetE0EEEvT1_
                                        ; -- End function
	.section	.AMDGPU.csdata,"",@progbits
; Kernel info:
; codeLenInByte = 0
; NumSgprs: 0
; NumVgprs: 0
; ScratchSize: 0
; MemoryBound: 0
; FloatMode: 240
; IeeeMode: 1
; LDSByteSize: 0 bytes/workgroup (compile time only)
; SGPRBlocks: 0
; VGPRBlocks: 0
; NumSGPRsForWavesPerEU: 1
; NumVGPRsForWavesPerEU: 1
; Occupancy: 16
; WaveLimiterHint : 0
; COMPUTE_PGM_RSRC2:SCRATCH_EN: 0
; COMPUTE_PGM_RSRC2:USER_SGPR: 15
; COMPUTE_PGM_RSRC2:TRAP_HANDLER: 0
; COMPUTE_PGM_RSRC2:TGID_X_EN: 1
; COMPUTE_PGM_RSRC2:TGID_Y_EN: 0
; COMPUTE_PGM_RSRC2:TGID_Z_EN: 0
; COMPUTE_PGM_RSRC2:TIDIG_COMP_CNT: 0
	.section	.text._ZN7rocprim17ROCPRIM_400000_NS6detail17trampoline_kernelINS0_14default_configENS1_25partition_config_selectorILNS1_17partition_subalgoE9EsjbEEZZNS1_14partition_implILS5_9ELb0ES3_jN6thrust23THRUST_200600_302600_NS6detail15normal_iteratorINS9_10device_ptrIsEEEENSB_INSC_IjEEEEPNS0_10empty_typeENS0_5tupleIJSE_SH_EEENSJ_IJSG_SI_EEENS0_18inequality_wrapperINS9_8equal_toIsEEEEPmJSH_EEE10hipError_tPvRmT3_T4_T5_T6_T7_T9_mT8_P12ihipStream_tbDpT10_ENKUlT_T0_E_clISt17integral_constantIbLb1EES1A_EEDaS15_S16_EUlS15_E_NS1_11comp_targetILNS1_3genE2ELNS1_11target_archE906ELNS1_3gpuE6ELNS1_3repE0EEENS1_30default_config_static_selectorELNS0_4arch9wavefront6targetE0EEEvT1_,"axG",@progbits,_ZN7rocprim17ROCPRIM_400000_NS6detail17trampoline_kernelINS0_14default_configENS1_25partition_config_selectorILNS1_17partition_subalgoE9EsjbEEZZNS1_14partition_implILS5_9ELb0ES3_jN6thrust23THRUST_200600_302600_NS6detail15normal_iteratorINS9_10device_ptrIsEEEENSB_INSC_IjEEEEPNS0_10empty_typeENS0_5tupleIJSE_SH_EEENSJ_IJSG_SI_EEENS0_18inequality_wrapperINS9_8equal_toIsEEEEPmJSH_EEE10hipError_tPvRmT3_T4_T5_T6_T7_T9_mT8_P12ihipStream_tbDpT10_ENKUlT_T0_E_clISt17integral_constantIbLb1EES1A_EEDaS15_S16_EUlS15_E_NS1_11comp_targetILNS1_3genE2ELNS1_11target_archE906ELNS1_3gpuE6ELNS1_3repE0EEENS1_30default_config_static_selectorELNS0_4arch9wavefront6targetE0EEEvT1_,comdat
	.protected	_ZN7rocprim17ROCPRIM_400000_NS6detail17trampoline_kernelINS0_14default_configENS1_25partition_config_selectorILNS1_17partition_subalgoE9EsjbEEZZNS1_14partition_implILS5_9ELb0ES3_jN6thrust23THRUST_200600_302600_NS6detail15normal_iteratorINS9_10device_ptrIsEEEENSB_INSC_IjEEEEPNS0_10empty_typeENS0_5tupleIJSE_SH_EEENSJ_IJSG_SI_EEENS0_18inequality_wrapperINS9_8equal_toIsEEEEPmJSH_EEE10hipError_tPvRmT3_T4_T5_T6_T7_T9_mT8_P12ihipStream_tbDpT10_ENKUlT_T0_E_clISt17integral_constantIbLb1EES1A_EEDaS15_S16_EUlS15_E_NS1_11comp_targetILNS1_3genE2ELNS1_11target_archE906ELNS1_3gpuE6ELNS1_3repE0EEENS1_30default_config_static_selectorELNS0_4arch9wavefront6targetE0EEEvT1_ ; -- Begin function _ZN7rocprim17ROCPRIM_400000_NS6detail17trampoline_kernelINS0_14default_configENS1_25partition_config_selectorILNS1_17partition_subalgoE9EsjbEEZZNS1_14partition_implILS5_9ELb0ES3_jN6thrust23THRUST_200600_302600_NS6detail15normal_iteratorINS9_10device_ptrIsEEEENSB_INSC_IjEEEEPNS0_10empty_typeENS0_5tupleIJSE_SH_EEENSJ_IJSG_SI_EEENS0_18inequality_wrapperINS9_8equal_toIsEEEEPmJSH_EEE10hipError_tPvRmT3_T4_T5_T6_T7_T9_mT8_P12ihipStream_tbDpT10_ENKUlT_T0_E_clISt17integral_constantIbLb1EES1A_EEDaS15_S16_EUlS15_E_NS1_11comp_targetILNS1_3genE2ELNS1_11target_archE906ELNS1_3gpuE6ELNS1_3repE0EEENS1_30default_config_static_selectorELNS0_4arch9wavefront6targetE0EEEvT1_
	.globl	_ZN7rocprim17ROCPRIM_400000_NS6detail17trampoline_kernelINS0_14default_configENS1_25partition_config_selectorILNS1_17partition_subalgoE9EsjbEEZZNS1_14partition_implILS5_9ELb0ES3_jN6thrust23THRUST_200600_302600_NS6detail15normal_iteratorINS9_10device_ptrIsEEEENSB_INSC_IjEEEEPNS0_10empty_typeENS0_5tupleIJSE_SH_EEENSJ_IJSG_SI_EEENS0_18inequality_wrapperINS9_8equal_toIsEEEEPmJSH_EEE10hipError_tPvRmT3_T4_T5_T6_T7_T9_mT8_P12ihipStream_tbDpT10_ENKUlT_T0_E_clISt17integral_constantIbLb1EES1A_EEDaS15_S16_EUlS15_E_NS1_11comp_targetILNS1_3genE2ELNS1_11target_archE906ELNS1_3gpuE6ELNS1_3repE0EEENS1_30default_config_static_selectorELNS0_4arch9wavefront6targetE0EEEvT1_
	.p2align	8
	.type	_ZN7rocprim17ROCPRIM_400000_NS6detail17trampoline_kernelINS0_14default_configENS1_25partition_config_selectorILNS1_17partition_subalgoE9EsjbEEZZNS1_14partition_implILS5_9ELb0ES3_jN6thrust23THRUST_200600_302600_NS6detail15normal_iteratorINS9_10device_ptrIsEEEENSB_INSC_IjEEEEPNS0_10empty_typeENS0_5tupleIJSE_SH_EEENSJ_IJSG_SI_EEENS0_18inequality_wrapperINS9_8equal_toIsEEEEPmJSH_EEE10hipError_tPvRmT3_T4_T5_T6_T7_T9_mT8_P12ihipStream_tbDpT10_ENKUlT_T0_E_clISt17integral_constantIbLb1EES1A_EEDaS15_S16_EUlS15_E_NS1_11comp_targetILNS1_3genE2ELNS1_11target_archE906ELNS1_3gpuE6ELNS1_3repE0EEENS1_30default_config_static_selectorELNS0_4arch9wavefront6targetE0EEEvT1_,@function
_ZN7rocprim17ROCPRIM_400000_NS6detail17trampoline_kernelINS0_14default_configENS1_25partition_config_selectorILNS1_17partition_subalgoE9EsjbEEZZNS1_14partition_implILS5_9ELb0ES3_jN6thrust23THRUST_200600_302600_NS6detail15normal_iteratorINS9_10device_ptrIsEEEENSB_INSC_IjEEEEPNS0_10empty_typeENS0_5tupleIJSE_SH_EEENSJ_IJSG_SI_EEENS0_18inequality_wrapperINS9_8equal_toIsEEEEPmJSH_EEE10hipError_tPvRmT3_T4_T5_T6_T7_T9_mT8_P12ihipStream_tbDpT10_ENKUlT_T0_E_clISt17integral_constantIbLb1EES1A_EEDaS15_S16_EUlS15_E_NS1_11comp_targetILNS1_3genE2ELNS1_11target_archE906ELNS1_3gpuE6ELNS1_3repE0EEENS1_30default_config_static_selectorELNS0_4arch9wavefront6targetE0EEEvT1_: ; @_ZN7rocprim17ROCPRIM_400000_NS6detail17trampoline_kernelINS0_14default_configENS1_25partition_config_selectorILNS1_17partition_subalgoE9EsjbEEZZNS1_14partition_implILS5_9ELb0ES3_jN6thrust23THRUST_200600_302600_NS6detail15normal_iteratorINS9_10device_ptrIsEEEENSB_INSC_IjEEEEPNS0_10empty_typeENS0_5tupleIJSE_SH_EEENSJ_IJSG_SI_EEENS0_18inequality_wrapperINS9_8equal_toIsEEEEPmJSH_EEE10hipError_tPvRmT3_T4_T5_T6_T7_T9_mT8_P12ihipStream_tbDpT10_ENKUlT_T0_E_clISt17integral_constantIbLb1EES1A_EEDaS15_S16_EUlS15_E_NS1_11comp_targetILNS1_3genE2ELNS1_11target_archE906ELNS1_3gpuE6ELNS1_3repE0EEENS1_30default_config_static_selectorELNS0_4arch9wavefront6targetE0EEEvT1_
; %bb.0:
	.section	.rodata,"a",@progbits
	.p2align	6, 0x0
	.amdhsa_kernel _ZN7rocprim17ROCPRIM_400000_NS6detail17trampoline_kernelINS0_14default_configENS1_25partition_config_selectorILNS1_17partition_subalgoE9EsjbEEZZNS1_14partition_implILS5_9ELb0ES3_jN6thrust23THRUST_200600_302600_NS6detail15normal_iteratorINS9_10device_ptrIsEEEENSB_INSC_IjEEEEPNS0_10empty_typeENS0_5tupleIJSE_SH_EEENSJ_IJSG_SI_EEENS0_18inequality_wrapperINS9_8equal_toIsEEEEPmJSH_EEE10hipError_tPvRmT3_T4_T5_T6_T7_T9_mT8_P12ihipStream_tbDpT10_ENKUlT_T0_E_clISt17integral_constantIbLb1EES1A_EEDaS15_S16_EUlS15_E_NS1_11comp_targetILNS1_3genE2ELNS1_11target_archE906ELNS1_3gpuE6ELNS1_3repE0EEENS1_30default_config_static_selectorELNS0_4arch9wavefront6targetE0EEEvT1_
		.amdhsa_group_segment_fixed_size 0
		.amdhsa_private_segment_fixed_size 0
		.amdhsa_kernarg_size 128
		.amdhsa_user_sgpr_count 15
		.amdhsa_user_sgpr_dispatch_ptr 0
		.amdhsa_user_sgpr_queue_ptr 0
		.amdhsa_user_sgpr_kernarg_segment_ptr 1
		.amdhsa_user_sgpr_dispatch_id 0
		.amdhsa_user_sgpr_private_segment_size 0
		.amdhsa_wavefront_size32 1
		.amdhsa_uses_dynamic_stack 0
		.amdhsa_enable_private_segment 0
		.amdhsa_system_sgpr_workgroup_id_x 1
		.amdhsa_system_sgpr_workgroup_id_y 0
		.amdhsa_system_sgpr_workgroup_id_z 0
		.amdhsa_system_sgpr_workgroup_info 0
		.amdhsa_system_vgpr_workitem_id 0
		.amdhsa_next_free_vgpr 1
		.amdhsa_next_free_sgpr 1
		.amdhsa_reserve_vcc 0
		.amdhsa_float_round_mode_32 0
		.amdhsa_float_round_mode_16_64 0
		.amdhsa_float_denorm_mode_32 3
		.amdhsa_float_denorm_mode_16_64 3
		.amdhsa_dx10_clamp 1
		.amdhsa_ieee_mode 1
		.amdhsa_fp16_overflow 0
		.amdhsa_workgroup_processor_mode 1
		.amdhsa_memory_ordered 1
		.amdhsa_forward_progress 0
		.amdhsa_shared_vgpr_count 0
		.amdhsa_exception_fp_ieee_invalid_op 0
		.amdhsa_exception_fp_denorm_src 0
		.amdhsa_exception_fp_ieee_div_zero 0
		.amdhsa_exception_fp_ieee_overflow 0
		.amdhsa_exception_fp_ieee_underflow 0
		.amdhsa_exception_fp_ieee_inexact 0
		.amdhsa_exception_int_div_zero 0
	.end_amdhsa_kernel
	.section	.text._ZN7rocprim17ROCPRIM_400000_NS6detail17trampoline_kernelINS0_14default_configENS1_25partition_config_selectorILNS1_17partition_subalgoE9EsjbEEZZNS1_14partition_implILS5_9ELb0ES3_jN6thrust23THRUST_200600_302600_NS6detail15normal_iteratorINS9_10device_ptrIsEEEENSB_INSC_IjEEEEPNS0_10empty_typeENS0_5tupleIJSE_SH_EEENSJ_IJSG_SI_EEENS0_18inequality_wrapperINS9_8equal_toIsEEEEPmJSH_EEE10hipError_tPvRmT3_T4_T5_T6_T7_T9_mT8_P12ihipStream_tbDpT10_ENKUlT_T0_E_clISt17integral_constantIbLb1EES1A_EEDaS15_S16_EUlS15_E_NS1_11comp_targetILNS1_3genE2ELNS1_11target_archE906ELNS1_3gpuE6ELNS1_3repE0EEENS1_30default_config_static_selectorELNS0_4arch9wavefront6targetE0EEEvT1_,"axG",@progbits,_ZN7rocprim17ROCPRIM_400000_NS6detail17trampoline_kernelINS0_14default_configENS1_25partition_config_selectorILNS1_17partition_subalgoE9EsjbEEZZNS1_14partition_implILS5_9ELb0ES3_jN6thrust23THRUST_200600_302600_NS6detail15normal_iteratorINS9_10device_ptrIsEEEENSB_INSC_IjEEEEPNS0_10empty_typeENS0_5tupleIJSE_SH_EEENSJ_IJSG_SI_EEENS0_18inequality_wrapperINS9_8equal_toIsEEEEPmJSH_EEE10hipError_tPvRmT3_T4_T5_T6_T7_T9_mT8_P12ihipStream_tbDpT10_ENKUlT_T0_E_clISt17integral_constantIbLb1EES1A_EEDaS15_S16_EUlS15_E_NS1_11comp_targetILNS1_3genE2ELNS1_11target_archE906ELNS1_3gpuE6ELNS1_3repE0EEENS1_30default_config_static_selectorELNS0_4arch9wavefront6targetE0EEEvT1_,comdat
.Lfunc_end673:
	.size	_ZN7rocprim17ROCPRIM_400000_NS6detail17trampoline_kernelINS0_14default_configENS1_25partition_config_selectorILNS1_17partition_subalgoE9EsjbEEZZNS1_14partition_implILS5_9ELb0ES3_jN6thrust23THRUST_200600_302600_NS6detail15normal_iteratorINS9_10device_ptrIsEEEENSB_INSC_IjEEEEPNS0_10empty_typeENS0_5tupleIJSE_SH_EEENSJ_IJSG_SI_EEENS0_18inequality_wrapperINS9_8equal_toIsEEEEPmJSH_EEE10hipError_tPvRmT3_T4_T5_T6_T7_T9_mT8_P12ihipStream_tbDpT10_ENKUlT_T0_E_clISt17integral_constantIbLb1EES1A_EEDaS15_S16_EUlS15_E_NS1_11comp_targetILNS1_3genE2ELNS1_11target_archE906ELNS1_3gpuE6ELNS1_3repE0EEENS1_30default_config_static_selectorELNS0_4arch9wavefront6targetE0EEEvT1_, .Lfunc_end673-_ZN7rocprim17ROCPRIM_400000_NS6detail17trampoline_kernelINS0_14default_configENS1_25partition_config_selectorILNS1_17partition_subalgoE9EsjbEEZZNS1_14partition_implILS5_9ELb0ES3_jN6thrust23THRUST_200600_302600_NS6detail15normal_iteratorINS9_10device_ptrIsEEEENSB_INSC_IjEEEEPNS0_10empty_typeENS0_5tupleIJSE_SH_EEENSJ_IJSG_SI_EEENS0_18inequality_wrapperINS9_8equal_toIsEEEEPmJSH_EEE10hipError_tPvRmT3_T4_T5_T6_T7_T9_mT8_P12ihipStream_tbDpT10_ENKUlT_T0_E_clISt17integral_constantIbLb1EES1A_EEDaS15_S16_EUlS15_E_NS1_11comp_targetILNS1_3genE2ELNS1_11target_archE906ELNS1_3gpuE6ELNS1_3repE0EEENS1_30default_config_static_selectorELNS0_4arch9wavefront6targetE0EEEvT1_
                                        ; -- End function
	.section	.AMDGPU.csdata,"",@progbits
; Kernel info:
; codeLenInByte = 0
; NumSgprs: 0
; NumVgprs: 0
; ScratchSize: 0
; MemoryBound: 0
; FloatMode: 240
; IeeeMode: 1
; LDSByteSize: 0 bytes/workgroup (compile time only)
; SGPRBlocks: 0
; VGPRBlocks: 0
; NumSGPRsForWavesPerEU: 1
; NumVGPRsForWavesPerEU: 1
; Occupancy: 16
; WaveLimiterHint : 0
; COMPUTE_PGM_RSRC2:SCRATCH_EN: 0
; COMPUTE_PGM_RSRC2:USER_SGPR: 15
; COMPUTE_PGM_RSRC2:TRAP_HANDLER: 0
; COMPUTE_PGM_RSRC2:TGID_X_EN: 1
; COMPUTE_PGM_RSRC2:TGID_Y_EN: 0
; COMPUTE_PGM_RSRC2:TGID_Z_EN: 0
; COMPUTE_PGM_RSRC2:TIDIG_COMP_CNT: 0
	.section	.text._ZN7rocprim17ROCPRIM_400000_NS6detail17trampoline_kernelINS0_14default_configENS1_25partition_config_selectorILNS1_17partition_subalgoE9EsjbEEZZNS1_14partition_implILS5_9ELb0ES3_jN6thrust23THRUST_200600_302600_NS6detail15normal_iteratorINS9_10device_ptrIsEEEENSB_INSC_IjEEEEPNS0_10empty_typeENS0_5tupleIJSE_SH_EEENSJ_IJSG_SI_EEENS0_18inequality_wrapperINS9_8equal_toIsEEEEPmJSH_EEE10hipError_tPvRmT3_T4_T5_T6_T7_T9_mT8_P12ihipStream_tbDpT10_ENKUlT_T0_E_clISt17integral_constantIbLb1EES1A_EEDaS15_S16_EUlS15_E_NS1_11comp_targetILNS1_3genE10ELNS1_11target_archE1200ELNS1_3gpuE4ELNS1_3repE0EEENS1_30default_config_static_selectorELNS0_4arch9wavefront6targetE0EEEvT1_,"axG",@progbits,_ZN7rocprim17ROCPRIM_400000_NS6detail17trampoline_kernelINS0_14default_configENS1_25partition_config_selectorILNS1_17partition_subalgoE9EsjbEEZZNS1_14partition_implILS5_9ELb0ES3_jN6thrust23THRUST_200600_302600_NS6detail15normal_iteratorINS9_10device_ptrIsEEEENSB_INSC_IjEEEEPNS0_10empty_typeENS0_5tupleIJSE_SH_EEENSJ_IJSG_SI_EEENS0_18inequality_wrapperINS9_8equal_toIsEEEEPmJSH_EEE10hipError_tPvRmT3_T4_T5_T6_T7_T9_mT8_P12ihipStream_tbDpT10_ENKUlT_T0_E_clISt17integral_constantIbLb1EES1A_EEDaS15_S16_EUlS15_E_NS1_11comp_targetILNS1_3genE10ELNS1_11target_archE1200ELNS1_3gpuE4ELNS1_3repE0EEENS1_30default_config_static_selectorELNS0_4arch9wavefront6targetE0EEEvT1_,comdat
	.protected	_ZN7rocprim17ROCPRIM_400000_NS6detail17trampoline_kernelINS0_14default_configENS1_25partition_config_selectorILNS1_17partition_subalgoE9EsjbEEZZNS1_14partition_implILS5_9ELb0ES3_jN6thrust23THRUST_200600_302600_NS6detail15normal_iteratorINS9_10device_ptrIsEEEENSB_INSC_IjEEEEPNS0_10empty_typeENS0_5tupleIJSE_SH_EEENSJ_IJSG_SI_EEENS0_18inequality_wrapperINS9_8equal_toIsEEEEPmJSH_EEE10hipError_tPvRmT3_T4_T5_T6_T7_T9_mT8_P12ihipStream_tbDpT10_ENKUlT_T0_E_clISt17integral_constantIbLb1EES1A_EEDaS15_S16_EUlS15_E_NS1_11comp_targetILNS1_3genE10ELNS1_11target_archE1200ELNS1_3gpuE4ELNS1_3repE0EEENS1_30default_config_static_selectorELNS0_4arch9wavefront6targetE0EEEvT1_ ; -- Begin function _ZN7rocprim17ROCPRIM_400000_NS6detail17trampoline_kernelINS0_14default_configENS1_25partition_config_selectorILNS1_17partition_subalgoE9EsjbEEZZNS1_14partition_implILS5_9ELb0ES3_jN6thrust23THRUST_200600_302600_NS6detail15normal_iteratorINS9_10device_ptrIsEEEENSB_INSC_IjEEEEPNS0_10empty_typeENS0_5tupleIJSE_SH_EEENSJ_IJSG_SI_EEENS0_18inequality_wrapperINS9_8equal_toIsEEEEPmJSH_EEE10hipError_tPvRmT3_T4_T5_T6_T7_T9_mT8_P12ihipStream_tbDpT10_ENKUlT_T0_E_clISt17integral_constantIbLb1EES1A_EEDaS15_S16_EUlS15_E_NS1_11comp_targetILNS1_3genE10ELNS1_11target_archE1200ELNS1_3gpuE4ELNS1_3repE0EEENS1_30default_config_static_selectorELNS0_4arch9wavefront6targetE0EEEvT1_
	.globl	_ZN7rocprim17ROCPRIM_400000_NS6detail17trampoline_kernelINS0_14default_configENS1_25partition_config_selectorILNS1_17partition_subalgoE9EsjbEEZZNS1_14partition_implILS5_9ELb0ES3_jN6thrust23THRUST_200600_302600_NS6detail15normal_iteratorINS9_10device_ptrIsEEEENSB_INSC_IjEEEEPNS0_10empty_typeENS0_5tupleIJSE_SH_EEENSJ_IJSG_SI_EEENS0_18inequality_wrapperINS9_8equal_toIsEEEEPmJSH_EEE10hipError_tPvRmT3_T4_T5_T6_T7_T9_mT8_P12ihipStream_tbDpT10_ENKUlT_T0_E_clISt17integral_constantIbLb1EES1A_EEDaS15_S16_EUlS15_E_NS1_11comp_targetILNS1_3genE10ELNS1_11target_archE1200ELNS1_3gpuE4ELNS1_3repE0EEENS1_30default_config_static_selectorELNS0_4arch9wavefront6targetE0EEEvT1_
	.p2align	8
	.type	_ZN7rocprim17ROCPRIM_400000_NS6detail17trampoline_kernelINS0_14default_configENS1_25partition_config_selectorILNS1_17partition_subalgoE9EsjbEEZZNS1_14partition_implILS5_9ELb0ES3_jN6thrust23THRUST_200600_302600_NS6detail15normal_iteratorINS9_10device_ptrIsEEEENSB_INSC_IjEEEEPNS0_10empty_typeENS0_5tupleIJSE_SH_EEENSJ_IJSG_SI_EEENS0_18inequality_wrapperINS9_8equal_toIsEEEEPmJSH_EEE10hipError_tPvRmT3_T4_T5_T6_T7_T9_mT8_P12ihipStream_tbDpT10_ENKUlT_T0_E_clISt17integral_constantIbLb1EES1A_EEDaS15_S16_EUlS15_E_NS1_11comp_targetILNS1_3genE10ELNS1_11target_archE1200ELNS1_3gpuE4ELNS1_3repE0EEENS1_30default_config_static_selectorELNS0_4arch9wavefront6targetE0EEEvT1_,@function
_ZN7rocprim17ROCPRIM_400000_NS6detail17trampoline_kernelINS0_14default_configENS1_25partition_config_selectorILNS1_17partition_subalgoE9EsjbEEZZNS1_14partition_implILS5_9ELb0ES3_jN6thrust23THRUST_200600_302600_NS6detail15normal_iteratorINS9_10device_ptrIsEEEENSB_INSC_IjEEEEPNS0_10empty_typeENS0_5tupleIJSE_SH_EEENSJ_IJSG_SI_EEENS0_18inequality_wrapperINS9_8equal_toIsEEEEPmJSH_EEE10hipError_tPvRmT3_T4_T5_T6_T7_T9_mT8_P12ihipStream_tbDpT10_ENKUlT_T0_E_clISt17integral_constantIbLb1EES1A_EEDaS15_S16_EUlS15_E_NS1_11comp_targetILNS1_3genE10ELNS1_11target_archE1200ELNS1_3gpuE4ELNS1_3repE0EEENS1_30default_config_static_selectorELNS0_4arch9wavefront6targetE0EEEvT1_: ; @_ZN7rocprim17ROCPRIM_400000_NS6detail17trampoline_kernelINS0_14default_configENS1_25partition_config_selectorILNS1_17partition_subalgoE9EsjbEEZZNS1_14partition_implILS5_9ELb0ES3_jN6thrust23THRUST_200600_302600_NS6detail15normal_iteratorINS9_10device_ptrIsEEEENSB_INSC_IjEEEEPNS0_10empty_typeENS0_5tupleIJSE_SH_EEENSJ_IJSG_SI_EEENS0_18inequality_wrapperINS9_8equal_toIsEEEEPmJSH_EEE10hipError_tPvRmT3_T4_T5_T6_T7_T9_mT8_P12ihipStream_tbDpT10_ENKUlT_T0_E_clISt17integral_constantIbLb1EES1A_EEDaS15_S16_EUlS15_E_NS1_11comp_targetILNS1_3genE10ELNS1_11target_archE1200ELNS1_3gpuE4ELNS1_3repE0EEENS1_30default_config_static_selectorELNS0_4arch9wavefront6targetE0EEEvT1_
; %bb.0:
	.section	.rodata,"a",@progbits
	.p2align	6, 0x0
	.amdhsa_kernel _ZN7rocprim17ROCPRIM_400000_NS6detail17trampoline_kernelINS0_14default_configENS1_25partition_config_selectorILNS1_17partition_subalgoE9EsjbEEZZNS1_14partition_implILS5_9ELb0ES3_jN6thrust23THRUST_200600_302600_NS6detail15normal_iteratorINS9_10device_ptrIsEEEENSB_INSC_IjEEEEPNS0_10empty_typeENS0_5tupleIJSE_SH_EEENSJ_IJSG_SI_EEENS0_18inequality_wrapperINS9_8equal_toIsEEEEPmJSH_EEE10hipError_tPvRmT3_T4_T5_T6_T7_T9_mT8_P12ihipStream_tbDpT10_ENKUlT_T0_E_clISt17integral_constantIbLb1EES1A_EEDaS15_S16_EUlS15_E_NS1_11comp_targetILNS1_3genE10ELNS1_11target_archE1200ELNS1_3gpuE4ELNS1_3repE0EEENS1_30default_config_static_selectorELNS0_4arch9wavefront6targetE0EEEvT1_
		.amdhsa_group_segment_fixed_size 0
		.amdhsa_private_segment_fixed_size 0
		.amdhsa_kernarg_size 128
		.amdhsa_user_sgpr_count 15
		.amdhsa_user_sgpr_dispatch_ptr 0
		.amdhsa_user_sgpr_queue_ptr 0
		.amdhsa_user_sgpr_kernarg_segment_ptr 1
		.amdhsa_user_sgpr_dispatch_id 0
		.amdhsa_user_sgpr_private_segment_size 0
		.amdhsa_wavefront_size32 1
		.amdhsa_uses_dynamic_stack 0
		.amdhsa_enable_private_segment 0
		.amdhsa_system_sgpr_workgroup_id_x 1
		.amdhsa_system_sgpr_workgroup_id_y 0
		.amdhsa_system_sgpr_workgroup_id_z 0
		.amdhsa_system_sgpr_workgroup_info 0
		.amdhsa_system_vgpr_workitem_id 0
		.amdhsa_next_free_vgpr 1
		.amdhsa_next_free_sgpr 1
		.amdhsa_reserve_vcc 0
		.amdhsa_float_round_mode_32 0
		.amdhsa_float_round_mode_16_64 0
		.amdhsa_float_denorm_mode_32 3
		.amdhsa_float_denorm_mode_16_64 3
		.amdhsa_dx10_clamp 1
		.amdhsa_ieee_mode 1
		.amdhsa_fp16_overflow 0
		.amdhsa_workgroup_processor_mode 1
		.amdhsa_memory_ordered 1
		.amdhsa_forward_progress 0
		.amdhsa_shared_vgpr_count 0
		.amdhsa_exception_fp_ieee_invalid_op 0
		.amdhsa_exception_fp_denorm_src 0
		.amdhsa_exception_fp_ieee_div_zero 0
		.amdhsa_exception_fp_ieee_overflow 0
		.amdhsa_exception_fp_ieee_underflow 0
		.amdhsa_exception_fp_ieee_inexact 0
		.amdhsa_exception_int_div_zero 0
	.end_amdhsa_kernel
	.section	.text._ZN7rocprim17ROCPRIM_400000_NS6detail17trampoline_kernelINS0_14default_configENS1_25partition_config_selectorILNS1_17partition_subalgoE9EsjbEEZZNS1_14partition_implILS5_9ELb0ES3_jN6thrust23THRUST_200600_302600_NS6detail15normal_iteratorINS9_10device_ptrIsEEEENSB_INSC_IjEEEEPNS0_10empty_typeENS0_5tupleIJSE_SH_EEENSJ_IJSG_SI_EEENS0_18inequality_wrapperINS9_8equal_toIsEEEEPmJSH_EEE10hipError_tPvRmT3_T4_T5_T6_T7_T9_mT8_P12ihipStream_tbDpT10_ENKUlT_T0_E_clISt17integral_constantIbLb1EES1A_EEDaS15_S16_EUlS15_E_NS1_11comp_targetILNS1_3genE10ELNS1_11target_archE1200ELNS1_3gpuE4ELNS1_3repE0EEENS1_30default_config_static_selectorELNS0_4arch9wavefront6targetE0EEEvT1_,"axG",@progbits,_ZN7rocprim17ROCPRIM_400000_NS6detail17trampoline_kernelINS0_14default_configENS1_25partition_config_selectorILNS1_17partition_subalgoE9EsjbEEZZNS1_14partition_implILS5_9ELb0ES3_jN6thrust23THRUST_200600_302600_NS6detail15normal_iteratorINS9_10device_ptrIsEEEENSB_INSC_IjEEEEPNS0_10empty_typeENS0_5tupleIJSE_SH_EEENSJ_IJSG_SI_EEENS0_18inequality_wrapperINS9_8equal_toIsEEEEPmJSH_EEE10hipError_tPvRmT3_T4_T5_T6_T7_T9_mT8_P12ihipStream_tbDpT10_ENKUlT_T0_E_clISt17integral_constantIbLb1EES1A_EEDaS15_S16_EUlS15_E_NS1_11comp_targetILNS1_3genE10ELNS1_11target_archE1200ELNS1_3gpuE4ELNS1_3repE0EEENS1_30default_config_static_selectorELNS0_4arch9wavefront6targetE0EEEvT1_,comdat
.Lfunc_end674:
	.size	_ZN7rocprim17ROCPRIM_400000_NS6detail17trampoline_kernelINS0_14default_configENS1_25partition_config_selectorILNS1_17partition_subalgoE9EsjbEEZZNS1_14partition_implILS5_9ELb0ES3_jN6thrust23THRUST_200600_302600_NS6detail15normal_iteratorINS9_10device_ptrIsEEEENSB_INSC_IjEEEEPNS0_10empty_typeENS0_5tupleIJSE_SH_EEENSJ_IJSG_SI_EEENS0_18inequality_wrapperINS9_8equal_toIsEEEEPmJSH_EEE10hipError_tPvRmT3_T4_T5_T6_T7_T9_mT8_P12ihipStream_tbDpT10_ENKUlT_T0_E_clISt17integral_constantIbLb1EES1A_EEDaS15_S16_EUlS15_E_NS1_11comp_targetILNS1_3genE10ELNS1_11target_archE1200ELNS1_3gpuE4ELNS1_3repE0EEENS1_30default_config_static_selectorELNS0_4arch9wavefront6targetE0EEEvT1_, .Lfunc_end674-_ZN7rocprim17ROCPRIM_400000_NS6detail17trampoline_kernelINS0_14default_configENS1_25partition_config_selectorILNS1_17partition_subalgoE9EsjbEEZZNS1_14partition_implILS5_9ELb0ES3_jN6thrust23THRUST_200600_302600_NS6detail15normal_iteratorINS9_10device_ptrIsEEEENSB_INSC_IjEEEEPNS0_10empty_typeENS0_5tupleIJSE_SH_EEENSJ_IJSG_SI_EEENS0_18inequality_wrapperINS9_8equal_toIsEEEEPmJSH_EEE10hipError_tPvRmT3_T4_T5_T6_T7_T9_mT8_P12ihipStream_tbDpT10_ENKUlT_T0_E_clISt17integral_constantIbLb1EES1A_EEDaS15_S16_EUlS15_E_NS1_11comp_targetILNS1_3genE10ELNS1_11target_archE1200ELNS1_3gpuE4ELNS1_3repE0EEENS1_30default_config_static_selectorELNS0_4arch9wavefront6targetE0EEEvT1_
                                        ; -- End function
	.section	.AMDGPU.csdata,"",@progbits
; Kernel info:
; codeLenInByte = 0
; NumSgprs: 0
; NumVgprs: 0
; ScratchSize: 0
; MemoryBound: 0
; FloatMode: 240
; IeeeMode: 1
; LDSByteSize: 0 bytes/workgroup (compile time only)
; SGPRBlocks: 0
; VGPRBlocks: 0
; NumSGPRsForWavesPerEU: 1
; NumVGPRsForWavesPerEU: 1
; Occupancy: 16
; WaveLimiterHint : 0
; COMPUTE_PGM_RSRC2:SCRATCH_EN: 0
; COMPUTE_PGM_RSRC2:USER_SGPR: 15
; COMPUTE_PGM_RSRC2:TRAP_HANDLER: 0
; COMPUTE_PGM_RSRC2:TGID_X_EN: 1
; COMPUTE_PGM_RSRC2:TGID_Y_EN: 0
; COMPUTE_PGM_RSRC2:TGID_Z_EN: 0
; COMPUTE_PGM_RSRC2:TIDIG_COMP_CNT: 0
	.section	.text._ZN7rocprim17ROCPRIM_400000_NS6detail17trampoline_kernelINS0_14default_configENS1_25partition_config_selectorILNS1_17partition_subalgoE9EsjbEEZZNS1_14partition_implILS5_9ELb0ES3_jN6thrust23THRUST_200600_302600_NS6detail15normal_iteratorINS9_10device_ptrIsEEEENSB_INSC_IjEEEEPNS0_10empty_typeENS0_5tupleIJSE_SH_EEENSJ_IJSG_SI_EEENS0_18inequality_wrapperINS9_8equal_toIsEEEEPmJSH_EEE10hipError_tPvRmT3_T4_T5_T6_T7_T9_mT8_P12ihipStream_tbDpT10_ENKUlT_T0_E_clISt17integral_constantIbLb1EES1A_EEDaS15_S16_EUlS15_E_NS1_11comp_targetILNS1_3genE9ELNS1_11target_archE1100ELNS1_3gpuE3ELNS1_3repE0EEENS1_30default_config_static_selectorELNS0_4arch9wavefront6targetE0EEEvT1_,"axG",@progbits,_ZN7rocprim17ROCPRIM_400000_NS6detail17trampoline_kernelINS0_14default_configENS1_25partition_config_selectorILNS1_17partition_subalgoE9EsjbEEZZNS1_14partition_implILS5_9ELb0ES3_jN6thrust23THRUST_200600_302600_NS6detail15normal_iteratorINS9_10device_ptrIsEEEENSB_INSC_IjEEEEPNS0_10empty_typeENS0_5tupleIJSE_SH_EEENSJ_IJSG_SI_EEENS0_18inequality_wrapperINS9_8equal_toIsEEEEPmJSH_EEE10hipError_tPvRmT3_T4_T5_T6_T7_T9_mT8_P12ihipStream_tbDpT10_ENKUlT_T0_E_clISt17integral_constantIbLb1EES1A_EEDaS15_S16_EUlS15_E_NS1_11comp_targetILNS1_3genE9ELNS1_11target_archE1100ELNS1_3gpuE3ELNS1_3repE0EEENS1_30default_config_static_selectorELNS0_4arch9wavefront6targetE0EEEvT1_,comdat
	.protected	_ZN7rocprim17ROCPRIM_400000_NS6detail17trampoline_kernelINS0_14default_configENS1_25partition_config_selectorILNS1_17partition_subalgoE9EsjbEEZZNS1_14partition_implILS5_9ELb0ES3_jN6thrust23THRUST_200600_302600_NS6detail15normal_iteratorINS9_10device_ptrIsEEEENSB_INSC_IjEEEEPNS0_10empty_typeENS0_5tupleIJSE_SH_EEENSJ_IJSG_SI_EEENS0_18inequality_wrapperINS9_8equal_toIsEEEEPmJSH_EEE10hipError_tPvRmT3_T4_T5_T6_T7_T9_mT8_P12ihipStream_tbDpT10_ENKUlT_T0_E_clISt17integral_constantIbLb1EES1A_EEDaS15_S16_EUlS15_E_NS1_11comp_targetILNS1_3genE9ELNS1_11target_archE1100ELNS1_3gpuE3ELNS1_3repE0EEENS1_30default_config_static_selectorELNS0_4arch9wavefront6targetE0EEEvT1_ ; -- Begin function _ZN7rocprim17ROCPRIM_400000_NS6detail17trampoline_kernelINS0_14default_configENS1_25partition_config_selectorILNS1_17partition_subalgoE9EsjbEEZZNS1_14partition_implILS5_9ELb0ES3_jN6thrust23THRUST_200600_302600_NS6detail15normal_iteratorINS9_10device_ptrIsEEEENSB_INSC_IjEEEEPNS0_10empty_typeENS0_5tupleIJSE_SH_EEENSJ_IJSG_SI_EEENS0_18inequality_wrapperINS9_8equal_toIsEEEEPmJSH_EEE10hipError_tPvRmT3_T4_T5_T6_T7_T9_mT8_P12ihipStream_tbDpT10_ENKUlT_T0_E_clISt17integral_constantIbLb1EES1A_EEDaS15_S16_EUlS15_E_NS1_11comp_targetILNS1_3genE9ELNS1_11target_archE1100ELNS1_3gpuE3ELNS1_3repE0EEENS1_30default_config_static_selectorELNS0_4arch9wavefront6targetE0EEEvT1_
	.globl	_ZN7rocprim17ROCPRIM_400000_NS6detail17trampoline_kernelINS0_14default_configENS1_25partition_config_selectorILNS1_17partition_subalgoE9EsjbEEZZNS1_14partition_implILS5_9ELb0ES3_jN6thrust23THRUST_200600_302600_NS6detail15normal_iteratorINS9_10device_ptrIsEEEENSB_INSC_IjEEEEPNS0_10empty_typeENS0_5tupleIJSE_SH_EEENSJ_IJSG_SI_EEENS0_18inequality_wrapperINS9_8equal_toIsEEEEPmJSH_EEE10hipError_tPvRmT3_T4_T5_T6_T7_T9_mT8_P12ihipStream_tbDpT10_ENKUlT_T0_E_clISt17integral_constantIbLb1EES1A_EEDaS15_S16_EUlS15_E_NS1_11comp_targetILNS1_3genE9ELNS1_11target_archE1100ELNS1_3gpuE3ELNS1_3repE0EEENS1_30default_config_static_selectorELNS0_4arch9wavefront6targetE0EEEvT1_
	.p2align	8
	.type	_ZN7rocprim17ROCPRIM_400000_NS6detail17trampoline_kernelINS0_14default_configENS1_25partition_config_selectorILNS1_17partition_subalgoE9EsjbEEZZNS1_14partition_implILS5_9ELb0ES3_jN6thrust23THRUST_200600_302600_NS6detail15normal_iteratorINS9_10device_ptrIsEEEENSB_INSC_IjEEEEPNS0_10empty_typeENS0_5tupleIJSE_SH_EEENSJ_IJSG_SI_EEENS0_18inequality_wrapperINS9_8equal_toIsEEEEPmJSH_EEE10hipError_tPvRmT3_T4_T5_T6_T7_T9_mT8_P12ihipStream_tbDpT10_ENKUlT_T0_E_clISt17integral_constantIbLb1EES1A_EEDaS15_S16_EUlS15_E_NS1_11comp_targetILNS1_3genE9ELNS1_11target_archE1100ELNS1_3gpuE3ELNS1_3repE0EEENS1_30default_config_static_selectorELNS0_4arch9wavefront6targetE0EEEvT1_,@function
_ZN7rocprim17ROCPRIM_400000_NS6detail17trampoline_kernelINS0_14default_configENS1_25partition_config_selectorILNS1_17partition_subalgoE9EsjbEEZZNS1_14partition_implILS5_9ELb0ES3_jN6thrust23THRUST_200600_302600_NS6detail15normal_iteratorINS9_10device_ptrIsEEEENSB_INSC_IjEEEEPNS0_10empty_typeENS0_5tupleIJSE_SH_EEENSJ_IJSG_SI_EEENS0_18inequality_wrapperINS9_8equal_toIsEEEEPmJSH_EEE10hipError_tPvRmT3_T4_T5_T6_T7_T9_mT8_P12ihipStream_tbDpT10_ENKUlT_T0_E_clISt17integral_constantIbLb1EES1A_EEDaS15_S16_EUlS15_E_NS1_11comp_targetILNS1_3genE9ELNS1_11target_archE1100ELNS1_3gpuE3ELNS1_3repE0EEENS1_30default_config_static_selectorELNS0_4arch9wavefront6targetE0EEEvT1_: ; @_ZN7rocprim17ROCPRIM_400000_NS6detail17trampoline_kernelINS0_14default_configENS1_25partition_config_selectorILNS1_17partition_subalgoE9EsjbEEZZNS1_14partition_implILS5_9ELb0ES3_jN6thrust23THRUST_200600_302600_NS6detail15normal_iteratorINS9_10device_ptrIsEEEENSB_INSC_IjEEEEPNS0_10empty_typeENS0_5tupleIJSE_SH_EEENSJ_IJSG_SI_EEENS0_18inequality_wrapperINS9_8equal_toIsEEEEPmJSH_EEE10hipError_tPvRmT3_T4_T5_T6_T7_T9_mT8_P12ihipStream_tbDpT10_ENKUlT_T0_E_clISt17integral_constantIbLb1EES1A_EEDaS15_S16_EUlS15_E_NS1_11comp_targetILNS1_3genE9ELNS1_11target_archE1100ELNS1_3gpuE3ELNS1_3repE0EEENS1_30default_config_static_selectorELNS0_4arch9wavefront6targetE0EEEvT1_
; %bb.0:
	s_clause 0x4
	s_load_b128 s[4:7], s[0:1], 0x8
	s_load_b64 s[8:9], s[0:1], 0x18
	s_load_b128 s[12:15], s[0:1], 0x40
	s_load_b64 s[10:11], s[0:1], 0x50
	s_load_b64 s[20:21], s[0:1], 0x60
	v_cmp_ne_u32_e64 s3, 0, v0
	v_cmp_eq_u32_e64 s2, 0, v0
	s_delay_alu instid0(VALU_DEP_1)
	s_and_saveexec_b32 s16, s2
	s_cbranch_execz .LBB675_4
; %bb.1:
	s_mov_b32 s18, exec_lo
	s_mov_b32 s17, exec_lo
	v_mbcnt_lo_u32_b32 v1, s18, 0
                                        ; implicit-def: $vgpr2
	s_delay_alu instid0(VALU_DEP_1)
	v_cmpx_eq_u32_e32 0, v1
	s_cbranch_execz .LBB675_3
; %bb.2:
	s_load_b64 s[22:23], s[0:1], 0x70
	s_bcnt1_i32_b32 s18, s18
	s_delay_alu instid0(SALU_CYCLE_1)
	v_dual_mov_b32 v2, 0 :: v_dual_mov_b32 v3, s18
	s_waitcnt lgkmcnt(0)
	global_atomic_add_u32 v2, v2, v3, s[22:23] glc
.LBB675_3:
	s_or_b32 exec_lo, exec_lo, s17
	s_waitcnt vmcnt(0)
	v_readfirstlane_b32 s17, v2
	s_delay_alu instid0(VALU_DEP_1)
	v_dual_mov_b32 v2, 0 :: v_dual_add_nc_u32 v1, s17, v1
	ds_store_b32 v2, v1
.LBB675_4:
	s_or_b32 exec_lo, exec_lo, s16
	v_mov_b32_e32 v1, 0
	s_clause 0x1
	s_load_b128 s[16:19], s[0:1], 0x28
	s_load_b32 s0, s[0:1], 0x68
	s_waitcnt lgkmcnt(0)
	s_barrier
	buffer_gl0_inv
	ds_load_b32 v3, v1
	s_waitcnt lgkmcnt(0)
	s_barrier
	buffer_gl0_inv
	global_load_b64 v[1:2], v1, s[14:15]
	s_lshl_b64 s[14:15], s[6:7], 1
	s_delay_alu instid0(SALU_CYCLE_1) | instskip(SKIP_3) | instid1(SALU_CYCLE_1)
	s_add_u32 s14, s4, s14
	s_addc_u32 s15, s5, s15
	s_mov_b32 s5, 0
	s_mul_i32 s1, s0, 0x580
	s_add_i32 s4, s1, s6
	s_delay_alu instid0(SALU_CYCLE_1)
	s_sub_i32 s25, s10, s4
	s_add_i32 s4, s0, -1
	s_addk_i32 s25, 0x580
	s_add_u32 s0, s6, s1
	v_readfirstlane_b32 s24, v3
	s_addc_u32 s1, s7, 0
	s_delay_alu instid0(SALU_CYCLE_1) | instskip(SKIP_1) | instid1(VALU_DEP_2)
	v_cmp_ge_u64_e64 s0, s[0:1], s[10:11]
	s_mov_b32 s11, -1
	s_cmp_eq_u32 s24, s4
	s_mul_i32 s4, s24, 0x580
	s_cselect_b32 s22, -1, 0
	s_delay_alu instid0(VALU_DEP_1) | instid1(SALU_CYCLE_1)
	s_and_b32 s26, s0, s22
	s_lshl_b64 s[0:1], s[4:5], 1
	s_xor_b32 s23, s26, -1
	s_add_u32 s10, s14, s0
	s_addc_u32 s1, s15, s1
	s_and_b32 vcc_lo, exec_lo, s23
	s_waitcnt vmcnt(0)
	v_readfirstlane_b32 s14, v1
	v_readfirstlane_b32 s15, v2
	s_cbranch_vccz .LBB675_6
; %bb.5:
	v_lshlrev_b32_e32 v3, 1, v0
	s_mov_b32 s11, s5
	s_delay_alu instid0(VALU_DEP_1) | instskip(NEXT) | instid1(VALU_DEP_1)
	v_add_co_u32 v1, s0, s10, v3
	v_add_co_ci_u32_e64 v2, null, s1, 0, s0
	s_clause 0xa
	flat_load_u16 v4, v[1:2]
	flat_load_u16 v5, v[1:2] offset:256
	flat_load_u16 v6, v[1:2] offset:512
	;; [unrolled: 1-line block ×10, first 2 shown]
	s_waitcnt vmcnt(10) lgkmcnt(10)
	ds_store_b16 v3, v4
	s_waitcnt vmcnt(9) lgkmcnt(10)
	ds_store_b16 v3, v5 offset:256
	s_waitcnt vmcnt(8) lgkmcnt(10)
	ds_store_b16 v3, v6 offset:512
	;; [unrolled: 2-line block ×10, first 2 shown]
	s_waitcnt lgkmcnt(0)
	s_barrier
.LBB675_6:
	v_cmp_gt_u32_e64 s0, s25, v0
	s_and_not1_b32 vcc_lo, exec_lo, s11
	s_cbranch_vccnz .LBB675_30
; %bb.7:
                                        ; implicit-def: $vgpr1_vgpr2_vgpr3_vgpr4_vgpr5_vgpr6_vgpr7_vgpr8
	s_delay_alu instid0(VALU_DEP_1)
	s_and_saveexec_b32 s11, s0
	s_cbranch_execz .LBB675_9
; %bb.8:
	v_lshlrev_b32_e32 v1, 1, v0
	s_delay_alu instid0(VALU_DEP_1) | instskip(NEXT) | instid1(VALU_DEP_1)
	v_add_co_u32 v1, s0, s10, v1
	v_add_co_ci_u32_e64 v2, null, s1, 0, s0
	flat_load_d16_b16 v1, v[1:2]
.LBB675_9:
	s_or_b32 exec_lo, exec_lo, s11
	v_or_b32_e32 v7, 0x80, v0
	s_mov_b32 s0, exec_lo
	s_delay_alu instid0(VALU_DEP_1)
	v_cmpx_gt_u32_e64 s25, v7
	s_cbranch_execz .LBB675_11
; %bb.10:
	v_lshlrev_b32_e32 v7, 1, v0
	s_delay_alu instid0(VALU_DEP_1) | instskip(NEXT) | instid1(VALU_DEP_1)
	v_add_co_u32 v7, s11, s10, v7
	v_add_co_ci_u32_e64 v8, null, s1, 0, s11
	s_waitcnt vmcnt(0) lgkmcnt(0)
	flat_load_d16_hi_b16 v1, v[7:8] offset:256
.LBB675_11:
	s_or_b32 exec_lo, exec_lo, s0
	v_or_b32_e32 v7, 0x100, v0
	s_mov_b32 s0, exec_lo
	s_delay_alu instid0(VALU_DEP_1)
	v_cmpx_gt_u32_e64 s25, v7
	s_cbranch_execz .LBB675_13
; %bb.12:
	v_lshlrev_b32_e32 v7, 1, v0
	s_delay_alu instid0(VALU_DEP_1) | instskip(NEXT) | instid1(VALU_DEP_1)
	v_add_co_u32 v7, s11, s10, v7
	v_add_co_ci_u32_e64 v8, null, s1, 0, s11
	flat_load_d16_b16 v2, v[7:8] offset:512
.LBB675_13:
	s_or_b32 exec_lo, exec_lo, s0
	v_or_b32_e32 v7, 0x180, v0
	s_mov_b32 s0, exec_lo
	s_delay_alu instid0(VALU_DEP_1)
	v_cmpx_gt_u32_e64 s25, v7
	s_cbranch_execz .LBB675_15
; %bb.14:
	v_lshlrev_b32_e32 v7, 1, v0
	s_delay_alu instid0(VALU_DEP_1) | instskip(NEXT) | instid1(VALU_DEP_1)
	v_add_co_u32 v7, s11, s10, v7
	v_add_co_ci_u32_e64 v8, null, s1, 0, s11
	s_waitcnt vmcnt(0) lgkmcnt(0)
	flat_load_d16_hi_b16 v2, v[7:8] offset:768
.LBB675_15:
	s_or_b32 exec_lo, exec_lo, s0
	v_or_b32_e32 v7, 0x200, v0
	s_mov_b32 s0, exec_lo
	s_delay_alu instid0(VALU_DEP_1)
	v_cmpx_gt_u32_e64 s25, v7
	s_cbranch_execz .LBB675_17
; %bb.16:
	v_lshlrev_b32_e32 v7, 1, v0
	s_delay_alu instid0(VALU_DEP_1) | instskip(NEXT) | instid1(VALU_DEP_1)
	v_add_co_u32 v7, s11, s10, v7
	v_add_co_ci_u32_e64 v8, null, s1, 0, s11
	flat_load_d16_b16 v3, v[7:8] offset:1024
.LBB675_17:
	;; [unrolled: 27-line block ×5, first 2 shown]
	s_or_b32 exec_lo, exec_lo, s0
	v_lshlrev_b32_e32 v7, 1, v0
	s_waitcnt vmcnt(0) lgkmcnt(0)
	ds_store_b16 v7, v1
	ds_store_b16_d16_hi v7, v1 offset:256
	ds_store_b16 v7, v2 offset:512
	ds_store_b16_d16_hi v7, v2 offset:768
	ds_store_b16 v7, v3 offset:1024
	;; [unrolled: 2-line block ×5, first 2 shown]
	s_waitcnt lgkmcnt(0)
	s_barrier
.LBB675_30:
	v_mul_u32_u24_e32 v1, 11, v0
	buffer_gl0_inv
	s_lshl_b64 s[28:29], s[6:7], 2
	s_delay_alu instid0(SALU_CYCLE_1)
	s_add_u32 s0, s8, s28
	v_lshlrev_b32_e32 v2, 1, v1
	s_addc_u32 s8, s9, s29
	s_lshl_b64 s[4:5], s[4:5], 2
	ds_load_b128 v[13:16], v2
	ds_load_u16 v38, v2 offset:16
	ds_load_u16 v37, v2 offset:18
	;; [unrolled: 1-line block ×3, first 2 shown]
	s_add_u32 s0, s0, s4
	s_addc_u32 s4, s8, s5
	s_and_b32 vcc_lo, exec_lo, s23
	s_mov_b32 s5, -1
	s_waitcnt lgkmcnt(0)
	s_barrier
	buffer_gl0_inv
	s_cbranch_vccz .LBB675_32
; %bb.31:
	v_lshlrev_b32_e32 v7, 2, v0
	s_delay_alu instid0(VALU_DEP_1) | instskip(NEXT) | instid1(VALU_DEP_1)
	v_add_co_u32 v3, s5, s0, v7
	v_add_co_ci_u32_e64 v4, null, s4, 0, s5
	s_mov_b32 s5, 0
	s_delay_alu instid0(VALU_DEP_2) | instskip(NEXT) | instid1(VALU_DEP_2)
	v_add_co_u32 v5, vcc_lo, 0x1000, v3
	v_add_co_ci_u32_e32 v6, vcc_lo, 0, v4, vcc_lo
	s_clause 0xa
	flat_load_b32 v8, v[3:4]
	flat_load_b32 v9, v[3:4] offset:512
	flat_load_b32 v10, v[3:4] offset:1024
	flat_load_b32 v11, v[3:4] offset:1536
	flat_load_b32 v12, v[3:4] offset:2048
	flat_load_b32 v17, v[3:4] offset:2560
	flat_load_b32 v18, v[3:4] offset:3072
	flat_load_b32 v3, v[3:4] offset:3584
	flat_load_b32 v4, v[5:6]
	flat_load_b32 v19, v[5:6] offset:512
	flat_load_b32 v5, v[5:6] offset:1024
	s_waitcnt vmcnt(9) lgkmcnt(9)
	ds_store_2addr_stride64_b32 v7, v8, v9 offset1:2
	s_waitcnt vmcnt(7) lgkmcnt(8)
	ds_store_2addr_stride64_b32 v7, v10, v11 offset0:4 offset1:6
	s_waitcnt vmcnt(5) lgkmcnt(7)
	ds_store_2addr_stride64_b32 v7, v12, v17 offset0:8 offset1:10
	;; [unrolled: 2-line block ×4, first 2 shown]
	s_waitcnt vmcnt(0) lgkmcnt(5)
	ds_store_b32 v7, v5 offset:5120
	s_waitcnt lgkmcnt(0)
	s_barrier
.LBB675_32:
	s_and_not1_b32 vcc_lo, exec_lo, s5
	s_cbranch_vccnz .LBB675_56
; %bb.33:
	s_mov_b32 s5, exec_lo
                                        ; implicit-def: $vgpr3
	v_cmpx_gt_u32_e64 s25, v0
	s_cbranch_execz .LBB675_35
; %bb.34:
	v_lshlrev_b32_e32 v3, 2, v0
	s_delay_alu instid0(VALU_DEP_1) | instskip(NEXT) | instid1(VALU_DEP_1)
	v_add_co_u32 v3, s8, s0, v3
	v_add_co_ci_u32_e64 v4, null, s4, 0, s8
	flat_load_b32 v3, v[3:4]
.LBB675_35:
	s_or_b32 exec_lo, exec_lo, s5
	v_or_b32_e32 v4, 0x80, v0
	s_delay_alu instid0(VALU_DEP_1)
	v_cmp_gt_u32_e32 vcc_lo, s25, v4
                                        ; implicit-def: $vgpr4
	s_and_saveexec_b32 s5, vcc_lo
	s_cbranch_execz .LBB675_37
; %bb.36:
	v_lshlrev_b32_e32 v4, 2, v0
	s_delay_alu instid0(VALU_DEP_1) | instskip(NEXT) | instid1(VALU_DEP_1)
	v_add_co_u32 v4, s8, s0, v4
	v_add_co_ci_u32_e64 v5, null, s4, 0, s8
	flat_load_b32 v4, v[4:5] offset:512
.LBB675_37:
	s_or_b32 exec_lo, exec_lo, s5
	v_or_b32_e32 v5, 0x100, v0
	s_delay_alu instid0(VALU_DEP_1)
	v_cmp_gt_u32_e32 vcc_lo, s25, v5
                                        ; implicit-def: $vgpr5
	s_and_saveexec_b32 s5, vcc_lo
	s_cbranch_execz .LBB675_39
; %bb.38:
	v_lshlrev_b32_e32 v5, 2, v0
	s_delay_alu instid0(VALU_DEP_1) | instskip(NEXT) | instid1(VALU_DEP_1)
	v_add_co_u32 v5, s8, s0, v5
	v_add_co_ci_u32_e64 v6, null, s4, 0, s8
	flat_load_b32 v5, v[5:6] offset:1024
.LBB675_39:
	s_or_b32 exec_lo, exec_lo, s5
	v_or_b32_e32 v6, 0x180, v0
	s_delay_alu instid0(VALU_DEP_1)
	v_cmp_gt_u32_e32 vcc_lo, s25, v6
                                        ; implicit-def: $vgpr6
	s_and_saveexec_b32 s5, vcc_lo
	s_cbranch_execz .LBB675_41
; %bb.40:
	v_lshlrev_b32_e32 v6, 2, v0
	s_delay_alu instid0(VALU_DEP_1) | instskip(NEXT) | instid1(VALU_DEP_1)
	v_add_co_u32 v6, s8, s0, v6
	v_add_co_ci_u32_e64 v7, null, s4, 0, s8
	flat_load_b32 v6, v[6:7] offset:1536
.LBB675_41:
	s_or_b32 exec_lo, exec_lo, s5
	v_or_b32_e32 v7, 0x200, v0
	s_delay_alu instid0(VALU_DEP_1)
	v_cmp_gt_u32_e32 vcc_lo, s25, v7
                                        ; implicit-def: $vgpr7
	s_and_saveexec_b32 s5, vcc_lo
	s_cbranch_execz .LBB675_43
; %bb.42:
	v_lshlrev_b32_e32 v7, 2, v0
	s_delay_alu instid0(VALU_DEP_1) | instskip(NEXT) | instid1(VALU_DEP_1)
	v_add_co_u32 v7, s8, s0, v7
	v_add_co_ci_u32_e64 v8, null, s4, 0, s8
	flat_load_b32 v7, v[7:8] offset:2048
.LBB675_43:
	s_or_b32 exec_lo, exec_lo, s5
	v_or_b32_e32 v8, 0x280, v0
	s_delay_alu instid0(VALU_DEP_1)
	v_cmp_gt_u32_e32 vcc_lo, s25, v8
                                        ; implicit-def: $vgpr8
	s_and_saveexec_b32 s5, vcc_lo
	s_cbranch_execz .LBB675_45
; %bb.44:
	v_lshlrev_b32_e32 v8, 2, v0
	s_delay_alu instid0(VALU_DEP_1) | instskip(NEXT) | instid1(VALU_DEP_1)
	v_add_co_u32 v8, s8, s0, v8
	v_add_co_ci_u32_e64 v9, null, s4, 0, s8
	flat_load_b32 v8, v[8:9] offset:2560
.LBB675_45:
	s_or_b32 exec_lo, exec_lo, s5
	v_or_b32_e32 v9, 0x300, v0
	s_delay_alu instid0(VALU_DEP_1)
	v_cmp_gt_u32_e32 vcc_lo, s25, v9
                                        ; implicit-def: $vgpr9
	s_and_saveexec_b32 s5, vcc_lo
	s_cbranch_execz .LBB675_47
; %bb.46:
	v_lshlrev_b32_e32 v9, 2, v0
	s_delay_alu instid0(VALU_DEP_1) | instskip(NEXT) | instid1(VALU_DEP_1)
	v_add_co_u32 v9, s8, s0, v9
	v_add_co_ci_u32_e64 v10, null, s4, 0, s8
	flat_load_b32 v9, v[9:10] offset:3072
.LBB675_47:
	s_or_b32 exec_lo, exec_lo, s5
	v_or_b32_e32 v10, 0x380, v0
	s_delay_alu instid0(VALU_DEP_1)
	v_cmp_gt_u32_e32 vcc_lo, s25, v10
                                        ; implicit-def: $vgpr10
	s_and_saveexec_b32 s5, vcc_lo
	s_cbranch_execz .LBB675_49
; %bb.48:
	v_lshlrev_b32_e32 v10, 2, v0
	s_delay_alu instid0(VALU_DEP_1) | instskip(NEXT) | instid1(VALU_DEP_1)
	v_add_co_u32 v10, s8, s0, v10
	v_add_co_ci_u32_e64 v11, null, s4, 0, s8
	flat_load_b32 v10, v[10:11] offset:3584
.LBB675_49:
	s_or_b32 exec_lo, exec_lo, s5
	v_or_b32_e32 v12, 0x400, v0
	s_mov_b32 s5, exec_lo
                                        ; implicit-def: $vgpr11
	s_delay_alu instid0(VALU_DEP_1)
	v_cmpx_gt_u32_e64 s25, v12
	s_cbranch_execz .LBB675_51
; %bb.50:
	v_lshlrev_b32_e32 v11, 2, v12
	s_delay_alu instid0(VALU_DEP_1) | instskip(NEXT) | instid1(VALU_DEP_1)
	v_add_co_u32 v11, s8, s0, v11
	v_add_co_ci_u32_e64 v12, null, s4, 0, s8
	flat_load_b32 v11, v[11:12]
.LBB675_51:
	s_or_b32 exec_lo, exec_lo, s5
	v_or_b32_e32 v17, 0x480, v0
	s_mov_b32 s5, exec_lo
                                        ; implicit-def: $vgpr12
	s_delay_alu instid0(VALU_DEP_1)
	v_cmpx_gt_u32_e64 s25, v17
	s_cbranch_execz .LBB675_53
; %bb.52:
	v_lshlrev_b32_e32 v12, 2, v17
	s_delay_alu instid0(VALU_DEP_1) | instskip(NEXT) | instid1(VALU_DEP_1)
	v_add_co_u32 v17, s8, s0, v12
	v_add_co_ci_u32_e64 v18, null, s4, 0, s8
	flat_load_b32 v12, v[17:18]
.LBB675_53:
	s_or_b32 exec_lo, exec_lo, s5
	v_or_b32_e32 v18, 0x500, v0
	s_mov_b32 s5, exec_lo
                                        ; implicit-def: $vgpr17
	s_delay_alu instid0(VALU_DEP_1)
	v_cmpx_gt_u32_e64 s25, v18
	s_cbranch_execz .LBB675_55
; %bb.54:
	v_lshlrev_b32_e32 v17, 2, v18
	s_delay_alu instid0(VALU_DEP_1) | instskip(NEXT) | instid1(VALU_DEP_1)
	v_add_co_u32 v17, s0, s0, v17
	v_add_co_ci_u32_e64 v18, null, s4, 0, s0
	flat_load_b32 v17, v[17:18]
.LBB675_55:
	s_or_b32 exec_lo, exec_lo, s5
	v_mad_i32_i24 v2, 0xffffffee, v0, v2
	s_waitcnt vmcnt(0) lgkmcnt(0)
	ds_store_2addr_stride64_b32 v2, v3, v4 offset1:2
	ds_store_2addr_stride64_b32 v2, v5, v6 offset0:4 offset1:6
	ds_store_2addr_stride64_b32 v2, v7, v8 offset0:8 offset1:10
	;; [unrolled: 1-line block ×4, first 2 shown]
	ds_store_b32 v2, v17 offset:5120
	s_waitcnt lgkmcnt(0)
	s_barrier
.LBB675_56:
	v_lshlrev_b32_e32 v44, 2, v1
	buffer_gl0_inv
	s_cmp_lg_u32 s24, 0
	v_lshrrev_b32_e32 v43, 16, v13
	s_cselect_b32 s27, -1, 0
	ds_load_2addr_b32 v[28:29], v44 offset1:1
	ds_load_2addr_b32 v[26:27], v44 offset0:2 offset1:3
	ds_load_2addr_b32 v[24:25], v44 offset0:4 offset1:5
	;; [unrolled: 1-line block ×4, first 2 shown]
	ds_load_b32 v36, v44 offset:40
	s_cmp_lg_u64 s[6:7], 0
	v_lshrrev_b32_e32 v42, 16, v14
	s_cselect_b32 s0, -1, 0
	v_lshrrev_b32_e32 v41, 16, v15
	v_lshrrev_b32_e32 v40, 16, v16
	v_add_nc_u32_e32 v5, 1, v1
	v_add_nc_u32_e32 v6, 2, v1
	;; [unrolled: 1-line block ×10, first 2 shown]
	s_or_b32 s0, s0, s27
	s_mov_b32 s28, 0
	s_and_b32 vcc_lo, exec_lo, s0
	s_waitcnt lgkmcnt(0)
	s_barrier
	buffer_gl0_inv
	s_cbranch_vccz .LBB675_61
; %bb.57:
	v_add_co_u32 v17, s0, -2, s10
	s_delay_alu instid0(VALU_DEP_1)
	v_add_co_ci_u32_e64 v18, null, -1, s1, s0
	s_mov_b32 s1, -1
	s_and_b32 vcc_lo, exec_lo, s23
	flat_load_u16 v17, v[17:18]
	v_lshlrev_b32_e32 v18, 1, v0
	ds_store_b16 v18, v33
	s_cbranch_vccz .LBB675_63
; %bb.58:
	s_waitcnt vmcnt(0) lgkmcnt(1)
	v_mov_b32_e32 v19, v17
	s_waitcnt lgkmcnt(0)
	s_barrier
	buffer_gl0_inv
	s_and_saveexec_b32 s0, s3
	s_cbranch_execz .LBB675_60
; %bb.59:
	v_add_nc_u32_e32 v12, -2, v18
	ds_load_u16 v19, v12
.LBB675_60:
	s_or_b32 exec_lo, exec_lo, s0
	v_cmp_ne_u16_e32 vcc_lo, v16, v40
	s_waitcnt lgkmcnt(0)
	v_cmp_ne_u16_e64 s0, v19, v13
	v_cndmask_b32_e64 v12, 0, 1, vcc_lo
	v_cmp_ne_u16_e32 vcc_lo, v41, v16
	s_delay_alu instid0(VALU_DEP_2) | instskip(SKIP_2) | instid1(VALU_DEP_2)
	v_lshlrev_b16 v12, 8, v12
	v_cndmask_b32_e64 v30, 0, 1, vcc_lo
	v_cmp_ne_u16_e32 vcc_lo, v15, v41
	v_or_b32_e32 v30, v30, v12
	v_cndmask_b32_e64 v31, 0, 1, vcc_lo
	v_cmp_ne_u16_e32 vcc_lo, v42, v15
	s_delay_alu instid0(VALU_DEP_2) | instskip(SKIP_2) | instid1(VALU_DEP_2)
	v_lshlrev_b16 v31, 8, v31
	v_cndmask_b32_e64 v32, 0, 1, vcc_lo
	v_cmp_ne_u16_e32 vcc_lo, v14, v42
	v_or_b32_e32 v31, v32, v31
	v_cndmask_b32_e64 v34, 0, 1, vcc_lo
	v_cmp_ne_u16_e32 vcc_lo, v43, v14
	s_delay_alu instid0(VALU_DEP_3) | instskip(NEXT) | instid1(VALU_DEP_3)
	v_and_b32_e32 v31, 0xffff, v31
	v_lshlrev_b16 v45, 8, v34
	v_cndmask_b32_e64 v35, 0, 1, vcc_lo
	v_cmp_ne_u16_e32 vcc_lo, v13, v43
	s_delay_alu instid0(VALU_DEP_2) | instskip(SKIP_3) | instid1(VALU_DEP_4)
	v_or_b32_e32 v35, v35, v45
	v_cndmask_b32_e64 v39, 0, 1, vcc_lo
	v_cmp_ne_u16_e32 vcc_lo, v37, v33
	v_lshlrev_b32_e32 v45, 16, v30
	v_lshlrev_b32_e32 v35, 16, v35
	s_delay_alu instid0(VALU_DEP_4) | instskip(SKIP_3) | instid1(VALU_DEP_4)
	v_lshlrev_b16 v39, 8, v39
	v_cndmask_b32_e64 v34, 0, 1, vcc_lo
	v_cmp_ne_u16_e32 vcc_lo, v38, v37
	v_or_b32_e32 v31, v31, v45
	v_and_b32_e32 v39, 0xffff, v39
	v_cndmask_b32_e64 v12, 0, 1, vcc_lo
	v_cmp_ne_u16_e32 vcc_lo, v40, v38
	s_delay_alu instid0(VALU_DEP_3)
	v_or_b32_e32 v30, v39, v35
	v_cndmask_b32_e64 v32, 0, 1, vcc_lo
	s_branch .LBB675_67
.LBB675_61:
                                        ; implicit-def: $sgpr0
                                        ; implicit-def: $vgpr34
                                        ; implicit-def: $vgpr12
                                        ; implicit-def: $vgpr32
                                        ; implicit-def: $vgpr31
	s_branch .LBB675_68
.LBB675_62:
                                        ; implicit-def: $vgpr17_vgpr18_vgpr19
	s_and_saveexec_b32 s1, s28
	s_cbranch_execnz .LBB675_76
	s_branch .LBB675_77
.LBB675_63:
                                        ; implicit-def: $sgpr0
                                        ; implicit-def: $vgpr34
                                        ; implicit-def: $vgpr12
                                        ; implicit-def: $vgpr32
                                        ; implicit-def: $vgpr31
	s_and_b32 vcc_lo, exec_lo, s1
	s_cbranch_vccz .LBB675_67
; %bb.64:
	s_waitcnt vmcnt(0) lgkmcnt(0)
	s_barrier
	buffer_gl0_inv
	s_and_saveexec_b32 s0, s3
	s_cbranch_execz .LBB675_66
; %bb.65:
	v_add_nc_u32_e32 v12, -2, v18
	ds_load_u16 v17, v12
.LBB675_66:
	s_or_b32 exec_lo, exec_lo, s0
	v_cmp_gt_u32_e32 vcc_lo, s25, v9
	v_cmp_ne_u16_e64 s0, v37, v33
	v_cmp_gt_u32_e64 s1, s25, v10
	v_cmp_ne_u16_e64 s4, v38, v37
	v_cmp_gt_u32_e64 s5, s25, v5
	v_cmp_ne_u16_e64 s6, v13, v43
	s_and_b32 s0, vcc_lo, s0
	v_cmp_gt_u32_e32 vcc_lo, s25, v2
	v_cndmask_b32_e64 v34, 0, 1, s0
	v_cmp_ne_u16_e64 s0, v16, v40
	s_and_b32 s1, s1, s4
	v_cmp_ne_u16_e64 s4, v41, v16
	v_cndmask_b32_e64 v12, 0, 1, s1
	v_cmp_gt_u32_e64 s1, s25, v4
	s_and_b32 s0, vcc_lo, s0
	v_cmp_gt_u32_e32 vcc_lo, s25, v7
	v_cndmask_b32_e64 v18, 0, 1, s0
	v_cmp_ne_u16_e64 s0, v15, v41
	s_and_b32 s1, s1, s4
	v_cmp_ne_u16_e64 s4, v14, v42
	v_cndmask_b32_e64 v19, 0, 1, s1
	v_cmp_gt_u32_e64 s1, s25, v3
	;; [unrolled: 8-line block ×3, first 2 shown]
	s_and_b32 s0, vcc_lo, s0
	v_lshlrev_b16 v30, 8, v30
	v_cndmask_b32_e64 v32, 0, 1, s0
	v_lshlrev_b16 v31, 8, v31
	s_and_b32 s0, s1, s4
	v_lshlrev_b16 v18, 8, v18
	v_cndmask_b32_e64 v35, 0, 1, s0
	s_and_b32 s0, s5, s6
	v_or_b32_e32 v30, v32, v30
	v_cndmask_b32_e64 v39, 0, 1, s0
	v_or_b32_e32 v18, v19, v18
	v_or_b32_e32 v31, v35, v31
	v_cmp_gt_u32_e32 vcc_lo, s25, v11
	v_cmp_ne_u16_e64 s0, v40, v38
	v_lshlrev_b16 v35, 8, v39
	v_lshlrev_b32_e32 v18, 16, v18
	v_lshlrev_b32_e32 v19, 16, v31
	s_delay_alu instid0(VALU_DEP_4) | instskip(NEXT) | instid1(VALU_DEP_3)
	s_and_b32 s0, vcc_lo, s0
	v_and_b32_e32 v31, 0xffff, v35
	v_and_b32_e32 v35, 0xffff, v30
	v_cndmask_b32_e64 v32, 0, 1, s0
	v_cmp_gt_u32_e32 vcc_lo, s25, v1
	s_waitcnt lgkmcnt(0)
	v_cmp_ne_u16_e64 s0, v17, v13
	v_or_b32_e32 v30, v31, v19
	v_or_b32_e32 v31, v35, v18
	s_delay_alu instid0(VALU_DEP_3)
	s_and_b32 s0, vcc_lo, s0
.LBB675_67:
	s_mov_b32 s28, -1
	s_cbranch_execnz .LBB675_62
.LBB675_68:
	v_mad_i32_i24 v35, 0xffffffd6, v0, v44
	v_cmp_ne_u16_e64 s0, v37, v33
	v_cmp_ne_u16_e64 s9, v38, v37
	;; [unrolled: 1-line block ×10, first 2 shown]
	s_and_b32 vcc_lo, exec_lo, s23
	ds_store_b16 v35, v33
	s_cbranch_vccz .LBB675_72
; %bb.69:
	s_waitcnt vmcnt(0) lgkmcnt(2)
	v_cndmask_b32_e64 v17, 0, 1, s11
	v_cndmask_b32_e64 v12, 0, 1, s9
	;; [unrolled: 1-line block ×5, first 2 shown]
	v_lshlrev_b16 v17, 8, v17
	v_cndmask_b32_e64 v39, 0, 1, s4
	v_cndmask_b32_e64 v32, 0, 1, s10
	;; [unrolled: 1-line block ×4, first 2 shown]
	v_lshlrev_b16 v18, 8, v18
	v_lshlrev_b16 v45, 8, v12
	v_or_b32_e32 v17, v30, v17
	v_lshlrev_b16 v30, 8, v31
	v_lshlrev_b16 v31, 8, v39
	v_or_b32_e32 v18, v19, v18
	v_or_b32_e32 v19, v32, v45
	v_and_b32_e32 v17, 0xffff, v17
	v_or_b32_e32 v30, v34, v30
	v_or_b32_e32 v31, 1, v31
	v_lshlrev_b32_e32 v18, 16, v18
	v_and_b32_e32 v19, 0xffff, v19
	v_cndmask_b32_e64 v34, 0, 1, s0
	v_lshlrev_b32_e32 v30, 16, v30
	v_and_b32_e32 v39, 0xffff, v31
	v_or_b32_e32 v31, v17, v18
	s_waitcnt lgkmcnt(0)
	v_lshl_or_b32 v19, v34, 16, v19
	s_barrier
	v_or_b32_e32 v30, v39, v30
	buffer_gl0_inv
                                        ; implicit-def: $sgpr0
	s_and_saveexec_b32 s1, s3
	s_delay_alu instid0(SALU_CYCLE_1)
	s_xor_b32 s1, exec_lo, s1
	s_cbranch_execz .LBB675_71
; %bb.70:
	v_add_nc_u32_e32 v17, -2, v35
	s_or_b32 s28, s28, exec_lo
	ds_load_u16 v17, v17
	s_waitcnt lgkmcnt(0)
	v_cmp_ne_u16_e32 vcc_lo, v17, v13
                                        ; implicit-def: $vgpr17_vgpr18_vgpr19
	s_and_b32 s0, vcc_lo, exec_lo
.LBB675_71:
	s_or_b32 exec_lo, exec_lo, s1
	s_branch .LBB675_75
.LBB675_72:
                                        ; implicit-def: $sgpr0
                                        ; implicit-def: $vgpr34
                                        ; implicit-def: $vgpr12
                                        ; implicit-def: $vgpr32
                                        ; implicit-def: $vgpr31
                                        ; implicit-def: $vgpr17_vgpr18_vgpr19
	s_cbranch_execz .LBB675_75
; %bb.73:
	v_cmp_gt_u32_e32 vcc_lo, s25, v10
	v_cmp_ne_u16_e64 s0, v38, v37
	v_cmp_gt_u32_e64 s5, s25, v11
	v_cmp_ne_u16_e64 s6, v40, v38
	v_cmp_gt_u32_e64 s1, s25, v9
	v_cmp_ne_u16_e64 s4, v37, v33
	s_and_b32 s0, vcc_lo, s0
	v_cmp_gt_u32_e32 vcc_lo, s25, v2
	v_cndmask_b32_e64 v12, 0, 1, s0
	v_cmp_ne_u16_e64 s0, v16, v40
	s_and_b32 s5, s5, s6
	v_cmp_ne_u16_e64 s6, v41, v16
	v_cndmask_b32_e64 v32, 0, 1, s5
	v_cmp_gt_u32_e64 s5, s25, v4
	s_and_b32 s0, vcc_lo, s0
	v_cmp_gt_u32_e32 vcc_lo, s25, v7
	s_waitcnt vmcnt(0) lgkmcnt(2)
	v_cndmask_b32_e64 v17, 0, 1, s0
	v_cmp_ne_u16_e64 s0, v15, v41
	s_and_b32 s5, s5, s6
	v_cmp_ne_u16_e64 s6, v42, v15
	v_cndmask_b32_e64 v18, 0, 1, s5
	v_cmp_gt_u32_e64 s5, s25, v8
	s_and_b32 s0, vcc_lo, s0
	v_cmp_gt_u32_e32 vcc_lo, s25, v3
	v_cndmask_b32_e64 v19, 0, 1, s0
	v_cmp_ne_u16_e64 s0, v14, v42
	s_and_b32 s5, s5, s6
	v_cmp_ne_u16_e64 s6, v43, v14
	v_cndmask_b32_e64 v30, 0, 1, s5
	v_cmp_gt_u32_e64 s5, s25, v6
	s_and_b32 s0, vcc_lo, s0
	v_cmp_gt_u32_e32 vcc_lo, s25, v5
	v_cndmask_b32_e64 v31, 0, 1, s0
	v_cmp_ne_u16_e64 s0, v13, v43
	v_lshlrev_b16 v19, 8, v19
	v_lshlrev_b16 v17, 8, v17
	s_and_b32 s5, s5, s6
	v_lshlrev_b16 v45, 8, v12
	s_and_b32 s0, vcc_lo, s0
	v_cndmask_b32_e64 v34, 0, 1, s5
	v_cndmask_b32_e64 v39, 0, 1, s0
	v_or_b32_e32 v19, v30, v19
	v_or_b32_e32 v17, v18, v17
	v_lshlrev_b16 v18, 8, v31
	v_or_b32_e32 v31, v32, v45
	v_lshlrev_b16 v30, 8, v39
	s_and_b32 s0, s1, s4
	v_and_b32_e32 v19, 0xffff, v19
	v_or_b32_e32 v18, v34, v18
	v_lshlrev_b32_e32 v17, 16, v17
	v_or_b32_e32 v30, 1, v30
	v_and_b32_e32 v39, 0xffff, v31
	v_cndmask_b32_e64 v34, 0, 1, s0
	v_lshlrev_b32_e32 v18, 16, v18
	v_or_b32_e32 v31, v19, v17
	v_and_b32_e32 v30, 0xffff, v30
	s_waitcnt lgkmcnt(0)
	v_lshl_or_b32 v19, v34, 16, v39
	s_barrier
	buffer_gl0_inv
	v_or_b32_e32 v30, v30, v18
                                        ; implicit-def: $sgpr0
	s_and_saveexec_b32 s1, s3
	s_cbranch_execz .LBB675_259
; %bb.74:
	v_add_nc_u32_e32 v17, -2, v35
	v_cmp_gt_u32_e32 vcc_lo, s25, v1
	s_or_b32 s28, s28, exec_lo
	ds_load_u16 v17, v17
	s_waitcnt lgkmcnt(0)
	v_cmp_ne_u16_e64 s0, v17, v13
                                        ; implicit-def: $vgpr17_vgpr18_vgpr19
	s_delay_alu instid0(VALU_DEP_1) | instskip(NEXT) | instid1(SALU_CYCLE_1)
	s_and_b32 s0, vcc_lo, s0
	s_and_b32 s0, s0, exec_lo
	s_or_b32 exec_lo, exec_lo, s1
.LBB675_75:
	s_and_saveexec_b32 s1, s28
	s_cbranch_execz .LBB675_77
.LBB675_76:
	v_lshrrev_b32_e32 v18, 24, v30
	v_lshrrev_b32_e32 v19, 16, v30
	;; [unrolled: 1-line block ×3, first 2 shown]
	s_waitcnt vmcnt(0) lgkmcnt(1)
	v_cndmask_b32_e64 v17, 0, 1, s0
	v_lshlrev_b16 v12, 8, v12
	v_and_b32_e32 v32, 0xff, v32
	v_lshlrev_b16 v18, 8, v18
	v_and_b32_e32 v19, 0xff, v19
	;; [unrolled: 2-line block ×3, first 2 shown]
	v_or_b32_e32 v12, v32, v12
	s_delay_alu instid0(VALU_DEP_4) | instskip(NEXT) | instid1(VALU_DEP_4)
	v_or_b32_e32 v18, v19, v18
	v_or_b32_e32 v17, v17, v30
	s_delay_alu instid0(VALU_DEP_4) | instskip(NEXT) | instid1(VALU_DEP_4)
	v_lshlrev_b32_e32 v19, 16, v34
	v_and_b32_e32 v12, 0xffff, v12
	s_delay_alu instid0(VALU_DEP_4) | instskip(NEXT) | instid1(VALU_DEP_4)
	v_lshlrev_b32_e32 v18, 16, v18
	v_and_b32_e32 v17, 0xffff, v17
	s_delay_alu instid0(VALU_DEP_3) | instskip(NEXT) | instid1(VALU_DEP_2)
	v_or_b32_e32 v19, v12, v19
	v_or_b32_e32 v30, v17, v18
.LBB675_77:
	s_or_b32 exec_lo, exec_lo, s1
	s_delay_alu instid0(SALU_CYCLE_1)
	s_and_not1_b32 vcc_lo, exec_lo, s26
	s_cbranch_vccnz .LBB675_79
; %bb.78:
	v_cmp_gt_u32_e32 vcc_lo, s25, v1
	v_cmp_gt_u32_e64 s0, s25, v5
	v_cmp_gt_u32_e64 s3, s25, v6
	v_and_b32_e32 v5, 0xffffff00, v31
	v_cmp_gt_u32_e64 s1, s25, v10
	v_dual_cndmask_b32 v1, 0, v30 :: v_dual_and_b32 v12, 0xff000000, v19
	v_cmp_gt_u32_e32 vcc_lo, s25, v11
	v_cmp_gt_u32_e64 s5, s25, v3
	v_cmp_gt_u32_e64 s4, s25, v9
	s_delay_alu instid0(VALU_DEP_4) | instskip(SKIP_1) | instid1(VALU_DEP_2)
	v_and_b32_e32 v1, 0xff, v1
	v_cndmask_b32_e32 v11, v12, v19, vcc_lo
	v_cndmask_b32_e64 v1, v1, v30, s0
	v_cmp_gt_u32_e64 s0, s25, v8
	s_delay_alu instid0(VALU_DEP_3) | instskip(NEXT) | instid1(VALU_DEP_3)
	v_and_b32_e32 v11, 0xff0000ff, v11
	v_and_b32_e32 v1, 0xffff, v1
	s_delay_alu instid0(VALU_DEP_3) | instskip(NEXT) | instid1(VALU_DEP_3)
	v_cndmask_b32_e64 v5, v5, v31, s0
	v_cndmask_b32_e64 v8, v11, v19, s1
	s_or_b32 s1, s4, s1
	s_delay_alu instid0(VALU_DEP_3) | instskip(NEXT) | instid1(VALU_DEP_3)
	v_cndmask_b32_e64 v1, v1, v30, s3
	v_and_b32_e32 v5, 0xffff00ff, v5
	s_delay_alu instid0(VALU_DEP_3) | instskip(SKIP_1) | instid1(VALU_DEP_4)
	v_and_b32_e32 v6, 0xff00ffff, v8
	v_cmp_gt_u32_e64 s3, s25, v7
	v_and_b32_e32 v1, 0xffffff, v1
	s_delay_alu instid0(VALU_DEP_3) | instskip(NEXT) | instid1(VALU_DEP_3)
	v_cndmask_b32_e64 v6, v6, v19, s4
	v_cndmask_b32_e64 v5, v5, v31, s3
	s_delay_alu instid0(VALU_DEP_3) | instskip(NEXT) | instid1(VALU_DEP_2)
	v_cndmask_b32_e64 v1, v1, v30, s5
	v_and_b32_e32 v3, 0xff00ffff, v5
	s_delay_alu instid0(VALU_DEP_4) | instskip(NEXT) | instid1(VALU_DEP_3)
	v_lshrrev_b32_e32 v5, 8, v6
	v_cndmask_b32_e64 v1, v1, v30, s0
	v_cmp_gt_u32_e64 s0, s25, v4
	s_delay_alu instid0(VALU_DEP_3) | instskip(NEXT) | instid1(VALU_DEP_3)
	v_lshlrev_b16 v5, 8, v5
	v_cndmask_b32_e64 v1, v1, v30, s3
	v_cmp_gt_u32_e64 s3, s25, v2
	s_delay_alu instid0(VALU_DEP_4) | instskip(NEXT) | instid1(VALU_DEP_3)
	v_cndmask_b32_e64 v3, v3, v31, s0
	v_cndmask_b32_e64 v1, v1, v30, s0
	s_or_b32 s0, s1, vcc_lo
	s_delay_alu instid0(VALU_DEP_3) | instid1(SALU_CYCLE_1)
	s_or_b32 vcc_lo, s0, s3
	s_delay_alu instid0(VALU_DEP_1) | instskip(NEXT) | instid1(VALU_DEP_1)
	v_dual_cndmask_b32 v1, v1, v30 :: v_dual_and_b32 v2, 0xffffff, v3
	v_dual_cndmask_b32 v31, v2, v31 :: v_dual_and_b32 v4, 0xff, v6
	s_delay_alu instid0(VALU_DEP_2) | instskip(NEXT) | instid1(VALU_DEP_2)
	v_perm_b32 v30, v1, v1, 0x3020104
	v_or_b32_e32 v3, v4, v5
	s_delay_alu instid0(VALU_DEP_1) | instskip(NEXT) | instid1(VALU_DEP_1)
	v_and_b32_e32 v2, 0xffff, v3
	v_and_or_b32 v19, 0xff0000, v6, v2
.LBB675_79:
	s_delay_alu instid0(VALU_DEP_1)
	v_and_b32_e32 v45, 0xff, v30
	v_bfe_u32 v46, v30, 8, 8
	v_alignbit_b32 v1, v31, v30, 24
	v_bfe_u32 v47, v30, 16, 8
	v_and_b32_e32 v48, 0xff, v31
	v_bfe_u32 v50, v31, 8, 8
	v_bfe_u32 v51, v31, 16, 8
	v_and_b32_e32 v49, 0xff, v1
	v_add3_u32 v1, v46, v45, v47
	v_lshrrev_b32_e32 v39, 24, v31
	v_mbcnt_lo_u32_b32 v54, -1, 0
	v_and_b32_e32 v52, 0xff, v19
	v_bfe_u32 v53, v19, 8, 8
	v_add3_u32 v1, v1, v49, v48
	v_bfe_u32 v3, v19, 16, 8
	v_and_b32_e32 v2, 15, v54
	v_or_b32_e32 v4, 31, v0
	v_and_b32_e32 v5, 16, v54
	v_add3_u32 v1, v1, v50, v51
	v_lshrrev_b32_e32 v55, 5, v0
	v_cmp_eq_u32_e64 s6, 0, v2
	v_cmp_lt_u32_e64 s5, 1, v2
	v_cmp_lt_u32_e64 s4, 3, v2
	v_add3_u32 v1, v1, v39, v52
	v_cmp_lt_u32_e64 s3, 7, v2
	v_cmp_eq_u32_e64 s1, 0, v5
	v_cmp_eq_u32_e64 s0, v4, v0
	s_and_b32 vcc_lo, exec_lo, s27
	v_add3_u32 v56, v1, v53, v3
	s_mov_b32 s7, -1
	s_waitcnt vmcnt(0) lgkmcnt(0)
	s_barrier
	buffer_gl0_inv
	s_cbranch_vccz .LBB675_110
; %bb.80:
	v_mov_b32_dpp v1, v56 row_shr:1 row_mask:0xf bank_mask:0xf
	s_delay_alu instid0(VALU_DEP_1) | instskip(NEXT) | instid1(VALU_DEP_1)
	v_cndmask_b32_e64 v1, v1, 0, s6
	v_add_nc_u32_e32 v1, v1, v56
	s_delay_alu instid0(VALU_DEP_1) | instskip(NEXT) | instid1(VALU_DEP_1)
	v_mov_b32_dpp v2, v1 row_shr:2 row_mask:0xf bank_mask:0xf
	v_cndmask_b32_e64 v2, 0, v2, s5
	s_delay_alu instid0(VALU_DEP_1) | instskip(NEXT) | instid1(VALU_DEP_1)
	v_add_nc_u32_e32 v1, v1, v2
	v_mov_b32_dpp v2, v1 row_shr:4 row_mask:0xf bank_mask:0xf
	s_delay_alu instid0(VALU_DEP_1) | instskip(NEXT) | instid1(VALU_DEP_1)
	v_cndmask_b32_e64 v2, 0, v2, s4
	v_add_nc_u32_e32 v1, v1, v2
	s_delay_alu instid0(VALU_DEP_1) | instskip(NEXT) | instid1(VALU_DEP_1)
	v_mov_b32_dpp v2, v1 row_shr:8 row_mask:0xf bank_mask:0xf
	v_cndmask_b32_e64 v2, 0, v2, s3
	s_delay_alu instid0(VALU_DEP_1) | instskip(SKIP_3) | instid1(VALU_DEP_1)
	v_add_nc_u32_e32 v1, v1, v2
	ds_swizzle_b32 v2, v1 offset:swizzle(BROADCAST,32,15)
	s_waitcnt lgkmcnt(0)
	v_cndmask_b32_e64 v2, v2, 0, s1
	v_add_nc_u32_e32 v1, v1, v2
	s_and_saveexec_b32 s7, s0
	s_cbranch_execz .LBB675_82
; %bb.81:
	v_lshlrev_b32_e32 v2, 2, v55
	ds_store_b32 v2, v1
.LBB675_82:
	s_or_b32 exec_lo, exec_lo, s7
	s_delay_alu instid0(SALU_CYCLE_1)
	s_mov_b32 s7, exec_lo
	s_waitcnt lgkmcnt(0)
	s_barrier
	buffer_gl0_inv
	v_cmpx_gt_u32_e32 4, v0
	s_cbranch_execz .LBB675_84
; %bb.83:
	v_and_b32_e32 v4, 3, v54
	s_delay_alu instid0(VALU_DEP_1) | instskip(SKIP_4) | instid1(VALU_DEP_1)
	v_cmp_ne_u32_e32 vcc_lo, 0, v4
	v_lshlrev_b32_e32 v2, 2, v0
	ds_load_b32 v3, v2
	s_waitcnt lgkmcnt(0)
	v_mov_b32_dpp v5, v3 row_shr:1 row_mask:0xf bank_mask:0xf
	v_cndmask_b32_e32 v5, 0, v5, vcc_lo
	v_cmp_lt_u32_e32 vcc_lo, 1, v4
	s_delay_alu instid0(VALU_DEP_2) | instskip(NEXT) | instid1(VALU_DEP_1)
	v_add_nc_u32_e32 v3, v5, v3
	v_mov_b32_dpp v5, v3 row_shr:2 row_mask:0xf bank_mask:0xf
	s_delay_alu instid0(VALU_DEP_1) | instskip(NEXT) | instid1(VALU_DEP_1)
	v_cndmask_b32_e32 v4, 0, v5, vcc_lo
	v_add_nc_u32_e32 v3, v3, v4
	ds_store_b32 v2, v3
.LBB675_84:
	s_or_b32 exec_lo, exec_lo, s7
	v_cmp_gt_u32_e32 vcc_lo, 32, v0
	s_mov_b32 s8, exec_lo
	s_waitcnt lgkmcnt(0)
	s_barrier
	buffer_gl0_inv
                                        ; implicit-def: $vgpr9
	v_cmpx_lt_u32_e32 31, v0
	s_cbranch_execz .LBB675_86
; %bb.85:
	v_lshl_add_u32 v2, v55, 2, -4
	ds_load_b32 v9, v2
	s_waitcnt lgkmcnt(0)
	v_add_nc_u32_e32 v1, v9, v1
.LBB675_86:
	s_or_b32 exec_lo, exec_lo, s8
	v_add_nc_u32_e32 v2, -1, v54
	s_delay_alu instid0(VALU_DEP_1) | instskip(NEXT) | instid1(VALU_DEP_1)
	v_cmp_gt_i32_e64 s7, 0, v2
	v_cndmask_b32_e64 v2, v2, v54, s7
	v_cmp_eq_u32_e64 s7, 0, v54
	s_delay_alu instid0(VALU_DEP_2)
	v_lshlrev_b32_e32 v2, 2, v2
	ds_bpermute_b32 v10, v2, v1
	s_and_saveexec_b32 s8, vcc_lo
	s_cbranch_execz .LBB675_109
; %bb.87:
	v_mov_b32_e32 v5, 0
	ds_load_b32 v1, v5 offset:12
	s_and_saveexec_b32 s9, s7
	s_cbranch_execz .LBB675_89
; %bb.88:
	s_add_i32 s10, s24, 32
	s_mov_b32 s11, 0
	v_mov_b32_e32 v2, 1
	s_lshl_b64 s[10:11], s[10:11], 3
	s_delay_alu instid0(SALU_CYCLE_1)
	s_add_u32 s10, s20, s10
	s_addc_u32 s11, s21, s11
	s_waitcnt lgkmcnt(0)
	global_store_b64 v5, v[1:2], s[10:11]
.LBB675_89:
	s_or_b32 exec_lo, exec_lo, s9
	v_xad_u32 v3, v54, -1, s24
	s_mov_b32 s10, 0
	s_mov_b32 s9, exec_lo
	s_delay_alu instid0(VALU_DEP_1) | instskip(NEXT) | instid1(VALU_DEP_1)
	v_add_nc_u32_e32 v4, 32, v3
	v_lshlrev_b64 v[4:5], 3, v[4:5]
	s_delay_alu instid0(VALU_DEP_1) | instskip(NEXT) | instid1(VALU_DEP_2)
	v_add_co_u32 v7, vcc_lo, s20, v4
	v_add_co_ci_u32_e32 v8, vcc_lo, s21, v5, vcc_lo
	global_load_b64 v[5:6], v[7:8], off glc
	s_waitcnt vmcnt(0)
	v_and_b32_e32 v2, 0xff, v6
	s_delay_alu instid0(VALU_DEP_1)
	v_cmpx_eq_u16_e32 0, v2
	s_cbranch_execz .LBB675_95
; %bb.90:
	s_mov_b32 s11, 1
	.p2align	6
.LBB675_91:                             ; =>This Loop Header: Depth=1
                                        ;     Child Loop BB675_92 Depth 2
	s_delay_alu instid0(SALU_CYCLE_1)
	s_max_u32 s25, s11, 1
.LBB675_92:                             ;   Parent Loop BB675_91 Depth=1
                                        ; =>  This Inner Loop Header: Depth=2
	s_delay_alu instid0(SALU_CYCLE_1)
	s_add_i32 s25, s25, -1
	s_sleep 1
	s_cmp_eq_u32 s25, 0
	s_cbranch_scc0 .LBB675_92
; %bb.93:                               ;   in Loop: Header=BB675_91 Depth=1
	global_load_b64 v[5:6], v[7:8], off glc
	s_cmp_lt_u32 s11, 32
	s_cselect_b32 s25, -1, 0
	s_delay_alu instid0(SALU_CYCLE_1) | instskip(SKIP_3) | instid1(VALU_DEP_1)
	s_cmp_lg_u32 s25, 0
	s_addc_u32 s11, s11, 0
	s_waitcnt vmcnt(0)
	v_and_b32_e32 v2, 0xff, v6
	v_cmp_ne_u16_e32 vcc_lo, 0, v2
	s_or_b32 s10, vcc_lo, s10
	s_delay_alu instid0(SALU_CYCLE_1)
	s_and_not1_b32 exec_lo, exec_lo, s10
	s_cbranch_execnz .LBB675_91
; %bb.94:
	s_or_b32 exec_lo, exec_lo, s10
.LBB675_95:
	s_delay_alu instid0(SALU_CYCLE_1)
	s_or_b32 exec_lo, exec_lo, s9
	v_cmp_ne_u32_e32 vcc_lo, 31, v54
	v_lshlrev_b32_e64 v12, v54, -1
	v_add_nc_u32_e32 v18, 2, v54
	v_add_nc_u32_e32 v34, 4, v54
	;; [unrolled: 1-line block ×3, first 2 shown]
	v_add_co_ci_u32_e32 v2, vcc_lo, 0, v54, vcc_lo
	v_add_nc_u32_e32 v59, 16, v54
	s_delay_alu instid0(VALU_DEP_2)
	v_lshlrev_b32_e32 v11, 2, v2
	v_and_b32_e32 v2, 0xff, v6
	ds_bpermute_b32 v4, v11, v5
	v_cmp_eq_u16_e32 vcc_lo, 2, v2
	v_and_or_b32 v2, vcc_lo, v12, 0x80000000
	v_cmp_gt_u32_e32 vcc_lo, 30, v54
	s_delay_alu instid0(VALU_DEP_2) | instskip(SKIP_1) | instid1(VALU_DEP_2)
	v_ctz_i32_b32_e32 v2, v2
	v_cndmask_b32_e64 v7, 0, 1, vcc_lo
	v_cmp_lt_u32_e32 vcc_lo, v54, v2
	s_waitcnt lgkmcnt(0)
	s_delay_alu instid0(VALU_DEP_2) | instskip(NEXT) | instid1(VALU_DEP_1)
	v_dual_cndmask_b32 v4, 0, v4 :: v_dual_lshlrev_b32 v7, 1, v7
	v_add_lshl_u32 v17, v7, v54, 2
	v_cmp_gt_u32_e32 vcc_lo, 28, v54
	s_delay_alu instid0(VALU_DEP_3) | instskip(SKIP_4) | instid1(VALU_DEP_1)
	v_add_nc_u32_e32 v4, v4, v5
	v_cndmask_b32_e64 v7, 0, 1, vcc_lo
	v_cmp_le_u32_e32 vcc_lo, v18, v2
	ds_bpermute_b32 v5, v17, v4
	v_lshlrev_b32_e32 v7, 2, v7
	v_add_lshl_u32 v32, v7, v54, 2
	s_waitcnt lgkmcnt(0)
	v_cndmask_b32_e32 v5, 0, v5, vcc_lo
	v_cmp_gt_u32_e32 vcc_lo, 24, v54
	s_delay_alu instid0(VALU_DEP_2) | instskip(SKIP_4) | instid1(VALU_DEP_1)
	v_add_nc_u32_e32 v4, v4, v5
	v_cndmask_b32_e64 v7, 0, 1, vcc_lo
	v_cmp_le_u32_e32 vcc_lo, v34, v2
	ds_bpermute_b32 v5, v32, v4
	v_lshlrev_b32_e32 v7, 3, v7
	v_add_lshl_u32 v35, v7, v54, 2
	s_waitcnt lgkmcnt(0)
	v_cndmask_b32_e32 v5, 0, v5, vcc_lo
	v_cmp_gt_u32_e32 vcc_lo, 16, v54
	s_delay_alu instid0(VALU_DEP_2) | instskip(SKIP_4) | instid1(VALU_DEP_1)
	v_add_nc_u32_e32 v4, v4, v5
	v_cndmask_b32_e64 v7, 0, 1, vcc_lo
	v_cmp_le_u32_e32 vcc_lo, v57, v2
	ds_bpermute_b32 v5, v35, v4
	v_lshlrev_b32_e32 v7, 4, v7
	v_add_lshl_u32 v58, v7, v54, 2
	s_waitcnt lgkmcnt(0)
	v_cndmask_b32_e32 v5, 0, v5, vcc_lo
	v_cmp_le_u32_e32 vcc_lo, v59, v2
	s_delay_alu instid0(VALU_DEP_2) | instskip(SKIP_3) | instid1(VALU_DEP_1)
	v_add_nc_u32_e32 v4, v4, v5
	ds_bpermute_b32 v5, v58, v4
	s_waitcnt lgkmcnt(0)
	v_cndmask_b32_e32 v2, 0, v5, vcc_lo
	v_dual_mov_b32 v4, 0 :: v_dual_add_nc_u32 v5, v4, v2
	s_branch .LBB675_97
.LBB675_96:                             ;   in Loop: Header=BB675_97 Depth=1
	s_or_b32 exec_lo, exec_lo, s9
	ds_bpermute_b32 v8, v11, v5
	v_and_b32_e32 v7, 0xff, v6
	v_subrev_nc_u32_e32 v3, 32, v3
	s_delay_alu instid0(VALU_DEP_2) | instskip(SKIP_1) | instid1(VALU_DEP_1)
	v_cmp_eq_u16_e32 vcc_lo, 2, v7
	v_and_or_b32 v7, vcc_lo, v12, 0x80000000
	v_ctz_i32_b32_e32 v7, v7
	s_delay_alu instid0(VALU_DEP_1) | instskip(SKIP_3) | instid1(VALU_DEP_2)
	v_cmp_lt_u32_e32 vcc_lo, v54, v7
	s_waitcnt lgkmcnt(0)
	v_cndmask_b32_e32 v8, 0, v8, vcc_lo
	v_cmp_le_u32_e32 vcc_lo, v18, v7
	v_add_nc_u32_e32 v5, v8, v5
	ds_bpermute_b32 v8, v17, v5
	s_waitcnt lgkmcnt(0)
	v_cndmask_b32_e32 v8, 0, v8, vcc_lo
	v_cmp_le_u32_e32 vcc_lo, v34, v7
	s_delay_alu instid0(VALU_DEP_2) | instskip(SKIP_4) | instid1(VALU_DEP_2)
	v_add_nc_u32_e32 v5, v5, v8
	ds_bpermute_b32 v8, v32, v5
	s_waitcnt lgkmcnt(0)
	v_cndmask_b32_e32 v8, 0, v8, vcc_lo
	v_cmp_le_u32_e32 vcc_lo, v57, v7
	v_add_nc_u32_e32 v5, v5, v8
	ds_bpermute_b32 v8, v35, v5
	s_waitcnt lgkmcnt(0)
	v_cndmask_b32_e32 v8, 0, v8, vcc_lo
	v_cmp_le_u32_e32 vcc_lo, v59, v7
	s_delay_alu instid0(VALU_DEP_2) | instskip(SKIP_3) | instid1(VALU_DEP_1)
	v_add_nc_u32_e32 v5, v5, v8
	ds_bpermute_b32 v8, v58, v5
	s_waitcnt lgkmcnt(0)
	v_cndmask_b32_e32 v7, 0, v8, vcc_lo
	v_add3_u32 v5, v7, v2, v5
.LBB675_97:                             ; =>This Loop Header: Depth=1
                                        ;     Child Loop BB675_100 Depth 2
                                        ;       Child Loop BB675_101 Depth 3
	v_and_b32_e32 v2, 0xff, v6
	s_delay_alu instid0(VALU_DEP_1) | instskip(SKIP_2) | instid1(VALU_DEP_1)
	v_cmp_ne_u16_e32 vcc_lo, 2, v2
	v_cndmask_b32_e64 v2, 0, 1, vcc_lo
	;;#ASMSTART
	;;#ASMEND
	v_cmp_ne_u32_e32 vcc_lo, 0, v2
	v_mov_b32_e32 v2, v5
	s_cmp_lg_u32 vcc_lo, exec_lo
	s_cbranch_scc1 .LBB675_104
; %bb.98:                               ;   in Loop: Header=BB675_97 Depth=1
	v_lshlrev_b64 v[5:6], 3, v[3:4]
	s_mov_b32 s9, exec_lo
	s_delay_alu instid0(VALU_DEP_1) | instskip(NEXT) | instid1(VALU_DEP_2)
	v_add_co_u32 v7, vcc_lo, s20, v5
	v_add_co_ci_u32_e32 v8, vcc_lo, s21, v6, vcc_lo
	global_load_b64 v[5:6], v[7:8], off glc
	s_waitcnt vmcnt(0)
	v_and_b32_e32 v60, 0xff, v6
	s_delay_alu instid0(VALU_DEP_1)
	v_cmpx_eq_u16_e32 0, v60
	s_cbranch_execz .LBB675_96
; %bb.99:                               ;   in Loop: Header=BB675_97 Depth=1
	s_mov_b32 s11, 1
	s_mov_b32 s10, 0
	.p2align	6
.LBB675_100:                            ;   Parent Loop BB675_97 Depth=1
                                        ; =>  This Loop Header: Depth=2
                                        ;       Child Loop BB675_101 Depth 3
	s_max_u32 s25, s11, 1
.LBB675_101:                            ;   Parent Loop BB675_97 Depth=1
                                        ;     Parent Loop BB675_100 Depth=2
                                        ; =>    This Inner Loop Header: Depth=3
	s_delay_alu instid0(SALU_CYCLE_1)
	s_add_i32 s25, s25, -1
	s_sleep 1
	s_cmp_eq_u32 s25, 0
	s_cbranch_scc0 .LBB675_101
; %bb.102:                              ;   in Loop: Header=BB675_100 Depth=2
	global_load_b64 v[5:6], v[7:8], off glc
	s_cmp_lt_u32 s11, 32
	s_cselect_b32 s25, -1, 0
	s_delay_alu instid0(SALU_CYCLE_1) | instskip(SKIP_3) | instid1(VALU_DEP_1)
	s_cmp_lg_u32 s25, 0
	s_addc_u32 s11, s11, 0
	s_waitcnt vmcnt(0)
	v_and_b32_e32 v60, 0xff, v6
	v_cmp_ne_u16_e32 vcc_lo, 0, v60
	s_or_b32 s10, vcc_lo, s10
	s_delay_alu instid0(SALU_CYCLE_1)
	s_and_not1_b32 exec_lo, exec_lo, s10
	s_cbranch_execnz .LBB675_100
; %bb.103:                              ;   in Loop: Header=BB675_97 Depth=1
	s_or_b32 exec_lo, exec_lo, s10
	s_branch .LBB675_96
.LBB675_104:                            ;   in Loop: Header=BB675_97 Depth=1
                                        ; implicit-def: $vgpr5
                                        ; implicit-def: $vgpr6
	s_cbranch_execz .LBB675_97
; %bb.105:
	s_and_saveexec_b32 s9, s7
	s_cbranch_execz .LBB675_107
; %bb.106:
	s_add_i32 s10, s24, 32
	s_mov_b32 s11, 0
	v_dual_mov_b32 v4, 2 :: v_dual_add_nc_u32 v3, v2, v1
	s_lshl_b64 s[10:11], s[10:11], 3
	v_mov_b32_e32 v5, 0
	s_add_u32 s10, s20, s10
	s_addc_u32 s11, s21, s11
	global_store_b64 v5, v[3:4], s[10:11]
	ds_store_b64 v5, v[1:2] offset:5632
.LBB675_107:
	s_or_b32 exec_lo, exec_lo, s9
	s_delay_alu instid0(SALU_CYCLE_1)
	s_and_b32 exec_lo, exec_lo, s2
	s_cbranch_execz .LBB675_109
; %bb.108:
	v_mov_b32_e32 v1, 0
	ds_store_b32 v1, v2 offset:12
.LBB675_109:
	s_or_b32 exec_lo, exec_lo, s8
	s_waitcnt lgkmcnt(0)
	v_cndmask_b32_e64 v3, v10, v9, s7
	s_waitcnt_vscnt null, 0x0
	s_barrier
	buffer_gl0_inv
	v_cndmask_b32_e64 v3, v3, 0, s2
	v_mov_b32_e32 v1, 0
	ds_load_b32 v2, v1 offset:12
	s_waitcnt lgkmcnt(0)
	s_barrier
	buffer_gl0_inv
	v_add_nc_u32_e32 v2, v2, v3
	ds_load_b64 v[17:18], v1 offset:5632
	v_add_nc_u32_e32 v3, v2, v45
	s_delay_alu instid0(VALU_DEP_1) | instskip(SKIP_1) | instid1(VALU_DEP_1)
	v_add_nc_u32_e32 v4, v3, v46
	s_waitcnt lgkmcnt(0)
	v_dual_mov_b32 v32, v18 :: v_dual_add_nc_u32 v5, v4, v47
	s_delay_alu instid0(VALU_DEP_1) | instskip(NEXT) | instid1(VALU_DEP_1)
	v_add_nc_u32_e32 v6, v5, v49
	v_add_nc_u32_e32 v7, v6, v48
	s_delay_alu instid0(VALU_DEP_1) | instskip(NEXT) | instid1(VALU_DEP_1)
	v_add_nc_u32_e32 v8, v7, v50
	v_add_nc_u32_e32 v9, v8, v51
	s_delay_alu instid0(VALU_DEP_1) | instskip(NEXT) | instid1(VALU_DEP_1)
	v_add_nc_u32_e32 v10, v9, v39
	v_add_nc_u32_e32 v11, v10, v52
	s_delay_alu instid0(VALU_DEP_1)
	v_add_nc_u32_e32 v12, v11, v53
	v_lshrrev_b64 v[34:35], 24, v[30:31]
	s_branch .LBB675_120
.LBB675_110:
                                        ; implicit-def: $vgpr32
                                        ; implicit-def: $vgpr2_vgpr3_vgpr4_vgpr5_vgpr6_vgpr7_vgpr8_vgpr9_vgpr10_vgpr11_vgpr12
                                        ; implicit-def: $vgpr17
	v_lshrrev_b64 v[34:35], 24, v[30:31]
	s_and_b32 vcc_lo, exec_lo, s7
	s_cbranch_vccz .LBB675_120
; %bb.111:
	v_mov_b32_dpp v1, v56 row_shr:1 row_mask:0xf bank_mask:0xf
	s_delay_alu instid0(VALU_DEP_1) | instskip(NEXT) | instid1(VALU_DEP_1)
	v_cndmask_b32_e64 v1, v1, 0, s6
	v_add_nc_u32_e32 v1, v1, v56
	s_delay_alu instid0(VALU_DEP_1) | instskip(NEXT) | instid1(VALU_DEP_1)
	v_mov_b32_dpp v2, v1 row_shr:2 row_mask:0xf bank_mask:0xf
	v_cndmask_b32_e64 v2, 0, v2, s5
	s_delay_alu instid0(VALU_DEP_1) | instskip(NEXT) | instid1(VALU_DEP_1)
	v_add_nc_u32_e32 v1, v1, v2
	v_mov_b32_dpp v2, v1 row_shr:4 row_mask:0xf bank_mask:0xf
	s_delay_alu instid0(VALU_DEP_1) | instskip(NEXT) | instid1(VALU_DEP_1)
	v_cndmask_b32_e64 v2, 0, v2, s4
	v_add_nc_u32_e32 v1, v1, v2
	s_delay_alu instid0(VALU_DEP_1) | instskip(NEXT) | instid1(VALU_DEP_1)
	v_mov_b32_dpp v2, v1 row_shr:8 row_mask:0xf bank_mask:0xf
	v_cndmask_b32_e64 v2, 0, v2, s3
	s_delay_alu instid0(VALU_DEP_1) | instskip(SKIP_3) | instid1(VALU_DEP_1)
	v_add_nc_u32_e32 v1, v1, v2
	ds_swizzle_b32 v2, v1 offset:swizzle(BROADCAST,32,15)
	s_waitcnt lgkmcnt(0)
	v_cndmask_b32_e64 v2, v2, 0, s1
	v_add_nc_u32_e32 v1, v1, v2
	s_and_saveexec_b32 s1, s0
	s_cbranch_execz .LBB675_113
; %bb.112:
	v_lshlrev_b32_e32 v2, 2, v55
	ds_store_b32 v2, v1
.LBB675_113:
	s_or_b32 exec_lo, exec_lo, s1
	s_delay_alu instid0(SALU_CYCLE_1)
	s_mov_b32 s0, exec_lo
	s_waitcnt lgkmcnt(0)
	s_barrier
	buffer_gl0_inv
	v_cmpx_gt_u32_e32 4, v0
	s_cbranch_execz .LBB675_115
; %bb.114:
	v_mad_i32_i24 v2, 0xffffffd8, v0, v44
	ds_load_b32 v3, v2
	s_waitcnt lgkmcnt(0)
	v_mov_b32_dpp v5, v3 row_shr:1 row_mask:0xf bank_mask:0xf
	v_and_b32_e32 v4, 3, v54
	s_delay_alu instid0(VALU_DEP_1) | instskip(NEXT) | instid1(VALU_DEP_3)
	v_cmp_ne_u32_e32 vcc_lo, 0, v4
	v_cndmask_b32_e32 v5, 0, v5, vcc_lo
	v_cmp_lt_u32_e32 vcc_lo, 1, v4
	s_delay_alu instid0(VALU_DEP_2) | instskip(NEXT) | instid1(VALU_DEP_1)
	v_add_nc_u32_e32 v3, v5, v3
	v_mov_b32_dpp v5, v3 row_shr:2 row_mask:0xf bank_mask:0xf
	s_delay_alu instid0(VALU_DEP_1) | instskip(NEXT) | instid1(VALU_DEP_1)
	v_cndmask_b32_e32 v4, 0, v5, vcc_lo
	v_add_nc_u32_e32 v3, v3, v4
	ds_store_b32 v2, v3
.LBB675_115:
	s_or_b32 exec_lo, exec_lo, s0
	v_dual_mov_b32 v3, 0 :: v_dual_mov_b32 v2, 0
	s_mov_b32 s0, exec_lo
	s_waitcnt lgkmcnt(0)
	s_barrier
	buffer_gl0_inv
	v_cmpx_lt_u32_e32 31, v0
	s_cbranch_execz .LBB675_117
; %bb.116:
	v_lshl_add_u32 v2, v55, 2, -4
	ds_load_b32 v2, v2
.LBB675_117:
	s_or_b32 exec_lo, exec_lo, s0
	v_add_nc_u32_e32 v4, -1, v54
	ds_load_b32 v17, v3 offset:12
	s_waitcnt lgkmcnt(1)
	v_add_nc_u32_e32 v1, v2, v1
	v_cmp_gt_i32_e32 vcc_lo, 0, v4
	v_cndmask_b32_e32 v4, v4, v54, vcc_lo
	s_delay_alu instid0(VALU_DEP_1)
	v_lshlrev_b32_e32 v4, 2, v4
	ds_bpermute_b32 v1, v4, v1
	s_and_saveexec_b32 s0, s2
	s_cbranch_execz .LBB675_119
; %bb.118:
	v_dual_mov_b32 v3, 0 :: v_dual_mov_b32 v18, 2
	s_waitcnt lgkmcnt(1)
	global_store_b64 v3, v[17:18], s[20:21] offset:256
.LBB675_119:
	s_or_b32 exec_lo, exec_lo, s0
	v_cmp_eq_u32_e32 vcc_lo, 0, v54
	s_waitcnt lgkmcnt(0)
	s_waitcnt_vscnt null, 0x0
	s_barrier
	buffer_gl0_inv
	v_dual_mov_b32 v32, 0 :: v_dual_cndmask_b32 v1, v1, v2
	s_delay_alu instid0(VALU_DEP_1) | instskip(NEXT) | instid1(VALU_DEP_1)
	v_cndmask_b32_e64 v2, v1, 0, s2
	v_add_nc_u32_e32 v3, v2, v45
	s_delay_alu instid0(VALU_DEP_1) | instskip(NEXT) | instid1(VALU_DEP_1)
	v_add_nc_u32_e32 v4, v3, v46
	v_add_nc_u32_e32 v5, v4, v47
	s_delay_alu instid0(VALU_DEP_1) | instskip(NEXT) | instid1(VALU_DEP_1)
	v_add_nc_u32_e32 v6, v5, v49
	;; [unrolled: 3-line block ×4, first 2 shown]
	v_add_nc_u32_e32 v11, v10, v52
	s_delay_alu instid0(VALU_DEP_1)
	v_add_nc_u32_e32 v12, v11, v53
.LBB675_120:
	v_add_nc_u32_e32 v48, v32, v17
	v_cmp_gt_u32_e64 s0, 0x81, v17
	v_lshrrev_b32_e32 v18, 16, v19
	v_lshrrev_b32_e32 v46, 16, v30
	;; [unrolled: 1-line block ×6, first 2 shown]
	v_cmp_lt_u32_e64 s1, v2, v48
	s_and_b32 vcc_lo, exec_lo, s0
	s_mov_b32 s3, -1
	s_cbranch_vccz .LBB675_155
; %bb.121:
	s_lshl_b64 s[4:5], s[14:15], 1
	s_delay_alu instid0(SALU_CYCLE_1) | instskip(SKIP_2) | instid1(SALU_CYCLE_1)
	s_add_u32 s3, s16, s4
	s_addc_u32 s4, s17, s5
	s_or_b32 s5, s23, s1
	s_and_saveexec_b32 s1, s5
	s_cbranch_execz .LBB675_124
; %bb.122:
	v_and_b32_e32 v1, 1, v30
	s_delay_alu instid0(VALU_DEP_1)
	v_cmp_eq_u32_e32 vcc_lo, 1, v1
	s_and_b32 exec_lo, exec_lo, vcc_lo
	s_cbranch_execz .LBB675_124
; %bb.123:
	v_dual_mov_b32 v50, 0 :: v_dual_mov_b32 v49, v2
	s_delay_alu instid0(VALU_DEP_1) | instskip(NEXT) | instid1(VALU_DEP_1)
	v_lshlrev_b64 v[49:50], 1, v[49:50]
	v_add_co_u32 v49, vcc_lo, s3, v49
	s_delay_alu instid0(VALU_DEP_2)
	v_add_co_ci_u32_e32 v50, vcc_lo, s4, v50, vcc_lo
	global_store_b16 v[49:50], v13, off
.LBB675_124:
	s_or_b32 exec_lo, exec_lo, s1
	v_cmp_lt_u32_e32 vcc_lo, v3, v48
	s_or_b32 s5, s23, vcc_lo
	s_delay_alu instid0(SALU_CYCLE_1)
	s_and_saveexec_b32 s1, s5
	s_cbranch_execz .LBB675_127
; %bb.125:
	v_and_b32_e32 v1, 1, v47
	s_delay_alu instid0(VALU_DEP_1)
	v_cmp_eq_u32_e32 vcc_lo, 1, v1
	s_and_b32 exec_lo, exec_lo, vcc_lo
	s_cbranch_execz .LBB675_127
; %bb.126:
	v_dual_mov_b32 v50, 0 :: v_dual_mov_b32 v49, v3
	s_delay_alu instid0(VALU_DEP_1) | instskip(NEXT) | instid1(VALU_DEP_1)
	v_lshlrev_b64 v[49:50], 1, v[49:50]
	v_add_co_u32 v49, vcc_lo, s3, v49
	s_delay_alu instid0(VALU_DEP_2)
	v_add_co_ci_u32_e32 v50, vcc_lo, s4, v50, vcc_lo
	global_store_b16 v[49:50], v43, off
.LBB675_127:
	s_or_b32 exec_lo, exec_lo, s1
	v_cmp_lt_u32_e32 vcc_lo, v4, v48
	s_or_b32 s5, s23, vcc_lo
	s_delay_alu instid0(SALU_CYCLE_1)
	;; [unrolled: 21-line block ×10, first 2 shown]
	s_and_saveexec_b32 s1, s5
	s_cbranch_execz .LBB675_154
; %bb.152:
	v_and_b32_e32 v1, 1, v18
	s_delay_alu instid0(VALU_DEP_1)
	v_cmp_eq_u32_e32 vcc_lo, 1, v1
	s_and_b32 exec_lo, exec_lo, vcc_lo
	s_cbranch_execz .LBB675_154
; %bb.153:
	v_dual_mov_b32 v50, 0 :: v_dual_mov_b32 v49, v12
	s_delay_alu instid0(VALU_DEP_1) | instskip(NEXT) | instid1(VALU_DEP_1)
	v_lshlrev_b64 v[49:50], 1, v[49:50]
	v_add_co_u32 v49, vcc_lo, s3, v49
	s_delay_alu instid0(VALU_DEP_2)
	v_add_co_ci_u32_e32 v50, vcc_lo, s4, v50, vcc_lo
	global_store_b16 v[49:50], v33, off
.LBB675_154:
	s_or_b32 exec_lo, exec_lo, s1
	s_mov_b32 s3, 0
.LBB675_155:
	v_and_b32_e32 v30, 1, v30
	s_and_b32 vcc_lo, exec_lo, s3
	s_delay_alu instid0(VALU_DEP_1)
	v_cmp_eq_u32_e64 s1, 1, v30
	s_cbranch_vccz .LBB675_194
; %bb.156:
	s_delay_alu instid0(VALU_DEP_1)
	s_and_saveexec_b32 s3, s1
	s_cbranch_execz .LBB675_158
; %bb.157:
	v_sub_nc_u32_e32 v1, v2, v32
	s_delay_alu instid0(VALU_DEP_1)
	v_lshlrev_b32_e32 v1, 1, v1
	ds_store_b16 v1, v13
.LBB675_158:
	s_or_b32 exec_lo, exec_lo, s3
	v_and_b32_e32 v1, 1, v47
	s_mov_b32 s1, exec_lo
	s_delay_alu instid0(VALU_DEP_1)
	v_cmpx_eq_u32_e32 1, v1
	s_cbranch_execz .LBB675_160
; %bb.159:
	v_sub_nc_u32_e32 v1, v3, v32
	s_delay_alu instid0(VALU_DEP_1)
	v_lshlrev_b32_e32 v1, 1, v1
	ds_store_b16 v1, v43
.LBB675_160:
	s_or_b32 exec_lo, exec_lo, s1
	v_and_b32_e32 v1, 1, v46
	s_mov_b32 s1, exec_lo
	s_delay_alu instid0(VALU_DEP_1)
	v_cmpx_eq_u32_e32 1, v1
	;; [unrolled: 12-line block ×10, first 2 shown]
	s_cbranch_execz .LBB675_178
; %bb.177:
	v_sub_nc_u32_e32 v1, v12, v32
	s_delay_alu instid0(VALU_DEP_1)
	v_lshlrev_b32_e32 v1, 1, v1
	ds_store_b16 v1, v33
.LBB675_178:
	s_or_b32 exec_lo, exec_lo, s1
	s_delay_alu instid0(SALU_CYCLE_1)
	s_mov_b32 s4, exec_lo
	s_waitcnt lgkmcnt(0)
	s_waitcnt_vscnt null, 0x0
	s_barrier
	buffer_gl0_inv
	v_cmpx_lt_u32_e64 v0, v17
	s_cbranch_execz .LBB675_193
; %bb.179:
	v_mov_b32_e32 v33, 0
	s_lshl_b64 s[6:7], s[14:15], 1
	v_xad_u32 v1, v0, -1, v17
	s_add_u32 s3, s16, s6
	s_addc_u32 s5, s17, s7
	v_lshlrev_b64 v[13:14], 1, v[32:33]
	s_delay_alu instid0(VALU_DEP_2) | instskip(NEXT) | instid1(VALU_DEP_2)
	v_cmp_gt_u32_e32 vcc_lo, 0xc80, v1
	v_add_co_u32 v33, s3, s3, v13
	s_delay_alu instid0(VALU_DEP_1)
	v_add_co_ci_u32_e64 v37, s3, s5, v14, s3
	v_mov_b32_e32 v13, v0
	s_mov_b32 s3, -1
	s_mov_b32 s5, exec_lo
	v_cmpx_lt_u32_e32 0xc7f, v1
	s_cbranch_execz .LBB675_190
; %bb.180:
	v_sub_nc_u32_e32 v13, v0, v17
	s_delay_alu instid0(VALU_DEP_1) | instskip(NEXT) | instid1(VALU_DEP_1)
	v_or_b32_e32 v13, 0x7f, v13
	v_cmp_ge_u32_e64 s1, v13, v0
	v_mov_b32_e32 v13, v0
	s_delay_alu instid0(VALU_DEP_2)
	s_and_saveexec_b32 s6, s1
	s_cbranch_execz .LBB675_189
; %bb.181:
	v_lshrrev_b32_e32 v38, 7, v1
	v_or_b32_e32 v1, 0x80, v0
	v_dual_mov_b32 v49, 0 :: v_dual_lshlrev_b32 v40, 1, v0
	s_delay_alu instid0(VALU_DEP_3) | instskip(NEXT) | instid1(VALU_DEP_1)
	v_add_nc_u32_e32 v13, -1, v38
	v_lshrrev_b32_e32 v14, 1, v13
	v_cmp_lt_u32_e64 s1, 13, v13
	s_delay_alu instid0(VALU_DEP_2) | instskip(SKIP_1) | instid1(VALU_DEP_3)
	v_dual_mov_b32 v14, v1 :: v_dual_add_nc_u32 v41, 1, v14
	v_mov_b32_e32 v13, v0
	s_and_saveexec_b32 s3, s1
	s_cbranch_execz .LBB675_185
; %bb.182:
	v_mov_b32_e32 v14, v1
	v_dual_mov_b32 v43, v40 :: v_dual_and_b32 v42, -8, v41
	v_dual_mov_b32 v16, 0 :: v_dual_mov_b32 v13, v0
	s_mov_b32 s7, 0
	s_mov_b32 s8, 0
.LBB675_183:                            ; =>This Inner Loop Header: Depth=1
	s_delay_alu instid0(VALU_DEP_1) | instskip(NEXT) | instid1(VALU_DEP_2)
	v_dual_mov_b32 v15, v13 :: v_dual_add_nc_u32 v50, 0x100, v14
	v_dual_mov_b32 v63, v16 :: v_dual_add_nc_u32 v42, -8, v42
	v_dual_mov_b32 v51, v16 :: v_dual_add_nc_u32 v52, 0x200, v14
	s_delay_alu instid0(VALU_DEP_3) | instskip(SKIP_1) | instid1(VALU_DEP_4)
	v_lshlrev_b64 v[64:65], 1, v[15:16]
	v_dual_mov_b32 v53, v16 :: v_dual_add_nc_u32 v54, 0x300, v14
	v_cmp_eq_u32_e64 s1, 0, v42
	s_delay_alu instid0(VALU_DEP_4)
	v_lshlrev_b64 v[50:51], 1, v[50:51]
	v_dual_mov_b32 v55, v16 :: v_dual_add_nc_u32 v56, 0x400, v14
	s_add_i32 s8, s8, 16
	v_lshlrev_b64 v[52:53], 1, v[52:53]
	s_or_b32 s7, s1, s7
	v_add_co_u32 v64, s1, v33, v64
	v_dual_mov_b32 v57, v16 :: v_dual_add_nc_u32 v58, 0x500, v14
	v_add_co_ci_u32_e64 v65, s1, v37, v65, s1
	v_lshlrev_b64 v[54:55], 1, v[54:55]
	v_add_co_u32 v50, s1, v33, v50
	v_dual_mov_b32 v59, v16 :: v_dual_add_nc_u32 v60, 0x600, v14
	v_add_co_ci_u32_e64 v51, s1, v37, v51, s1
	v_lshlrev_b64 v[56:57], 1, v[56:57]
	;; [unrolled: 4-line block ×3, first 2 shown]
	v_add_co_u32 v54, s1, v33, v54
	v_mov_b32_e32 v15, v14
	v_add_co_ci_u32_e64 v55, s1, v37, v55, s1
	v_lshlrev_b64 v[60:61], 1, v[60:61]
	v_add_co_u32 v56, s1, v33, v56
	ds_load_u16 v1, v43
	ds_load_u16 v70, v43 offset:256
	ds_load_u16 v71, v43 offset:512
	;; [unrolled: 1-line block ×7, first 2 shown]
	v_add_co_ci_u32_e64 v57, s1, v37, v57, s1
	v_lshlrev_b64 v[62:63], 1, v[62:63]
	v_add_co_u32 v58, s1, v33, v58
	v_lshlrev_b64 v[66:67], 1, v[15:16]
	v_add_nc_u32_e32 v15, 0x100, v13
	v_add_co_ci_u32_e64 v59, s1, v37, v59, s1
	v_add_co_u32 v60, s1, v33, v60
	s_delay_alu instid0(VALU_DEP_1)
	v_add_co_ci_u32_e64 v61, s1, v37, v61, s1
	v_add_co_u32 v62, s1, v33, v62
	v_lshlrev_b64 v[68:69], 1, v[15:16]
	v_add_nc_u32_e32 v15, 0x200, v13
	v_add_co_ci_u32_e64 v63, s1, v37, v63, s1
	v_add_co_u32 v66, s1, v33, v66
	ds_load_u16 v77, v43 offset:2048
	ds_load_u16 v78, v43 offset:2304
	;; [unrolled: 1-line block ×8, first 2 shown]
	v_add_co_ci_u32_e64 v67, s1, v37, v67, s1
	s_waitcnt lgkmcnt(15)
	global_store_b16 v[64:65], v1, off
	v_lshlrev_b64 v[64:65], 1, v[15:16]
	v_add_nc_u32_e32 v15, 0x300, v13
	v_add_co_u32 v68, s1, v33, v68
	s_delay_alu instid0(VALU_DEP_1)
	v_add_co_ci_u32_e64 v69, s1, v37, v69, s1
	s_waitcnt lgkmcnt(14)
	global_store_b16 v[66:67], v70, off
	v_lshlrev_b64 v[66:67], 1, v[15:16]
	v_add_nc_u32_e32 v15, 0x400, v13
	s_waitcnt lgkmcnt(13)
	global_store_b16 v[68:69], v71, off
	s_waitcnt lgkmcnt(12)
	global_store_b16 v[50:51], v72, off
	v_add_co_u32 v50, s1, v33, v64
	s_delay_alu instid0(VALU_DEP_1) | instskip(SKIP_3) | instid1(VALU_DEP_1)
	v_add_co_ci_u32_e64 v51, s1, v37, v65, s1
	v_lshlrev_b64 v[64:65], 1, v[15:16]
	v_add_nc_u32_e32 v15, 0x500, v13
	v_add_co_u32 v66, s1, v33, v66
	v_add_co_ci_u32_e64 v67, s1, v37, v67, s1
	s_waitcnt lgkmcnt(11)
	global_store_b16 v[50:51], v73, off
	s_waitcnt lgkmcnt(10)
	global_store_b16 v[52:53], v74, off
	v_lshlrev_b64 v[50:51], 1, v[15:16]
	v_add_nc_u32_e32 v15, 0x600, v13
	v_add_co_u32 v52, s1, v33, v64
	s_waitcnt lgkmcnt(9)
	global_store_b16 v[66:67], v75, off
	s_waitcnt lgkmcnt(8)
	global_store_b16 v[54:55], v76, off
	v_add_co_ci_u32_e64 v53, s1, v37, v65, s1
	v_lshlrev_b64 v[54:55], 1, v[15:16]
	v_add_nc_u32_e32 v15, 0x700, v13
	v_add_co_u32 v50, s1, v33, v50
	s_delay_alu instid0(VALU_DEP_1)
	v_add_co_ci_u32_e64 v51, s1, v37, v51, s1
	s_waitcnt lgkmcnt(7)
	global_store_b16 v[52:53], v77, off
	s_waitcnt lgkmcnt(6)
	global_store_b16 v[56:57], v78, off
	v_lshlrev_b64 v[52:53], 1, v[15:16]
	v_add_nc_u32_e32 v43, 0x1000, v43
	s_waitcnt lgkmcnt(5)
	global_store_b16 v[50:51], v79, off
	v_add_co_u32 v50, s1, v33, v54
	v_dual_mov_b32 v49, s8 :: v_dual_add_nc_u32 v14, 0x800, v14
	v_add_nc_u32_e32 v13, 0x800, v13
	v_add_co_ci_u32_e64 v51, s1, v37, v55, s1
	v_add_co_u32 v52, s1, v33, v52
	s_delay_alu instid0(VALU_DEP_1)
	v_add_co_ci_u32_e64 v53, s1, v37, v53, s1
	s_waitcnt lgkmcnt(4)
	global_store_b16 v[58:59], v80, off
	s_waitcnt lgkmcnt(3)
	global_store_b16 v[50:51], v81, off
	;; [unrolled: 2-line block ×5, first 2 shown]
	s_and_not1_b32 exec_lo, exec_lo, s7
	s_cbranch_execnz .LBB675_183
; %bb.184:
	s_or_b32 exec_lo, exec_lo, s7
.LBB675_185:
	s_delay_alu instid0(SALU_CYCLE_1) | instskip(SKIP_3) | instid1(VALU_DEP_1)
	s_or_b32 exec_lo, exec_lo, s3
	v_and_b32_e32 v1, 7, v41
	s_mov_b32 s8, 0
	s_mov_b32 s7, exec_lo
	v_cmpx_ne_u32_e32 0, v1
	s_cbranch_execz .LBB675_188
; %bb.186:
	v_lshl_or_b32 v40, v49, 8, v40
	v_mov_b32_e32 v16, 0
	s_set_inst_prefetch_distance 0x1
	.p2align	6
.LBB675_187:                            ; =>This Inner Loop Header: Depth=1
	v_mov_b32_e32 v15, v13
	ds_load_u16 v43, v40
	ds_load_u16 v51, v40 offset:256
	v_add_nc_u32_e32 v40, 0x200, v40
	v_add_nc_u32_e32 v1, -1, v1
	v_add_nc_u32_e32 v13, 0x100, v13
	v_lshlrev_b64 v[41:42], 1, v[15:16]
	v_dual_mov_b32 v15, v14 :: v_dual_add_nc_u32 v14, 0x100, v14
	s_delay_alu instid0(VALU_DEP_4) | instskip(NEXT) | instid1(VALU_DEP_2)
	v_cmp_eq_u32_e64 s1, 0, v1
	v_lshlrev_b64 v[49:50], 1, v[15:16]
	s_delay_alu instid0(VALU_DEP_4) | instskip(NEXT) | instid1(VALU_DEP_1)
	v_add_co_u32 v41, s3, v33, v41
	v_add_co_ci_u32_e64 v42, s3, v37, v42, s3
	s_delay_alu instid0(VALU_DEP_4) | instskip(NEXT) | instid1(VALU_DEP_3)
	s_or_b32 s8, s1, s8
	v_add_co_u32 v49, s3, v33, v49
	s_delay_alu instid0(VALU_DEP_1)
	v_add_co_ci_u32_e64 v50, s3, v37, v50, s3
	s_waitcnt lgkmcnt(1)
	global_store_b16 v[41:42], v43, off
	s_waitcnt lgkmcnt(0)
	global_store_b16 v[49:50], v51, off
	s_and_not1_b32 exec_lo, exec_lo, s8
	s_cbranch_execnz .LBB675_187
.LBB675_188:
	s_set_inst_prefetch_distance 0x2
	s_or_b32 exec_lo, exec_lo, s7
	v_add_nc_u32_e32 v1, 1, v38
	s_delay_alu instid0(VALU_DEP_1) | instskip(NEXT) | instid1(VALU_DEP_1)
	v_and_b32_e32 v13, 0x3fffffe, v1
	v_cmp_ne_u32_e64 s1, v1, v13
	v_lshl_or_b32 v13, v13, 7, v0
	s_delay_alu instid0(VALU_DEP_2)
	s_or_not1_b32 s3, s1, exec_lo
.LBB675_189:
	s_or_b32 exec_lo, exec_lo, s6
	s_delay_alu instid0(SALU_CYCLE_1) | instskip(SKIP_1) | instid1(SALU_CYCLE_1)
	s_and_not1_b32 s1, vcc_lo, exec_lo
	s_and_b32 s3, s3, exec_lo
	s_or_b32 vcc_lo, s1, s3
.LBB675_190:
	s_or_b32 exec_lo, exec_lo, s5
	s_delay_alu instid0(SALU_CYCLE_1)
	s_and_b32 exec_lo, exec_lo, vcc_lo
	s_cbranch_execz .LBB675_193
; %bb.191:
	v_dual_mov_b32 v14, 0 :: v_dual_lshlrev_b32 v1, 1, v13
	s_mov_b32 s3, 0
	.p2align	6
.LBB675_192:                            ; =>This Inner Loop Header: Depth=1
	ds_load_u16 v38, v1
	v_lshlrev_b64 v[15:16], 1, v[13:14]
	v_add_nc_u32_e32 v13, 0x80, v13
	v_add_nc_u32_e32 v1, 0x100, v1
	s_delay_alu instid0(VALU_DEP_2) | instskip(NEXT) | instid1(VALU_DEP_4)
	v_cmp_ge_u32_e32 vcc_lo, v13, v17
	v_add_co_u32 v15, s1, v33, v15
	s_delay_alu instid0(VALU_DEP_1)
	v_add_co_ci_u32_e64 v16, s1, v37, v16, s1
	s_or_b32 s3, vcc_lo, s3
	s_waitcnt lgkmcnt(0)
	global_store_b16 v[15:16], v38, off
	s_and_not1_b32 exec_lo, exec_lo, s3
	s_cbranch_execnz .LBB675_192
.LBB675_193:
	s_or_b32 exec_lo, exec_lo, s4
.LBB675_194:
	s_delay_alu instid0(SALU_CYCLE_1)
	s_and_b32 vcc_lo, exec_lo, s0
	s_mov_b32 s0, -1
	s_waitcnt_vscnt null, 0x0
	s_barrier
	buffer_gl0_inv
	s_cbranch_vccnz .LBB675_198
; %bb.195:
	s_and_b32 vcc_lo, exec_lo, s0
	s_cbranch_vccnz .LBB675_232
.LBB675_196:
	s_and_b32 s0, s2, s22
	s_delay_alu instid0(SALU_CYCLE_1)
	s_and_saveexec_b32 s1, s0
	s_cbranch_execnz .LBB675_258
.LBB675_197:
	s_nop 0
	s_sendmsg sendmsg(MSG_DEALLOC_VGPRS)
	s_endpgm
.LBB675_198:
	v_cmp_lt_u32_e32 vcc_lo, v2, v48
	s_lshl_b64 s[0:1], s[14:15], 2
	s_delay_alu instid0(SALU_CYCLE_1) | instskip(SKIP_2) | instid1(SALU_CYCLE_1)
	s_add_u32 s0, s18, s0
	s_addc_u32 s1, s19, s1
	s_or_b32 s4, s23, vcc_lo
	s_and_saveexec_b32 s3, s4
	s_cbranch_execz .LBB675_201
; %bb.199:
	v_cmp_eq_u32_e32 vcc_lo, 1, v30
	s_and_b32 exec_lo, exec_lo, vcc_lo
	s_cbranch_execz .LBB675_201
; %bb.200:
	v_dual_mov_b32 v14, 0 :: v_dual_mov_b32 v13, v2
	s_delay_alu instid0(VALU_DEP_1) | instskip(NEXT) | instid1(VALU_DEP_1)
	v_lshlrev_b64 v[13:14], 2, v[13:14]
	v_add_co_u32 v13, vcc_lo, s0, v13
	s_delay_alu instid0(VALU_DEP_2)
	v_add_co_ci_u32_e32 v14, vcc_lo, s1, v14, vcc_lo
	global_store_b32 v[13:14], v28, off
.LBB675_201:
	s_or_b32 exec_lo, exec_lo, s3
	v_cmp_lt_u32_e32 vcc_lo, v3, v48
	s_or_b32 s4, s23, vcc_lo
	s_delay_alu instid0(SALU_CYCLE_1)
	s_and_saveexec_b32 s3, s4
	s_cbranch_execz .LBB675_204
; %bb.202:
	v_and_b32_e32 v1, 1, v47
	s_delay_alu instid0(VALU_DEP_1)
	v_cmp_eq_u32_e32 vcc_lo, 1, v1
	s_and_b32 exec_lo, exec_lo, vcc_lo
	s_cbranch_execz .LBB675_204
; %bb.203:
	v_dual_mov_b32 v14, 0 :: v_dual_mov_b32 v13, v3
	s_delay_alu instid0(VALU_DEP_1) | instskip(NEXT) | instid1(VALU_DEP_1)
	v_lshlrev_b64 v[13:14], 2, v[13:14]
	v_add_co_u32 v13, vcc_lo, s0, v13
	s_delay_alu instid0(VALU_DEP_2)
	v_add_co_ci_u32_e32 v14, vcc_lo, s1, v14, vcc_lo
	global_store_b32 v[13:14], v29, off
.LBB675_204:
	s_or_b32 exec_lo, exec_lo, s3
	v_cmp_lt_u32_e32 vcc_lo, v4, v48
	s_or_b32 s4, s23, vcc_lo
	s_delay_alu instid0(SALU_CYCLE_1)
	s_and_saveexec_b32 s3, s4
	s_cbranch_execz .LBB675_207
; %bb.205:
	v_and_b32_e32 v1, 1, v46
	s_delay_alu instid0(VALU_DEP_1)
	v_cmp_eq_u32_e32 vcc_lo, 1, v1
	s_and_b32 exec_lo, exec_lo, vcc_lo
	s_cbranch_execz .LBB675_207
; %bb.206:
	v_dual_mov_b32 v14, 0 :: v_dual_mov_b32 v13, v4
	s_delay_alu instid0(VALU_DEP_1) | instskip(NEXT) | instid1(VALU_DEP_1)
	v_lshlrev_b64 v[13:14], 2, v[13:14]
	v_add_co_u32 v13, vcc_lo, s0, v13
	s_delay_alu instid0(VALU_DEP_2)
	v_add_co_ci_u32_e32 v14, vcc_lo, s1, v14, vcc_lo
	global_store_b32 v[13:14], v26, off
.LBB675_207:
	;; [unrolled: 21-line block ×10, first 2 shown]
	s_or_b32 exec_lo, exec_lo, s3
	s_branch .LBB675_196
.LBB675_232:
	s_mov_b32 s0, exec_lo
	v_cmpx_eq_u32_e32 1, v30
	s_cbranch_execz .LBB675_234
; %bb.233:
	v_sub_nc_u32_e32 v1, v2, v32
	s_delay_alu instid0(VALU_DEP_1)
	v_lshlrev_b32_e32 v1, 2, v1
	ds_store_b32 v1, v28
.LBB675_234:
	s_or_b32 exec_lo, exec_lo, s0
	v_and_b32_e32 v1, 1, v47
	s_mov_b32 s0, exec_lo
	s_delay_alu instid0(VALU_DEP_1)
	v_cmpx_eq_u32_e32 1, v1
	s_cbranch_execz .LBB675_236
; %bb.235:
	v_sub_nc_u32_e32 v1, v3, v32
	s_delay_alu instid0(VALU_DEP_1)
	v_lshlrev_b32_e32 v1, 2, v1
	ds_store_b32 v1, v29
.LBB675_236:
	s_or_b32 exec_lo, exec_lo, s0
	v_and_b32_e32 v1, 1, v46
	s_mov_b32 s0, exec_lo
	s_delay_alu instid0(VALU_DEP_1)
	;; [unrolled: 12-line block ×10, first 2 shown]
	v_cmpx_eq_u32_e32 1, v1
	s_cbranch_execz .LBB675_254
; %bb.253:
	v_sub_nc_u32_e32 v1, v12, v32
	s_delay_alu instid0(VALU_DEP_1)
	v_lshlrev_b32_e32 v1, 2, v1
	ds_store_b32 v1, v36
.LBB675_254:
	s_or_b32 exec_lo, exec_lo, s0
	s_delay_alu instid0(SALU_CYCLE_1)
	s_mov_b32 s1, exec_lo
	s_waitcnt lgkmcnt(0)
	s_waitcnt_vscnt null, 0x0
	s_barrier
	buffer_gl0_inv
	v_cmpx_lt_u32_e64 v0, v17
	s_cbranch_execz .LBB675_257
; %bb.255:
	v_dual_mov_b32 v1, 0 :: v_dual_lshlrev_b32 v4, 2, v0
	s_lshl_b64 s[4:5], s[14:15], 2
	s_delay_alu instid0(SALU_CYCLE_1) | instskip(NEXT) | instid1(VALU_DEP_1)
	s_add_u32 s0, s18, s4
	v_mov_b32_e32 v33, v1
	s_addc_u32 s3, s19, s5
	s_delay_alu instid0(VALU_DEP_1) | instskip(NEXT) | instid1(VALU_DEP_1)
	v_lshlrev_b64 v[2:3], 2, v[32:33]
	v_add_co_u32 v2, vcc_lo, s0, v2
	s_delay_alu instid0(VALU_DEP_2)
	v_add_co_ci_u32_e32 v3, vcc_lo, s3, v3, vcc_lo
	s_mov_b32 s3, 0
	.p2align	6
.LBB675_256:                            ; =>This Inner Loop Header: Depth=1
	ds_load_b32 v7, v4
	v_lshlrev_b64 v[5:6], 2, v[0:1]
	v_add_nc_u32_e32 v0, 0x80, v0
	v_add_nc_u32_e32 v4, 0x200, v4
	s_delay_alu instid0(VALU_DEP_2) | instskip(NEXT) | instid1(VALU_DEP_4)
	v_cmp_ge_u32_e32 vcc_lo, v0, v17
	v_add_co_u32 v5, s0, v2, v5
	s_delay_alu instid0(VALU_DEP_1)
	v_add_co_ci_u32_e64 v6, s0, v3, v6, s0
	s_or_b32 s3, vcc_lo, s3
	s_waitcnt lgkmcnt(0)
	global_store_b32 v[5:6], v7, off
	s_and_not1_b32 exec_lo, exec_lo, s3
	s_cbranch_execnz .LBB675_256
.LBB675_257:
	s_or_b32 exec_lo, exec_lo, s1
	s_and_b32 s0, s2, s22
	s_delay_alu instid0(SALU_CYCLE_1)
	s_and_saveexec_b32 s1, s0
	s_cbranch_execz .LBB675_197
.LBB675_258:
	v_add_co_u32 v0, s0, s14, v17
	s_delay_alu instid0(VALU_DEP_1) | instskip(SKIP_1) | instid1(VALU_DEP_3)
	v_add_co_ci_u32_e64 v1, null, s15, 0, s0
	v_mov_b32_e32 v2, 0
	v_add_co_u32 v0, vcc_lo, v0, v32
	s_delay_alu instid0(VALU_DEP_3)
	v_add_co_ci_u32_e32 v1, vcc_lo, 0, v1, vcc_lo
	global_store_b64 v2, v[0:1], s[12:13]
	s_nop 0
	s_sendmsg sendmsg(MSG_DEALLOC_VGPRS)
	s_endpgm
.LBB675_259:
	s_or_b32 exec_lo, exec_lo, s1
	s_and_saveexec_b32 s1, s28
	s_cbranch_execnz .LBB675_76
	s_branch .LBB675_77
	.section	.rodata,"a",@progbits
	.p2align	6, 0x0
	.amdhsa_kernel _ZN7rocprim17ROCPRIM_400000_NS6detail17trampoline_kernelINS0_14default_configENS1_25partition_config_selectorILNS1_17partition_subalgoE9EsjbEEZZNS1_14partition_implILS5_9ELb0ES3_jN6thrust23THRUST_200600_302600_NS6detail15normal_iteratorINS9_10device_ptrIsEEEENSB_INSC_IjEEEEPNS0_10empty_typeENS0_5tupleIJSE_SH_EEENSJ_IJSG_SI_EEENS0_18inequality_wrapperINS9_8equal_toIsEEEEPmJSH_EEE10hipError_tPvRmT3_T4_T5_T6_T7_T9_mT8_P12ihipStream_tbDpT10_ENKUlT_T0_E_clISt17integral_constantIbLb1EES1A_EEDaS15_S16_EUlS15_E_NS1_11comp_targetILNS1_3genE9ELNS1_11target_archE1100ELNS1_3gpuE3ELNS1_3repE0EEENS1_30default_config_static_selectorELNS0_4arch9wavefront6targetE0EEEvT1_
		.amdhsa_group_segment_fixed_size 5640
		.amdhsa_private_segment_fixed_size 0
		.amdhsa_kernarg_size 128
		.amdhsa_user_sgpr_count 15
		.amdhsa_user_sgpr_dispatch_ptr 0
		.amdhsa_user_sgpr_queue_ptr 0
		.amdhsa_user_sgpr_kernarg_segment_ptr 1
		.amdhsa_user_sgpr_dispatch_id 0
		.amdhsa_user_sgpr_private_segment_size 0
		.amdhsa_wavefront_size32 1
		.amdhsa_uses_dynamic_stack 0
		.amdhsa_enable_private_segment 0
		.amdhsa_system_sgpr_workgroup_id_x 1
		.amdhsa_system_sgpr_workgroup_id_y 0
		.amdhsa_system_sgpr_workgroup_id_z 0
		.amdhsa_system_sgpr_workgroup_info 0
		.amdhsa_system_vgpr_workitem_id 0
		.amdhsa_next_free_vgpr 85
		.amdhsa_next_free_sgpr 30
		.amdhsa_reserve_vcc 1
		.amdhsa_float_round_mode_32 0
		.amdhsa_float_round_mode_16_64 0
		.amdhsa_float_denorm_mode_32 3
		.amdhsa_float_denorm_mode_16_64 3
		.amdhsa_dx10_clamp 1
		.amdhsa_ieee_mode 1
		.amdhsa_fp16_overflow 0
		.amdhsa_workgroup_processor_mode 1
		.amdhsa_memory_ordered 1
		.amdhsa_forward_progress 0
		.amdhsa_shared_vgpr_count 0
		.amdhsa_exception_fp_ieee_invalid_op 0
		.amdhsa_exception_fp_denorm_src 0
		.amdhsa_exception_fp_ieee_div_zero 0
		.amdhsa_exception_fp_ieee_overflow 0
		.amdhsa_exception_fp_ieee_underflow 0
		.amdhsa_exception_fp_ieee_inexact 0
		.amdhsa_exception_int_div_zero 0
	.end_amdhsa_kernel
	.section	.text._ZN7rocprim17ROCPRIM_400000_NS6detail17trampoline_kernelINS0_14default_configENS1_25partition_config_selectorILNS1_17partition_subalgoE9EsjbEEZZNS1_14partition_implILS5_9ELb0ES3_jN6thrust23THRUST_200600_302600_NS6detail15normal_iteratorINS9_10device_ptrIsEEEENSB_INSC_IjEEEEPNS0_10empty_typeENS0_5tupleIJSE_SH_EEENSJ_IJSG_SI_EEENS0_18inequality_wrapperINS9_8equal_toIsEEEEPmJSH_EEE10hipError_tPvRmT3_T4_T5_T6_T7_T9_mT8_P12ihipStream_tbDpT10_ENKUlT_T0_E_clISt17integral_constantIbLb1EES1A_EEDaS15_S16_EUlS15_E_NS1_11comp_targetILNS1_3genE9ELNS1_11target_archE1100ELNS1_3gpuE3ELNS1_3repE0EEENS1_30default_config_static_selectorELNS0_4arch9wavefront6targetE0EEEvT1_,"axG",@progbits,_ZN7rocprim17ROCPRIM_400000_NS6detail17trampoline_kernelINS0_14default_configENS1_25partition_config_selectorILNS1_17partition_subalgoE9EsjbEEZZNS1_14partition_implILS5_9ELb0ES3_jN6thrust23THRUST_200600_302600_NS6detail15normal_iteratorINS9_10device_ptrIsEEEENSB_INSC_IjEEEEPNS0_10empty_typeENS0_5tupleIJSE_SH_EEENSJ_IJSG_SI_EEENS0_18inequality_wrapperINS9_8equal_toIsEEEEPmJSH_EEE10hipError_tPvRmT3_T4_T5_T6_T7_T9_mT8_P12ihipStream_tbDpT10_ENKUlT_T0_E_clISt17integral_constantIbLb1EES1A_EEDaS15_S16_EUlS15_E_NS1_11comp_targetILNS1_3genE9ELNS1_11target_archE1100ELNS1_3gpuE3ELNS1_3repE0EEENS1_30default_config_static_selectorELNS0_4arch9wavefront6targetE0EEEvT1_,comdat
.Lfunc_end675:
	.size	_ZN7rocprim17ROCPRIM_400000_NS6detail17trampoline_kernelINS0_14default_configENS1_25partition_config_selectorILNS1_17partition_subalgoE9EsjbEEZZNS1_14partition_implILS5_9ELb0ES3_jN6thrust23THRUST_200600_302600_NS6detail15normal_iteratorINS9_10device_ptrIsEEEENSB_INSC_IjEEEEPNS0_10empty_typeENS0_5tupleIJSE_SH_EEENSJ_IJSG_SI_EEENS0_18inequality_wrapperINS9_8equal_toIsEEEEPmJSH_EEE10hipError_tPvRmT3_T4_T5_T6_T7_T9_mT8_P12ihipStream_tbDpT10_ENKUlT_T0_E_clISt17integral_constantIbLb1EES1A_EEDaS15_S16_EUlS15_E_NS1_11comp_targetILNS1_3genE9ELNS1_11target_archE1100ELNS1_3gpuE3ELNS1_3repE0EEENS1_30default_config_static_selectorELNS0_4arch9wavefront6targetE0EEEvT1_, .Lfunc_end675-_ZN7rocprim17ROCPRIM_400000_NS6detail17trampoline_kernelINS0_14default_configENS1_25partition_config_selectorILNS1_17partition_subalgoE9EsjbEEZZNS1_14partition_implILS5_9ELb0ES3_jN6thrust23THRUST_200600_302600_NS6detail15normal_iteratorINS9_10device_ptrIsEEEENSB_INSC_IjEEEEPNS0_10empty_typeENS0_5tupleIJSE_SH_EEENSJ_IJSG_SI_EEENS0_18inequality_wrapperINS9_8equal_toIsEEEEPmJSH_EEE10hipError_tPvRmT3_T4_T5_T6_T7_T9_mT8_P12ihipStream_tbDpT10_ENKUlT_T0_E_clISt17integral_constantIbLb1EES1A_EEDaS15_S16_EUlS15_E_NS1_11comp_targetILNS1_3genE9ELNS1_11target_archE1100ELNS1_3gpuE3ELNS1_3repE0EEENS1_30default_config_static_selectorELNS0_4arch9wavefront6targetE0EEEvT1_
                                        ; -- End function
	.section	.AMDGPU.csdata,"",@progbits
; Kernel info:
; codeLenInByte = 12100
; NumSgprs: 32
; NumVgprs: 85
; ScratchSize: 0
; MemoryBound: 0
; FloatMode: 240
; IeeeMode: 1
; LDSByteSize: 5640 bytes/workgroup (compile time only)
; SGPRBlocks: 3
; VGPRBlocks: 10
; NumSGPRsForWavesPerEU: 32
; NumVGPRsForWavesPerEU: 85
; Occupancy: 16
; WaveLimiterHint : 1
; COMPUTE_PGM_RSRC2:SCRATCH_EN: 0
; COMPUTE_PGM_RSRC2:USER_SGPR: 15
; COMPUTE_PGM_RSRC2:TRAP_HANDLER: 0
; COMPUTE_PGM_RSRC2:TGID_X_EN: 1
; COMPUTE_PGM_RSRC2:TGID_Y_EN: 0
; COMPUTE_PGM_RSRC2:TGID_Z_EN: 0
; COMPUTE_PGM_RSRC2:TIDIG_COMP_CNT: 0
	.section	.text._ZN7rocprim17ROCPRIM_400000_NS6detail17trampoline_kernelINS0_14default_configENS1_25partition_config_selectorILNS1_17partition_subalgoE9EsjbEEZZNS1_14partition_implILS5_9ELb0ES3_jN6thrust23THRUST_200600_302600_NS6detail15normal_iteratorINS9_10device_ptrIsEEEENSB_INSC_IjEEEEPNS0_10empty_typeENS0_5tupleIJSE_SH_EEENSJ_IJSG_SI_EEENS0_18inequality_wrapperINS9_8equal_toIsEEEEPmJSH_EEE10hipError_tPvRmT3_T4_T5_T6_T7_T9_mT8_P12ihipStream_tbDpT10_ENKUlT_T0_E_clISt17integral_constantIbLb1EES1A_EEDaS15_S16_EUlS15_E_NS1_11comp_targetILNS1_3genE8ELNS1_11target_archE1030ELNS1_3gpuE2ELNS1_3repE0EEENS1_30default_config_static_selectorELNS0_4arch9wavefront6targetE0EEEvT1_,"axG",@progbits,_ZN7rocprim17ROCPRIM_400000_NS6detail17trampoline_kernelINS0_14default_configENS1_25partition_config_selectorILNS1_17partition_subalgoE9EsjbEEZZNS1_14partition_implILS5_9ELb0ES3_jN6thrust23THRUST_200600_302600_NS6detail15normal_iteratorINS9_10device_ptrIsEEEENSB_INSC_IjEEEEPNS0_10empty_typeENS0_5tupleIJSE_SH_EEENSJ_IJSG_SI_EEENS0_18inequality_wrapperINS9_8equal_toIsEEEEPmJSH_EEE10hipError_tPvRmT3_T4_T5_T6_T7_T9_mT8_P12ihipStream_tbDpT10_ENKUlT_T0_E_clISt17integral_constantIbLb1EES1A_EEDaS15_S16_EUlS15_E_NS1_11comp_targetILNS1_3genE8ELNS1_11target_archE1030ELNS1_3gpuE2ELNS1_3repE0EEENS1_30default_config_static_selectorELNS0_4arch9wavefront6targetE0EEEvT1_,comdat
	.protected	_ZN7rocprim17ROCPRIM_400000_NS6detail17trampoline_kernelINS0_14default_configENS1_25partition_config_selectorILNS1_17partition_subalgoE9EsjbEEZZNS1_14partition_implILS5_9ELb0ES3_jN6thrust23THRUST_200600_302600_NS6detail15normal_iteratorINS9_10device_ptrIsEEEENSB_INSC_IjEEEEPNS0_10empty_typeENS0_5tupleIJSE_SH_EEENSJ_IJSG_SI_EEENS0_18inequality_wrapperINS9_8equal_toIsEEEEPmJSH_EEE10hipError_tPvRmT3_T4_T5_T6_T7_T9_mT8_P12ihipStream_tbDpT10_ENKUlT_T0_E_clISt17integral_constantIbLb1EES1A_EEDaS15_S16_EUlS15_E_NS1_11comp_targetILNS1_3genE8ELNS1_11target_archE1030ELNS1_3gpuE2ELNS1_3repE0EEENS1_30default_config_static_selectorELNS0_4arch9wavefront6targetE0EEEvT1_ ; -- Begin function _ZN7rocprim17ROCPRIM_400000_NS6detail17trampoline_kernelINS0_14default_configENS1_25partition_config_selectorILNS1_17partition_subalgoE9EsjbEEZZNS1_14partition_implILS5_9ELb0ES3_jN6thrust23THRUST_200600_302600_NS6detail15normal_iteratorINS9_10device_ptrIsEEEENSB_INSC_IjEEEEPNS0_10empty_typeENS0_5tupleIJSE_SH_EEENSJ_IJSG_SI_EEENS0_18inequality_wrapperINS9_8equal_toIsEEEEPmJSH_EEE10hipError_tPvRmT3_T4_T5_T6_T7_T9_mT8_P12ihipStream_tbDpT10_ENKUlT_T0_E_clISt17integral_constantIbLb1EES1A_EEDaS15_S16_EUlS15_E_NS1_11comp_targetILNS1_3genE8ELNS1_11target_archE1030ELNS1_3gpuE2ELNS1_3repE0EEENS1_30default_config_static_selectorELNS0_4arch9wavefront6targetE0EEEvT1_
	.globl	_ZN7rocprim17ROCPRIM_400000_NS6detail17trampoline_kernelINS0_14default_configENS1_25partition_config_selectorILNS1_17partition_subalgoE9EsjbEEZZNS1_14partition_implILS5_9ELb0ES3_jN6thrust23THRUST_200600_302600_NS6detail15normal_iteratorINS9_10device_ptrIsEEEENSB_INSC_IjEEEEPNS0_10empty_typeENS0_5tupleIJSE_SH_EEENSJ_IJSG_SI_EEENS0_18inequality_wrapperINS9_8equal_toIsEEEEPmJSH_EEE10hipError_tPvRmT3_T4_T5_T6_T7_T9_mT8_P12ihipStream_tbDpT10_ENKUlT_T0_E_clISt17integral_constantIbLb1EES1A_EEDaS15_S16_EUlS15_E_NS1_11comp_targetILNS1_3genE8ELNS1_11target_archE1030ELNS1_3gpuE2ELNS1_3repE0EEENS1_30default_config_static_selectorELNS0_4arch9wavefront6targetE0EEEvT1_
	.p2align	8
	.type	_ZN7rocprim17ROCPRIM_400000_NS6detail17trampoline_kernelINS0_14default_configENS1_25partition_config_selectorILNS1_17partition_subalgoE9EsjbEEZZNS1_14partition_implILS5_9ELb0ES3_jN6thrust23THRUST_200600_302600_NS6detail15normal_iteratorINS9_10device_ptrIsEEEENSB_INSC_IjEEEEPNS0_10empty_typeENS0_5tupleIJSE_SH_EEENSJ_IJSG_SI_EEENS0_18inequality_wrapperINS9_8equal_toIsEEEEPmJSH_EEE10hipError_tPvRmT3_T4_T5_T6_T7_T9_mT8_P12ihipStream_tbDpT10_ENKUlT_T0_E_clISt17integral_constantIbLb1EES1A_EEDaS15_S16_EUlS15_E_NS1_11comp_targetILNS1_3genE8ELNS1_11target_archE1030ELNS1_3gpuE2ELNS1_3repE0EEENS1_30default_config_static_selectorELNS0_4arch9wavefront6targetE0EEEvT1_,@function
_ZN7rocprim17ROCPRIM_400000_NS6detail17trampoline_kernelINS0_14default_configENS1_25partition_config_selectorILNS1_17partition_subalgoE9EsjbEEZZNS1_14partition_implILS5_9ELb0ES3_jN6thrust23THRUST_200600_302600_NS6detail15normal_iteratorINS9_10device_ptrIsEEEENSB_INSC_IjEEEEPNS0_10empty_typeENS0_5tupleIJSE_SH_EEENSJ_IJSG_SI_EEENS0_18inequality_wrapperINS9_8equal_toIsEEEEPmJSH_EEE10hipError_tPvRmT3_T4_T5_T6_T7_T9_mT8_P12ihipStream_tbDpT10_ENKUlT_T0_E_clISt17integral_constantIbLb1EES1A_EEDaS15_S16_EUlS15_E_NS1_11comp_targetILNS1_3genE8ELNS1_11target_archE1030ELNS1_3gpuE2ELNS1_3repE0EEENS1_30default_config_static_selectorELNS0_4arch9wavefront6targetE0EEEvT1_: ; @_ZN7rocprim17ROCPRIM_400000_NS6detail17trampoline_kernelINS0_14default_configENS1_25partition_config_selectorILNS1_17partition_subalgoE9EsjbEEZZNS1_14partition_implILS5_9ELb0ES3_jN6thrust23THRUST_200600_302600_NS6detail15normal_iteratorINS9_10device_ptrIsEEEENSB_INSC_IjEEEEPNS0_10empty_typeENS0_5tupleIJSE_SH_EEENSJ_IJSG_SI_EEENS0_18inequality_wrapperINS9_8equal_toIsEEEEPmJSH_EEE10hipError_tPvRmT3_T4_T5_T6_T7_T9_mT8_P12ihipStream_tbDpT10_ENKUlT_T0_E_clISt17integral_constantIbLb1EES1A_EEDaS15_S16_EUlS15_E_NS1_11comp_targetILNS1_3genE8ELNS1_11target_archE1030ELNS1_3gpuE2ELNS1_3repE0EEENS1_30default_config_static_selectorELNS0_4arch9wavefront6targetE0EEEvT1_
; %bb.0:
	.section	.rodata,"a",@progbits
	.p2align	6, 0x0
	.amdhsa_kernel _ZN7rocprim17ROCPRIM_400000_NS6detail17trampoline_kernelINS0_14default_configENS1_25partition_config_selectorILNS1_17partition_subalgoE9EsjbEEZZNS1_14partition_implILS5_9ELb0ES3_jN6thrust23THRUST_200600_302600_NS6detail15normal_iteratorINS9_10device_ptrIsEEEENSB_INSC_IjEEEEPNS0_10empty_typeENS0_5tupleIJSE_SH_EEENSJ_IJSG_SI_EEENS0_18inequality_wrapperINS9_8equal_toIsEEEEPmJSH_EEE10hipError_tPvRmT3_T4_T5_T6_T7_T9_mT8_P12ihipStream_tbDpT10_ENKUlT_T0_E_clISt17integral_constantIbLb1EES1A_EEDaS15_S16_EUlS15_E_NS1_11comp_targetILNS1_3genE8ELNS1_11target_archE1030ELNS1_3gpuE2ELNS1_3repE0EEENS1_30default_config_static_selectorELNS0_4arch9wavefront6targetE0EEEvT1_
		.amdhsa_group_segment_fixed_size 0
		.amdhsa_private_segment_fixed_size 0
		.amdhsa_kernarg_size 128
		.amdhsa_user_sgpr_count 15
		.amdhsa_user_sgpr_dispatch_ptr 0
		.amdhsa_user_sgpr_queue_ptr 0
		.amdhsa_user_sgpr_kernarg_segment_ptr 1
		.amdhsa_user_sgpr_dispatch_id 0
		.amdhsa_user_sgpr_private_segment_size 0
		.amdhsa_wavefront_size32 1
		.amdhsa_uses_dynamic_stack 0
		.amdhsa_enable_private_segment 0
		.amdhsa_system_sgpr_workgroup_id_x 1
		.amdhsa_system_sgpr_workgroup_id_y 0
		.amdhsa_system_sgpr_workgroup_id_z 0
		.amdhsa_system_sgpr_workgroup_info 0
		.amdhsa_system_vgpr_workitem_id 0
		.amdhsa_next_free_vgpr 1
		.amdhsa_next_free_sgpr 1
		.amdhsa_reserve_vcc 0
		.amdhsa_float_round_mode_32 0
		.amdhsa_float_round_mode_16_64 0
		.amdhsa_float_denorm_mode_32 3
		.amdhsa_float_denorm_mode_16_64 3
		.amdhsa_dx10_clamp 1
		.amdhsa_ieee_mode 1
		.amdhsa_fp16_overflow 0
		.amdhsa_workgroup_processor_mode 1
		.amdhsa_memory_ordered 1
		.amdhsa_forward_progress 0
		.amdhsa_shared_vgpr_count 0
		.amdhsa_exception_fp_ieee_invalid_op 0
		.amdhsa_exception_fp_denorm_src 0
		.amdhsa_exception_fp_ieee_div_zero 0
		.amdhsa_exception_fp_ieee_overflow 0
		.amdhsa_exception_fp_ieee_underflow 0
		.amdhsa_exception_fp_ieee_inexact 0
		.amdhsa_exception_int_div_zero 0
	.end_amdhsa_kernel
	.section	.text._ZN7rocprim17ROCPRIM_400000_NS6detail17trampoline_kernelINS0_14default_configENS1_25partition_config_selectorILNS1_17partition_subalgoE9EsjbEEZZNS1_14partition_implILS5_9ELb0ES3_jN6thrust23THRUST_200600_302600_NS6detail15normal_iteratorINS9_10device_ptrIsEEEENSB_INSC_IjEEEEPNS0_10empty_typeENS0_5tupleIJSE_SH_EEENSJ_IJSG_SI_EEENS0_18inequality_wrapperINS9_8equal_toIsEEEEPmJSH_EEE10hipError_tPvRmT3_T4_T5_T6_T7_T9_mT8_P12ihipStream_tbDpT10_ENKUlT_T0_E_clISt17integral_constantIbLb1EES1A_EEDaS15_S16_EUlS15_E_NS1_11comp_targetILNS1_3genE8ELNS1_11target_archE1030ELNS1_3gpuE2ELNS1_3repE0EEENS1_30default_config_static_selectorELNS0_4arch9wavefront6targetE0EEEvT1_,"axG",@progbits,_ZN7rocprim17ROCPRIM_400000_NS6detail17trampoline_kernelINS0_14default_configENS1_25partition_config_selectorILNS1_17partition_subalgoE9EsjbEEZZNS1_14partition_implILS5_9ELb0ES3_jN6thrust23THRUST_200600_302600_NS6detail15normal_iteratorINS9_10device_ptrIsEEEENSB_INSC_IjEEEEPNS0_10empty_typeENS0_5tupleIJSE_SH_EEENSJ_IJSG_SI_EEENS0_18inequality_wrapperINS9_8equal_toIsEEEEPmJSH_EEE10hipError_tPvRmT3_T4_T5_T6_T7_T9_mT8_P12ihipStream_tbDpT10_ENKUlT_T0_E_clISt17integral_constantIbLb1EES1A_EEDaS15_S16_EUlS15_E_NS1_11comp_targetILNS1_3genE8ELNS1_11target_archE1030ELNS1_3gpuE2ELNS1_3repE0EEENS1_30default_config_static_selectorELNS0_4arch9wavefront6targetE0EEEvT1_,comdat
.Lfunc_end676:
	.size	_ZN7rocprim17ROCPRIM_400000_NS6detail17trampoline_kernelINS0_14default_configENS1_25partition_config_selectorILNS1_17partition_subalgoE9EsjbEEZZNS1_14partition_implILS5_9ELb0ES3_jN6thrust23THRUST_200600_302600_NS6detail15normal_iteratorINS9_10device_ptrIsEEEENSB_INSC_IjEEEEPNS0_10empty_typeENS0_5tupleIJSE_SH_EEENSJ_IJSG_SI_EEENS0_18inequality_wrapperINS9_8equal_toIsEEEEPmJSH_EEE10hipError_tPvRmT3_T4_T5_T6_T7_T9_mT8_P12ihipStream_tbDpT10_ENKUlT_T0_E_clISt17integral_constantIbLb1EES1A_EEDaS15_S16_EUlS15_E_NS1_11comp_targetILNS1_3genE8ELNS1_11target_archE1030ELNS1_3gpuE2ELNS1_3repE0EEENS1_30default_config_static_selectorELNS0_4arch9wavefront6targetE0EEEvT1_, .Lfunc_end676-_ZN7rocprim17ROCPRIM_400000_NS6detail17trampoline_kernelINS0_14default_configENS1_25partition_config_selectorILNS1_17partition_subalgoE9EsjbEEZZNS1_14partition_implILS5_9ELb0ES3_jN6thrust23THRUST_200600_302600_NS6detail15normal_iteratorINS9_10device_ptrIsEEEENSB_INSC_IjEEEEPNS0_10empty_typeENS0_5tupleIJSE_SH_EEENSJ_IJSG_SI_EEENS0_18inequality_wrapperINS9_8equal_toIsEEEEPmJSH_EEE10hipError_tPvRmT3_T4_T5_T6_T7_T9_mT8_P12ihipStream_tbDpT10_ENKUlT_T0_E_clISt17integral_constantIbLb1EES1A_EEDaS15_S16_EUlS15_E_NS1_11comp_targetILNS1_3genE8ELNS1_11target_archE1030ELNS1_3gpuE2ELNS1_3repE0EEENS1_30default_config_static_selectorELNS0_4arch9wavefront6targetE0EEEvT1_
                                        ; -- End function
	.section	.AMDGPU.csdata,"",@progbits
; Kernel info:
; codeLenInByte = 0
; NumSgprs: 0
; NumVgprs: 0
; ScratchSize: 0
; MemoryBound: 0
; FloatMode: 240
; IeeeMode: 1
; LDSByteSize: 0 bytes/workgroup (compile time only)
; SGPRBlocks: 0
; VGPRBlocks: 0
; NumSGPRsForWavesPerEU: 1
; NumVGPRsForWavesPerEU: 1
; Occupancy: 16
; WaveLimiterHint : 0
; COMPUTE_PGM_RSRC2:SCRATCH_EN: 0
; COMPUTE_PGM_RSRC2:USER_SGPR: 15
; COMPUTE_PGM_RSRC2:TRAP_HANDLER: 0
; COMPUTE_PGM_RSRC2:TGID_X_EN: 1
; COMPUTE_PGM_RSRC2:TGID_Y_EN: 0
; COMPUTE_PGM_RSRC2:TGID_Z_EN: 0
; COMPUTE_PGM_RSRC2:TIDIG_COMP_CNT: 0
	.section	.text._ZN7rocprim17ROCPRIM_400000_NS6detail17trampoline_kernelINS0_14default_configENS1_25partition_config_selectorILNS1_17partition_subalgoE9EsjbEEZZNS1_14partition_implILS5_9ELb0ES3_jN6thrust23THRUST_200600_302600_NS6detail15normal_iteratorINS9_10device_ptrIsEEEENSB_INSC_IjEEEEPNS0_10empty_typeENS0_5tupleIJSE_SH_EEENSJ_IJSG_SI_EEENS0_18inequality_wrapperINS9_8equal_toIsEEEEPmJSH_EEE10hipError_tPvRmT3_T4_T5_T6_T7_T9_mT8_P12ihipStream_tbDpT10_ENKUlT_T0_E_clISt17integral_constantIbLb1EES19_IbLb0EEEEDaS15_S16_EUlS15_E_NS1_11comp_targetILNS1_3genE0ELNS1_11target_archE4294967295ELNS1_3gpuE0ELNS1_3repE0EEENS1_30default_config_static_selectorELNS0_4arch9wavefront6targetE0EEEvT1_,"axG",@progbits,_ZN7rocprim17ROCPRIM_400000_NS6detail17trampoline_kernelINS0_14default_configENS1_25partition_config_selectorILNS1_17partition_subalgoE9EsjbEEZZNS1_14partition_implILS5_9ELb0ES3_jN6thrust23THRUST_200600_302600_NS6detail15normal_iteratorINS9_10device_ptrIsEEEENSB_INSC_IjEEEEPNS0_10empty_typeENS0_5tupleIJSE_SH_EEENSJ_IJSG_SI_EEENS0_18inequality_wrapperINS9_8equal_toIsEEEEPmJSH_EEE10hipError_tPvRmT3_T4_T5_T6_T7_T9_mT8_P12ihipStream_tbDpT10_ENKUlT_T0_E_clISt17integral_constantIbLb1EES19_IbLb0EEEEDaS15_S16_EUlS15_E_NS1_11comp_targetILNS1_3genE0ELNS1_11target_archE4294967295ELNS1_3gpuE0ELNS1_3repE0EEENS1_30default_config_static_selectorELNS0_4arch9wavefront6targetE0EEEvT1_,comdat
	.protected	_ZN7rocprim17ROCPRIM_400000_NS6detail17trampoline_kernelINS0_14default_configENS1_25partition_config_selectorILNS1_17partition_subalgoE9EsjbEEZZNS1_14partition_implILS5_9ELb0ES3_jN6thrust23THRUST_200600_302600_NS6detail15normal_iteratorINS9_10device_ptrIsEEEENSB_INSC_IjEEEEPNS0_10empty_typeENS0_5tupleIJSE_SH_EEENSJ_IJSG_SI_EEENS0_18inequality_wrapperINS9_8equal_toIsEEEEPmJSH_EEE10hipError_tPvRmT3_T4_T5_T6_T7_T9_mT8_P12ihipStream_tbDpT10_ENKUlT_T0_E_clISt17integral_constantIbLb1EES19_IbLb0EEEEDaS15_S16_EUlS15_E_NS1_11comp_targetILNS1_3genE0ELNS1_11target_archE4294967295ELNS1_3gpuE0ELNS1_3repE0EEENS1_30default_config_static_selectorELNS0_4arch9wavefront6targetE0EEEvT1_ ; -- Begin function _ZN7rocprim17ROCPRIM_400000_NS6detail17trampoline_kernelINS0_14default_configENS1_25partition_config_selectorILNS1_17partition_subalgoE9EsjbEEZZNS1_14partition_implILS5_9ELb0ES3_jN6thrust23THRUST_200600_302600_NS6detail15normal_iteratorINS9_10device_ptrIsEEEENSB_INSC_IjEEEEPNS0_10empty_typeENS0_5tupleIJSE_SH_EEENSJ_IJSG_SI_EEENS0_18inequality_wrapperINS9_8equal_toIsEEEEPmJSH_EEE10hipError_tPvRmT3_T4_T5_T6_T7_T9_mT8_P12ihipStream_tbDpT10_ENKUlT_T0_E_clISt17integral_constantIbLb1EES19_IbLb0EEEEDaS15_S16_EUlS15_E_NS1_11comp_targetILNS1_3genE0ELNS1_11target_archE4294967295ELNS1_3gpuE0ELNS1_3repE0EEENS1_30default_config_static_selectorELNS0_4arch9wavefront6targetE0EEEvT1_
	.globl	_ZN7rocprim17ROCPRIM_400000_NS6detail17trampoline_kernelINS0_14default_configENS1_25partition_config_selectorILNS1_17partition_subalgoE9EsjbEEZZNS1_14partition_implILS5_9ELb0ES3_jN6thrust23THRUST_200600_302600_NS6detail15normal_iteratorINS9_10device_ptrIsEEEENSB_INSC_IjEEEEPNS0_10empty_typeENS0_5tupleIJSE_SH_EEENSJ_IJSG_SI_EEENS0_18inequality_wrapperINS9_8equal_toIsEEEEPmJSH_EEE10hipError_tPvRmT3_T4_T5_T6_T7_T9_mT8_P12ihipStream_tbDpT10_ENKUlT_T0_E_clISt17integral_constantIbLb1EES19_IbLb0EEEEDaS15_S16_EUlS15_E_NS1_11comp_targetILNS1_3genE0ELNS1_11target_archE4294967295ELNS1_3gpuE0ELNS1_3repE0EEENS1_30default_config_static_selectorELNS0_4arch9wavefront6targetE0EEEvT1_
	.p2align	8
	.type	_ZN7rocprim17ROCPRIM_400000_NS6detail17trampoline_kernelINS0_14default_configENS1_25partition_config_selectorILNS1_17partition_subalgoE9EsjbEEZZNS1_14partition_implILS5_9ELb0ES3_jN6thrust23THRUST_200600_302600_NS6detail15normal_iteratorINS9_10device_ptrIsEEEENSB_INSC_IjEEEEPNS0_10empty_typeENS0_5tupleIJSE_SH_EEENSJ_IJSG_SI_EEENS0_18inequality_wrapperINS9_8equal_toIsEEEEPmJSH_EEE10hipError_tPvRmT3_T4_T5_T6_T7_T9_mT8_P12ihipStream_tbDpT10_ENKUlT_T0_E_clISt17integral_constantIbLb1EES19_IbLb0EEEEDaS15_S16_EUlS15_E_NS1_11comp_targetILNS1_3genE0ELNS1_11target_archE4294967295ELNS1_3gpuE0ELNS1_3repE0EEENS1_30default_config_static_selectorELNS0_4arch9wavefront6targetE0EEEvT1_,@function
_ZN7rocprim17ROCPRIM_400000_NS6detail17trampoline_kernelINS0_14default_configENS1_25partition_config_selectorILNS1_17partition_subalgoE9EsjbEEZZNS1_14partition_implILS5_9ELb0ES3_jN6thrust23THRUST_200600_302600_NS6detail15normal_iteratorINS9_10device_ptrIsEEEENSB_INSC_IjEEEEPNS0_10empty_typeENS0_5tupleIJSE_SH_EEENSJ_IJSG_SI_EEENS0_18inequality_wrapperINS9_8equal_toIsEEEEPmJSH_EEE10hipError_tPvRmT3_T4_T5_T6_T7_T9_mT8_P12ihipStream_tbDpT10_ENKUlT_T0_E_clISt17integral_constantIbLb1EES19_IbLb0EEEEDaS15_S16_EUlS15_E_NS1_11comp_targetILNS1_3genE0ELNS1_11target_archE4294967295ELNS1_3gpuE0ELNS1_3repE0EEENS1_30default_config_static_selectorELNS0_4arch9wavefront6targetE0EEEvT1_: ; @_ZN7rocprim17ROCPRIM_400000_NS6detail17trampoline_kernelINS0_14default_configENS1_25partition_config_selectorILNS1_17partition_subalgoE9EsjbEEZZNS1_14partition_implILS5_9ELb0ES3_jN6thrust23THRUST_200600_302600_NS6detail15normal_iteratorINS9_10device_ptrIsEEEENSB_INSC_IjEEEEPNS0_10empty_typeENS0_5tupleIJSE_SH_EEENSJ_IJSG_SI_EEENS0_18inequality_wrapperINS9_8equal_toIsEEEEPmJSH_EEE10hipError_tPvRmT3_T4_T5_T6_T7_T9_mT8_P12ihipStream_tbDpT10_ENKUlT_T0_E_clISt17integral_constantIbLb1EES19_IbLb0EEEEDaS15_S16_EUlS15_E_NS1_11comp_targetILNS1_3genE0ELNS1_11target_archE4294967295ELNS1_3gpuE0ELNS1_3repE0EEENS1_30default_config_static_selectorELNS0_4arch9wavefront6targetE0EEEvT1_
; %bb.0:
	.section	.rodata,"a",@progbits
	.p2align	6, 0x0
	.amdhsa_kernel _ZN7rocprim17ROCPRIM_400000_NS6detail17trampoline_kernelINS0_14default_configENS1_25partition_config_selectorILNS1_17partition_subalgoE9EsjbEEZZNS1_14partition_implILS5_9ELb0ES3_jN6thrust23THRUST_200600_302600_NS6detail15normal_iteratorINS9_10device_ptrIsEEEENSB_INSC_IjEEEEPNS0_10empty_typeENS0_5tupleIJSE_SH_EEENSJ_IJSG_SI_EEENS0_18inequality_wrapperINS9_8equal_toIsEEEEPmJSH_EEE10hipError_tPvRmT3_T4_T5_T6_T7_T9_mT8_P12ihipStream_tbDpT10_ENKUlT_T0_E_clISt17integral_constantIbLb1EES19_IbLb0EEEEDaS15_S16_EUlS15_E_NS1_11comp_targetILNS1_3genE0ELNS1_11target_archE4294967295ELNS1_3gpuE0ELNS1_3repE0EEENS1_30default_config_static_selectorELNS0_4arch9wavefront6targetE0EEEvT1_
		.amdhsa_group_segment_fixed_size 0
		.amdhsa_private_segment_fixed_size 0
		.amdhsa_kernarg_size 112
		.amdhsa_user_sgpr_count 15
		.amdhsa_user_sgpr_dispatch_ptr 0
		.amdhsa_user_sgpr_queue_ptr 0
		.amdhsa_user_sgpr_kernarg_segment_ptr 1
		.amdhsa_user_sgpr_dispatch_id 0
		.amdhsa_user_sgpr_private_segment_size 0
		.amdhsa_wavefront_size32 1
		.amdhsa_uses_dynamic_stack 0
		.amdhsa_enable_private_segment 0
		.amdhsa_system_sgpr_workgroup_id_x 1
		.amdhsa_system_sgpr_workgroup_id_y 0
		.amdhsa_system_sgpr_workgroup_id_z 0
		.amdhsa_system_sgpr_workgroup_info 0
		.amdhsa_system_vgpr_workitem_id 0
		.amdhsa_next_free_vgpr 1
		.amdhsa_next_free_sgpr 1
		.amdhsa_reserve_vcc 0
		.amdhsa_float_round_mode_32 0
		.amdhsa_float_round_mode_16_64 0
		.amdhsa_float_denorm_mode_32 3
		.amdhsa_float_denorm_mode_16_64 3
		.amdhsa_dx10_clamp 1
		.amdhsa_ieee_mode 1
		.amdhsa_fp16_overflow 0
		.amdhsa_workgroup_processor_mode 1
		.amdhsa_memory_ordered 1
		.amdhsa_forward_progress 0
		.amdhsa_shared_vgpr_count 0
		.amdhsa_exception_fp_ieee_invalid_op 0
		.amdhsa_exception_fp_denorm_src 0
		.amdhsa_exception_fp_ieee_div_zero 0
		.amdhsa_exception_fp_ieee_overflow 0
		.amdhsa_exception_fp_ieee_underflow 0
		.amdhsa_exception_fp_ieee_inexact 0
		.amdhsa_exception_int_div_zero 0
	.end_amdhsa_kernel
	.section	.text._ZN7rocprim17ROCPRIM_400000_NS6detail17trampoline_kernelINS0_14default_configENS1_25partition_config_selectorILNS1_17partition_subalgoE9EsjbEEZZNS1_14partition_implILS5_9ELb0ES3_jN6thrust23THRUST_200600_302600_NS6detail15normal_iteratorINS9_10device_ptrIsEEEENSB_INSC_IjEEEEPNS0_10empty_typeENS0_5tupleIJSE_SH_EEENSJ_IJSG_SI_EEENS0_18inequality_wrapperINS9_8equal_toIsEEEEPmJSH_EEE10hipError_tPvRmT3_T4_T5_T6_T7_T9_mT8_P12ihipStream_tbDpT10_ENKUlT_T0_E_clISt17integral_constantIbLb1EES19_IbLb0EEEEDaS15_S16_EUlS15_E_NS1_11comp_targetILNS1_3genE0ELNS1_11target_archE4294967295ELNS1_3gpuE0ELNS1_3repE0EEENS1_30default_config_static_selectorELNS0_4arch9wavefront6targetE0EEEvT1_,"axG",@progbits,_ZN7rocprim17ROCPRIM_400000_NS6detail17trampoline_kernelINS0_14default_configENS1_25partition_config_selectorILNS1_17partition_subalgoE9EsjbEEZZNS1_14partition_implILS5_9ELb0ES3_jN6thrust23THRUST_200600_302600_NS6detail15normal_iteratorINS9_10device_ptrIsEEEENSB_INSC_IjEEEEPNS0_10empty_typeENS0_5tupleIJSE_SH_EEENSJ_IJSG_SI_EEENS0_18inequality_wrapperINS9_8equal_toIsEEEEPmJSH_EEE10hipError_tPvRmT3_T4_T5_T6_T7_T9_mT8_P12ihipStream_tbDpT10_ENKUlT_T0_E_clISt17integral_constantIbLb1EES19_IbLb0EEEEDaS15_S16_EUlS15_E_NS1_11comp_targetILNS1_3genE0ELNS1_11target_archE4294967295ELNS1_3gpuE0ELNS1_3repE0EEENS1_30default_config_static_selectorELNS0_4arch9wavefront6targetE0EEEvT1_,comdat
.Lfunc_end677:
	.size	_ZN7rocprim17ROCPRIM_400000_NS6detail17trampoline_kernelINS0_14default_configENS1_25partition_config_selectorILNS1_17partition_subalgoE9EsjbEEZZNS1_14partition_implILS5_9ELb0ES3_jN6thrust23THRUST_200600_302600_NS6detail15normal_iteratorINS9_10device_ptrIsEEEENSB_INSC_IjEEEEPNS0_10empty_typeENS0_5tupleIJSE_SH_EEENSJ_IJSG_SI_EEENS0_18inequality_wrapperINS9_8equal_toIsEEEEPmJSH_EEE10hipError_tPvRmT3_T4_T5_T6_T7_T9_mT8_P12ihipStream_tbDpT10_ENKUlT_T0_E_clISt17integral_constantIbLb1EES19_IbLb0EEEEDaS15_S16_EUlS15_E_NS1_11comp_targetILNS1_3genE0ELNS1_11target_archE4294967295ELNS1_3gpuE0ELNS1_3repE0EEENS1_30default_config_static_selectorELNS0_4arch9wavefront6targetE0EEEvT1_, .Lfunc_end677-_ZN7rocprim17ROCPRIM_400000_NS6detail17trampoline_kernelINS0_14default_configENS1_25partition_config_selectorILNS1_17partition_subalgoE9EsjbEEZZNS1_14partition_implILS5_9ELb0ES3_jN6thrust23THRUST_200600_302600_NS6detail15normal_iteratorINS9_10device_ptrIsEEEENSB_INSC_IjEEEEPNS0_10empty_typeENS0_5tupleIJSE_SH_EEENSJ_IJSG_SI_EEENS0_18inequality_wrapperINS9_8equal_toIsEEEEPmJSH_EEE10hipError_tPvRmT3_T4_T5_T6_T7_T9_mT8_P12ihipStream_tbDpT10_ENKUlT_T0_E_clISt17integral_constantIbLb1EES19_IbLb0EEEEDaS15_S16_EUlS15_E_NS1_11comp_targetILNS1_3genE0ELNS1_11target_archE4294967295ELNS1_3gpuE0ELNS1_3repE0EEENS1_30default_config_static_selectorELNS0_4arch9wavefront6targetE0EEEvT1_
                                        ; -- End function
	.section	.AMDGPU.csdata,"",@progbits
; Kernel info:
; codeLenInByte = 0
; NumSgprs: 0
; NumVgprs: 0
; ScratchSize: 0
; MemoryBound: 0
; FloatMode: 240
; IeeeMode: 1
; LDSByteSize: 0 bytes/workgroup (compile time only)
; SGPRBlocks: 0
; VGPRBlocks: 0
; NumSGPRsForWavesPerEU: 1
; NumVGPRsForWavesPerEU: 1
; Occupancy: 16
; WaveLimiterHint : 0
; COMPUTE_PGM_RSRC2:SCRATCH_EN: 0
; COMPUTE_PGM_RSRC2:USER_SGPR: 15
; COMPUTE_PGM_RSRC2:TRAP_HANDLER: 0
; COMPUTE_PGM_RSRC2:TGID_X_EN: 1
; COMPUTE_PGM_RSRC2:TGID_Y_EN: 0
; COMPUTE_PGM_RSRC2:TGID_Z_EN: 0
; COMPUTE_PGM_RSRC2:TIDIG_COMP_CNT: 0
	.section	.text._ZN7rocprim17ROCPRIM_400000_NS6detail17trampoline_kernelINS0_14default_configENS1_25partition_config_selectorILNS1_17partition_subalgoE9EsjbEEZZNS1_14partition_implILS5_9ELb0ES3_jN6thrust23THRUST_200600_302600_NS6detail15normal_iteratorINS9_10device_ptrIsEEEENSB_INSC_IjEEEEPNS0_10empty_typeENS0_5tupleIJSE_SH_EEENSJ_IJSG_SI_EEENS0_18inequality_wrapperINS9_8equal_toIsEEEEPmJSH_EEE10hipError_tPvRmT3_T4_T5_T6_T7_T9_mT8_P12ihipStream_tbDpT10_ENKUlT_T0_E_clISt17integral_constantIbLb1EES19_IbLb0EEEEDaS15_S16_EUlS15_E_NS1_11comp_targetILNS1_3genE5ELNS1_11target_archE942ELNS1_3gpuE9ELNS1_3repE0EEENS1_30default_config_static_selectorELNS0_4arch9wavefront6targetE0EEEvT1_,"axG",@progbits,_ZN7rocprim17ROCPRIM_400000_NS6detail17trampoline_kernelINS0_14default_configENS1_25partition_config_selectorILNS1_17partition_subalgoE9EsjbEEZZNS1_14partition_implILS5_9ELb0ES3_jN6thrust23THRUST_200600_302600_NS6detail15normal_iteratorINS9_10device_ptrIsEEEENSB_INSC_IjEEEEPNS0_10empty_typeENS0_5tupleIJSE_SH_EEENSJ_IJSG_SI_EEENS0_18inequality_wrapperINS9_8equal_toIsEEEEPmJSH_EEE10hipError_tPvRmT3_T4_T5_T6_T7_T9_mT8_P12ihipStream_tbDpT10_ENKUlT_T0_E_clISt17integral_constantIbLb1EES19_IbLb0EEEEDaS15_S16_EUlS15_E_NS1_11comp_targetILNS1_3genE5ELNS1_11target_archE942ELNS1_3gpuE9ELNS1_3repE0EEENS1_30default_config_static_selectorELNS0_4arch9wavefront6targetE0EEEvT1_,comdat
	.protected	_ZN7rocprim17ROCPRIM_400000_NS6detail17trampoline_kernelINS0_14default_configENS1_25partition_config_selectorILNS1_17partition_subalgoE9EsjbEEZZNS1_14partition_implILS5_9ELb0ES3_jN6thrust23THRUST_200600_302600_NS6detail15normal_iteratorINS9_10device_ptrIsEEEENSB_INSC_IjEEEEPNS0_10empty_typeENS0_5tupleIJSE_SH_EEENSJ_IJSG_SI_EEENS0_18inequality_wrapperINS9_8equal_toIsEEEEPmJSH_EEE10hipError_tPvRmT3_T4_T5_T6_T7_T9_mT8_P12ihipStream_tbDpT10_ENKUlT_T0_E_clISt17integral_constantIbLb1EES19_IbLb0EEEEDaS15_S16_EUlS15_E_NS1_11comp_targetILNS1_3genE5ELNS1_11target_archE942ELNS1_3gpuE9ELNS1_3repE0EEENS1_30default_config_static_selectorELNS0_4arch9wavefront6targetE0EEEvT1_ ; -- Begin function _ZN7rocprim17ROCPRIM_400000_NS6detail17trampoline_kernelINS0_14default_configENS1_25partition_config_selectorILNS1_17partition_subalgoE9EsjbEEZZNS1_14partition_implILS5_9ELb0ES3_jN6thrust23THRUST_200600_302600_NS6detail15normal_iteratorINS9_10device_ptrIsEEEENSB_INSC_IjEEEEPNS0_10empty_typeENS0_5tupleIJSE_SH_EEENSJ_IJSG_SI_EEENS0_18inequality_wrapperINS9_8equal_toIsEEEEPmJSH_EEE10hipError_tPvRmT3_T4_T5_T6_T7_T9_mT8_P12ihipStream_tbDpT10_ENKUlT_T0_E_clISt17integral_constantIbLb1EES19_IbLb0EEEEDaS15_S16_EUlS15_E_NS1_11comp_targetILNS1_3genE5ELNS1_11target_archE942ELNS1_3gpuE9ELNS1_3repE0EEENS1_30default_config_static_selectorELNS0_4arch9wavefront6targetE0EEEvT1_
	.globl	_ZN7rocprim17ROCPRIM_400000_NS6detail17trampoline_kernelINS0_14default_configENS1_25partition_config_selectorILNS1_17partition_subalgoE9EsjbEEZZNS1_14partition_implILS5_9ELb0ES3_jN6thrust23THRUST_200600_302600_NS6detail15normal_iteratorINS9_10device_ptrIsEEEENSB_INSC_IjEEEEPNS0_10empty_typeENS0_5tupleIJSE_SH_EEENSJ_IJSG_SI_EEENS0_18inequality_wrapperINS9_8equal_toIsEEEEPmJSH_EEE10hipError_tPvRmT3_T4_T5_T6_T7_T9_mT8_P12ihipStream_tbDpT10_ENKUlT_T0_E_clISt17integral_constantIbLb1EES19_IbLb0EEEEDaS15_S16_EUlS15_E_NS1_11comp_targetILNS1_3genE5ELNS1_11target_archE942ELNS1_3gpuE9ELNS1_3repE0EEENS1_30default_config_static_selectorELNS0_4arch9wavefront6targetE0EEEvT1_
	.p2align	8
	.type	_ZN7rocprim17ROCPRIM_400000_NS6detail17trampoline_kernelINS0_14default_configENS1_25partition_config_selectorILNS1_17partition_subalgoE9EsjbEEZZNS1_14partition_implILS5_9ELb0ES3_jN6thrust23THRUST_200600_302600_NS6detail15normal_iteratorINS9_10device_ptrIsEEEENSB_INSC_IjEEEEPNS0_10empty_typeENS0_5tupleIJSE_SH_EEENSJ_IJSG_SI_EEENS0_18inequality_wrapperINS9_8equal_toIsEEEEPmJSH_EEE10hipError_tPvRmT3_T4_T5_T6_T7_T9_mT8_P12ihipStream_tbDpT10_ENKUlT_T0_E_clISt17integral_constantIbLb1EES19_IbLb0EEEEDaS15_S16_EUlS15_E_NS1_11comp_targetILNS1_3genE5ELNS1_11target_archE942ELNS1_3gpuE9ELNS1_3repE0EEENS1_30default_config_static_selectorELNS0_4arch9wavefront6targetE0EEEvT1_,@function
_ZN7rocprim17ROCPRIM_400000_NS6detail17trampoline_kernelINS0_14default_configENS1_25partition_config_selectorILNS1_17partition_subalgoE9EsjbEEZZNS1_14partition_implILS5_9ELb0ES3_jN6thrust23THRUST_200600_302600_NS6detail15normal_iteratorINS9_10device_ptrIsEEEENSB_INSC_IjEEEEPNS0_10empty_typeENS0_5tupleIJSE_SH_EEENSJ_IJSG_SI_EEENS0_18inequality_wrapperINS9_8equal_toIsEEEEPmJSH_EEE10hipError_tPvRmT3_T4_T5_T6_T7_T9_mT8_P12ihipStream_tbDpT10_ENKUlT_T0_E_clISt17integral_constantIbLb1EES19_IbLb0EEEEDaS15_S16_EUlS15_E_NS1_11comp_targetILNS1_3genE5ELNS1_11target_archE942ELNS1_3gpuE9ELNS1_3repE0EEENS1_30default_config_static_selectorELNS0_4arch9wavefront6targetE0EEEvT1_: ; @_ZN7rocprim17ROCPRIM_400000_NS6detail17trampoline_kernelINS0_14default_configENS1_25partition_config_selectorILNS1_17partition_subalgoE9EsjbEEZZNS1_14partition_implILS5_9ELb0ES3_jN6thrust23THRUST_200600_302600_NS6detail15normal_iteratorINS9_10device_ptrIsEEEENSB_INSC_IjEEEEPNS0_10empty_typeENS0_5tupleIJSE_SH_EEENSJ_IJSG_SI_EEENS0_18inequality_wrapperINS9_8equal_toIsEEEEPmJSH_EEE10hipError_tPvRmT3_T4_T5_T6_T7_T9_mT8_P12ihipStream_tbDpT10_ENKUlT_T0_E_clISt17integral_constantIbLb1EES19_IbLb0EEEEDaS15_S16_EUlS15_E_NS1_11comp_targetILNS1_3genE5ELNS1_11target_archE942ELNS1_3gpuE9ELNS1_3repE0EEENS1_30default_config_static_selectorELNS0_4arch9wavefront6targetE0EEEvT1_
; %bb.0:
	.section	.rodata,"a",@progbits
	.p2align	6, 0x0
	.amdhsa_kernel _ZN7rocprim17ROCPRIM_400000_NS6detail17trampoline_kernelINS0_14default_configENS1_25partition_config_selectorILNS1_17partition_subalgoE9EsjbEEZZNS1_14partition_implILS5_9ELb0ES3_jN6thrust23THRUST_200600_302600_NS6detail15normal_iteratorINS9_10device_ptrIsEEEENSB_INSC_IjEEEEPNS0_10empty_typeENS0_5tupleIJSE_SH_EEENSJ_IJSG_SI_EEENS0_18inequality_wrapperINS9_8equal_toIsEEEEPmJSH_EEE10hipError_tPvRmT3_T4_T5_T6_T7_T9_mT8_P12ihipStream_tbDpT10_ENKUlT_T0_E_clISt17integral_constantIbLb1EES19_IbLb0EEEEDaS15_S16_EUlS15_E_NS1_11comp_targetILNS1_3genE5ELNS1_11target_archE942ELNS1_3gpuE9ELNS1_3repE0EEENS1_30default_config_static_selectorELNS0_4arch9wavefront6targetE0EEEvT1_
		.amdhsa_group_segment_fixed_size 0
		.amdhsa_private_segment_fixed_size 0
		.amdhsa_kernarg_size 112
		.amdhsa_user_sgpr_count 15
		.amdhsa_user_sgpr_dispatch_ptr 0
		.amdhsa_user_sgpr_queue_ptr 0
		.amdhsa_user_sgpr_kernarg_segment_ptr 1
		.amdhsa_user_sgpr_dispatch_id 0
		.amdhsa_user_sgpr_private_segment_size 0
		.amdhsa_wavefront_size32 1
		.amdhsa_uses_dynamic_stack 0
		.amdhsa_enable_private_segment 0
		.amdhsa_system_sgpr_workgroup_id_x 1
		.amdhsa_system_sgpr_workgroup_id_y 0
		.amdhsa_system_sgpr_workgroup_id_z 0
		.amdhsa_system_sgpr_workgroup_info 0
		.amdhsa_system_vgpr_workitem_id 0
		.amdhsa_next_free_vgpr 1
		.amdhsa_next_free_sgpr 1
		.amdhsa_reserve_vcc 0
		.amdhsa_float_round_mode_32 0
		.amdhsa_float_round_mode_16_64 0
		.amdhsa_float_denorm_mode_32 3
		.amdhsa_float_denorm_mode_16_64 3
		.amdhsa_dx10_clamp 1
		.amdhsa_ieee_mode 1
		.amdhsa_fp16_overflow 0
		.amdhsa_workgroup_processor_mode 1
		.amdhsa_memory_ordered 1
		.amdhsa_forward_progress 0
		.amdhsa_shared_vgpr_count 0
		.amdhsa_exception_fp_ieee_invalid_op 0
		.amdhsa_exception_fp_denorm_src 0
		.amdhsa_exception_fp_ieee_div_zero 0
		.amdhsa_exception_fp_ieee_overflow 0
		.amdhsa_exception_fp_ieee_underflow 0
		.amdhsa_exception_fp_ieee_inexact 0
		.amdhsa_exception_int_div_zero 0
	.end_amdhsa_kernel
	.section	.text._ZN7rocprim17ROCPRIM_400000_NS6detail17trampoline_kernelINS0_14default_configENS1_25partition_config_selectorILNS1_17partition_subalgoE9EsjbEEZZNS1_14partition_implILS5_9ELb0ES3_jN6thrust23THRUST_200600_302600_NS6detail15normal_iteratorINS9_10device_ptrIsEEEENSB_INSC_IjEEEEPNS0_10empty_typeENS0_5tupleIJSE_SH_EEENSJ_IJSG_SI_EEENS0_18inequality_wrapperINS9_8equal_toIsEEEEPmJSH_EEE10hipError_tPvRmT3_T4_T5_T6_T7_T9_mT8_P12ihipStream_tbDpT10_ENKUlT_T0_E_clISt17integral_constantIbLb1EES19_IbLb0EEEEDaS15_S16_EUlS15_E_NS1_11comp_targetILNS1_3genE5ELNS1_11target_archE942ELNS1_3gpuE9ELNS1_3repE0EEENS1_30default_config_static_selectorELNS0_4arch9wavefront6targetE0EEEvT1_,"axG",@progbits,_ZN7rocprim17ROCPRIM_400000_NS6detail17trampoline_kernelINS0_14default_configENS1_25partition_config_selectorILNS1_17partition_subalgoE9EsjbEEZZNS1_14partition_implILS5_9ELb0ES3_jN6thrust23THRUST_200600_302600_NS6detail15normal_iteratorINS9_10device_ptrIsEEEENSB_INSC_IjEEEEPNS0_10empty_typeENS0_5tupleIJSE_SH_EEENSJ_IJSG_SI_EEENS0_18inequality_wrapperINS9_8equal_toIsEEEEPmJSH_EEE10hipError_tPvRmT3_T4_T5_T6_T7_T9_mT8_P12ihipStream_tbDpT10_ENKUlT_T0_E_clISt17integral_constantIbLb1EES19_IbLb0EEEEDaS15_S16_EUlS15_E_NS1_11comp_targetILNS1_3genE5ELNS1_11target_archE942ELNS1_3gpuE9ELNS1_3repE0EEENS1_30default_config_static_selectorELNS0_4arch9wavefront6targetE0EEEvT1_,comdat
.Lfunc_end678:
	.size	_ZN7rocprim17ROCPRIM_400000_NS6detail17trampoline_kernelINS0_14default_configENS1_25partition_config_selectorILNS1_17partition_subalgoE9EsjbEEZZNS1_14partition_implILS5_9ELb0ES3_jN6thrust23THRUST_200600_302600_NS6detail15normal_iteratorINS9_10device_ptrIsEEEENSB_INSC_IjEEEEPNS0_10empty_typeENS0_5tupleIJSE_SH_EEENSJ_IJSG_SI_EEENS0_18inequality_wrapperINS9_8equal_toIsEEEEPmJSH_EEE10hipError_tPvRmT3_T4_T5_T6_T7_T9_mT8_P12ihipStream_tbDpT10_ENKUlT_T0_E_clISt17integral_constantIbLb1EES19_IbLb0EEEEDaS15_S16_EUlS15_E_NS1_11comp_targetILNS1_3genE5ELNS1_11target_archE942ELNS1_3gpuE9ELNS1_3repE0EEENS1_30default_config_static_selectorELNS0_4arch9wavefront6targetE0EEEvT1_, .Lfunc_end678-_ZN7rocprim17ROCPRIM_400000_NS6detail17trampoline_kernelINS0_14default_configENS1_25partition_config_selectorILNS1_17partition_subalgoE9EsjbEEZZNS1_14partition_implILS5_9ELb0ES3_jN6thrust23THRUST_200600_302600_NS6detail15normal_iteratorINS9_10device_ptrIsEEEENSB_INSC_IjEEEEPNS0_10empty_typeENS0_5tupleIJSE_SH_EEENSJ_IJSG_SI_EEENS0_18inequality_wrapperINS9_8equal_toIsEEEEPmJSH_EEE10hipError_tPvRmT3_T4_T5_T6_T7_T9_mT8_P12ihipStream_tbDpT10_ENKUlT_T0_E_clISt17integral_constantIbLb1EES19_IbLb0EEEEDaS15_S16_EUlS15_E_NS1_11comp_targetILNS1_3genE5ELNS1_11target_archE942ELNS1_3gpuE9ELNS1_3repE0EEENS1_30default_config_static_selectorELNS0_4arch9wavefront6targetE0EEEvT1_
                                        ; -- End function
	.section	.AMDGPU.csdata,"",@progbits
; Kernel info:
; codeLenInByte = 0
; NumSgprs: 0
; NumVgprs: 0
; ScratchSize: 0
; MemoryBound: 0
; FloatMode: 240
; IeeeMode: 1
; LDSByteSize: 0 bytes/workgroup (compile time only)
; SGPRBlocks: 0
; VGPRBlocks: 0
; NumSGPRsForWavesPerEU: 1
; NumVGPRsForWavesPerEU: 1
; Occupancy: 16
; WaveLimiterHint : 0
; COMPUTE_PGM_RSRC2:SCRATCH_EN: 0
; COMPUTE_PGM_RSRC2:USER_SGPR: 15
; COMPUTE_PGM_RSRC2:TRAP_HANDLER: 0
; COMPUTE_PGM_RSRC2:TGID_X_EN: 1
; COMPUTE_PGM_RSRC2:TGID_Y_EN: 0
; COMPUTE_PGM_RSRC2:TGID_Z_EN: 0
; COMPUTE_PGM_RSRC2:TIDIG_COMP_CNT: 0
	.section	.text._ZN7rocprim17ROCPRIM_400000_NS6detail17trampoline_kernelINS0_14default_configENS1_25partition_config_selectorILNS1_17partition_subalgoE9EsjbEEZZNS1_14partition_implILS5_9ELb0ES3_jN6thrust23THRUST_200600_302600_NS6detail15normal_iteratorINS9_10device_ptrIsEEEENSB_INSC_IjEEEEPNS0_10empty_typeENS0_5tupleIJSE_SH_EEENSJ_IJSG_SI_EEENS0_18inequality_wrapperINS9_8equal_toIsEEEEPmJSH_EEE10hipError_tPvRmT3_T4_T5_T6_T7_T9_mT8_P12ihipStream_tbDpT10_ENKUlT_T0_E_clISt17integral_constantIbLb1EES19_IbLb0EEEEDaS15_S16_EUlS15_E_NS1_11comp_targetILNS1_3genE4ELNS1_11target_archE910ELNS1_3gpuE8ELNS1_3repE0EEENS1_30default_config_static_selectorELNS0_4arch9wavefront6targetE0EEEvT1_,"axG",@progbits,_ZN7rocprim17ROCPRIM_400000_NS6detail17trampoline_kernelINS0_14default_configENS1_25partition_config_selectorILNS1_17partition_subalgoE9EsjbEEZZNS1_14partition_implILS5_9ELb0ES3_jN6thrust23THRUST_200600_302600_NS6detail15normal_iteratorINS9_10device_ptrIsEEEENSB_INSC_IjEEEEPNS0_10empty_typeENS0_5tupleIJSE_SH_EEENSJ_IJSG_SI_EEENS0_18inequality_wrapperINS9_8equal_toIsEEEEPmJSH_EEE10hipError_tPvRmT3_T4_T5_T6_T7_T9_mT8_P12ihipStream_tbDpT10_ENKUlT_T0_E_clISt17integral_constantIbLb1EES19_IbLb0EEEEDaS15_S16_EUlS15_E_NS1_11comp_targetILNS1_3genE4ELNS1_11target_archE910ELNS1_3gpuE8ELNS1_3repE0EEENS1_30default_config_static_selectorELNS0_4arch9wavefront6targetE0EEEvT1_,comdat
	.protected	_ZN7rocprim17ROCPRIM_400000_NS6detail17trampoline_kernelINS0_14default_configENS1_25partition_config_selectorILNS1_17partition_subalgoE9EsjbEEZZNS1_14partition_implILS5_9ELb0ES3_jN6thrust23THRUST_200600_302600_NS6detail15normal_iteratorINS9_10device_ptrIsEEEENSB_INSC_IjEEEEPNS0_10empty_typeENS0_5tupleIJSE_SH_EEENSJ_IJSG_SI_EEENS0_18inequality_wrapperINS9_8equal_toIsEEEEPmJSH_EEE10hipError_tPvRmT3_T4_T5_T6_T7_T9_mT8_P12ihipStream_tbDpT10_ENKUlT_T0_E_clISt17integral_constantIbLb1EES19_IbLb0EEEEDaS15_S16_EUlS15_E_NS1_11comp_targetILNS1_3genE4ELNS1_11target_archE910ELNS1_3gpuE8ELNS1_3repE0EEENS1_30default_config_static_selectorELNS0_4arch9wavefront6targetE0EEEvT1_ ; -- Begin function _ZN7rocprim17ROCPRIM_400000_NS6detail17trampoline_kernelINS0_14default_configENS1_25partition_config_selectorILNS1_17partition_subalgoE9EsjbEEZZNS1_14partition_implILS5_9ELb0ES3_jN6thrust23THRUST_200600_302600_NS6detail15normal_iteratorINS9_10device_ptrIsEEEENSB_INSC_IjEEEEPNS0_10empty_typeENS0_5tupleIJSE_SH_EEENSJ_IJSG_SI_EEENS0_18inequality_wrapperINS9_8equal_toIsEEEEPmJSH_EEE10hipError_tPvRmT3_T4_T5_T6_T7_T9_mT8_P12ihipStream_tbDpT10_ENKUlT_T0_E_clISt17integral_constantIbLb1EES19_IbLb0EEEEDaS15_S16_EUlS15_E_NS1_11comp_targetILNS1_3genE4ELNS1_11target_archE910ELNS1_3gpuE8ELNS1_3repE0EEENS1_30default_config_static_selectorELNS0_4arch9wavefront6targetE0EEEvT1_
	.globl	_ZN7rocprim17ROCPRIM_400000_NS6detail17trampoline_kernelINS0_14default_configENS1_25partition_config_selectorILNS1_17partition_subalgoE9EsjbEEZZNS1_14partition_implILS5_9ELb0ES3_jN6thrust23THRUST_200600_302600_NS6detail15normal_iteratorINS9_10device_ptrIsEEEENSB_INSC_IjEEEEPNS0_10empty_typeENS0_5tupleIJSE_SH_EEENSJ_IJSG_SI_EEENS0_18inequality_wrapperINS9_8equal_toIsEEEEPmJSH_EEE10hipError_tPvRmT3_T4_T5_T6_T7_T9_mT8_P12ihipStream_tbDpT10_ENKUlT_T0_E_clISt17integral_constantIbLb1EES19_IbLb0EEEEDaS15_S16_EUlS15_E_NS1_11comp_targetILNS1_3genE4ELNS1_11target_archE910ELNS1_3gpuE8ELNS1_3repE0EEENS1_30default_config_static_selectorELNS0_4arch9wavefront6targetE0EEEvT1_
	.p2align	8
	.type	_ZN7rocprim17ROCPRIM_400000_NS6detail17trampoline_kernelINS0_14default_configENS1_25partition_config_selectorILNS1_17partition_subalgoE9EsjbEEZZNS1_14partition_implILS5_9ELb0ES3_jN6thrust23THRUST_200600_302600_NS6detail15normal_iteratorINS9_10device_ptrIsEEEENSB_INSC_IjEEEEPNS0_10empty_typeENS0_5tupleIJSE_SH_EEENSJ_IJSG_SI_EEENS0_18inequality_wrapperINS9_8equal_toIsEEEEPmJSH_EEE10hipError_tPvRmT3_T4_T5_T6_T7_T9_mT8_P12ihipStream_tbDpT10_ENKUlT_T0_E_clISt17integral_constantIbLb1EES19_IbLb0EEEEDaS15_S16_EUlS15_E_NS1_11comp_targetILNS1_3genE4ELNS1_11target_archE910ELNS1_3gpuE8ELNS1_3repE0EEENS1_30default_config_static_selectorELNS0_4arch9wavefront6targetE0EEEvT1_,@function
_ZN7rocprim17ROCPRIM_400000_NS6detail17trampoline_kernelINS0_14default_configENS1_25partition_config_selectorILNS1_17partition_subalgoE9EsjbEEZZNS1_14partition_implILS5_9ELb0ES3_jN6thrust23THRUST_200600_302600_NS6detail15normal_iteratorINS9_10device_ptrIsEEEENSB_INSC_IjEEEEPNS0_10empty_typeENS0_5tupleIJSE_SH_EEENSJ_IJSG_SI_EEENS0_18inequality_wrapperINS9_8equal_toIsEEEEPmJSH_EEE10hipError_tPvRmT3_T4_T5_T6_T7_T9_mT8_P12ihipStream_tbDpT10_ENKUlT_T0_E_clISt17integral_constantIbLb1EES19_IbLb0EEEEDaS15_S16_EUlS15_E_NS1_11comp_targetILNS1_3genE4ELNS1_11target_archE910ELNS1_3gpuE8ELNS1_3repE0EEENS1_30default_config_static_selectorELNS0_4arch9wavefront6targetE0EEEvT1_: ; @_ZN7rocprim17ROCPRIM_400000_NS6detail17trampoline_kernelINS0_14default_configENS1_25partition_config_selectorILNS1_17partition_subalgoE9EsjbEEZZNS1_14partition_implILS5_9ELb0ES3_jN6thrust23THRUST_200600_302600_NS6detail15normal_iteratorINS9_10device_ptrIsEEEENSB_INSC_IjEEEEPNS0_10empty_typeENS0_5tupleIJSE_SH_EEENSJ_IJSG_SI_EEENS0_18inequality_wrapperINS9_8equal_toIsEEEEPmJSH_EEE10hipError_tPvRmT3_T4_T5_T6_T7_T9_mT8_P12ihipStream_tbDpT10_ENKUlT_T0_E_clISt17integral_constantIbLb1EES19_IbLb0EEEEDaS15_S16_EUlS15_E_NS1_11comp_targetILNS1_3genE4ELNS1_11target_archE910ELNS1_3gpuE8ELNS1_3repE0EEENS1_30default_config_static_selectorELNS0_4arch9wavefront6targetE0EEEvT1_
; %bb.0:
	.section	.rodata,"a",@progbits
	.p2align	6, 0x0
	.amdhsa_kernel _ZN7rocprim17ROCPRIM_400000_NS6detail17trampoline_kernelINS0_14default_configENS1_25partition_config_selectorILNS1_17partition_subalgoE9EsjbEEZZNS1_14partition_implILS5_9ELb0ES3_jN6thrust23THRUST_200600_302600_NS6detail15normal_iteratorINS9_10device_ptrIsEEEENSB_INSC_IjEEEEPNS0_10empty_typeENS0_5tupleIJSE_SH_EEENSJ_IJSG_SI_EEENS0_18inequality_wrapperINS9_8equal_toIsEEEEPmJSH_EEE10hipError_tPvRmT3_T4_T5_T6_T7_T9_mT8_P12ihipStream_tbDpT10_ENKUlT_T0_E_clISt17integral_constantIbLb1EES19_IbLb0EEEEDaS15_S16_EUlS15_E_NS1_11comp_targetILNS1_3genE4ELNS1_11target_archE910ELNS1_3gpuE8ELNS1_3repE0EEENS1_30default_config_static_selectorELNS0_4arch9wavefront6targetE0EEEvT1_
		.amdhsa_group_segment_fixed_size 0
		.amdhsa_private_segment_fixed_size 0
		.amdhsa_kernarg_size 112
		.amdhsa_user_sgpr_count 15
		.amdhsa_user_sgpr_dispatch_ptr 0
		.amdhsa_user_sgpr_queue_ptr 0
		.amdhsa_user_sgpr_kernarg_segment_ptr 1
		.amdhsa_user_sgpr_dispatch_id 0
		.amdhsa_user_sgpr_private_segment_size 0
		.amdhsa_wavefront_size32 1
		.amdhsa_uses_dynamic_stack 0
		.amdhsa_enable_private_segment 0
		.amdhsa_system_sgpr_workgroup_id_x 1
		.amdhsa_system_sgpr_workgroup_id_y 0
		.amdhsa_system_sgpr_workgroup_id_z 0
		.amdhsa_system_sgpr_workgroup_info 0
		.amdhsa_system_vgpr_workitem_id 0
		.amdhsa_next_free_vgpr 1
		.amdhsa_next_free_sgpr 1
		.amdhsa_reserve_vcc 0
		.amdhsa_float_round_mode_32 0
		.amdhsa_float_round_mode_16_64 0
		.amdhsa_float_denorm_mode_32 3
		.amdhsa_float_denorm_mode_16_64 3
		.amdhsa_dx10_clamp 1
		.amdhsa_ieee_mode 1
		.amdhsa_fp16_overflow 0
		.amdhsa_workgroup_processor_mode 1
		.amdhsa_memory_ordered 1
		.amdhsa_forward_progress 0
		.amdhsa_shared_vgpr_count 0
		.amdhsa_exception_fp_ieee_invalid_op 0
		.amdhsa_exception_fp_denorm_src 0
		.amdhsa_exception_fp_ieee_div_zero 0
		.amdhsa_exception_fp_ieee_overflow 0
		.amdhsa_exception_fp_ieee_underflow 0
		.amdhsa_exception_fp_ieee_inexact 0
		.amdhsa_exception_int_div_zero 0
	.end_amdhsa_kernel
	.section	.text._ZN7rocprim17ROCPRIM_400000_NS6detail17trampoline_kernelINS0_14default_configENS1_25partition_config_selectorILNS1_17partition_subalgoE9EsjbEEZZNS1_14partition_implILS5_9ELb0ES3_jN6thrust23THRUST_200600_302600_NS6detail15normal_iteratorINS9_10device_ptrIsEEEENSB_INSC_IjEEEEPNS0_10empty_typeENS0_5tupleIJSE_SH_EEENSJ_IJSG_SI_EEENS0_18inequality_wrapperINS9_8equal_toIsEEEEPmJSH_EEE10hipError_tPvRmT3_T4_T5_T6_T7_T9_mT8_P12ihipStream_tbDpT10_ENKUlT_T0_E_clISt17integral_constantIbLb1EES19_IbLb0EEEEDaS15_S16_EUlS15_E_NS1_11comp_targetILNS1_3genE4ELNS1_11target_archE910ELNS1_3gpuE8ELNS1_3repE0EEENS1_30default_config_static_selectorELNS0_4arch9wavefront6targetE0EEEvT1_,"axG",@progbits,_ZN7rocprim17ROCPRIM_400000_NS6detail17trampoline_kernelINS0_14default_configENS1_25partition_config_selectorILNS1_17partition_subalgoE9EsjbEEZZNS1_14partition_implILS5_9ELb0ES3_jN6thrust23THRUST_200600_302600_NS6detail15normal_iteratorINS9_10device_ptrIsEEEENSB_INSC_IjEEEEPNS0_10empty_typeENS0_5tupleIJSE_SH_EEENSJ_IJSG_SI_EEENS0_18inequality_wrapperINS9_8equal_toIsEEEEPmJSH_EEE10hipError_tPvRmT3_T4_T5_T6_T7_T9_mT8_P12ihipStream_tbDpT10_ENKUlT_T0_E_clISt17integral_constantIbLb1EES19_IbLb0EEEEDaS15_S16_EUlS15_E_NS1_11comp_targetILNS1_3genE4ELNS1_11target_archE910ELNS1_3gpuE8ELNS1_3repE0EEENS1_30default_config_static_selectorELNS0_4arch9wavefront6targetE0EEEvT1_,comdat
.Lfunc_end679:
	.size	_ZN7rocprim17ROCPRIM_400000_NS6detail17trampoline_kernelINS0_14default_configENS1_25partition_config_selectorILNS1_17partition_subalgoE9EsjbEEZZNS1_14partition_implILS5_9ELb0ES3_jN6thrust23THRUST_200600_302600_NS6detail15normal_iteratorINS9_10device_ptrIsEEEENSB_INSC_IjEEEEPNS0_10empty_typeENS0_5tupleIJSE_SH_EEENSJ_IJSG_SI_EEENS0_18inequality_wrapperINS9_8equal_toIsEEEEPmJSH_EEE10hipError_tPvRmT3_T4_T5_T6_T7_T9_mT8_P12ihipStream_tbDpT10_ENKUlT_T0_E_clISt17integral_constantIbLb1EES19_IbLb0EEEEDaS15_S16_EUlS15_E_NS1_11comp_targetILNS1_3genE4ELNS1_11target_archE910ELNS1_3gpuE8ELNS1_3repE0EEENS1_30default_config_static_selectorELNS0_4arch9wavefront6targetE0EEEvT1_, .Lfunc_end679-_ZN7rocprim17ROCPRIM_400000_NS6detail17trampoline_kernelINS0_14default_configENS1_25partition_config_selectorILNS1_17partition_subalgoE9EsjbEEZZNS1_14partition_implILS5_9ELb0ES3_jN6thrust23THRUST_200600_302600_NS6detail15normal_iteratorINS9_10device_ptrIsEEEENSB_INSC_IjEEEEPNS0_10empty_typeENS0_5tupleIJSE_SH_EEENSJ_IJSG_SI_EEENS0_18inequality_wrapperINS9_8equal_toIsEEEEPmJSH_EEE10hipError_tPvRmT3_T4_T5_T6_T7_T9_mT8_P12ihipStream_tbDpT10_ENKUlT_T0_E_clISt17integral_constantIbLb1EES19_IbLb0EEEEDaS15_S16_EUlS15_E_NS1_11comp_targetILNS1_3genE4ELNS1_11target_archE910ELNS1_3gpuE8ELNS1_3repE0EEENS1_30default_config_static_selectorELNS0_4arch9wavefront6targetE0EEEvT1_
                                        ; -- End function
	.section	.AMDGPU.csdata,"",@progbits
; Kernel info:
; codeLenInByte = 0
; NumSgprs: 0
; NumVgprs: 0
; ScratchSize: 0
; MemoryBound: 0
; FloatMode: 240
; IeeeMode: 1
; LDSByteSize: 0 bytes/workgroup (compile time only)
; SGPRBlocks: 0
; VGPRBlocks: 0
; NumSGPRsForWavesPerEU: 1
; NumVGPRsForWavesPerEU: 1
; Occupancy: 15
; WaveLimiterHint : 0
; COMPUTE_PGM_RSRC2:SCRATCH_EN: 0
; COMPUTE_PGM_RSRC2:USER_SGPR: 15
; COMPUTE_PGM_RSRC2:TRAP_HANDLER: 0
; COMPUTE_PGM_RSRC2:TGID_X_EN: 1
; COMPUTE_PGM_RSRC2:TGID_Y_EN: 0
; COMPUTE_PGM_RSRC2:TGID_Z_EN: 0
; COMPUTE_PGM_RSRC2:TIDIG_COMP_CNT: 0
	.section	.text._ZN7rocprim17ROCPRIM_400000_NS6detail17trampoline_kernelINS0_14default_configENS1_25partition_config_selectorILNS1_17partition_subalgoE9EsjbEEZZNS1_14partition_implILS5_9ELb0ES3_jN6thrust23THRUST_200600_302600_NS6detail15normal_iteratorINS9_10device_ptrIsEEEENSB_INSC_IjEEEEPNS0_10empty_typeENS0_5tupleIJSE_SH_EEENSJ_IJSG_SI_EEENS0_18inequality_wrapperINS9_8equal_toIsEEEEPmJSH_EEE10hipError_tPvRmT3_T4_T5_T6_T7_T9_mT8_P12ihipStream_tbDpT10_ENKUlT_T0_E_clISt17integral_constantIbLb1EES19_IbLb0EEEEDaS15_S16_EUlS15_E_NS1_11comp_targetILNS1_3genE3ELNS1_11target_archE908ELNS1_3gpuE7ELNS1_3repE0EEENS1_30default_config_static_selectorELNS0_4arch9wavefront6targetE0EEEvT1_,"axG",@progbits,_ZN7rocprim17ROCPRIM_400000_NS6detail17trampoline_kernelINS0_14default_configENS1_25partition_config_selectorILNS1_17partition_subalgoE9EsjbEEZZNS1_14partition_implILS5_9ELb0ES3_jN6thrust23THRUST_200600_302600_NS6detail15normal_iteratorINS9_10device_ptrIsEEEENSB_INSC_IjEEEEPNS0_10empty_typeENS0_5tupleIJSE_SH_EEENSJ_IJSG_SI_EEENS0_18inequality_wrapperINS9_8equal_toIsEEEEPmJSH_EEE10hipError_tPvRmT3_T4_T5_T6_T7_T9_mT8_P12ihipStream_tbDpT10_ENKUlT_T0_E_clISt17integral_constantIbLb1EES19_IbLb0EEEEDaS15_S16_EUlS15_E_NS1_11comp_targetILNS1_3genE3ELNS1_11target_archE908ELNS1_3gpuE7ELNS1_3repE0EEENS1_30default_config_static_selectorELNS0_4arch9wavefront6targetE0EEEvT1_,comdat
	.protected	_ZN7rocprim17ROCPRIM_400000_NS6detail17trampoline_kernelINS0_14default_configENS1_25partition_config_selectorILNS1_17partition_subalgoE9EsjbEEZZNS1_14partition_implILS5_9ELb0ES3_jN6thrust23THRUST_200600_302600_NS6detail15normal_iteratorINS9_10device_ptrIsEEEENSB_INSC_IjEEEEPNS0_10empty_typeENS0_5tupleIJSE_SH_EEENSJ_IJSG_SI_EEENS0_18inequality_wrapperINS9_8equal_toIsEEEEPmJSH_EEE10hipError_tPvRmT3_T4_T5_T6_T7_T9_mT8_P12ihipStream_tbDpT10_ENKUlT_T0_E_clISt17integral_constantIbLb1EES19_IbLb0EEEEDaS15_S16_EUlS15_E_NS1_11comp_targetILNS1_3genE3ELNS1_11target_archE908ELNS1_3gpuE7ELNS1_3repE0EEENS1_30default_config_static_selectorELNS0_4arch9wavefront6targetE0EEEvT1_ ; -- Begin function _ZN7rocprim17ROCPRIM_400000_NS6detail17trampoline_kernelINS0_14default_configENS1_25partition_config_selectorILNS1_17partition_subalgoE9EsjbEEZZNS1_14partition_implILS5_9ELb0ES3_jN6thrust23THRUST_200600_302600_NS6detail15normal_iteratorINS9_10device_ptrIsEEEENSB_INSC_IjEEEEPNS0_10empty_typeENS0_5tupleIJSE_SH_EEENSJ_IJSG_SI_EEENS0_18inequality_wrapperINS9_8equal_toIsEEEEPmJSH_EEE10hipError_tPvRmT3_T4_T5_T6_T7_T9_mT8_P12ihipStream_tbDpT10_ENKUlT_T0_E_clISt17integral_constantIbLb1EES19_IbLb0EEEEDaS15_S16_EUlS15_E_NS1_11comp_targetILNS1_3genE3ELNS1_11target_archE908ELNS1_3gpuE7ELNS1_3repE0EEENS1_30default_config_static_selectorELNS0_4arch9wavefront6targetE0EEEvT1_
	.globl	_ZN7rocprim17ROCPRIM_400000_NS6detail17trampoline_kernelINS0_14default_configENS1_25partition_config_selectorILNS1_17partition_subalgoE9EsjbEEZZNS1_14partition_implILS5_9ELb0ES3_jN6thrust23THRUST_200600_302600_NS6detail15normal_iteratorINS9_10device_ptrIsEEEENSB_INSC_IjEEEEPNS0_10empty_typeENS0_5tupleIJSE_SH_EEENSJ_IJSG_SI_EEENS0_18inequality_wrapperINS9_8equal_toIsEEEEPmJSH_EEE10hipError_tPvRmT3_T4_T5_T6_T7_T9_mT8_P12ihipStream_tbDpT10_ENKUlT_T0_E_clISt17integral_constantIbLb1EES19_IbLb0EEEEDaS15_S16_EUlS15_E_NS1_11comp_targetILNS1_3genE3ELNS1_11target_archE908ELNS1_3gpuE7ELNS1_3repE0EEENS1_30default_config_static_selectorELNS0_4arch9wavefront6targetE0EEEvT1_
	.p2align	8
	.type	_ZN7rocprim17ROCPRIM_400000_NS6detail17trampoline_kernelINS0_14default_configENS1_25partition_config_selectorILNS1_17partition_subalgoE9EsjbEEZZNS1_14partition_implILS5_9ELb0ES3_jN6thrust23THRUST_200600_302600_NS6detail15normal_iteratorINS9_10device_ptrIsEEEENSB_INSC_IjEEEEPNS0_10empty_typeENS0_5tupleIJSE_SH_EEENSJ_IJSG_SI_EEENS0_18inequality_wrapperINS9_8equal_toIsEEEEPmJSH_EEE10hipError_tPvRmT3_T4_T5_T6_T7_T9_mT8_P12ihipStream_tbDpT10_ENKUlT_T0_E_clISt17integral_constantIbLb1EES19_IbLb0EEEEDaS15_S16_EUlS15_E_NS1_11comp_targetILNS1_3genE3ELNS1_11target_archE908ELNS1_3gpuE7ELNS1_3repE0EEENS1_30default_config_static_selectorELNS0_4arch9wavefront6targetE0EEEvT1_,@function
_ZN7rocprim17ROCPRIM_400000_NS6detail17trampoline_kernelINS0_14default_configENS1_25partition_config_selectorILNS1_17partition_subalgoE9EsjbEEZZNS1_14partition_implILS5_9ELb0ES3_jN6thrust23THRUST_200600_302600_NS6detail15normal_iteratorINS9_10device_ptrIsEEEENSB_INSC_IjEEEEPNS0_10empty_typeENS0_5tupleIJSE_SH_EEENSJ_IJSG_SI_EEENS0_18inequality_wrapperINS9_8equal_toIsEEEEPmJSH_EEE10hipError_tPvRmT3_T4_T5_T6_T7_T9_mT8_P12ihipStream_tbDpT10_ENKUlT_T0_E_clISt17integral_constantIbLb1EES19_IbLb0EEEEDaS15_S16_EUlS15_E_NS1_11comp_targetILNS1_3genE3ELNS1_11target_archE908ELNS1_3gpuE7ELNS1_3repE0EEENS1_30default_config_static_selectorELNS0_4arch9wavefront6targetE0EEEvT1_: ; @_ZN7rocprim17ROCPRIM_400000_NS6detail17trampoline_kernelINS0_14default_configENS1_25partition_config_selectorILNS1_17partition_subalgoE9EsjbEEZZNS1_14partition_implILS5_9ELb0ES3_jN6thrust23THRUST_200600_302600_NS6detail15normal_iteratorINS9_10device_ptrIsEEEENSB_INSC_IjEEEEPNS0_10empty_typeENS0_5tupleIJSE_SH_EEENSJ_IJSG_SI_EEENS0_18inequality_wrapperINS9_8equal_toIsEEEEPmJSH_EEE10hipError_tPvRmT3_T4_T5_T6_T7_T9_mT8_P12ihipStream_tbDpT10_ENKUlT_T0_E_clISt17integral_constantIbLb1EES19_IbLb0EEEEDaS15_S16_EUlS15_E_NS1_11comp_targetILNS1_3genE3ELNS1_11target_archE908ELNS1_3gpuE7ELNS1_3repE0EEENS1_30default_config_static_selectorELNS0_4arch9wavefront6targetE0EEEvT1_
; %bb.0:
	.section	.rodata,"a",@progbits
	.p2align	6, 0x0
	.amdhsa_kernel _ZN7rocprim17ROCPRIM_400000_NS6detail17trampoline_kernelINS0_14default_configENS1_25partition_config_selectorILNS1_17partition_subalgoE9EsjbEEZZNS1_14partition_implILS5_9ELb0ES3_jN6thrust23THRUST_200600_302600_NS6detail15normal_iteratorINS9_10device_ptrIsEEEENSB_INSC_IjEEEEPNS0_10empty_typeENS0_5tupleIJSE_SH_EEENSJ_IJSG_SI_EEENS0_18inequality_wrapperINS9_8equal_toIsEEEEPmJSH_EEE10hipError_tPvRmT3_T4_T5_T6_T7_T9_mT8_P12ihipStream_tbDpT10_ENKUlT_T0_E_clISt17integral_constantIbLb1EES19_IbLb0EEEEDaS15_S16_EUlS15_E_NS1_11comp_targetILNS1_3genE3ELNS1_11target_archE908ELNS1_3gpuE7ELNS1_3repE0EEENS1_30default_config_static_selectorELNS0_4arch9wavefront6targetE0EEEvT1_
		.amdhsa_group_segment_fixed_size 0
		.amdhsa_private_segment_fixed_size 0
		.amdhsa_kernarg_size 112
		.amdhsa_user_sgpr_count 15
		.amdhsa_user_sgpr_dispatch_ptr 0
		.amdhsa_user_sgpr_queue_ptr 0
		.amdhsa_user_sgpr_kernarg_segment_ptr 1
		.amdhsa_user_sgpr_dispatch_id 0
		.amdhsa_user_sgpr_private_segment_size 0
		.amdhsa_wavefront_size32 1
		.amdhsa_uses_dynamic_stack 0
		.amdhsa_enable_private_segment 0
		.amdhsa_system_sgpr_workgroup_id_x 1
		.amdhsa_system_sgpr_workgroup_id_y 0
		.amdhsa_system_sgpr_workgroup_id_z 0
		.amdhsa_system_sgpr_workgroup_info 0
		.amdhsa_system_vgpr_workitem_id 0
		.amdhsa_next_free_vgpr 1
		.amdhsa_next_free_sgpr 1
		.amdhsa_reserve_vcc 0
		.amdhsa_float_round_mode_32 0
		.amdhsa_float_round_mode_16_64 0
		.amdhsa_float_denorm_mode_32 3
		.amdhsa_float_denorm_mode_16_64 3
		.amdhsa_dx10_clamp 1
		.amdhsa_ieee_mode 1
		.amdhsa_fp16_overflow 0
		.amdhsa_workgroup_processor_mode 1
		.amdhsa_memory_ordered 1
		.amdhsa_forward_progress 0
		.amdhsa_shared_vgpr_count 0
		.amdhsa_exception_fp_ieee_invalid_op 0
		.amdhsa_exception_fp_denorm_src 0
		.amdhsa_exception_fp_ieee_div_zero 0
		.amdhsa_exception_fp_ieee_overflow 0
		.amdhsa_exception_fp_ieee_underflow 0
		.amdhsa_exception_fp_ieee_inexact 0
		.amdhsa_exception_int_div_zero 0
	.end_amdhsa_kernel
	.section	.text._ZN7rocprim17ROCPRIM_400000_NS6detail17trampoline_kernelINS0_14default_configENS1_25partition_config_selectorILNS1_17partition_subalgoE9EsjbEEZZNS1_14partition_implILS5_9ELb0ES3_jN6thrust23THRUST_200600_302600_NS6detail15normal_iteratorINS9_10device_ptrIsEEEENSB_INSC_IjEEEEPNS0_10empty_typeENS0_5tupleIJSE_SH_EEENSJ_IJSG_SI_EEENS0_18inequality_wrapperINS9_8equal_toIsEEEEPmJSH_EEE10hipError_tPvRmT3_T4_T5_T6_T7_T9_mT8_P12ihipStream_tbDpT10_ENKUlT_T0_E_clISt17integral_constantIbLb1EES19_IbLb0EEEEDaS15_S16_EUlS15_E_NS1_11comp_targetILNS1_3genE3ELNS1_11target_archE908ELNS1_3gpuE7ELNS1_3repE0EEENS1_30default_config_static_selectorELNS0_4arch9wavefront6targetE0EEEvT1_,"axG",@progbits,_ZN7rocprim17ROCPRIM_400000_NS6detail17trampoline_kernelINS0_14default_configENS1_25partition_config_selectorILNS1_17partition_subalgoE9EsjbEEZZNS1_14partition_implILS5_9ELb0ES3_jN6thrust23THRUST_200600_302600_NS6detail15normal_iteratorINS9_10device_ptrIsEEEENSB_INSC_IjEEEEPNS0_10empty_typeENS0_5tupleIJSE_SH_EEENSJ_IJSG_SI_EEENS0_18inequality_wrapperINS9_8equal_toIsEEEEPmJSH_EEE10hipError_tPvRmT3_T4_T5_T6_T7_T9_mT8_P12ihipStream_tbDpT10_ENKUlT_T0_E_clISt17integral_constantIbLb1EES19_IbLb0EEEEDaS15_S16_EUlS15_E_NS1_11comp_targetILNS1_3genE3ELNS1_11target_archE908ELNS1_3gpuE7ELNS1_3repE0EEENS1_30default_config_static_selectorELNS0_4arch9wavefront6targetE0EEEvT1_,comdat
.Lfunc_end680:
	.size	_ZN7rocprim17ROCPRIM_400000_NS6detail17trampoline_kernelINS0_14default_configENS1_25partition_config_selectorILNS1_17partition_subalgoE9EsjbEEZZNS1_14partition_implILS5_9ELb0ES3_jN6thrust23THRUST_200600_302600_NS6detail15normal_iteratorINS9_10device_ptrIsEEEENSB_INSC_IjEEEEPNS0_10empty_typeENS0_5tupleIJSE_SH_EEENSJ_IJSG_SI_EEENS0_18inequality_wrapperINS9_8equal_toIsEEEEPmJSH_EEE10hipError_tPvRmT3_T4_T5_T6_T7_T9_mT8_P12ihipStream_tbDpT10_ENKUlT_T0_E_clISt17integral_constantIbLb1EES19_IbLb0EEEEDaS15_S16_EUlS15_E_NS1_11comp_targetILNS1_3genE3ELNS1_11target_archE908ELNS1_3gpuE7ELNS1_3repE0EEENS1_30default_config_static_selectorELNS0_4arch9wavefront6targetE0EEEvT1_, .Lfunc_end680-_ZN7rocprim17ROCPRIM_400000_NS6detail17trampoline_kernelINS0_14default_configENS1_25partition_config_selectorILNS1_17partition_subalgoE9EsjbEEZZNS1_14partition_implILS5_9ELb0ES3_jN6thrust23THRUST_200600_302600_NS6detail15normal_iteratorINS9_10device_ptrIsEEEENSB_INSC_IjEEEEPNS0_10empty_typeENS0_5tupleIJSE_SH_EEENSJ_IJSG_SI_EEENS0_18inequality_wrapperINS9_8equal_toIsEEEEPmJSH_EEE10hipError_tPvRmT3_T4_T5_T6_T7_T9_mT8_P12ihipStream_tbDpT10_ENKUlT_T0_E_clISt17integral_constantIbLb1EES19_IbLb0EEEEDaS15_S16_EUlS15_E_NS1_11comp_targetILNS1_3genE3ELNS1_11target_archE908ELNS1_3gpuE7ELNS1_3repE0EEENS1_30default_config_static_selectorELNS0_4arch9wavefront6targetE0EEEvT1_
                                        ; -- End function
	.section	.AMDGPU.csdata,"",@progbits
; Kernel info:
; codeLenInByte = 0
; NumSgprs: 0
; NumVgprs: 0
; ScratchSize: 0
; MemoryBound: 0
; FloatMode: 240
; IeeeMode: 1
; LDSByteSize: 0 bytes/workgroup (compile time only)
; SGPRBlocks: 0
; VGPRBlocks: 0
; NumSGPRsForWavesPerEU: 1
; NumVGPRsForWavesPerEU: 1
; Occupancy: 16
; WaveLimiterHint : 0
; COMPUTE_PGM_RSRC2:SCRATCH_EN: 0
; COMPUTE_PGM_RSRC2:USER_SGPR: 15
; COMPUTE_PGM_RSRC2:TRAP_HANDLER: 0
; COMPUTE_PGM_RSRC2:TGID_X_EN: 1
; COMPUTE_PGM_RSRC2:TGID_Y_EN: 0
; COMPUTE_PGM_RSRC2:TGID_Z_EN: 0
; COMPUTE_PGM_RSRC2:TIDIG_COMP_CNT: 0
	.section	.text._ZN7rocprim17ROCPRIM_400000_NS6detail17trampoline_kernelINS0_14default_configENS1_25partition_config_selectorILNS1_17partition_subalgoE9EsjbEEZZNS1_14partition_implILS5_9ELb0ES3_jN6thrust23THRUST_200600_302600_NS6detail15normal_iteratorINS9_10device_ptrIsEEEENSB_INSC_IjEEEEPNS0_10empty_typeENS0_5tupleIJSE_SH_EEENSJ_IJSG_SI_EEENS0_18inequality_wrapperINS9_8equal_toIsEEEEPmJSH_EEE10hipError_tPvRmT3_T4_T5_T6_T7_T9_mT8_P12ihipStream_tbDpT10_ENKUlT_T0_E_clISt17integral_constantIbLb1EES19_IbLb0EEEEDaS15_S16_EUlS15_E_NS1_11comp_targetILNS1_3genE2ELNS1_11target_archE906ELNS1_3gpuE6ELNS1_3repE0EEENS1_30default_config_static_selectorELNS0_4arch9wavefront6targetE0EEEvT1_,"axG",@progbits,_ZN7rocprim17ROCPRIM_400000_NS6detail17trampoline_kernelINS0_14default_configENS1_25partition_config_selectorILNS1_17partition_subalgoE9EsjbEEZZNS1_14partition_implILS5_9ELb0ES3_jN6thrust23THRUST_200600_302600_NS6detail15normal_iteratorINS9_10device_ptrIsEEEENSB_INSC_IjEEEEPNS0_10empty_typeENS0_5tupleIJSE_SH_EEENSJ_IJSG_SI_EEENS0_18inequality_wrapperINS9_8equal_toIsEEEEPmJSH_EEE10hipError_tPvRmT3_T4_T5_T6_T7_T9_mT8_P12ihipStream_tbDpT10_ENKUlT_T0_E_clISt17integral_constantIbLb1EES19_IbLb0EEEEDaS15_S16_EUlS15_E_NS1_11comp_targetILNS1_3genE2ELNS1_11target_archE906ELNS1_3gpuE6ELNS1_3repE0EEENS1_30default_config_static_selectorELNS0_4arch9wavefront6targetE0EEEvT1_,comdat
	.protected	_ZN7rocprim17ROCPRIM_400000_NS6detail17trampoline_kernelINS0_14default_configENS1_25partition_config_selectorILNS1_17partition_subalgoE9EsjbEEZZNS1_14partition_implILS5_9ELb0ES3_jN6thrust23THRUST_200600_302600_NS6detail15normal_iteratorINS9_10device_ptrIsEEEENSB_INSC_IjEEEEPNS0_10empty_typeENS0_5tupleIJSE_SH_EEENSJ_IJSG_SI_EEENS0_18inequality_wrapperINS9_8equal_toIsEEEEPmJSH_EEE10hipError_tPvRmT3_T4_T5_T6_T7_T9_mT8_P12ihipStream_tbDpT10_ENKUlT_T0_E_clISt17integral_constantIbLb1EES19_IbLb0EEEEDaS15_S16_EUlS15_E_NS1_11comp_targetILNS1_3genE2ELNS1_11target_archE906ELNS1_3gpuE6ELNS1_3repE0EEENS1_30default_config_static_selectorELNS0_4arch9wavefront6targetE0EEEvT1_ ; -- Begin function _ZN7rocprim17ROCPRIM_400000_NS6detail17trampoline_kernelINS0_14default_configENS1_25partition_config_selectorILNS1_17partition_subalgoE9EsjbEEZZNS1_14partition_implILS5_9ELb0ES3_jN6thrust23THRUST_200600_302600_NS6detail15normal_iteratorINS9_10device_ptrIsEEEENSB_INSC_IjEEEEPNS0_10empty_typeENS0_5tupleIJSE_SH_EEENSJ_IJSG_SI_EEENS0_18inequality_wrapperINS9_8equal_toIsEEEEPmJSH_EEE10hipError_tPvRmT3_T4_T5_T6_T7_T9_mT8_P12ihipStream_tbDpT10_ENKUlT_T0_E_clISt17integral_constantIbLb1EES19_IbLb0EEEEDaS15_S16_EUlS15_E_NS1_11comp_targetILNS1_3genE2ELNS1_11target_archE906ELNS1_3gpuE6ELNS1_3repE0EEENS1_30default_config_static_selectorELNS0_4arch9wavefront6targetE0EEEvT1_
	.globl	_ZN7rocprim17ROCPRIM_400000_NS6detail17trampoline_kernelINS0_14default_configENS1_25partition_config_selectorILNS1_17partition_subalgoE9EsjbEEZZNS1_14partition_implILS5_9ELb0ES3_jN6thrust23THRUST_200600_302600_NS6detail15normal_iteratorINS9_10device_ptrIsEEEENSB_INSC_IjEEEEPNS0_10empty_typeENS0_5tupleIJSE_SH_EEENSJ_IJSG_SI_EEENS0_18inequality_wrapperINS9_8equal_toIsEEEEPmJSH_EEE10hipError_tPvRmT3_T4_T5_T6_T7_T9_mT8_P12ihipStream_tbDpT10_ENKUlT_T0_E_clISt17integral_constantIbLb1EES19_IbLb0EEEEDaS15_S16_EUlS15_E_NS1_11comp_targetILNS1_3genE2ELNS1_11target_archE906ELNS1_3gpuE6ELNS1_3repE0EEENS1_30default_config_static_selectorELNS0_4arch9wavefront6targetE0EEEvT1_
	.p2align	8
	.type	_ZN7rocprim17ROCPRIM_400000_NS6detail17trampoline_kernelINS0_14default_configENS1_25partition_config_selectorILNS1_17partition_subalgoE9EsjbEEZZNS1_14partition_implILS5_9ELb0ES3_jN6thrust23THRUST_200600_302600_NS6detail15normal_iteratorINS9_10device_ptrIsEEEENSB_INSC_IjEEEEPNS0_10empty_typeENS0_5tupleIJSE_SH_EEENSJ_IJSG_SI_EEENS0_18inequality_wrapperINS9_8equal_toIsEEEEPmJSH_EEE10hipError_tPvRmT3_T4_T5_T6_T7_T9_mT8_P12ihipStream_tbDpT10_ENKUlT_T0_E_clISt17integral_constantIbLb1EES19_IbLb0EEEEDaS15_S16_EUlS15_E_NS1_11comp_targetILNS1_3genE2ELNS1_11target_archE906ELNS1_3gpuE6ELNS1_3repE0EEENS1_30default_config_static_selectorELNS0_4arch9wavefront6targetE0EEEvT1_,@function
_ZN7rocprim17ROCPRIM_400000_NS6detail17trampoline_kernelINS0_14default_configENS1_25partition_config_selectorILNS1_17partition_subalgoE9EsjbEEZZNS1_14partition_implILS5_9ELb0ES3_jN6thrust23THRUST_200600_302600_NS6detail15normal_iteratorINS9_10device_ptrIsEEEENSB_INSC_IjEEEEPNS0_10empty_typeENS0_5tupleIJSE_SH_EEENSJ_IJSG_SI_EEENS0_18inequality_wrapperINS9_8equal_toIsEEEEPmJSH_EEE10hipError_tPvRmT3_T4_T5_T6_T7_T9_mT8_P12ihipStream_tbDpT10_ENKUlT_T0_E_clISt17integral_constantIbLb1EES19_IbLb0EEEEDaS15_S16_EUlS15_E_NS1_11comp_targetILNS1_3genE2ELNS1_11target_archE906ELNS1_3gpuE6ELNS1_3repE0EEENS1_30default_config_static_selectorELNS0_4arch9wavefront6targetE0EEEvT1_: ; @_ZN7rocprim17ROCPRIM_400000_NS6detail17trampoline_kernelINS0_14default_configENS1_25partition_config_selectorILNS1_17partition_subalgoE9EsjbEEZZNS1_14partition_implILS5_9ELb0ES3_jN6thrust23THRUST_200600_302600_NS6detail15normal_iteratorINS9_10device_ptrIsEEEENSB_INSC_IjEEEEPNS0_10empty_typeENS0_5tupleIJSE_SH_EEENSJ_IJSG_SI_EEENS0_18inequality_wrapperINS9_8equal_toIsEEEEPmJSH_EEE10hipError_tPvRmT3_T4_T5_T6_T7_T9_mT8_P12ihipStream_tbDpT10_ENKUlT_T0_E_clISt17integral_constantIbLb1EES19_IbLb0EEEEDaS15_S16_EUlS15_E_NS1_11comp_targetILNS1_3genE2ELNS1_11target_archE906ELNS1_3gpuE6ELNS1_3repE0EEENS1_30default_config_static_selectorELNS0_4arch9wavefront6targetE0EEEvT1_
; %bb.0:
	.section	.rodata,"a",@progbits
	.p2align	6, 0x0
	.amdhsa_kernel _ZN7rocprim17ROCPRIM_400000_NS6detail17trampoline_kernelINS0_14default_configENS1_25partition_config_selectorILNS1_17partition_subalgoE9EsjbEEZZNS1_14partition_implILS5_9ELb0ES3_jN6thrust23THRUST_200600_302600_NS6detail15normal_iteratorINS9_10device_ptrIsEEEENSB_INSC_IjEEEEPNS0_10empty_typeENS0_5tupleIJSE_SH_EEENSJ_IJSG_SI_EEENS0_18inequality_wrapperINS9_8equal_toIsEEEEPmJSH_EEE10hipError_tPvRmT3_T4_T5_T6_T7_T9_mT8_P12ihipStream_tbDpT10_ENKUlT_T0_E_clISt17integral_constantIbLb1EES19_IbLb0EEEEDaS15_S16_EUlS15_E_NS1_11comp_targetILNS1_3genE2ELNS1_11target_archE906ELNS1_3gpuE6ELNS1_3repE0EEENS1_30default_config_static_selectorELNS0_4arch9wavefront6targetE0EEEvT1_
		.amdhsa_group_segment_fixed_size 0
		.amdhsa_private_segment_fixed_size 0
		.amdhsa_kernarg_size 112
		.amdhsa_user_sgpr_count 15
		.amdhsa_user_sgpr_dispatch_ptr 0
		.amdhsa_user_sgpr_queue_ptr 0
		.amdhsa_user_sgpr_kernarg_segment_ptr 1
		.amdhsa_user_sgpr_dispatch_id 0
		.amdhsa_user_sgpr_private_segment_size 0
		.amdhsa_wavefront_size32 1
		.amdhsa_uses_dynamic_stack 0
		.amdhsa_enable_private_segment 0
		.amdhsa_system_sgpr_workgroup_id_x 1
		.amdhsa_system_sgpr_workgroup_id_y 0
		.amdhsa_system_sgpr_workgroup_id_z 0
		.amdhsa_system_sgpr_workgroup_info 0
		.amdhsa_system_vgpr_workitem_id 0
		.amdhsa_next_free_vgpr 1
		.amdhsa_next_free_sgpr 1
		.amdhsa_reserve_vcc 0
		.amdhsa_float_round_mode_32 0
		.amdhsa_float_round_mode_16_64 0
		.amdhsa_float_denorm_mode_32 3
		.amdhsa_float_denorm_mode_16_64 3
		.amdhsa_dx10_clamp 1
		.amdhsa_ieee_mode 1
		.amdhsa_fp16_overflow 0
		.amdhsa_workgroup_processor_mode 1
		.amdhsa_memory_ordered 1
		.amdhsa_forward_progress 0
		.amdhsa_shared_vgpr_count 0
		.amdhsa_exception_fp_ieee_invalid_op 0
		.amdhsa_exception_fp_denorm_src 0
		.amdhsa_exception_fp_ieee_div_zero 0
		.amdhsa_exception_fp_ieee_overflow 0
		.amdhsa_exception_fp_ieee_underflow 0
		.amdhsa_exception_fp_ieee_inexact 0
		.amdhsa_exception_int_div_zero 0
	.end_amdhsa_kernel
	.section	.text._ZN7rocprim17ROCPRIM_400000_NS6detail17trampoline_kernelINS0_14default_configENS1_25partition_config_selectorILNS1_17partition_subalgoE9EsjbEEZZNS1_14partition_implILS5_9ELb0ES3_jN6thrust23THRUST_200600_302600_NS6detail15normal_iteratorINS9_10device_ptrIsEEEENSB_INSC_IjEEEEPNS0_10empty_typeENS0_5tupleIJSE_SH_EEENSJ_IJSG_SI_EEENS0_18inequality_wrapperINS9_8equal_toIsEEEEPmJSH_EEE10hipError_tPvRmT3_T4_T5_T6_T7_T9_mT8_P12ihipStream_tbDpT10_ENKUlT_T0_E_clISt17integral_constantIbLb1EES19_IbLb0EEEEDaS15_S16_EUlS15_E_NS1_11comp_targetILNS1_3genE2ELNS1_11target_archE906ELNS1_3gpuE6ELNS1_3repE0EEENS1_30default_config_static_selectorELNS0_4arch9wavefront6targetE0EEEvT1_,"axG",@progbits,_ZN7rocprim17ROCPRIM_400000_NS6detail17trampoline_kernelINS0_14default_configENS1_25partition_config_selectorILNS1_17partition_subalgoE9EsjbEEZZNS1_14partition_implILS5_9ELb0ES3_jN6thrust23THRUST_200600_302600_NS6detail15normal_iteratorINS9_10device_ptrIsEEEENSB_INSC_IjEEEEPNS0_10empty_typeENS0_5tupleIJSE_SH_EEENSJ_IJSG_SI_EEENS0_18inequality_wrapperINS9_8equal_toIsEEEEPmJSH_EEE10hipError_tPvRmT3_T4_T5_T6_T7_T9_mT8_P12ihipStream_tbDpT10_ENKUlT_T0_E_clISt17integral_constantIbLb1EES19_IbLb0EEEEDaS15_S16_EUlS15_E_NS1_11comp_targetILNS1_3genE2ELNS1_11target_archE906ELNS1_3gpuE6ELNS1_3repE0EEENS1_30default_config_static_selectorELNS0_4arch9wavefront6targetE0EEEvT1_,comdat
.Lfunc_end681:
	.size	_ZN7rocprim17ROCPRIM_400000_NS6detail17trampoline_kernelINS0_14default_configENS1_25partition_config_selectorILNS1_17partition_subalgoE9EsjbEEZZNS1_14partition_implILS5_9ELb0ES3_jN6thrust23THRUST_200600_302600_NS6detail15normal_iteratorINS9_10device_ptrIsEEEENSB_INSC_IjEEEEPNS0_10empty_typeENS0_5tupleIJSE_SH_EEENSJ_IJSG_SI_EEENS0_18inequality_wrapperINS9_8equal_toIsEEEEPmJSH_EEE10hipError_tPvRmT3_T4_T5_T6_T7_T9_mT8_P12ihipStream_tbDpT10_ENKUlT_T0_E_clISt17integral_constantIbLb1EES19_IbLb0EEEEDaS15_S16_EUlS15_E_NS1_11comp_targetILNS1_3genE2ELNS1_11target_archE906ELNS1_3gpuE6ELNS1_3repE0EEENS1_30default_config_static_selectorELNS0_4arch9wavefront6targetE0EEEvT1_, .Lfunc_end681-_ZN7rocprim17ROCPRIM_400000_NS6detail17trampoline_kernelINS0_14default_configENS1_25partition_config_selectorILNS1_17partition_subalgoE9EsjbEEZZNS1_14partition_implILS5_9ELb0ES3_jN6thrust23THRUST_200600_302600_NS6detail15normal_iteratorINS9_10device_ptrIsEEEENSB_INSC_IjEEEEPNS0_10empty_typeENS0_5tupleIJSE_SH_EEENSJ_IJSG_SI_EEENS0_18inequality_wrapperINS9_8equal_toIsEEEEPmJSH_EEE10hipError_tPvRmT3_T4_T5_T6_T7_T9_mT8_P12ihipStream_tbDpT10_ENKUlT_T0_E_clISt17integral_constantIbLb1EES19_IbLb0EEEEDaS15_S16_EUlS15_E_NS1_11comp_targetILNS1_3genE2ELNS1_11target_archE906ELNS1_3gpuE6ELNS1_3repE0EEENS1_30default_config_static_selectorELNS0_4arch9wavefront6targetE0EEEvT1_
                                        ; -- End function
	.section	.AMDGPU.csdata,"",@progbits
; Kernel info:
; codeLenInByte = 0
; NumSgprs: 0
; NumVgprs: 0
; ScratchSize: 0
; MemoryBound: 0
; FloatMode: 240
; IeeeMode: 1
; LDSByteSize: 0 bytes/workgroup (compile time only)
; SGPRBlocks: 0
; VGPRBlocks: 0
; NumSGPRsForWavesPerEU: 1
; NumVGPRsForWavesPerEU: 1
; Occupancy: 16
; WaveLimiterHint : 0
; COMPUTE_PGM_RSRC2:SCRATCH_EN: 0
; COMPUTE_PGM_RSRC2:USER_SGPR: 15
; COMPUTE_PGM_RSRC2:TRAP_HANDLER: 0
; COMPUTE_PGM_RSRC2:TGID_X_EN: 1
; COMPUTE_PGM_RSRC2:TGID_Y_EN: 0
; COMPUTE_PGM_RSRC2:TGID_Z_EN: 0
; COMPUTE_PGM_RSRC2:TIDIG_COMP_CNT: 0
	.section	.text._ZN7rocprim17ROCPRIM_400000_NS6detail17trampoline_kernelINS0_14default_configENS1_25partition_config_selectorILNS1_17partition_subalgoE9EsjbEEZZNS1_14partition_implILS5_9ELb0ES3_jN6thrust23THRUST_200600_302600_NS6detail15normal_iteratorINS9_10device_ptrIsEEEENSB_INSC_IjEEEEPNS0_10empty_typeENS0_5tupleIJSE_SH_EEENSJ_IJSG_SI_EEENS0_18inequality_wrapperINS9_8equal_toIsEEEEPmJSH_EEE10hipError_tPvRmT3_T4_T5_T6_T7_T9_mT8_P12ihipStream_tbDpT10_ENKUlT_T0_E_clISt17integral_constantIbLb1EES19_IbLb0EEEEDaS15_S16_EUlS15_E_NS1_11comp_targetILNS1_3genE10ELNS1_11target_archE1200ELNS1_3gpuE4ELNS1_3repE0EEENS1_30default_config_static_selectorELNS0_4arch9wavefront6targetE0EEEvT1_,"axG",@progbits,_ZN7rocprim17ROCPRIM_400000_NS6detail17trampoline_kernelINS0_14default_configENS1_25partition_config_selectorILNS1_17partition_subalgoE9EsjbEEZZNS1_14partition_implILS5_9ELb0ES3_jN6thrust23THRUST_200600_302600_NS6detail15normal_iteratorINS9_10device_ptrIsEEEENSB_INSC_IjEEEEPNS0_10empty_typeENS0_5tupleIJSE_SH_EEENSJ_IJSG_SI_EEENS0_18inequality_wrapperINS9_8equal_toIsEEEEPmJSH_EEE10hipError_tPvRmT3_T4_T5_T6_T7_T9_mT8_P12ihipStream_tbDpT10_ENKUlT_T0_E_clISt17integral_constantIbLb1EES19_IbLb0EEEEDaS15_S16_EUlS15_E_NS1_11comp_targetILNS1_3genE10ELNS1_11target_archE1200ELNS1_3gpuE4ELNS1_3repE0EEENS1_30default_config_static_selectorELNS0_4arch9wavefront6targetE0EEEvT1_,comdat
	.protected	_ZN7rocprim17ROCPRIM_400000_NS6detail17trampoline_kernelINS0_14default_configENS1_25partition_config_selectorILNS1_17partition_subalgoE9EsjbEEZZNS1_14partition_implILS5_9ELb0ES3_jN6thrust23THRUST_200600_302600_NS6detail15normal_iteratorINS9_10device_ptrIsEEEENSB_INSC_IjEEEEPNS0_10empty_typeENS0_5tupleIJSE_SH_EEENSJ_IJSG_SI_EEENS0_18inequality_wrapperINS9_8equal_toIsEEEEPmJSH_EEE10hipError_tPvRmT3_T4_T5_T6_T7_T9_mT8_P12ihipStream_tbDpT10_ENKUlT_T0_E_clISt17integral_constantIbLb1EES19_IbLb0EEEEDaS15_S16_EUlS15_E_NS1_11comp_targetILNS1_3genE10ELNS1_11target_archE1200ELNS1_3gpuE4ELNS1_3repE0EEENS1_30default_config_static_selectorELNS0_4arch9wavefront6targetE0EEEvT1_ ; -- Begin function _ZN7rocprim17ROCPRIM_400000_NS6detail17trampoline_kernelINS0_14default_configENS1_25partition_config_selectorILNS1_17partition_subalgoE9EsjbEEZZNS1_14partition_implILS5_9ELb0ES3_jN6thrust23THRUST_200600_302600_NS6detail15normal_iteratorINS9_10device_ptrIsEEEENSB_INSC_IjEEEEPNS0_10empty_typeENS0_5tupleIJSE_SH_EEENSJ_IJSG_SI_EEENS0_18inequality_wrapperINS9_8equal_toIsEEEEPmJSH_EEE10hipError_tPvRmT3_T4_T5_T6_T7_T9_mT8_P12ihipStream_tbDpT10_ENKUlT_T0_E_clISt17integral_constantIbLb1EES19_IbLb0EEEEDaS15_S16_EUlS15_E_NS1_11comp_targetILNS1_3genE10ELNS1_11target_archE1200ELNS1_3gpuE4ELNS1_3repE0EEENS1_30default_config_static_selectorELNS0_4arch9wavefront6targetE0EEEvT1_
	.globl	_ZN7rocprim17ROCPRIM_400000_NS6detail17trampoline_kernelINS0_14default_configENS1_25partition_config_selectorILNS1_17partition_subalgoE9EsjbEEZZNS1_14partition_implILS5_9ELb0ES3_jN6thrust23THRUST_200600_302600_NS6detail15normal_iteratorINS9_10device_ptrIsEEEENSB_INSC_IjEEEEPNS0_10empty_typeENS0_5tupleIJSE_SH_EEENSJ_IJSG_SI_EEENS0_18inequality_wrapperINS9_8equal_toIsEEEEPmJSH_EEE10hipError_tPvRmT3_T4_T5_T6_T7_T9_mT8_P12ihipStream_tbDpT10_ENKUlT_T0_E_clISt17integral_constantIbLb1EES19_IbLb0EEEEDaS15_S16_EUlS15_E_NS1_11comp_targetILNS1_3genE10ELNS1_11target_archE1200ELNS1_3gpuE4ELNS1_3repE0EEENS1_30default_config_static_selectorELNS0_4arch9wavefront6targetE0EEEvT1_
	.p2align	8
	.type	_ZN7rocprim17ROCPRIM_400000_NS6detail17trampoline_kernelINS0_14default_configENS1_25partition_config_selectorILNS1_17partition_subalgoE9EsjbEEZZNS1_14partition_implILS5_9ELb0ES3_jN6thrust23THRUST_200600_302600_NS6detail15normal_iteratorINS9_10device_ptrIsEEEENSB_INSC_IjEEEEPNS0_10empty_typeENS0_5tupleIJSE_SH_EEENSJ_IJSG_SI_EEENS0_18inequality_wrapperINS9_8equal_toIsEEEEPmJSH_EEE10hipError_tPvRmT3_T4_T5_T6_T7_T9_mT8_P12ihipStream_tbDpT10_ENKUlT_T0_E_clISt17integral_constantIbLb1EES19_IbLb0EEEEDaS15_S16_EUlS15_E_NS1_11comp_targetILNS1_3genE10ELNS1_11target_archE1200ELNS1_3gpuE4ELNS1_3repE0EEENS1_30default_config_static_selectorELNS0_4arch9wavefront6targetE0EEEvT1_,@function
_ZN7rocprim17ROCPRIM_400000_NS6detail17trampoline_kernelINS0_14default_configENS1_25partition_config_selectorILNS1_17partition_subalgoE9EsjbEEZZNS1_14partition_implILS5_9ELb0ES3_jN6thrust23THRUST_200600_302600_NS6detail15normal_iteratorINS9_10device_ptrIsEEEENSB_INSC_IjEEEEPNS0_10empty_typeENS0_5tupleIJSE_SH_EEENSJ_IJSG_SI_EEENS0_18inequality_wrapperINS9_8equal_toIsEEEEPmJSH_EEE10hipError_tPvRmT3_T4_T5_T6_T7_T9_mT8_P12ihipStream_tbDpT10_ENKUlT_T0_E_clISt17integral_constantIbLb1EES19_IbLb0EEEEDaS15_S16_EUlS15_E_NS1_11comp_targetILNS1_3genE10ELNS1_11target_archE1200ELNS1_3gpuE4ELNS1_3repE0EEENS1_30default_config_static_selectorELNS0_4arch9wavefront6targetE0EEEvT1_: ; @_ZN7rocprim17ROCPRIM_400000_NS6detail17trampoline_kernelINS0_14default_configENS1_25partition_config_selectorILNS1_17partition_subalgoE9EsjbEEZZNS1_14partition_implILS5_9ELb0ES3_jN6thrust23THRUST_200600_302600_NS6detail15normal_iteratorINS9_10device_ptrIsEEEENSB_INSC_IjEEEEPNS0_10empty_typeENS0_5tupleIJSE_SH_EEENSJ_IJSG_SI_EEENS0_18inequality_wrapperINS9_8equal_toIsEEEEPmJSH_EEE10hipError_tPvRmT3_T4_T5_T6_T7_T9_mT8_P12ihipStream_tbDpT10_ENKUlT_T0_E_clISt17integral_constantIbLb1EES19_IbLb0EEEEDaS15_S16_EUlS15_E_NS1_11comp_targetILNS1_3genE10ELNS1_11target_archE1200ELNS1_3gpuE4ELNS1_3repE0EEENS1_30default_config_static_selectorELNS0_4arch9wavefront6targetE0EEEvT1_
; %bb.0:
	.section	.rodata,"a",@progbits
	.p2align	6, 0x0
	.amdhsa_kernel _ZN7rocprim17ROCPRIM_400000_NS6detail17trampoline_kernelINS0_14default_configENS1_25partition_config_selectorILNS1_17partition_subalgoE9EsjbEEZZNS1_14partition_implILS5_9ELb0ES3_jN6thrust23THRUST_200600_302600_NS6detail15normal_iteratorINS9_10device_ptrIsEEEENSB_INSC_IjEEEEPNS0_10empty_typeENS0_5tupleIJSE_SH_EEENSJ_IJSG_SI_EEENS0_18inequality_wrapperINS9_8equal_toIsEEEEPmJSH_EEE10hipError_tPvRmT3_T4_T5_T6_T7_T9_mT8_P12ihipStream_tbDpT10_ENKUlT_T0_E_clISt17integral_constantIbLb1EES19_IbLb0EEEEDaS15_S16_EUlS15_E_NS1_11comp_targetILNS1_3genE10ELNS1_11target_archE1200ELNS1_3gpuE4ELNS1_3repE0EEENS1_30default_config_static_selectorELNS0_4arch9wavefront6targetE0EEEvT1_
		.amdhsa_group_segment_fixed_size 0
		.amdhsa_private_segment_fixed_size 0
		.amdhsa_kernarg_size 112
		.amdhsa_user_sgpr_count 15
		.amdhsa_user_sgpr_dispatch_ptr 0
		.amdhsa_user_sgpr_queue_ptr 0
		.amdhsa_user_sgpr_kernarg_segment_ptr 1
		.amdhsa_user_sgpr_dispatch_id 0
		.amdhsa_user_sgpr_private_segment_size 0
		.amdhsa_wavefront_size32 1
		.amdhsa_uses_dynamic_stack 0
		.amdhsa_enable_private_segment 0
		.amdhsa_system_sgpr_workgroup_id_x 1
		.amdhsa_system_sgpr_workgroup_id_y 0
		.amdhsa_system_sgpr_workgroup_id_z 0
		.amdhsa_system_sgpr_workgroup_info 0
		.amdhsa_system_vgpr_workitem_id 0
		.amdhsa_next_free_vgpr 1
		.amdhsa_next_free_sgpr 1
		.amdhsa_reserve_vcc 0
		.amdhsa_float_round_mode_32 0
		.amdhsa_float_round_mode_16_64 0
		.amdhsa_float_denorm_mode_32 3
		.amdhsa_float_denorm_mode_16_64 3
		.amdhsa_dx10_clamp 1
		.amdhsa_ieee_mode 1
		.amdhsa_fp16_overflow 0
		.amdhsa_workgroup_processor_mode 1
		.amdhsa_memory_ordered 1
		.amdhsa_forward_progress 0
		.amdhsa_shared_vgpr_count 0
		.amdhsa_exception_fp_ieee_invalid_op 0
		.amdhsa_exception_fp_denorm_src 0
		.amdhsa_exception_fp_ieee_div_zero 0
		.amdhsa_exception_fp_ieee_overflow 0
		.amdhsa_exception_fp_ieee_underflow 0
		.amdhsa_exception_fp_ieee_inexact 0
		.amdhsa_exception_int_div_zero 0
	.end_amdhsa_kernel
	.section	.text._ZN7rocprim17ROCPRIM_400000_NS6detail17trampoline_kernelINS0_14default_configENS1_25partition_config_selectorILNS1_17partition_subalgoE9EsjbEEZZNS1_14partition_implILS5_9ELb0ES3_jN6thrust23THRUST_200600_302600_NS6detail15normal_iteratorINS9_10device_ptrIsEEEENSB_INSC_IjEEEEPNS0_10empty_typeENS0_5tupleIJSE_SH_EEENSJ_IJSG_SI_EEENS0_18inequality_wrapperINS9_8equal_toIsEEEEPmJSH_EEE10hipError_tPvRmT3_T4_T5_T6_T7_T9_mT8_P12ihipStream_tbDpT10_ENKUlT_T0_E_clISt17integral_constantIbLb1EES19_IbLb0EEEEDaS15_S16_EUlS15_E_NS1_11comp_targetILNS1_3genE10ELNS1_11target_archE1200ELNS1_3gpuE4ELNS1_3repE0EEENS1_30default_config_static_selectorELNS0_4arch9wavefront6targetE0EEEvT1_,"axG",@progbits,_ZN7rocprim17ROCPRIM_400000_NS6detail17trampoline_kernelINS0_14default_configENS1_25partition_config_selectorILNS1_17partition_subalgoE9EsjbEEZZNS1_14partition_implILS5_9ELb0ES3_jN6thrust23THRUST_200600_302600_NS6detail15normal_iteratorINS9_10device_ptrIsEEEENSB_INSC_IjEEEEPNS0_10empty_typeENS0_5tupleIJSE_SH_EEENSJ_IJSG_SI_EEENS0_18inequality_wrapperINS9_8equal_toIsEEEEPmJSH_EEE10hipError_tPvRmT3_T4_T5_T6_T7_T9_mT8_P12ihipStream_tbDpT10_ENKUlT_T0_E_clISt17integral_constantIbLb1EES19_IbLb0EEEEDaS15_S16_EUlS15_E_NS1_11comp_targetILNS1_3genE10ELNS1_11target_archE1200ELNS1_3gpuE4ELNS1_3repE0EEENS1_30default_config_static_selectorELNS0_4arch9wavefront6targetE0EEEvT1_,comdat
.Lfunc_end682:
	.size	_ZN7rocprim17ROCPRIM_400000_NS6detail17trampoline_kernelINS0_14default_configENS1_25partition_config_selectorILNS1_17partition_subalgoE9EsjbEEZZNS1_14partition_implILS5_9ELb0ES3_jN6thrust23THRUST_200600_302600_NS6detail15normal_iteratorINS9_10device_ptrIsEEEENSB_INSC_IjEEEEPNS0_10empty_typeENS0_5tupleIJSE_SH_EEENSJ_IJSG_SI_EEENS0_18inequality_wrapperINS9_8equal_toIsEEEEPmJSH_EEE10hipError_tPvRmT3_T4_T5_T6_T7_T9_mT8_P12ihipStream_tbDpT10_ENKUlT_T0_E_clISt17integral_constantIbLb1EES19_IbLb0EEEEDaS15_S16_EUlS15_E_NS1_11comp_targetILNS1_3genE10ELNS1_11target_archE1200ELNS1_3gpuE4ELNS1_3repE0EEENS1_30default_config_static_selectorELNS0_4arch9wavefront6targetE0EEEvT1_, .Lfunc_end682-_ZN7rocprim17ROCPRIM_400000_NS6detail17trampoline_kernelINS0_14default_configENS1_25partition_config_selectorILNS1_17partition_subalgoE9EsjbEEZZNS1_14partition_implILS5_9ELb0ES3_jN6thrust23THRUST_200600_302600_NS6detail15normal_iteratorINS9_10device_ptrIsEEEENSB_INSC_IjEEEEPNS0_10empty_typeENS0_5tupleIJSE_SH_EEENSJ_IJSG_SI_EEENS0_18inequality_wrapperINS9_8equal_toIsEEEEPmJSH_EEE10hipError_tPvRmT3_T4_T5_T6_T7_T9_mT8_P12ihipStream_tbDpT10_ENKUlT_T0_E_clISt17integral_constantIbLb1EES19_IbLb0EEEEDaS15_S16_EUlS15_E_NS1_11comp_targetILNS1_3genE10ELNS1_11target_archE1200ELNS1_3gpuE4ELNS1_3repE0EEENS1_30default_config_static_selectorELNS0_4arch9wavefront6targetE0EEEvT1_
                                        ; -- End function
	.section	.AMDGPU.csdata,"",@progbits
; Kernel info:
; codeLenInByte = 0
; NumSgprs: 0
; NumVgprs: 0
; ScratchSize: 0
; MemoryBound: 0
; FloatMode: 240
; IeeeMode: 1
; LDSByteSize: 0 bytes/workgroup (compile time only)
; SGPRBlocks: 0
; VGPRBlocks: 0
; NumSGPRsForWavesPerEU: 1
; NumVGPRsForWavesPerEU: 1
; Occupancy: 16
; WaveLimiterHint : 0
; COMPUTE_PGM_RSRC2:SCRATCH_EN: 0
; COMPUTE_PGM_RSRC2:USER_SGPR: 15
; COMPUTE_PGM_RSRC2:TRAP_HANDLER: 0
; COMPUTE_PGM_RSRC2:TGID_X_EN: 1
; COMPUTE_PGM_RSRC2:TGID_Y_EN: 0
; COMPUTE_PGM_RSRC2:TGID_Z_EN: 0
; COMPUTE_PGM_RSRC2:TIDIG_COMP_CNT: 0
	.section	.text._ZN7rocprim17ROCPRIM_400000_NS6detail17trampoline_kernelINS0_14default_configENS1_25partition_config_selectorILNS1_17partition_subalgoE9EsjbEEZZNS1_14partition_implILS5_9ELb0ES3_jN6thrust23THRUST_200600_302600_NS6detail15normal_iteratorINS9_10device_ptrIsEEEENSB_INSC_IjEEEEPNS0_10empty_typeENS0_5tupleIJSE_SH_EEENSJ_IJSG_SI_EEENS0_18inequality_wrapperINS9_8equal_toIsEEEEPmJSH_EEE10hipError_tPvRmT3_T4_T5_T6_T7_T9_mT8_P12ihipStream_tbDpT10_ENKUlT_T0_E_clISt17integral_constantIbLb1EES19_IbLb0EEEEDaS15_S16_EUlS15_E_NS1_11comp_targetILNS1_3genE9ELNS1_11target_archE1100ELNS1_3gpuE3ELNS1_3repE0EEENS1_30default_config_static_selectorELNS0_4arch9wavefront6targetE0EEEvT1_,"axG",@progbits,_ZN7rocprim17ROCPRIM_400000_NS6detail17trampoline_kernelINS0_14default_configENS1_25partition_config_selectorILNS1_17partition_subalgoE9EsjbEEZZNS1_14partition_implILS5_9ELb0ES3_jN6thrust23THRUST_200600_302600_NS6detail15normal_iteratorINS9_10device_ptrIsEEEENSB_INSC_IjEEEEPNS0_10empty_typeENS0_5tupleIJSE_SH_EEENSJ_IJSG_SI_EEENS0_18inequality_wrapperINS9_8equal_toIsEEEEPmJSH_EEE10hipError_tPvRmT3_T4_T5_T6_T7_T9_mT8_P12ihipStream_tbDpT10_ENKUlT_T0_E_clISt17integral_constantIbLb1EES19_IbLb0EEEEDaS15_S16_EUlS15_E_NS1_11comp_targetILNS1_3genE9ELNS1_11target_archE1100ELNS1_3gpuE3ELNS1_3repE0EEENS1_30default_config_static_selectorELNS0_4arch9wavefront6targetE0EEEvT1_,comdat
	.protected	_ZN7rocprim17ROCPRIM_400000_NS6detail17trampoline_kernelINS0_14default_configENS1_25partition_config_selectorILNS1_17partition_subalgoE9EsjbEEZZNS1_14partition_implILS5_9ELb0ES3_jN6thrust23THRUST_200600_302600_NS6detail15normal_iteratorINS9_10device_ptrIsEEEENSB_INSC_IjEEEEPNS0_10empty_typeENS0_5tupleIJSE_SH_EEENSJ_IJSG_SI_EEENS0_18inequality_wrapperINS9_8equal_toIsEEEEPmJSH_EEE10hipError_tPvRmT3_T4_T5_T6_T7_T9_mT8_P12ihipStream_tbDpT10_ENKUlT_T0_E_clISt17integral_constantIbLb1EES19_IbLb0EEEEDaS15_S16_EUlS15_E_NS1_11comp_targetILNS1_3genE9ELNS1_11target_archE1100ELNS1_3gpuE3ELNS1_3repE0EEENS1_30default_config_static_selectorELNS0_4arch9wavefront6targetE0EEEvT1_ ; -- Begin function _ZN7rocprim17ROCPRIM_400000_NS6detail17trampoline_kernelINS0_14default_configENS1_25partition_config_selectorILNS1_17partition_subalgoE9EsjbEEZZNS1_14partition_implILS5_9ELb0ES3_jN6thrust23THRUST_200600_302600_NS6detail15normal_iteratorINS9_10device_ptrIsEEEENSB_INSC_IjEEEEPNS0_10empty_typeENS0_5tupleIJSE_SH_EEENSJ_IJSG_SI_EEENS0_18inequality_wrapperINS9_8equal_toIsEEEEPmJSH_EEE10hipError_tPvRmT3_T4_T5_T6_T7_T9_mT8_P12ihipStream_tbDpT10_ENKUlT_T0_E_clISt17integral_constantIbLb1EES19_IbLb0EEEEDaS15_S16_EUlS15_E_NS1_11comp_targetILNS1_3genE9ELNS1_11target_archE1100ELNS1_3gpuE3ELNS1_3repE0EEENS1_30default_config_static_selectorELNS0_4arch9wavefront6targetE0EEEvT1_
	.globl	_ZN7rocprim17ROCPRIM_400000_NS6detail17trampoline_kernelINS0_14default_configENS1_25partition_config_selectorILNS1_17partition_subalgoE9EsjbEEZZNS1_14partition_implILS5_9ELb0ES3_jN6thrust23THRUST_200600_302600_NS6detail15normal_iteratorINS9_10device_ptrIsEEEENSB_INSC_IjEEEEPNS0_10empty_typeENS0_5tupleIJSE_SH_EEENSJ_IJSG_SI_EEENS0_18inequality_wrapperINS9_8equal_toIsEEEEPmJSH_EEE10hipError_tPvRmT3_T4_T5_T6_T7_T9_mT8_P12ihipStream_tbDpT10_ENKUlT_T0_E_clISt17integral_constantIbLb1EES19_IbLb0EEEEDaS15_S16_EUlS15_E_NS1_11comp_targetILNS1_3genE9ELNS1_11target_archE1100ELNS1_3gpuE3ELNS1_3repE0EEENS1_30default_config_static_selectorELNS0_4arch9wavefront6targetE0EEEvT1_
	.p2align	8
	.type	_ZN7rocprim17ROCPRIM_400000_NS6detail17trampoline_kernelINS0_14default_configENS1_25partition_config_selectorILNS1_17partition_subalgoE9EsjbEEZZNS1_14partition_implILS5_9ELb0ES3_jN6thrust23THRUST_200600_302600_NS6detail15normal_iteratorINS9_10device_ptrIsEEEENSB_INSC_IjEEEEPNS0_10empty_typeENS0_5tupleIJSE_SH_EEENSJ_IJSG_SI_EEENS0_18inequality_wrapperINS9_8equal_toIsEEEEPmJSH_EEE10hipError_tPvRmT3_T4_T5_T6_T7_T9_mT8_P12ihipStream_tbDpT10_ENKUlT_T0_E_clISt17integral_constantIbLb1EES19_IbLb0EEEEDaS15_S16_EUlS15_E_NS1_11comp_targetILNS1_3genE9ELNS1_11target_archE1100ELNS1_3gpuE3ELNS1_3repE0EEENS1_30default_config_static_selectorELNS0_4arch9wavefront6targetE0EEEvT1_,@function
_ZN7rocprim17ROCPRIM_400000_NS6detail17trampoline_kernelINS0_14default_configENS1_25partition_config_selectorILNS1_17partition_subalgoE9EsjbEEZZNS1_14partition_implILS5_9ELb0ES3_jN6thrust23THRUST_200600_302600_NS6detail15normal_iteratorINS9_10device_ptrIsEEEENSB_INSC_IjEEEEPNS0_10empty_typeENS0_5tupleIJSE_SH_EEENSJ_IJSG_SI_EEENS0_18inequality_wrapperINS9_8equal_toIsEEEEPmJSH_EEE10hipError_tPvRmT3_T4_T5_T6_T7_T9_mT8_P12ihipStream_tbDpT10_ENKUlT_T0_E_clISt17integral_constantIbLb1EES19_IbLb0EEEEDaS15_S16_EUlS15_E_NS1_11comp_targetILNS1_3genE9ELNS1_11target_archE1100ELNS1_3gpuE3ELNS1_3repE0EEENS1_30default_config_static_selectorELNS0_4arch9wavefront6targetE0EEEvT1_: ; @_ZN7rocprim17ROCPRIM_400000_NS6detail17trampoline_kernelINS0_14default_configENS1_25partition_config_selectorILNS1_17partition_subalgoE9EsjbEEZZNS1_14partition_implILS5_9ELb0ES3_jN6thrust23THRUST_200600_302600_NS6detail15normal_iteratorINS9_10device_ptrIsEEEENSB_INSC_IjEEEEPNS0_10empty_typeENS0_5tupleIJSE_SH_EEENSJ_IJSG_SI_EEENS0_18inequality_wrapperINS9_8equal_toIsEEEEPmJSH_EEE10hipError_tPvRmT3_T4_T5_T6_T7_T9_mT8_P12ihipStream_tbDpT10_ENKUlT_T0_E_clISt17integral_constantIbLb1EES19_IbLb0EEEEDaS15_S16_EUlS15_E_NS1_11comp_targetILNS1_3genE9ELNS1_11target_archE1100ELNS1_3gpuE3ELNS1_3repE0EEENS1_30default_config_static_selectorELNS0_4arch9wavefront6targetE0EEEvT1_
; %bb.0:
	s_clause 0x4
	s_load_b128 s[4:7], s[0:1], 0x8
	s_load_b32 s14, s[0:1], 0x68
	s_load_b128 s[16:19], s[0:1], 0x40
	s_load_b64 s[2:3], s[0:1], 0x50
	s_load_b64 s[8:9], s[0:1], 0x18
	s_waitcnt lgkmcnt(0)
	s_lshl_b64 s[10:11], s[6:7], 1
	s_mul_i32 s20, s14, 0x580
	s_add_u32 s10, s4, s10
	s_addc_u32 s11, s5, s11
	s_add_i32 s4, s20, s6
	s_load_b64 s[12:13], s[18:19], 0x0
	s_sub_i32 s19, s2, s4
	s_add_i32 s14, s14, -1
	s_addk_i32 s19, 0x580
	s_add_u32 s4, s6, s20
	s_addc_u32 s5, s7, 0
	s_cmp_eq_u32 s15, s14
	v_cmp_ge_u64_e64 s2, s[4:5], s[2:3]
	s_cselect_b32 s14, -1, 0
	s_mov_b32 s5, 0
	s_mul_i32 s4, s15, 0x580
	s_delay_alu instid0(VALU_DEP_1)
	s_and_b32 s20, s14, s2
	s_lshl_b64 s[2:3], s[4:5], 1
	s_xor_b32 s18, s20, -1
	s_add_u32 s10, s10, s2
	s_addc_u32 s3, s11, s3
	s_and_b32 vcc_lo, exec_lo, s18
	s_mov_b32 s11, -1
	s_cbranch_vccz .LBB683_2
; %bb.1:
	v_lshlrev_b32_e32 v3, 1, v0
	s_mov_b32 s11, s5
	s_delay_alu instid0(VALU_DEP_1) | instskip(NEXT) | instid1(VALU_DEP_1)
	v_add_co_u32 v1, s2, s10, v3
	v_add_co_ci_u32_e64 v2, null, s3, 0, s2
	s_clause 0xa
	flat_load_u16 v4, v[1:2]
	flat_load_u16 v5, v[1:2] offset:256
	flat_load_u16 v6, v[1:2] offset:512
	;; [unrolled: 1-line block ×10, first 2 shown]
	s_waitcnt vmcnt(10) lgkmcnt(0)
	ds_store_b16 v3, v4
	s_waitcnt vmcnt(9)
	ds_store_b16 v3, v5 offset:256
	s_waitcnt vmcnt(8)
	ds_store_b16 v3, v6 offset:512
	s_waitcnt vmcnt(7)
	ds_store_b16 v3, v7 offset:768
	s_waitcnt vmcnt(6)
	ds_store_b16 v3, v8 offset:1024
	s_waitcnt vmcnt(5)
	ds_store_b16 v3, v9 offset:1280
	s_waitcnt vmcnt(4)
	ds_store_b16 v3, v10 offset:1536
	s_waitcnt vmcnt(3)
	ds_store_b16 v3, v11 offset:1792
	s_waitcnt vmcnt(2)
	ds_store_b16 v3, v12 offset:2048
	s_waitcnt vmcnt(1)
	ds_store_b16 v3, v13 offset:2304
	s_waitcnt vmcnt(0)
	ds_store_b16 v3, v1 offset:2560
	s_waitcnt lgkmcnt(0)
	s_barrier
.LBB683_2:
	v_cmp_gt_u32_e64 s2, s19, v0
	s_and_not1_b32 vcc_lo, exec_lo, s11
	s_cbranch_vccnz .LBB683_26
; %bb.3:
                                        ; implicit-def: $vgpr1_vgpr2_vgpr3_vgpr4_vgpr5_vgpr6_vgpr7_vgpr8
	s_delay_alu instid0(VALU_DEP_1)
	s_and_saveexec_b32 s11, s2
	s_cbranch_execz .LBB683_5
; %bb.4:
	v_lshlrev_b32_e32 v1, 1, v0
	s_delay_alu instid0(VALU_DEP_1) | instskip(NEXT) | instid1(VALU_DEP_1)
	v_add_co_u32 v1, s2, s10, v1
	v_add_co_ci_u32_e64 v2, null, s3, 0, s2
	flat_load_d16_b16 v1, v[1:2]
.LBB683_5:
	s_or_b32 exec_lo, exec_lo, s11
	v_or_b32_e32 v7, 0x80, v0
	s_mov_b32 s2, exec_lo
	s_delay_alu instid0(VALU_DEP_1)
	v_cmpx_gt_u32_e64 s19, v7
	s_cbranch_execz .LBB683_7
; %bb.6:
	v_lshlrev_b32_e32 v7, 1, v0
	s_delay_alu instid0(VALU_DEP_1) | instskip(NEXT) | instid1(VALU_DEP_1)
	v_add_co_u32 v7, s11, s10, v7
	v_add_co_ci_u32_e64 v8, null, s3, 0, s11
	s_waitcnt vmcnt(0) lgkmcnt(0)
	flat_load_d16_hi_b16 v1, v[7:8] offset:256
.LBB683_7:
	s_or_b32 exec_lo, exec_lo, s2
	v_or_b32_e32 v7, 0x100, v0
	s_mov_b32 s2, exec_lo
	s_delay_alu instid0(VALU_DEP_1)
	v_cmpx_gt_u32_e64 s19, v7
	s_cbranch_execz .LBB683_9
; %bb.8:
	v_lshlrev_b32_e32 v7, 1, v0
	s_delay_alu instid0(VALU_DEP_1) | instskip(NEXT) | instid1(VALU_DEP_1)
	v_add_co_u32 v7, s11, s10, v7
	v_add_co_ci_u32_e64 v8, null, s3, 0, s11
	flat_load_d16_b16 v2, v[7:8] offset:512
.LBB683_9:
	s_or_b32 exec_lo, exec_lo, s2
	v_or_b32_e32 v7, 0x180, v0
	s_mov_b32 s2, exec_lo
	s_delay_alu instid0(VALU_DEP_1)
	v_cmpx_gt_u32_e64 s19, v7
	s_cbranch_execz .LBB683_11
; %bb.10:
	v_lshlrev_b32_e32 v7, 1, v0
	s_delay_alu instid0(VALU_DEP_1) | instskip(NEXT) | instid1(VALU_DEP_1)
	v_add_co_u32 v7, s11, s10, v7
	v_add_co_ci_u32_e64 v8, null, s3, 0, s11
	s_waitcnt vmcnt(0) lgkmcnt(0)
	flat_load_d16_hi_b16 v2, v[7:8] offset:768
.LBB683_11:
	s_or_b32 exec_lo, exec_lo, s2
	v_or_b32_e32 v7, 0x200, v0
	s_mov_b32 s2, exec_lo
	s_delay_alu instid0(VALU_DEP_1)
	v_cmpx_gt_u32_e64 s19, v7
	s_cbranch_execz .LBB683_13
; %bb.12:
	v_lshlrev_b32_e32 v7, 1, v0
	s_delay_alu instid0(VALU_DEP_1) | instskip(NEXT) | instid1(VALU_DEP_1)
	v_add_co_u32 v7, s11, s10, v7
	v_add_co_ci_u32_e64 v8, null, s3, 0, s11
	flat_load_d16_b16 v3, v[7:8] offset:1024
.LBB683_13:
	;; [unrolled: 27-line block ×5, first 2 shown]
	s_or_b32 exec_lo, exec_lo, s2
	v_lshlrev_b32_e32 v7, 1, v0
	s_waitcnt vmcnt(0) lgkmcnt(0)
	ds_store_b16 v7, v1
	ds_store_b16_d16_hi v7, v1 offset:256
	ds_store_b16 v7, v2 offset:512
	ds_store_b16_d16_hi v7, v2 offset:768
	ds_store_b16 v7, v3 offset:1024
	;; [unrolled: 2-line block ×5, first 2 shown]
	s_waitcnt lgkmcnt(0)
	s_barrier
.LBB683_26:
	v_mul_u32_u24_e32 v1, 11, v0
	s_waitcnt lgkmcnt(0)
	buffer_gl0_inv
	s_lshl_b64 s[22:23], s[6:7], 2
	s_delay_alu instid0(SALU_CYCLE_1)
	s_add_u32 s2, s8, s22
	v_lshlrev_b32_e32 v2, 1, v1
	s_addc_u32 s8, s9, s23
	s_lshl_b64 s[4:5], s[4:5], 2
	ds_load_b128 v[13:16], v2
	ds_load_u16 v38, v2 offset:16
	ds_load_u16 v37, v2 offset:18
	;; [unrolled: 1-line block ×3, first 2 shown]
	s_add_u32 s2, s2, s4
	s_addc_u32 s4, s8, s5
	s_and_b32 vcc_lo, exec_lo, s18
	s_mov_b32 s5, -1
	s_waitcnt lgkmcnt(0)
	s_barrier
	buffer_gl0_inv
	s_cbranch_vccz .LBB683_28
; %bb.27:
	v_lshlrev_b32_e32 v7, 2, v0
	s_delay_alu instid0(VALU_DEP_1) | instskip(NEXT) | instid1(VALU_DEP_1)
	v_add_co_u32 v3, s5, s2, v7
	v_add_co_ci_u32_e64 v4, null, s4, 0, s5
	s_mov_b32 s5, 0
	s_delay_alu instid0(VALU_DEP_2) | instskip(NEXT) | instid1(VALU_DEP_2)
	v_add_co_u32 v5, vcc_lo, 0x1000, v3
	v_add_co_ci_u32_e32 v6, vcc_lo, 0, v4, vcc_lo
	s_clause 0xa
	flat_load_b32 v8, v[3:4]
	flat_load_b32 v9, v[3:4] offset:512
	flat_load_b32 v10, v[3:4] offset:1024
	;; [unrolled: 1-line block ×7, first 2 shown]
	flat_load_b32 v4, v[5:6]
	flat_load_b32 v19, v[5:6] offset:512
	flat_load_b32 v5, v[5:6] offset:1024
	s_waitcnt vmcnt(9) lgkmcnt(9)
	ds_store_2addr_stride64_b32 v7, v8, v9 offset1:2
	s_waitcnt vmcnt(7) lgkmcnt(8)
	ds_store_2addr_stride64_b32 v7, v10, v11 offset0:4 offset1:6
	s_waitcnt vmcnt(5) lgkmcnt(7)
	ds_store_2addr_stride64_b32 v7, v12, v17 offset0:8 offset1:10
	;; [unrolled: 2-line block ×4, first 2 shown]
	s_waitcnt vmcnt(0) lgkmcnt(5)
	ds_store_b32 v7, v5 offset:5120
	s_waitcnt lgkmcnt(0)
	s_barrier
.LBB683_28:
	s_and_not1_b32 vcc_lo, exec_lo, s5
	s_cbranch_vccnz .LBB683_52
; %bb.29:
	s_mov_b32 s5, exec_lo
                                        ; implicit-def: $vgpr3
	v_cmpx_gt_u32_e64 s19, v0
	s_cbranch_execz .LBB683_31
; %bb.30:
	v_lshlrev_b32_e32 v3, 2, v0
	s_delay_alu instid0(VALU_DEP_1) | instskip(NEXT) | instid1(VALU_DEP_1)
	v_add_co_u32 v3, s8, s2, v3
	v_add_co_ci_u32_e64 v4, null, s4, 0, s8
	flat_load_b32 v3, v[3:4]
.LBB683_31:
	s_or_b32 exec_lo, exec_lo, s5
	v_or_b32_e32 v4, 0x80, v0
	s_delay_alu instid0(VALU_DEP_1)
	v_cmp_gt_u32_e32 vcc_lo, s19, v4
                                        ; implicit-def: $vgpr4
	s_and_saveexec_b32 s5, vcc_lo
	s_cbranch_execz .LBB683_33
; %bb.32:
	v_lshlrev_b32_e32 v4, 2, v0
	s_delay_alu instid0(VALU_DEP_1) | instskip(NEXT) | instid1(VALU_DEP_1)
	v_add_co_u32 v4, s8, s2, v4
	v_add_co_ci_u32_e64 v5, null, s4, 0, s8
	flat_load_b32 v4, v[4:5] offset:512
.LBB683_33:
	s_or_b32 exec_lo, exec_lo, s5
	v_or_b32_e32 v5, 0x100, v0
	s_delay_alu instid0(VALU_DEP_1)
	v_cmp_gt_u32_e32 vcc_lo, s19, v5
                                        ; implicit-def: $vgpr5
	s_and_saveexec_b32 s5, vcc_lo
	s_cbranch_execz .LBB683_35
; %bb.34:
	v_lshlrev_b32_e32 v5, 2, v0
	s_delay_alu instid0(VALU_DEP_1) | instskip(NEXT) | instid1(VALU_DEP_1)
	v_add_co_u32 v5, s8, s2, v5
	v_add_co_ci_u32_e64 v6, null, s4, 0, s8
	flat_load_b32 v5, v[5:6] offset:1024
.LBB683_35:
	s_or_b32 exec_lo, exec_lo, s5
	v_or_b32_e32 v6, 0x180, v0
	s_delay_alu instid0(VALU_DEP_1)
	v_cmp_gt_u32_e32 vcc_lo, s19, v6
                                        ; implicit-def: $vgpr6
	s_and_saveexec_b32 s5, vcc_lo
	s_cbranch_execz .LBB683_37
; %bb.36:
	v_lshlrev_b32_e32 v6, 2, v0
	s_delay_alu instid0(VALU_DEP_1) | instskip(NEXT) | instid1(VALU_DEP_1)
	v_add_co_u32 v6, s8, s2, v6
	v_add_co_ci_u32_e64 v7, null, s4, 0, s8
	flat_load_b32 v6, v[6:7] offset:1536
.LBB683_37:
	s_or_b32 exec_lo, exec_lo, s5
	v_or_b32_e32 v7, 0x200, v0
	s_delay_alu instid0(VALU_DEP_1)
	v_cmp_gt_u32_e32 vcc_lo, s19, v7
                                        ; implicit-def: $vgpr7
	s_and_saveexec_b32 s5, vcc_lo
	s_cbranch_execz .LBB683_39
; %bb.38:
	v_lshlrev_b32_e32 v7, 2, v0
	s_delay_alu instid0(VALU_DEP_1) | instskip(NEXT) | instid1(VALU_DEP_1)
	v_add_co_u32 v7, s8, s2, v7
	v_add_co_ci_u32_e64 v8, null, s4, 0, s8
	flat_load_b32 v7, v[7:8] offset:2048
.LBB683_39:
	s_or_b32 exec_lo, exec_lo, s5
	v_or_b32_e32 v8, 0x280, v0
	s_delay_alu instid0(VALU_DEP_1)
	v_cmp_gt_u32_e32 vcc_lo, s19, v8
                                        ; implicit-def: $vgpr8
	s_and_saveexec_b32 s5, vcc_lo
	s_cbranch_execz .LBB683_41
; %bb.40:
	v_lshlrev_b32_e32 v8, 2, v0
	s_delay_alu instid0(VALU_DEP_1) | instskip(NEXT) | instid1(VALU_DEP_1)
	v_add_co_u32 v8, s8, s2, v8
	v_add_co_ci_u32_e64 v9, null, s4, 0, s8
	flat_load_b32 v8, v[8:9] offset:2560
.LBB683_41:
	s_or_b32 exec_lo, exec_lo, s5
	v_or_b32_e32 v9, 0x300, v0
	s_delay_alu instid0(VALU_DEP_1)
	v_cmp_gt_u32_e32 vcc_lo, s19, v9
                                        ; implicit-def: $vgpr9
	s_and_saveexec_b32 s5, vcc_lo
	s_cbranch_execz .LBB683_43
; %bb.42:
	v_lshlrev_b32_e32 v9, 2, v0
	s_delay_alu instid0(VALU_DEP_1) | instskip(NEXT) | instid1(VALU_DEP_1)
	v_add_co_u32 v9, s8, s2, v9
	v_add_co_ci_u32_e64 v10, null, s4, 0, s8
	flat_load_b32 v9, v[9:10] offset:3072
.LBB683_43:
	s_or_b32 exec_lo, exec_lo, s5
	v_or_b32_e32 v10, 0x380, v0
	s_delay_alu instid0(VALU_DEP_1)
	v_cmp_gt_u32_e32 vcc_lo, s19, v10
                                        ; implicit-def: $vgpr10
	s_and_saveexec_b32 s5, vcc_lo
	s_cbranch_execz .LBB683_45
; %bb.44:
	v_lshlrev_b32_e32 v10, 2, v0
	s_delay_alu instid0(VALU_DEP_1) | instskip(NEXT) | instid1(VALU_DEP_1)
	v_add_co_u32 v10, s8, s2, v10
	v_add_co_ci_u32_e64 v11, null, s4, 0, s8
	flat_load_b32 v10, v[10:11] offset:3584
.LBB683_45:
	s_or_b32 exec_lo, exec_lo, s5
	v_or_b32_e32 v12, 0x400, v0
	s_mov_b32 s5, exec_lo
                                        ; implicit-def: $vgpr11
	s_delay_alu instid0(VALU_DEP_1)
	v_cmpx_gt_u32_e64 s19, v12
	s_cbranch_execz .LBB683_47
; %bb.46:
	v_lshlrev_b32_e32 v11, 2, v12
	s_delay_alu instid0(VALU_DEP_1) | instskip(NEXT) | instid1(VALU_DEP_1)
	v_add_co_u32 v11, s8, s2, v11
	v_add_co_ci_u32_e64 v12, null, s4, 0, s8
	flat_load_b32 v11, v[11:12]
.LBB683_47:
	s_or_b32 exec_lo, exec_lo, s5
	v_or_b32_e32 v17, 0x480, v0
	s_mov_b32 s5, exec_lo
                                        ; implicit-def: $vgpr12
	s_delay_alu instid0(VALU_DEP_1)
	v_cmpx_gt_u32_e64 s19, v17
	s_cbranch_execz .LBB683_49
; %bb.48:
	v_lshlrev_b32_e32 v12, 2, v17
	s_delay_alu instid0(VALU_DEP_1) | instskip(NEXT) | instid1(VALU_DEP_1)
	v_add_co_u32 v17, s8, s2, v12
	v_add_co_ci_u32_e64 v18, null, s4, 0, s8
	flat_load_b32 v12, v[17:18]
.LBB683_49:
	s_or_b32 exec_lo, exec_lo, s5
	v_or_b32_e32 v18, 0x500, v0
	s_mov_b32 s5, exec_lo
                                        ; implicit-def: $vgpr17
	s_delay_alu instid0(VALU_DEP_1)
	v_cmpx_gt_u32_e64 s19, v18
	s_cbranch_execz .LBB683_51
; %bb.50:
	v_lshlrev_b32_e32 v17, 2, v18
	s_delay_alu instid0(VALU_DEP_1) | instskip(NEXT) | instid1(VALU_DEP_1)
	v_add_co_u32 v17, s2, s2, v17
	v_add_co_ci_u32_e64 v18, null, s4, 0, s2
	flat_load_b32 v17, v[17:18]
.LBB683_51:
	s_or_b32 exec_lo, exec_lo, s5
	v_mad_i32_i24 v2, 0xffffffee, v0, v2
	s_waitcnt vmcnt(0) lgkmcnt(0)
	ds_store_2addr_stride64_b32 v2, v3, v4 offset1:2
	ds_store_2addr_stride64_b32 v2, v5, v6 offset0:4 offset1:6
	ds_store_2addr_stride64_b32 v2, v7, v8 offset0:8 offset1:10
	;; [unrolled: 1-line block ×4, first 2 shown]
	ds_store_b32 v2, v17 offset:5120
	s_waitcnt lgkmcnt(0)
	s_barrier
.LBB683_52:
	v_lshlrev_b32_e32 v44, 2, v1
	buffer_gl0_inv
	s_cmp_lg_u32 s15, 0
	v_lshrrev_b32_e32 v43, 16, v13
	s_cselect_b32 s21, -1, 0
	ds_load_2addr_b32 v[28:29], v44 offset1:1
	ds_load_2addr_b32 v[26:27], v44 offset0:2 offset1:3
	ds_load_2addr_b32 v[24:25], v44 offset0:4 offset1:5
	;; [unrolled: 1-line block ×4, first 2 shown]
	ds_load_b32 v36, v44 offset:40
	s_cmp_lg_u64 s[6:7], 0
	v_lshrrev_b32_e32 v42, 16, v14
	s_cselect_b32 s2, -1, 0
	v_lshrrev_b32_e32 v41, 16, v15
	v_lshrrev_b32_e32 v40, 16, v16
	v_add_nc_u32_e32 v5, 1, v1
	v_add_nc_u32_e32 v6, 2, v1
	;; [unrolled: 1-line block ×10, first 2 shown]
	s_or_b32 s2, s21, s2
	s_mov_b32 s22, 0
	s_and_b32 vcc_lo, exec_lo, s2
	s_waitcnt lgkmcnt(0)
	s_barrier
	buffer_gl0_inv
	s_cbranch_vccz .LBB683_57
; %bb.53:
	v_add_co_u32 v17, s2, -2, s10
	s_delay_alu instid0(VALU_DEP_1)
	v_add_co_ci_u32_e64 v18, null, -1, s3, s2
	s_mov_b32 s3, -1
	s_and_b32 vcc_lo, exec_lo, s18
	flat_load_u16 v17, v[17:18]
	v_lshlrev_b32_e32 v18, 1, v0
	ds_store_b16 v18, v33
	s_cbranch_vccz .LBB683_59
; %bb.54:
	s_waitcnt vmcnt(0) lgkmcnt(1)
	v_mov_b32_e32 v19, v17
	s_mov_b32 s3, 0
	s_mov_b32 s2, exec_lo
	s_waitcnt lgkmcnt(0)
	s_barrier
	buffer_gl0_inv
	v_cmpx_ne_u32_e32 0, v0
	s_cbranch_execz .LBB683_56
; %bb.55:
	v_add_nc_u32_e32 v12, -2, v18
	ds_load_u16 v19, v12
.LBB683_56:
	s_or_b32 exec_lo, exec_lo, s2
	v_cmp_ne_u16_e32 vcc_lo, v16, v40
	s_waitcnt lgkmcnt(0)
	v_cmp_ne_u16_e64 s2, v19, v13
	v_cndmask_b32_e64 v12, 0, 1, vcc_lo
	v_cmp_ne_u16_e32 vcc_lo, v41, v16
	s_delay_alu instid0(VALU_DEP_2) | instskip(SKIP_2) | instid1(VALU_DEP_2)
	v_lshlrev_b16 v12, 8, v12
	v_cndmask_b32_e64 v30, 0, 1, vcc_lo
	v_cmp_ne_u16_e32 vcc_lo, v15, v41
	v_or_b32_e32 v30, v30, v12
	v_cndmask_b32_e64 v31, 0, 1, vcc_lo
	v_cmp_ne_u16_e32 vcc_lo, v42, v15
	s_delay_alu instid0(VALU_DEP_2) | instskip(SKIP_2) | instid1(VALU_DEP_2)
	v_lshlrev_b16 v31, 8, v31
	v_cndmask_b32_e64 v32, 0, 1, vcc_lo
	v_cmp_ne_u16_e32 vcc_lo, v14, v42
	v_or_b32_e32 v31, v32, v31
	v_cndmask_b32_e64 v34, 0, 1, vcc_lo
	v_cmp_ne_u16_e32 vcc_lo, v43, v14
	s_delay_alu instid0(VALU_DEP_3) | instskip(NEXT) | instid1(VALU_DEP_3)
	v_and_b32_e32 v31, 0xffff, v31
	v_lshlrev_b16 v45, 8, v34
	v_cndmask_b32_e64 v35, 0, 1, vcc_lo
	v_cmp_ne_u16_e32 vcc_lo, v13, v43
	s_delay_alu instid0(VALU_DEP_2) | instskip(SKIP_3) | instid1(VALU_DEP_4)
	v_or_b32_e32 v35, v35, v45
	v_cndmask_b32_e64 v39, 0, 1, vcc_lo
	v_cmp_ne_u16_e32 vcc_lo, v37, v33
	v_lshlrev_b32_e32 v45, 16, v30
	v_lshlrev_b32_e32 v35, 16, v35
	s_delay_alu instid0(VALU_DEP_4) | instskip(SKIP_3) | instid1(VALU_DEP_4)
	v_lshlrev_b16 v39, 8, v39
	v_cndmask_b32_e64 v34, 0, 1, vcc_lo
	v_cmp_ne_u16_e32 vcc_lo, v38, v37
	v_or_b32_e32 v31, v31, v45
	v_and_b32_e32 v39, 0xffff, v39
	v_cndmask_b32_e64 v12, 0, 1, vcc_lo
	v_cmp_ne_u16_e32 vcc_lo, v40, v38
	s_delay_alu instid0(VALU_DEP_3)
	v_or_b32_e32 v30, v39, v35
	v_cndmask_b32_e64 v32, 0, 1, vcc_lo
	s_and_b32 vcc_lo, exec_lo, s3
	s_cbranch_vccnz .LBB683_60
	s_branch .LBB683_63
.LBB683_57:
                                        ; implicit-def: $sgpr2
                                        ; implicit-def: $vgpr34
                                        ; implicit-def: $vgpr12
                                        ; implicit-def: $vgpr32
                                        ; implicit-def: $vgpr31
	s_branch .LBB683_64
.LBB683_58:
                                        ; implicit-def: $vgpr17_vgpr18_vgpr19
	s_and_saveexec_b32 s3, s22
	s_cbranch_execnz .LBB683_72
	s_branch .LBB683_73
.LBB683_59:
                                        ; implicit-def: $sgpr2
                                        ; implicit-def: $vgpr34
                                        ; implicit-def: $vgpr12
                                        ; implicit-def: $vgpr32
                                        ; implicit-def: $vgpr31
	s_and_b32 vcc_lo, exec_lo, s3
	s_cbranch_vccz .LBB683_63
.LBB683_60:
	s_mov_b32 s2, exec_lo
	s_waitcnt vmcnt(0) lgkmcnt(0)
	s_barrier
	buffer_gl0_inv
	v_cmpx_ne_u32_e32 0, v0
	s_cbranch_execz .LBB683_62
; %bb.61:
	v_add_nc_u32_e32 v12, -2, v18
	ds_load_u16 v17, v12
.LBB683_62:
	s_or_b32 exec_lo, exec_lo, s2
	v_cmp_gt_u32_e32 vcc_lo, s19, v9
	v_cmp_ne_u16_e64 s2, v37, v33
	v_cmp_gt_u32_e64 s3, s19, v10
	v_cmp_ne_u16_e64 s4, v38, v37
	v_cmp_gt_u32_e64 s5, s19, v5
	v_cmp_ne_u16_e64 s6, v13, v43
	s_and_b32 s2, vcc_lo, s2
	v_cmp_gt_u32_e32 vcc_lo, s19, v2
	v_cndmask_b32_e64 v34, 0, 1, s2
	v_cmp_ne_u16_e64 s2, v16, v40
	s_and_b32 s3, s3, s4
	v_cmp_ne_u16_e64 s4, v41, v16
	v_cndmask_b32_e64 v12, 0, 1, s3
	v_cmp_gt_u32_e64 s3, s19, v4
	s_and_b32 s2, vcc_lo, s2
	v_cmp_gt_u32_e32 vcc_lo, s19, v7
	v_cndmask_b32_e64 v18, 0, 1, s2
	v_cmp_ne_u16_e64 s2, v15, v41
	s_and_b32 s3, s3, s4
	v_cmp_ne_u16_e64 s4, v14, v42
	v_cndmask_b32_e64 v19, 0, 1, s3
	v_cmp_gt_u32_e64 s3, s19, v3
	;; [unrolled: 8-line block ×3, first 2 shown]
	s_and_b32 s2, vcc_lo, s2
	v_lshlrev_b16 v30, 8, v30
	v_cndmask_b32_e64 v32, 0, 1, s2
	v_lshlrev_b16 v31, 8, v31
	s_and_b32 s2, s3, s4
	v_lshlrev_b16 v18, 8, v18
	v_cndmask_b32_e64 v35, 0, 1, s2
	s_and_b32 s2, s5, s6
	v_or_b32_e32 v30, v32, v30
	v_cndmask_b32_e64 v39, 0, 1, s2
	v_or_b32_e32 v18, v19, v18
	v_or_b32_e32 v31, v35, v31
	v_cmp_gt_u32_e32 vcc_lo, s19, v11
	v_cmp_ne_u16_e64 s2, v40, v38
	v_lshlrev_b16 v35, 8, v39
	v_lshlrev_b32_e32 v18, 16, v18
	v_lshlrev_b32_e32 v19, 16, v31
	s_delay_alu instid0(VALU_DEP_4) | instskip(NEXT) | instid1(VALU_DEP_3)
	s_and_b32 s2, vcc_lo, s2
	v_and_b32_e32 v31, 0xffff, v35
	v_and_b32_e32 v35, 0xffff, v30
	v_cndmask_b32_e64 v32, 0, 1, s2
	v_cmp_gt_u32_e32 vcc_lo, s19, v1
	s_waitcnt lgkmcnt(0)
	v_cmp_ne_u16_e64 s2, v17, v13
	v_or_b32_e32 v30, v31, v19
	v_or_b32_e32 v31, v35, v18
	s_delay_alu instid0(VALU_DEP_3)
	s_and_b32 s2, vcc_lo, s2
.LBB683_63:
	s_mov_b32 s22, -1
	s_cbranch_execnz .LBB683_58
.LBB683_64:
	v_mad_i32_i24 v35, 0xffffffd6, v0, v44
	v_cmp_ne_u16_e64 s2, v37, v33
	v_cmp_ne_u16_e64 s9, v38, v37
	;; [unrolled: 1-line block ×10, first 2 shown]
	s_and_b32 vcc_lo, exec_lo, s18
	ds_store_b16 v35, v33
	s_cbranch_vccz .LBB683_68
; %bb.65:
	s_waitcnt vmcnt(0) lgkmcnt(2)
	v_cndmask_b32_e64 v17, 0, 1, s11
	v_cndmask_b32_e64 v12, 0, 1, s9
	;; [unrolled: 1-line block ×5, first 2 shown]
	v_lshlrev_b16 v17, 8, v17
	v_cndmask_b32_e64 v39, 0, 1, s4
	v_cndmask_b32_e64 v32, 0, 1, s10
	;; [unrolled: 1-line block ×4, first 2 shown]
	v_lshlrev_b16 v18, 8, v18
	v_lshlrev_b16 v45, 8, v12
	v_or_b32_e32 v17, v30, v17
	v_lshlrev_b16 v30, 8, v31
	v_lshlrev_b16 v31, 8, v39
	v_or_b32_e32 v18, v19, v18
	v_or_b32_e32 v19, v32, v45
	v_and_b32_e32 v17, 0xffff, v17
	v_or_b32_e32 v30, v34, v30
	v_or_b32_e32 v31, 1, v31
	v_lshlrev_b32_e32 v18, 16, v18
	v_and_b32_e32 v19, 0xffff, v19
	v_cndmask_b32_e64 v34, 0, 1, s2
	v_lshlrev_b32_e32 v30, 16, v30
	v_and_b32_e32 v39, 0xffff, v31
	v_or_b32_e32 v31, v17, v18
	s_mov_b32 s3, 0
	v_lshl_or_b32 v19, v34, 16, v19
	s_mov_b32 s4, exec_lo
	v_or_b32_e32 v30, v39, v30
	s_waitcnt lgkmcnt(0)
	s_barrier
	buffer_gl0_inv
                                        ; implicit-def: $sgpr2
	v_cmpx_ne_u32_e32 0, v0
	s_xor_b32 s4, exec_lo, s4
	s_cbranch_execz .LBB683_67
; %bb.66:
	v_add_nc_u32_e32 v17, -2, v35
	s_or_b32 s22, s22, exec_lo
	ds_load_u16 v17, v17
	s_waitcnt lgkmcnt(0)
	v_cmp_ne_u16_e32 vcc_lo, v17, v13
                                        ; implicit-def: $vgpr17_vgpr18_vgpr19
	s_and_b32 s2, vcc_lo, exec_lo
.LBB683_67:
	s_or_b32 exec_lo, exec_lo, s4
	s_delay_alu instid0(SALU_CYCLE_1)
	s_and_b32 vcc_lo, exec_lo, s3
	s_cbranch_vccnz .LBB683_69
	s_branch .LBB683_71
.LBB683_68:
                                        ; implicit-def: $sgpr2
                                        ; implicit-def: $vgpr34
                                        ; implicit-def: $vgpr12
                                        ; implicit-def: $vgpr32
                                        ; implicit-def: $vgpr31
                                        ; implicit-def: $vgpr17_vgpr18_vgpr19
	s_cbranch_execz .LBB683_71
.LBB683_69:
	v_cmp_gt_u32_e32 vcc_lo, s19, v10
	v_cmp_ne_u16_e64 s2, v38, v37
	v_cmp_gt_u32_e64 s5, s19, v11
	v_cmp_ne_u16_e64 s6, v40, v38
	v_cmp_gt_u32_e64 s3, s19, v9
	v_cmp_ne_u16_e64 s4, v37, v33
	s_and_b32 s2, vcc_lo, s2
	v_cmp_gt_u32_e32 vcc_lo, s19, v2
	v_cndmask_b32_e64 v12, 0, 1, s2
	v_cmp_ne_u16_e64 s2, v16, v40
	s_and_b32 s5, s5, s6
	v_cmp_ne_u16_e64 s6, v41, v16
	v_cndmask_b32_e64 v32, 0, 1, s5
	v_cmp_gt_u32_e64 s5, s19, v4
	s_and_b32 s2, vcc_lo, s2
	v_cmp_gt_u32_e32 vcc_lo, s19, v7
	s_waitcnt vmcnt(0) lgkmcnt(2)
	v_cndmask_b32_e64 v17, 0, 1, s2
	v_cmp_ne_u16_e64 s2, v15, v41
	s_and_b32 s5, s5, s6
	v_cmp_ne_u16_e64 s6, v42, v15
	v_cndmask_b32_e64 v18, 0, 1, s5
	v_cmp_gt_u32_e64 s5, s19, v8
	s_and_b32 s2, vcc_lo, s2
	v_cmp_gt_u32_e32 vcc_lo, s19, v3
	v_cndmask_b32_e64 v19, 0, 1, s2
	v_cmp_ne_u16_e64 s2, v14, v42
	s_and_b32 s5, s5, s6
	v_cmp_ne_u16_e64 s6, v43, v14
	v_cndmask_b32_e64 v30, 0, 1, s5
	v_cmp_gt_u32_e64 s5, s19, v6
	s_and_b32 s2, vcc_lo, s2
	v_cmp_gt_u32_e32 vcc_lo, s19, v5
	v_cndmask_b32_e64 v31, 0, 1, s2
	v_cmp_ne_u16_e64 s2, v13, v43
	v_lshlrev_b16 v19, 8, v19
	v_lshlrev_b16 v17, 8, v17
	s_and_b32 s5, s5, s6
	v_lshlrev_b16 v45, 8, v12
	s_and_b32 s2, vcc_lo, s2
	v_cndmask_b32_e64 v34, 0, 1, s5
	v_cndmask_b32_e64 v39, 0, 1, s2
	v_or_b32_e32 v19, v30, v19
	v_or_b32_e32 v17, v18, v17
	v_lshlrev_b16 v18, 8, v31
	v_or_b32_e32 v31, v32, v45
	v_lshlrev_b16 v30, 8, v39
	s_and_b32 s2, s3, s4
	v_and_b32_e32 v19, 0xffff, v19
	v_or_b32_e32 v18, v34, v18
	v_lshlrev_b32_e32 v17, 16, v17
	v_or_b32_e32 v30, 1, v30
	v_and_b32_e32 v39, 0xffff, v31
	v_cndmask_b32_e64 v34, 0, 1, s2
	v_lshlrev_b32_e32 v18, 16, v18
	v_or_b32_e32 v31, v19, v17
	v_and_b32_e32 v30, 0xffff, v30
	s_mov_b32 s3, exec_lo
	v_lshl_or_b32 v19, v34, 16, v39
	s_waitcnt lgkmcnt(0)
	s_barrier
	v_or_b32_e32 v30, v30, v18
	buffer_gl0_inv
                                        ; implicit-def: $sgpr2
	v_cmpx_ne_u32_e32 0, v0
	s_cbranch_execz .LBB683_255
; %bb.70:
	v_add_nc_u32_e32 v17, -2, v35
	v_cmp_gt_u32_e32 vcc_lo, s19, v1
	s_or_b32 s22, s22, exec_lo
	ds_load_u16 v17, v17
	s_waitcnt lgkmcnt(0)
	v_cmp_ne_u16_e64 s2, v17, v13
                                        ; implicit-def: $vgpr17_vgpr18_vgpr19
	s_delay_alu instid0(VALU_DEP_1) | instskip(NEXT) | instid1(SALU_CYCLE_1)
	s_and_b32 s2, vcc_lo, s2
	s_and_b32 s2, s2, exec_lo
	s_or_b32 exec_lo, exec_lo, s3
.LBB683_71:
	s_and_saveexec_b32 s3, s22
	s_cbranch_execz .LBB683_73
.LBB683_72:
	v_lshrrev_b32_e32 v18, 24, v30
	v_lshrrev_b32_e32 v19, 16, v30
	;; [unrolled: 1-line block ×3, first 2 shown]
	s_waitcnt vmcnt(0) lgkmcnt(1)
	v_cndmask_b32_e64 v17, 0, 1, s2
	v_lshlrev_b16 v12, 8, v12
	v_and_b32_e32 v32, 0xff, v32
	v_lshlrev_b16 v18, 8, v18
	v_and_b32_e32 v19, 0xff, v19
	;; [unrolled: 2-line block ×3, first 2 shown]
	v_or_b32_e32 v12, v32, v12
	s_delay_alu instid0(VALU_DEP_4) | instskip(NEXT) | instid1(VALU_DEP_4)
	v_or_b32_e32 v18, v19, v18
	v_or_b32_e32 v17, v17, v30
	s_delay_alu instid0(VALU_DEP_4) | instskip(NEXT) | instid1(VALU_DEP_4)
	v_lshlrev_b32_e32 v19, 16, v34
	v_and_b32_e32 v12, 0xffff, v12
	s_delay_alu instid0(VALU_DEP_4) | instskip(NEXT) | instid1(VALU_DEP_4)
	v_lshlrev_b32_e32 v18, 16, v18
	v_and_b32_e32 v17, 0xffff, v17
	s_delay_alu instid0(VALU_DEP_3) | instskip(NEXT) | instid1(VALU_DEP_2)
	v_or_b32_e32 v19, v12, v19
	v_or_b32_e32 v30, v17, v18
.LBB683_73:
	s_or_b32 exec_lo, exec_lo, s3
	s_load_b64 s[10:11], s[0:1], 0x60
	s_and_not1_b32 vcc_lo, exec_lo, s20
	s_cbranch_vccnz .LBB683_75
; %bb.74:
	v_cmp_gt_u32_e32 vcc_lo, s19, v1
	v_cmp_gt_u32_e64 s2, s19, v5
	v_cmp_gt_u32_e64 s4, s19, v6
	v_and_b32_e32 v5, 0xffffff00, v31
	v_cmp_gt_u32_e64 s3, s19, v10
	v_dual_cndmask_b32 v1, 0, v30 :: v_dual_and_b32 v12, 0xff000000, v19
	v_cmp_gt_u32_e32 vcc_lo, s19, v11
	v_cmp_gt_u32_e64 s6, s19, v3
	v_cmp_gt_u32_e64 s5, s19, v9
	s_delay_alu instid0(VALU_DEP_4) | instskip(SKIP_1) | instid1(VALU_DEP_2)
	v_and_b32_e32 v1, 0xff, v1
	v_cndmask_b32_e32 v11, v12, v19, vcc_lo
	v_cndmask_b32_e64 v1, v1, v30, s2
	v_cmp_gt_u32_e64 s2, s19, v8
	s_delay_alu instid0(VALU_DEP_3) | instskip(NEXT) | instid1(VALU_DEP_3)
	v_and_b32_e32 v11, 0xff0000ff, v11
	v_and_b32_e32 v1, 0xffff, v1
	s_delay_alu instid0(VALU_DEP_3) | instskip(NEXT) | instid1(VALU_DEP_3)
	v_cndmask_b32_e64 v5, v5, v31, s2
	v_cndmask_b32_e64 v8, v11, v19, s3
	s_or_b32 s3, s5, s3
	s_delay_alu instid0(VALU_DEP_3) | instskip(NEXT) | instid1(VALU_DEP_3)
	v_cndmask_b32_e64 v1, v1, v30, s4
	v_and_b32_e32 v5, 0xffff00ff, v5
	s_delay_alu instid0(VALU_DEP_3) | instskip(SKIP_1) | instid1(VALU_DEP_4)
	v_and_b32_e32 v6, 0xff00ffff, v8
	v_cmp_gt_u32_e64 s4, s19, v7
	v_and_b32_e32 v1, 0xffffff, v1
	s_delay_alu instid0(VALU_DEP_3) | instskip(NEXT) | instid1(VALU_DEP_3)
	v_cndmask_b32_e64 v6, v6, v19, s5
	v_cndmask_b32_e64 v5, v5, v31, s4
	s_delay_alu instid0(VALU_DEP_3) | instskip(NEXT) | instid1(VALU_DEP_2)
	v_cndmask_b32_e64 v1, v1, v30, s6
	v_and_b32_e32 v3, 0xff00ffff, v5
	s_delay_alu instid0(VALU_DEP_4) | instskip(NEXT) | instid1(VALU_DEP_3)
	v_lshrrev_b32_e32 v5, 8, v6
	v_cndmask_b32_e64 v1, v1, v30, s2
	v_cmp_gt_u32_e64 s2, s19, v4
	s_delay_alu instid0(VALU_DEP_3) | instskip(NEXT) | instid1(VALU_DEP_3)
	v_lshlrev_b16 v5, 8, v5
	v_cndmask_b32_e64 v1, v1, v30, s4
	v_cmp_gt_u32_e64 s4, s19, v2
	s_delay_alu instid0(VALU_DEP_4) | instskip(NEXT) | instid1(VALU_DEP_3)
	v_cndmask_b32_e64 v3, v3, v31, s2
	v_cndmask_b32_e64 v1, v1, v30, s2
	s_or_b32 s2, s3, vcc_lo
	s_delay_alu instid0(VALU_DEP_3) | instid1(SALU_CYCLE_1)
	s_or_b32 vcc_lo, s2, s4
	s_delay_alu instid0(VALU_DEP_1) | instskip(NEXT) | instid1(VALU_DEP_1)
	v_dual_cndmask_b32 v1, v1, v30 :: v_dual_and_b32 v2, 0xffffff, v3
	v_dual_cndmask_b32 v31, v2, v31 :: v_dual_and_b32 v4, 0xff, v6
	s_delay_alu instid0(VALU_DEP_2) | instskip(NEXT) | instid1(VALU_DEP_2)
	v_perm_b32 v30, v1, v1, 0x3020104
	v_or_b32_e32 v3, v4, v5
	s_delay_alu instid0(VALU_DEP_1) | instskip(NEXT) | instid1(VALU_DEP_1)
	v_and_b32_e32 v2, 0xffff, v3
	v_and_or_b32 v19, 0xff0000, v6, v2
.LBB683_75:
	s_delay_alu instid0(VALU_DEP_4)
	v_and_b32_e32 v45, 0xff, v30
	v_bfe_u32 v46, v30, 8, 8
	v_alignbit_b32 v1, v31, v30, 24
	v_bfe_u32 v47, v30, 16, 8
	v_and_b32_e32 v48, 0xff, v31
	v_bfe_u32 v50, v31, 8, 8
	v_bfe_u32 v51, v31, 16, 8
	v_and_b32_e32 v49, 0xff, v1
	v_add3_u32 v1, v46, v45, v47
	v_lshrrev_b32_e32 v39, 24, v31
	v_mbcnt_lo_u32_b32 v54, -1, 0
	v_and_b32_e32 v52, 0xff, v19
	v_bfe_u32 v53, v19, 8, 8
	v_add3_u32 v1, v1, v49, v48
	v_bfe_u32 v3, v19, 16, 8
	v_and_b32_e32 v2, 15, v54
	v_or_b32_e32 v4, 31, v0
	v_and_b32_e32 v5, 16, v54
	v_add3_u32 v1, v1, v50, v51
	v_lshrrev_b32_e32 v55, 5, v0
	v_cmp_eq_u32_e64 s7, 0, v2
	v_cmp_lt_u32_e64 s6, 1, v2
	v_cmp_lt_u32_e64 s5, 3, v2
	v_add3_u32 v1, v1, v39, v52
	v_cmp_lt_u32_e64 s4, 7, v2
	v_cmp_eq_u32_e64 s3, 0, v5
	v_cmp_eq_u32_e64 s2, v4, v0
	s_and_b32 vcc_lo, exec_lo, s21
	v_add3_u32 v56, v1, v53, v3
	s_mov_b32 s8, -1
	s_waitcnt vmcnt(0) lgkmcnt(0)
	s_barrier
	buffer_gl0_inv
	s_cbranch_vccz .LBB683_106
; %bb.76:
	v_mov_b32_dpp v1, v56 row_shr:1 row_mask:0xf bank_mask:0xf
	s_delay_alu instid0(VALU_DEP_1) | instskip(NEXT) | instid1(VALU_DEP_1)
	v_cndmask_b32_e64 v1, v1, 0, s7
	v_add_nc_u32_e32 v1, v1, v56
	s_delay_alu instid0(VALU_DEP_1) | instskip(NEXT) | instid1(VALU_DEP_1)
	v_mov_b32_dpp v2, v1 row_shr:2 row_mask:0xf bank_mask:0xf
	v_cndmask_b32_e64 v2, 0, v2, s6
	s_delay_alu instid0(VALU_DEP_1) | instskip(NEXT) | instid1(VALU_DEP_1)
	v_add_nc_u32_e32 v1, v1, v2
	v_mov_b32_dpp v2, v1 row_shr:4 row_mask:0xf bank_mask:0xf
	s_delay_alu instid0(VALU_DEP_1) | instskip(NEXT) | instid1(VALU_DEP_1)
	v_cndmask_b32_e64 v2, 0, v2, s5
	v_add_nc_u32_e32 v1, v1, v2
	s_delay_alu instid0(VALU_DEP_1) | instskip(NEXT) | instid1(VALU_DEP_1)
	v_mov_b32_dpp v2, v1 row_shr:8 row_mask:0xf bank_mask:0xf
	v_cndmask_b32_e64 v2, 0, v2, s4
	s_delay_alu instid0(VALU_DEP_1) | instskip(SKIP_3) | instid1(VALU_DEP_1)
	v_add_nc_u32_e32 v1, v1, v2
	ds_swizzle_b32 v2, v1 offset:swizzle(BROADCAST,32,15)
	s_waitcnt lgkmcnt(0)
	v_cndmask_b32_e64 v2, v2, 0, s3
	v_add_nc_u32_e32 v1, v1, v2
	s_and_saveexec_b32 s8, s2
	s_cbranch_execz .LBB683_78
; %bb.77:
	v_lshlrev_b32_e32 v2, 2, v55
	ds_store_b32 v2, v1
.LBB683_78:
	s_or_b32 exec_lo, exec_lo, s8
	s_delay_alu instid0(SALU_CYCLE_1)
	s_mov_b32 s8, exec_lo
	s_waitcnt lgkmcnt(0)
	s_barrier
	buffer_gl0_inv
	v_cmpx_gt_u32_e32 4, v0
	s_cbranch_execz .LBB683_80
; %bb.79:
	v_and_b32_e32 v4, 3, v54
	s_delay_alu instid0(VALU_DEP_1) | instskip(SKIP_4) | instid1(VALU_DEP_1)
	v_cmp_ne_u32_e32 vcc_lo, 0, v4
	v_lshlrev_b32_e32 v2, 2, v0
	ds_load_b32 v3, v2
	s_waitcnt lgkmcnt(0)
	v_mov_b32_dpp v5, v3 row_shr:1 row_mask:0xf bank_mask:0xf
	v_cndmask_b32_e32 v5, 0, v5, vcc_lo
	v_cmp_lt_u32_e32 vcc_lo, 1, v4
	s_delay_alu instid0(VALU_DEP_2) | instskip(NEXT) | instid1(VALU_DEP_1)
	v_add_nc_u32_e32 v3, v5, v3
	v_mov_b32_dpp v5, v3 row_shr:2 row_mask:0xf bank_mask:0xf
	s_delay_alu instid0(VALU_DEP_1) | instskip(NEXT) | instid1(VALU_DEP_1)
	v_cndmask_b32_e32 v4, 0, v5, vcc_lo
	v_add_nc_u32_e32 v3, v3, v4
	ds_store_b32 v2, v3
.LBB683_80:
	s_or_b32 exec_lo, exec_lo, s8
	v_cmp_gt_u32_e32 vcc_lo, 32, v0
	s_mov_b32 s9, exec_lo
	s_waitcnt lgkmcnt(0)
	s_barrier
	buffer_gl0_inv
                                        ; implicit-def: $vgpr9
	v_cmpx_lt_u32_e32 31, v0
	s_cbranch_execz .LBB683_82
; %bb.81:
	v_lshl_add_u32 v2, v55, 2, -4
	ds_load_b32 v9, v2
	s_waitcnt lgkmcnt(0)
	v_add_nc_u32_e32 v1, v9, v1
.LBB683_82:
	s_or_b32 exec_lo, exec_lo, s9
	v_add_nc_u32_e32 v2, -1, v54
	s_delay_alu instid0(VALU_DEP_1) | instskip(NEXT) | instid1(VALU_DEP_1)
	v_cmp_gt_i32_e64 s8, 0, v2
	v_cndmask_b32_e64 v2, v2, v54, s8
	v_cmp_eq_u32_e64 s8, 0, v54
	s_delay_alu instid0(VALU_DEP_2)
	v_lshlrev_b32_e32 v2, 2, v2
	ds_bpermute_b32 v10, v2, v1
	s_and_saveexec_b32 s9, vcc_lo
	s_cbranch_execz .LBB683_105
; %bb.83:
	v_mov_b32_e32 v5, 0
	ds_load_b32 v1, v5 offset:12
	s_and_saveexec_b32 s19, s8
	s_cbranch_execz .LBB683_85
; %bb.84:
	s_add_i32 s20, s15, 32
	s_mov_b32 s21, 0
	v_mov_b32_e32 v2, 1
	s_lshl_b64 s[20:21], s[20:21], 3
	s_delay_alu instid0(SALU_CYCLE_1)
	s_add_u32 s20, s10, s20
	s_addc_u32 s21, s11, s21
	s_waitcnt lgkmcnt(0)
	global_store_b64 v5, v[1:2], s[20:21]
.LBB683_85:
	s_or_b32 exec_lo, exec_lo, s19
	v_xad_u32 v3, v54, -1, s15
	s_mov_b32 s20, 0
	s_mov_b32 s19, exec_lo
	s_delay_alu instid0(VALU_DEP_1) | instskip(NEXT) | instid1(VALU_DEP_1)
	v_add_nc_u32_e32 v4, 32, v3
	v_lshlrev_b64 v[4:5], 3, v[4:5]
	s_delay_alu instid0(VALU_DEP_1) | instskip(NEXT) | instid1(VALU_DEP_2)
	v_add_co_u32 v7, vcc_lo, s10, v4
	v_add_co_ci_u32_e32 v8, vcc_lo, s11, v5, vcc_lo
	global_load_b64 v[5:6], v[7:8], off glc
	s_waitcnt vmcnt(0)
	v_and_b32_e32 v2, 0xff, v6
	s_delay_alu instid0(VALU_DEP_1)
	v_cmpx_eq_u16_e32 0, v2
	s_cbranch_execz .LBB683_91
; %bb.86:
	s_mov_b32 s21, 1
	.p2align	6
.LBB683_87:                             ; =>This Loop Header: Depth=1
                                        ;     Child Loop BB683_88 Depth 2
	s_delay_alu instid0(SALU_CYCLE_1)
	s_max_u32 s22, s21, 1
.LBB683_88:                             ;   Parent Loop BB683_87 Depth=1
                                        ; =>  This Inner Loop Header: Depth=2
	s_delay_alu instid0(SALU_CYCLE_1)
	s_add_i32 s22, s22, -1
	s_sleep 1
	s_cmp_eq_u32 s22, 0
	s_cbranch_scc0 .LBB683_88
; %bb.89:                               ;   in Loop: Header=BB683_87 Depth=1
	global_load_b64 v[5:6], v[7:8], off glc
	s_cmp_lt_u32 s21, 32
	s_cselect_b32 s22, -1, 0
	s_delay_alu instid0(SALU_CYCLE_1) | instskip(SKIP_3) | instid1(VALU_DEP_1)
	s_cmp_lg_u32 s22, 0
	s_addc_u32 s21, s21, 0
	s_waitcnt vmcnt(0)
	v_and_b32_e32 v2, 0xff, v6
	v_cmp_ne_u16_e32 vcc_lo, 0, v2
	s_or_b32 s20, vcc_lo, s20
	s_delay_alu instid0(SALU_CYCLE_1)
	s_and_not1_b32 exec_lo, exec_lo, s20
	s_cbranch_execnz .LBB683_87
; %bb.90:
	s_or_b32 exec_lo, exec_lo, s20
.LBB683_91:
	s_delay_alu instid0(SALU_CYCLE_1)
	s_or_b32 exec_lo, exec_lo, s19
	v_cmp_ne_u32_e32 vcc_lo, 31, v54
	v_lshlrev_b32_e64 v12, v54, -1
	v_add_nc_u32_e32 v18, 2, v54
	v_add_nc_u32_e32 v34, 4, v54
	;; [unrolled: 1-line block ×3, first 2 shown]
	v_add_co_ci_u32_e32 v2, vcc_lo, 0, v54, vcc_lo
	v_add_nc_u32_e32 v59, 16, v54
	s_delay_alu instid0(VALU_DEP_2)
	v_lshlrev_b32_e32 v11, 2, v2
	v_and_b32_e32 v2, 0xff, v6
	ds_bpermute_b32 v4, v11, v5
	v_cmp_eq_u16_e32 vcc_lo, 2, v2
	v_and_or_b32 v2, vcc_lo, v12, 0x80000000
	v_cmp_gt_u32_e32 vcc_lo, 30, v54
	s_delay_alu instid0(VALU_DEP_2) | instskip(SKIP_1) | instid1(VALU_DEP_2)
	v_ctz_i32_b32_e32 v2, v2
	v_cndmask_b32_e64 v7, 0, 1, vcc_lo
	v_cmp_lt_u32_e32 vcc_lo, v54, v2
	s_waitcnt lgkmcnt(0)
	s_delay_alu instid0(VALU_DEP_2) | instskip(NEXT) | instid1(VALU_DEP_1)
	v_dual_cndmask_b32 v4, 0, v4 :: v_dual_lshlrev_b32 v7, 1, v7
	v_add_lshl_u32 v17, v7, v54, 2
	v_cmp_gt_u32_e32 vcc_lo, 28, v54
	s_delay_alu instid0(VALU_DEP_3) | instskip(SKIP_4) | instid1(VALU_DEP_1)
	v_add_nc_u32_e32 v4, v4, v5
	v_cndmask_b32_e64 v7, 0, 1, vcc_lo
	v_cmp_le_u32_e32 vcc_lo, v18, v2
	ds_bpermute_b32 v5, v17, v4
	v_lshlrev_b32_e32 v7, 2, v7
	v_add_lshl_u32 v32, v7, v54, 2
	s_waitcnt lgkmcnt(0)
	v_cndmask_b32_e32 v5, 0, v5, vcc_lo
	v_cmp_gt_u32_e32 vcc_lo, 24, v54
	s_delay_alu instid0(VALU_DEP_2) | instskip(SKIP_4) | instid1(VALU_DEP_1)
	v_add_nc_u32_e32 v4, v4, v5
	v_cndmask_b32_e64 v7, 0, 1, vcc_lo
	v_cmp_le_u32_e32 vcc_lo, v34, v2
	ds_bpermute_b32 v5, v32, v4
	v_lshlrev_b32_e32 v7, 3, v7
	v_add_lshl_u32 v35, v7, v54, 2
	s_waitcnt lgkmcnt(0)
	v_cndmask_b32_e32 v5, 0, v5, vcc_lo
	v_cmp_gt_u32_e32 vcc_lo, 16, v54
	s_delay_alu instid0(VALU_DEP_2) | instskip(SKIP_4) | instid1(VALU_DEP_1)
	v_add_nc_u32_e32 v4, v4, v5
	v_cndmask_b32_e64 v7, 0, 1, vcc_lo
	v_cmp_le_u32_e32 vcc_lo, v57, v2
	ds_bpermute_b32 v5, v35, v4
	v_lshlrev_b32_e32 v7, 4, v7
	v_add_lshl_u32 v58, v7, v54, 2
	s_waitcnt lgkmcnt(0)
	v_cndmask_b32_e32 v5, 0, v5, vcc_lo
	v_cmp_le_u32_e32 vcc_lo, v59, v2
	s_delay_alu instid0(VALU_DEP_2) | instskip(SKIP_3) | instid1(VALU_DEP_1)
	v_add_nc_u32_e32 v4, v4, v5
	ds_bpermute_b32 v5, v58, v4
	s_waitcnt lgkmcnt(0)
	v_cndmask_b32_e32 v2, 0, v5, vcc_lo
	v_dual_mov_b32 v4, 0 :: v_dual_add_nc_u32 v5, v4, v2
	s_branch .LBB683_93
.LBB683_92:                             ;   in Loop: Header=BB683_93 Depth=1
	s_or_b32 exec_lo, exec_lo, s19
	ds_bpermute_b32 v8, v11, v5
	v_and_b32_e32 v7, 0xff, v6
	v_subrev_nc_u32_e32 v3, 32, v3
	s_delay_alu instid0(VALU_DEP_2) | instskip(SKIP_1) | instid1(VALU_DEP_1)
	v_cmp_eq_u16_e32 vcc_lo, 2, v7
	v_and_or_b32 v7, vcc_lo, v12, 0x80000000
	v_ctz_i32_b32_e32 v7, v7
	s_delay_alu instid0(VALU_DEP_1) | instskip(SKIP_3) | instid1(VALU_DEP_2)
	v_cmp_lt_u32_e32 vcc_lo, v54, v7
	s_waitcnt lgkmcnt(0)
	v_cndmask_b32_e32 v8, 0, v8, vcc_lo
	v_cmp_le_u32_e32 vcc_lo, v18, v7
	v_add_nc_u32_e32 v5, v8, v5
	ds_bpermute_b32 v8, v17, v5
	s_waitcnt lgkmcnt(0)
	v_cndmask_b32_e32 v8, 0, v8, vcc_lo
	v_cmp_le_u32_e32 vcc_lo, v34, v7
	s_delay_alu instid0(VALU_DEP_2) | instskip(SKIP_4) | instid1(VALU_DEP_2)
	v_add_nc_u32_e32 v5, v5, v8
	ds_bpermute_b32 v8, v32, v5
	s_waitcnt lgkmcnt(0)
	v_cndmask_b32_e32 v8, 0, v8, vcc_lo
	v_cmp_le_u32_e32 vcc_lo, v57, v7
	v_add_nc_u32_e32 v5, v5, v8
	ds_bpermute_b32 v8, v35, v5
	s_waitcnt lgkmcnt(0)
	v_cndmask_b32_e32 v8, 0, v8, vcc_lo
	v_cmp_le_u32_e32 vcc_lo, v59, v7
	s_delay_alu instid0(VALU_DEP_2) | instskip(SKIP_3) | instid1(VALU_DEP_1)
	v_add_nc_u32_e32 v5, v5, v8
	ds_bpermute_b32 v8, v58, v5
	s_waitcnt lgkmcnt(0)
	v_cndmask_b32_e32 v7, 0, v8, vcc_lo
	v_add3_u32 v5, v7, v2, v5
.LBB683_93:                             ; =>This Loop Header: Depth=1
                                        ;     Child Loop BB683_96 Depth 2
                                        ;       Child Loop BB683_97 Depth 3
	v_and_b32_e32 v2, 0xff, v6
	s_delay_alu instid0(VALU_DEP_1) | instskip(SKIP_2) | instid1(VALU_DEP_1)
	v_cmp_ne_u16_e32 vcc_lo, 2, v2
	v_cndmask_b32_e64 v2, 0, 1, vcc_lo
	;;#ASMSTART
	;;#ASMEND
	v_cmp_ne_u32_e32 vcc_lo, 0, v2
	v_mov_b32_e32 v2, v5
	s_cmp_lg_u32 vcc_lo, exec_lo
	s_cbranch_scc1 .LBB683_100
; %bb.94:                               ;   in Loop: Header=BB683_93 Depth=1
	v_lshlrev_b64 v[5:6], 3, v[3:4]
	s_mov_b32 s19, exec_lo
	s_delay_alu instid0(VALU_DEP_1) | instskip(NEXT) | instid1(VALU_DEP_2)
	v_add_co_u32 v7, vcc_lo, s10, v5
	v_add_co_ci_u32_e32 v8, vcc_lo, s11, v6, vcc_lo
	global_load_b64 v[5:6], v[7:8], off glc
	s_waitcnt vmcnt(0)
	v_and_b32_e32 v60, 0xff, v6
	s_delay_alu instid0(VALU_DEP_1)
	v_cmpx_eq_u16_e32 0, v60
	s_cbranch_execz .LBB683_92
; %bb.95:                               ;   in Loop: Header=BB683_93 Depth=1
	s_mov_b32 s21, 1
	s_mov_b32 s20, 0
	.p2align	6
.LBB683_96:                             ;   Parent Loop BB683_93 Depth=1
                                        ; =>  This Loop Header: Depth=2
                                        ;       Child Loop BB683_97 Depth 3
	s_max_u32 s22, s21, 1
.LBB683_97:                             ;   Parent Loop BB683_93 Depth=1
                                        ;     Parent Loop BB683_96 Depth=2
                                        ; =>    This Inner Loop Header: Depth=3
	s_delay_alu instid0(SALU_CYCLE_1)
	s_add_i32 s22, s22, -1
	s_sleep 1
	s_cmp_eq_u32 s22, 0
	s_cbranch_scc0 .LBB683_97
; %bb.98:                               ;   in Loop: Header=BB683_96 Depth=2
	global_load_b64 v[5:6], v[7:8], off glc
	s_cmp_lt_u32 s21, 32
	s_cselect_b32 s22, -1, 0
	s_delay_alu instid0(SALU_CYCLE_1) | instskip(SKIP_3) | instid1(VALU_DEP_1)
	s_cmp_lg_u32 s22, 0
	s_addc_u32 s21, s21, 0
	s_waitcnt vmcnt(0)
	v_and_b32_e32 v60, 0xff, v6
	v_cmp_ne_u16_e32 vcc_lo, 0, v60
	s_or_b32 s20, vcc_lo, s20
	s_delay_alu instid0(SALU_CYCLE_1)
	s_and_not1_b32 exec_lo, exec_lo, s20
	s_cbranch_execnz .LBB683_96
; %bb.99:                               ;   in Loop: Header=BB683_93 Depth=1
	s_or_b32 exec_lo, exec_lo, s20
	s_branch .LBB683_92
.LBB683_100:                            ;   in Loop: Header=BB683_93 Depth=1
                                        ; implicit-def: $vgpr5
                                        ; implicit-def: $vgpr6
	s_cbranch_execz .LBB683_93
; %bb.101:
	s_and_saveexec_b32 s19, s8
	s_cbranch_execz .LBB683_103
; %bb.102:
	s_add_i32 s20, s15, 32
	s_mov_b32 s21, 0
	v_dual_mov_b32 v4, 2 :: v_dual_add_nc_u32 v3, v2, v1
	s_lshl_b64 s[20:21], s[20:21], 3
	v_mov_b32_e32 v5, 0
	s_add_u32 s20, s10, s20
	s_addc_u32 s21, s11, s21
	global_store_b64 v5, v[3:4], s[20:21]
	ds_store_b64 v5, v[1:2] offset:5632
.LBB683_103:
	s_or_b32 exec_lo, exec_lo, s19
	v_cmp_eq_u32_e32 vcc_lo, 0, v0
	s_and_b32 exec_lo, exec_lo, vcc_lo
	s_cbranch_execz .LBB683_105
; %bb.104:
	v_mov_b32_e32 v1, 0
	ds_store_b32 v1, v2 offset:12
.LBB683_105:
	s_or_b32 exec_lo, exec_lo, s9
	s_waitcnt lgkmcnt(0)
	v_cndmask_b32_e64 v3, v10, v9, s8
	v_cmp_ne_u32_e32 vcc_lo, 0, v0
	s_waitcnt_vscnt null, 0x0
	s_barrier
	buffer_gl0_inv
	v_cndmask_b32_e32 v3, 0, v3, vcc_lo
	v_mov_b32_e32 v1, 0
	ds_load_b32 v2, v1 offset:12
	s_waitcnt lgkmcnt(0)
	s_barrier
	buffer_gl0_inv
	v_add_nc_u32_e32 v2, v2, v3
	ds_load_b64 v[17:18], v1 offset:5632
	v_add_nc_u32_e32 v3, v2, v45
	s_delay_alu instid0(VALU_DEP_1) | instskip(SKIP_1) | instid1(VALU_DEP_1)
	v_add_nc_u32_e32 v4, v3, v46
	s_waitcnt lgkmcnt(0)
	v_dual_mov_b32 v32, v18 :: v_dual_add_nc_u32 v5, v4, v47
	s_delay_alu instid0(VALU_DEP_1) | instskip(NEXT) | instid1(VALU_DEP_1)
	v_add_nc_u32_e32 v6, v5, v49
	v_add_nc_u32_e32 v7, v6, v48
	s_delay_alu instid0(VALU_DEP_1) | instskip(NEXT) | instid1(VALU_DEP_1)
	v_add_nc_u32_e32 v8, v7, v50
	v_add_nc_u32_e32 v9, v8, v51
	;; [unrolled: 3-line block ×3, first 2 shown]
	s_delay_alu instid0(VALU_DEP_1)
	v_add_nc_u32_e32 v12, v11, v53
	v_lshrrev_b64 v[34:35], 24, v[30:31]
	s_branch .LBB683_116
.LBB683_106:
                                        ; implicit-def: $vgpr32
                                        ; implicit-def: $vgpr2_vgpr3_vgpr4_vgpr5_vgpr6_vgpr7_vgpr8_vgpr9_vgpr10_vgpr11_vgpr12
                                        ; implicit-def: $vgpr17
	v_lshrrev_b64 v[34:35], 24, v[30:31]
	s_and_b32 vcc_lo, exec_lo, s8
	s_cbranch_vccz .LBB683_116
; %bb.107:
	v_mov_b32_dpp v1, v56 row_shr:1 row_mask:0xf bank_mask:0xf
	s_delay_alu instid0(VALU_DEP_1) | instskip(NEXT) | instid1(VALU_DEP_1)
	v_cndmask_b32_e64 v1, v1, 0, s7
	v_add_nc_u32_e32 v1, v1, v56
	s_delay_alu instid0(VALU_DEP_1) | instskip(NEXT) | instid1(VALU_DEP_1)
	v_mov_b32_dpp v2, v1 row_shr:2 row_mask:0xf bank_mask:0xf
	v_cndmask_b32_e64 v2, 0, v2, s6
	s_delay_alu instid0(VALU_DEP_1) | instskip(NEXT) | instid1(VALU_DEP_1)
	v_add_nc_u32_e32 v1, v1, v2
	v_mov_b32_dpp v2, v1 row_shr:4 row_mask:0xf bank_mask:0xf
	s_delay_alu instid0(VALU_DEP_1) | instskip(NEXT) | instid1(VALU_DEP_1)
	v_cndmask_b32_e64 v2, 0, v2, s5
	v_add_nc_u32_e32 v1, v1, v2
	s_delay_alu instid0(VALU_DEP_1) | instskip(NEXT) | instid1(VALU_DEP_1)
	v_mov_b32_dpp v2, v1 row_shr:8 row_mask:0xf bank_mask:0xf
	v_cndmask_b32_e64 v2, 0, v2, s4
	s_delay_alu instid0(VALU_DEP_1) | instskip(SKIP_3) | instid1(VALU_DEP_1)
	v_add_nc_u32_e32 v1, v1, v2
	ds_swizzle_b32 v2, v1 offset:swizzle(BROADCAST,32,15)
	s_waitcnt lgkmcnt(0)
	v_cndmask_b32_e64 v2, v2, 0, s3
	v_add_nc_u32_e32 v1, v1, v2
	s_and_saveexec_b32 s3, s2
	s_cbranch_execz .LBB683_109
; %bb.108:
	v_lshlrev_b32_e32 v2, 2, v55
	ds_store_b32 v2, v1
.LBB683_109:
	s_or_b32 exec_lo, exec_lo, s3
	s_delay_alu instid0(SALU_CYCLE_1)
	s_mov_b32 s2, exec_lo
	s_waitcnt lgkmcnt(0)
	s_barrier
	buffer_gl0_inv
	v_cmpx_gt_u32_e32 4, v0
	s_cbranch_execz .LBB683_111
; %bb.110:
	v_mad_i32_i24 v2, 0xffffffd8, v0, v44
	ds_load_b32 v3, v2
	s_waitcnt lgkmcnt(0)
	v_mov_b32_dpp v5, v3 row_shr:1 row_mask:0xf bank_mask:0xf
	v_and_b32_e32 v4, 3, v54
	s_delay_alu instid0(VALU_DEP_1) | instskip(NEXT) | instid1(VALU_DEP_3)
	v_cmp_ne_u32_e32 vcc_lo, 0, v4
	v_cndmask_b32_e32 v5, 0, v5, vcc_lo
	v_cmp_lt_u32_e32 vcc_lo, 1, v4
	s_delay_alu instid0(VALU_DEP_2) | instskip(NEXT) | instid1(VALU_DEP_1)
	v_add_nc_u32_e32 v3, v5, v3
	v_mov_b32_dpp v5, v3 row_shr:2 row_mask:0xf bank_mask:0xf
	s_delay_alu instid0(VALU_DEP_1) | instskip(NEXT) | instid1(VALU_DEP_1)
	v_cndmask_b32_e32 v4, 0, v5, vcc_lo
	v_add_nc_u32_e32 v3, v3, v4
	ds_store_b32 v2, v3
.LBB683_111:
	s_or_b32 exec_lo, exec_lo, s2
	v_dual_mov_b32 v3, 0 :: v_dual_mov_b32 v2, 0
	s_mov_b32 s2, exec_lo
	s_waitcnt lgkmcnt(0)
	s_barrier
	buffer_gl0_inv
	v_cmpx_lt_u32_e32 31, v0
	s_cbranch_execz .LBB683_113
; %bb.112:
	v_lshl_add_u32 v2, v55, 2, -4
	ds_load_b32 v2, v2
.LBB683_113:
	s_or_b32 exec_lo, exec_lo, s2
	v_add_nc_u32_e32 v4, -1, v54
	ds_load_b32 v17, v3 offset:12
	s_waitcnt lgkmcnt(1)
	v_add_nc_u32_e32 v1, v2, v1
	v_cmp_gt_i32_e32 vcc_lo, 0, v4
	v_cndmask_b32_e32 v4, v4, v54, vcc_lo
	v_cmp_eq_u32_e32 vcc_lo, 0, v0
	s_delay_alu instid0(VALU_DEP_2)
	v_lshlrev_b32_e32 v4, 2, v4
	ds_bpermute_b32 v1, v4, v1
	s_and_saveexec_b32 s2, vcc_lo
	s_cbranch_execz .LBB683_115
; %bb.114:
	v_dual_mov_b32 v3, 0 :: v_dual_mov_b32 v18, 2
	s_waitcnt lgkmcnt(1)
	global_store_b64 v3, v[17:18], s[10:11] offset:256
.LBB683_115:
	s_or_b32 exec_lo, exec_lo, s2
	v_cmp_eq_u32_e64 s2, 0, v54
	s_waitcnt lgkmcnt(0)
	s_waitcnt_vscnt null, 0x0
	s_barrier
	buffer_gl0_inv
	v_mov_b32_e32 v32, 0
	v_cndmask_b32_e64 v1, v1, v2, s2
	s_delay_alu instid0(VALU_DEP_1) | instskip(NEXT) | instid1(VALU_DEP_1)
	v_cndmask_b32_e64 v2, v1, 0, vcc_lo
	v_add_nc_u32_e32 v3, v2, v45
	s_delay_alu instid0(VALU_DEP_1) | instskip(NEXT) | instid1(VALU_DEP_1)
	v_add_nc_u32_e32 v4, v3, v46
	v_add_nc_u32_e32 v5, v4, v47
	s_delay_alu instid0(VALU_DEP_1) | instskip(NEXT) | instid1(VALU_DEP_1)
	v_add_nc_u32_e32 v6, v5, v49
	;; [unrolled: 3-line block ×4, first 2 shown]
	v_add_nc_u32_e32 v11, v10, v52
	s_delay_alu instid0(VALU_DEP_1)
	v_add_nc_u32_e32 v12, v11, v53
.LBB683_116:
	s_load_b128 s[4:7], s[0:1], 0x28
	v_add_nc_u32_e32 v48, v32, v17
	v_cmp_gt_u32_e64 s0, 0x81, v17
	v_lshrrev_b32_e32 v18, 16, v19
	v_lshrrev_b32_e32 v46, 16, v30
	;; [unrolled: 1-line block ×6, first 2 shown]
	v_cmp_lt_u32_e64 s1, v2, v48
	s_and_b32 vcc_lo, exec_lo, s0
	s_mov_b32 s2, -1
	s_cbranch_vccz .LBB683_151
; %bb.117:
	s_lshl_b64 s[2:3], s[12:13], 1
	s_waitcnt lgkmcnt(0)
	s_add_u32 s2, s4, s2
	s_addc_u32 s3, s5, s3
	s_or_b32 s8, s18, s1
	s_delay_alu instid0(SALU_CYCLE_1)
	s_and_saveexec_b32 s1, s8
	s_cbranch_execz .LBB683_120
; %bb.118:
	v_and_b32_e32 v1, 1, v30
	s_delay_alu instid0(VALU_DEP_1)
	v_cmp_eq_u32_e32 vcc_lo, 1, v1
	s_and_b32 exec_lo, exec_lo, vcc_lo
	s_cbranch_execz .LBB683_120
; %bb.119:
	v_dual_mov_b32 v50, 0 :: v_dual_mov_b32 v49, v2
	s_delay_alu instid0(VALU_DEP_1) | instskip(NEXT) | instid1(VALU_DEP_1)
	v_lshlrev_b64 v[49:50], 1, v[49:50]
	v_add_co_u32 v49, vcc_lo, s2, v49
	s_delay_alu instid0(VALU_DEP_2)
	v_add_co_ci_u32_e32 v50, vcc_lo, s3, v50, vcc_lo
	global_store_b16 v[49:50], v13, off
.LBB683_120:
	s_or_b32 exec_lo, exec_lo, s1
	v_cmp_lt_u32_e32 vcc_lo, v3, v48
	s_or_b32 s8, s18, vcc_lo
	s_delay_alu instid0(SALU_CYCLE_1)
	s_and_saveexec_b32 s1, s8
	s_cbranch_execz .LBB683_123
; %bb.121:
	v_and_b32_e32 v1, 1, v47
	s_delay_alu instid0(VALU_DEP_1)
	v_cmp_eq_u32_e32 vcc_lo, 1, v1
	s_and_b32 exec_lo, exec_lo, vcc_lo
	s_cbranch_execz .LBB683_123
; %bb.122:
	v_dual_mov_b32 v50, 0 :: v_dual_mov_b32 v49, v3
	s_delay_alu instid0(VALU_DEP_1) | instskip(NEXT) | instid1(VALU_DEP_1)
	v_lshlrev_b64 v[49:50], 1, v[49:50]
	v_add_co_u32 v49, vcc_lo, s2, v49
	s_delay_alu instid0(VALU_DEP_2)
	v_add_co_ci_u32_e32 v50, vcc_lo, s3, v50, vcc_lo
	global_store_b16 v[49:50], v43, off
.LBB683_123:
	s_or_b32 exec_lo, exec_lo, s1
	v_cmp_lt_u32_e32 vcc_lo, v4, v48
	s_or_b32 s8, s18, vcc_lo
	;; [unrolled: 21-line block ×10, first 2 shown]
	s_delay_alu instid0(SALU_CYCLE_1)
	s_and_saveexec_b32 s1, s8
	s_cbranch_execz .LBB683_150
; %bb.148:
	v_and_b32_e32 v1, 1, v18
	s_delay_alu instid0(VALU_DEP_1)
	v_cmp_eq_u32_e32 vcc_lo, 1, v1
	s_and_b32 exec_lo, exec_lo, vcc_lo
	s_cbranch_execz .LBB683_150
; %bb.149:
	v_dual_mov_b32 v50, 0 :: v_dual_mov_b32 v49, v12
	s_delay_alu instid0(VALU_DEP_1) | instskip(NEXT) | instid1(VALU_DEP_1)
	v_lshlrev_b64 v[49:50], 1, v[49:50]
	v_add_co_u32 v49, vcc_lo, s2, v49
	s_delay_alu instid0(VALU_DEP_2)
	v_add_co_ci_u32_e32 v50, vcc_lo, s3, v50, vcc_lo
	global_store_b16 v[49:50], v33, off
.LBB683_150:
	s_or_b32 exec_lo, exec_lo, s1
	s_mov_b32 s2, 0
.LBB683_151:
	v_and_b32_e32 v30, 1, v30
	s_and_b32 vcc_lo, exec_lo, s2
	s_delay_alu instid0(VALU_DEP_1)
	v_cmp_eq_u32_e64 s1, 1, v30
	s_cbranch_vccz .LBB683_190
; %bb.152:
	s_delay_alu instid0(VALU_DEP_1)
	s_and_saveexec_b32 s2, s1
	s_cbranch_execz .LBB683_154
; %bb.153:
	v_sub_nc_u32_e32 v1, v2, v32
	s_delay_alu instid0(VALU_DEP_1)
	v_lshlrev_b32_e32 v1, 1, v1
	ds_store_b16 v1, v13
.LBB683_154:
	s_or_b32 exec_lo, exec_lo, s2
	v_and_b32_e32 v1, 1, v47
	s_mov_b32 s1, exec_lo
	s_delay_alu instid0(VALU_DEP_1)
	v_cmpx_eq_u32_e32 1, v1
	s_cbranch_execz .LBB683_156
; %bb.155:
	v_sub_nc_u32_e32 v1, v3, v32
	s_delay_alu instid0(VALU_DEP_1)
	v_lshlrev_b32_e32 v1, 1, v1
	ds_store_b16 v1, v43
.LBB683_156:
	s_or_b32 exec_lo, exec_lo, s1
	v_and_b32_e32 v1, 1, v46
	s_mov_b32 s1, exec_lo
	s_delay_alu instid0(VALU_DEP_1)
	v_cmpx_eq_u32_e32 1, v1
	;; [unrolled: 12-line block ×10, first 2 shown]
	s_cbranch_execz .LBB683_174
; %bb.173:
	v_sub_nc_u32_e32 v1, v12, v32
	s_delay_alu instid0(VALU_DEP_1)
	v_lshlrev_b32_e32 v1, 1, v1
	ds_store_b16 v1, v33
.LBB683_174:
	s_or_b32 exec_lo, exec_lo, s1
	s_delay_alu instid0(SALU_CYCLE_1)
	s_mov_b32 s3, exec_lo
	s_waitcnt lgkmcnt(0)
	s_waitcnt_vscnt null, 0x0
	s_barrier
	buffer_gl0_inv
	v_cmpx_lt_u32_e64 v0, v17
	s_cbranch_execz .LBB683_189
; %bb.175:
	v_mov_b32_e32 v33, 0
	s_lshl_b64 s[8:9], s[12:13], 1
	v_xad_u32 v1, v0, -1, v17
	s_add_u32 s2, s4, s8
	s_addc_u32 s4, s5, s9
	v_lshlrev_b64 v[13:14], 1, v[32:33]
	s_delay_alu instid0(VALU_DEP_2) | instskip(NEXT) | instid1(VALU_DEP_2)
	v_cmp_gt_u32_e32 vcc_lo, 0xc80, v1
	v_add_co_u32 v33, s2, s2, v13
	s_delay_alu instid0(VALU_DEP_1)
	v_add_co_ci_u32_e64 v37, s2, s4, v14, s2
	v_mov_b32_e32 v13, v0
	s_mov_b32 s2, -1
	s_mov_b32 s4, exec_lo
	v_cmpx_lt_u32_e32 0xc7f, v1
	s_cbranch_execz .LBB683_186
; %bb.176:
	v_sub_nc_u32_e32 v13, v0, v17
	s_delay_alu instid0(VALU_DEP_1) | instskip(NEXT) | instid1(VALU_DEP_1)
	v_or_b32_e32 v13, 0x7f, v13
	v_cmp_ge_u32_e64 s1, v13, v0
	v_mov_b32_e32 v13, v0
	s_delay_alu instid0(VALU_DEP_2)
	s_and_saveexec_b32 s5, s1
	s_cbranch_execz .LBB683_185
; %bb.177:
	v_lshrrev_b32_e32 v38, 7, v1
	v_or_b32_e32 v1, 0x80, v0
	v_dual_mov_b32 v49, 0 :: v_dual_lshlrev_b32 v40, 1, v0
	s_delay_alu instid0(VALU_DEP_3) | instskip(NEXT) | instid1(VALU_DEP_1)
	v_add_nc_u32_e32 v13, -1, v38
	v_lshrrev_b32_e32 v14, 1, v13
	v_cmp_lt_u32_e64 s1, 13, v13
	s_delay_alu instid0(VALU_DEP_2) | instskip(SKIP_1) | instid1(VALU_DEP_3)
	v_dual_mov_b32 v14, v1 :: v_dual_add_nc_u32 v41, 1, v14
	v_mov_b32_e32 v13, v0
	s_and_saveexec_b32 s2, s1
	s_cbranch_execz .LBB683_181
; %bb.178:
	v_mov_b32_e32 v14, v1
	v_dual_mov_b32 v43, v40 :: v_dual_and_b32 v42, -8, v41
	v_dual_mov_b32 v16, 0 :: v_dual_mov_b32 v13, v0
	s_mov_b32 s8, 0
	s_mov_b32 s9, 0
.LBB683_179:                            ; =>This Inner Loop Header: Depth=1
	s_delay_alu instid0(VALU_DEP_1) | instskip(NEXT) | instid1(VALU_DEP_2)
	v_dual_mov_b32 v15, v13 :: v_dual_add_nc_u32 v50, 0x100, v14
	v_dual_mov_b32 v63, v16 :: v_dual_add_nc_u32 v42, -8, v42
	v_dual_mov_b32 v51, v16 :: v_dual_add_nc_u32 v52, 0x200, v14
	s_delay_alu instid0(VALU_DEP_3) | instskip(SKIP_1) | instid1(VALU_DEP_4)
	v_lshlrev_b64 v[64:65], 1, v[15:16]
	v_dual_mov_b32 v53, v16 :: v_dual_add_nc_u32 v54, 0x300, v14
	v_cmp_eq_u32_e64 s1, 0, v42
	s_delay_alu instid0(VALU_DEP_4)
	v_lshlrev_b64 v[50:51], 1, v[50:51]
	v_dual_mov_b32 v55, v16 :: v_dual_add_nc_u32 v56, 0x400, v14
	s_add_i32 s9, s9, 16
	v_lshlrev_b64 v[52:53], 1, v[52:53]
	s_or_b32 s8, s1, s8
	v_add_co_u32 v64, s1, v33, v64
	v_dual_mov_b32 v57, v16 :: v_dual_add_nc_u32 v58, 0x500, v14
	v_add_co_ci_u32_e64 v65, s1, v37, v65, s1
	v_lshlrev_b64 v[54:55], 1, v[54:55]
	v_add_co_u32 v50, s1, v33, v50
	v_dual_mov_b32 v59, v16 :: v_dual_add_nc_u32 v60, 0x600, v14
	v_add_co_ci_u32_e64 v51, s1, v37, v51, s1
	v_lshlrev_b64 v[56:57], 1, v[56:57]
	;; [unrolled: 4-line block ×3, first 2 shown]
	v_add_co_u32 v54, s1, v33, v54
	v_mov_b32_e32 v15, v14
	v_add_co_ci_u32_e64 v55, s1, v37, v55, s1
	v_lshlrev_b64 v[60:61], 1, v[60:61]
	v_add_co_u32 v56, s1, v33, v56
	ds_load_u16 v1, v43
	ds_load_u16 v70, v43 offset:256
	ds_load_u16 v71, v43 offset:512
	;; [unrolled: 1-line block ×7, first 2 shown]
	v_add_co_ci_u32_e64 v57, s1, v37, v57, s1
	v_lshlrev_b64 v[62:63], 1, v[62:63]
	v_add_co_u32 v58, s1, v33, v58
	v_lshlrev_b64 v[66:67], 1, v[15:16]
	v_add_nc_u32_e32 v15, 0x100, v13
	v_add_co_ci_u32_e64 v59, s1, v37, v59, s1
	v_add_co_u32 v60, s1, v33, v60
	s_delay_alu instid0(VALU_DEP_1)
	v_add_co_ci_u32_e64 v61, s1, v37, v61, s1
	v_add_co_u32 v62, s1, v33, v62
	v_lshlrev_b64 v[68:69], 1, v[15:16]
	v_add_nc_u32_e32 v15, 0x200, v13
	v_add_co_ci_u32_e64 v63, s1, v37, v63, s1
	v_add_co_u32 v66, s1, v33, v66
	ds_load_u16 v77, v43 offset:2048
	ds_load_u16 v78, v43 offset:2304
	;; [unrolled: 1-line block ×8, first 2 shown]
	v_add_co_ci_u32_e64 v67, s1, v37, v67, s1
	s_waitcnt lgkmcnt(15)
	global_store_b16 v[64:65], v1, off
	v_lshlrev_b64 v[64:65], 1, v[15:16]
	v_add_nc_u32_e32 v15, 0x300, v13
	v_add_co_u32 v68, s1, v33, v68
	s_delay_alu instid0(VALU_DEP_1)
	v_add_co_ci_u32_e64 v69, s1, v37, v69, s1
	s_waitcnt lgkmcnt(14)
	global_store_b16 v[66:67], v70, off
	v_lshlrev_b64 v[66:67], 1, v[15:16]
	v_add_nc_u32_e32 v15, 0x400, v13
	s_waitcnt lgkmcnt(13)
	global_store_b16 v[68:69], v71, off
	s_waitcnt lgkmcnt(12)
	global_store_b16 v[50:51], v72, off
	v_add_co_u32 v50, s1, v33, v64
	s_delay_alu instid0(VALU_DEP_1) | instskip(SKIP_3) | instid1(VALU_DEP_1)
	v_add_co_ci_u32_e64 v51, s1, v37, v65, s1
	v_lshlrev_b64 v[64:65], 1, v[15:16]
	v_add_nc_u32_e32 v15, 0x500, v13
	v_add_co_u32 v66, s1, v33, v66
	v_add_co_ci_u32_e64 v67, s1, v37, v67, s1
	s_waitcnt lgkmcnt(11)
	global_store_b16 v[50:51], v73, off
	s_waitcnt lgkmcnt(10)
	global_store_b16 v[52:53], v74, off
	v_lshlrev_b64 v[50:51], 1, v[15:16]
	v_add_nc_u32_e32 v15, 0x600, v13
	v_add_co_u32 v52, s1, v33, v64
	s_waitcnt lgkmcnt(9)
	global_store_b16 v[66:67], v75, off
	s_waitcnt lgkmcnt(8)
	global_store_b16 v[54:55], v76, off
	v_add_co_ci_u32_e64 v53, s1, v37, v65, s1
	v_lshlrev_b64 v[54:55], 1, v[15:16]
	v_add_nc_u32_e32 v15, 0x700, v13
	v_add_co_u32 v50, s1, v33, v50
	s_delay_alu instid0(VALU_DEP_1)
	v_add_co_ci_u32_e64 v51, s1, v37, v51, s1
	s_waitcnt lgkmcnt(7)
	global_store_b16 v[52:53], v77, off
	s_waitcnt lgkmcnt(6)
	global_store_b16 v[56:57], v78, off
	v_lshlrev_b64 v[52:53], 1, v[15:16]
	v_add_nc_u32_e32 v43, 0x1000, v43
	s_waitcnt lgkmcnt(5)
	global_store_b16 v[50:51], v79, off
	v_add_co_u32 v50, s1, v33, v54
	v_dual_mov_b32 v49, s9 :: v_dual_add_nc_u32 v14, 0x800, v14
	v_add_nc_u32_e32 v13, 0x800, v13
	v_add_co_ci_u32_e64 v51, s1, v37, v55, s1
	v_add_co_u32 v52, s1, v33, v52
	s_delay_alu instid0(VALU_DEP_1)
	v_add_co_ci_u32_e64 v53, s1, v37, v53, s1
	s_waitcnt lgkmcnt(4)
	global_store_b16 v[58:59], v80, off
	s_waitcnt lgkmcnt(3)
	global_store_b16 v[50:51], v81, off
	;; [unrolled: 2-line block ×5, first 2 shown]
	s_and_not1_b32 exec_lo, exec_lo, s8
	s_cbranch_execnz .LBB683_179
; %bb.180:
	s_or_b32 exec_lo, exec_lo, s8
.LBB683_181:
	s_delay_alu instid0(SALU_CYCLE_1) | instskip(SKIP_3) | instid1(VALU_DEP_1)
	s_or_b32 exec_lo, exec_lo, s2
	v_and_b32_e32 v1, 7, v41
	s_mov_b32 s9, 0
	s_mov_b32 s8, exec_lo
	v_cmpx_ne_u32_e32 0, v1
	s_cbranch_execz .LBB683_184
; %bb.182:
	v_lshl_or_b32 v40, v49, 8, v40
	v_mov_b32_e32 v16, 0
	s_set_inst_prefetch_distance 0x1
	.p2align	6
.LBB683_183:                            ; =>This Inner Loop Header: Depth=1
	v_mov_b32_e32 v15, v13
	ds_load_u16 v43, v40
	ds_load_u16 v51, v40 offset:256
	v_add_nc_u32_e32 v40, 0x200, v40
	v_add_nc_u32_e32 v1, -1, v1
	v_add_nc_u32_e32 v13, 0x100, v13
	v_lshlrev_b64 v[41:42], 1, v[15:16]
	v_dual_mov_b32 v15, v14 :: v_dual_add_nc_u32 v14, 0x100, v14
	s_delay_alu instid0(VALU_DEP_4) | instskip(NEXT) | instid1(VALU_DEP_2)
	v_cmp_eq_u32_e64 s1, 0, v1
	v_lshlrev_b64 v[49:50], 1, v[15:16]
	s_delay_alu instid0(VALU_DEP_4) | instskip(NEXT) | instid1(VALU_DEP_1)
	v_add_co_u32 v41, s2, v33, v41
	v_add_co_ci_u32_e64 v42, s2, v37, v42, s2
	s_delay_alu instid0(VALU_DEP_4) | instskip(NEXT) | instid1(VALU_DEP_3)
	s_or_b32 s9, s1, s9
	v_add_co_u32 v49, s2, v33, v49
	s_delay_alu instid0(VALU_DEP_1)
	v_add_co_ci_u32_e64 v50, s2, v37, v50, s2
	s_waitcnt lgkmcnt(1)
	global_store_b16 v[41:42], v43, off
	s_waitcnt lgkmcnt(0)
	global_store_b16 v[49:50], v51, off
	s_and_not1_b32 exec_lo, exec_lo, s9
	s_cbranch_execnz .LBB683_183
.LBB683_184:
	s_set_inst_prefetch_distance 0x2
	s_or_b32 exec_lo, exec_lo, s8
	v_add_nc_u32_e32 v1, 1, v38
	s_delay_alu instid0(VALU_DEP_1) | instskip(NEXT) | instid1(VALU_DEP_1)
	v_and_b32_e32 v13, 0x3fffffe, v1
	v_cmp_ne_u32_e64 s1, v1, v13
	v_lshl_or_b32 v13, v13, 7, v0
	s_delay_alu instid0(VALU_DEP_2)
	s_or_not1_b32 s2, s1, exec_lo
.LBB683_185:
	s_or_b32 exec_lo, exec_lo, s5
	s_delay_alu instid0(SALU_CYCLE_1) | instskip(SKIP_1) | instid1(SALU_CYCLE_1)
	s_and_not1_b32 s1, vcc_lo, exec_lo
	s_and_b32 s2, s2, exec_lo
	s_or_b32 vcc_lo, s1, s2
.LBB683_186:
	s_or_b32 exec_lo, exec_lo, s4
	s_delay_alu instid0(SALU_CYCLE_1)
	s_and_b32 exec_lo, exec_lo, vcc_lo
	s_cbranch_execz .LBB683_189
; %bb.187:
	v_dual_mov_b32 v14, 0 :: v_dual_lshlrev_b32 v1, 1, v13
	s_mov_b32 s2, 0
	.p2align	6
.LBB683_188:                            ; =>This Inner Loop Header: Depth=1
	ds_load_u16 v38, v1
	v_lshlrev_b64 v[15:16], 1, v[13:14]
	v_add_nc_u32_e32 v13, 0x80, v13
	v_add_nc_u32_e32 v1, 0x100, v1
	s_delay_alu instid0(VALU_DEP_2) | instskip(NEXT) | instid1(VALU_DEP_4)
	v_cmp_ge_u32_e32 vcc_lo, v13, v17
	v_add_co_u32 v15, s1, v33, v15
	s_delay_alu instid0(VALU_DEP_1)
	v_add_co_ci_u32_e64 v16, s1, v37, v16, s1
	s_or_b32 s2, vcc_lo, s2
	s_waitcnt lgkmcnt(0)
	global_store_b16 v[15:16], v38, off
	s_and_not1_b32 exec_lo, exec_lo, s2
	s_cbranch_execnz .LBB683_188
.LBB683_189:
	s_or_b32 exec_lo, exec_lo, s3
.LBB683_190:
	s_delay_alu instid0(SALU_CYCLE_1)
	s_and_b32 vcc_lo, exec_lo, s0
	s_mov_b32 s0, -1
	s_waitcnt lgkmcnt(0)
	s_waitcnt_vscnt null, 0x0
	s_barrier
	buffer_gl0_inv
	s_cbranch_vccnz .LBB683_194
; %bb.191:
	s_and_b32 vcc_lo, exec_lo, s0
	s_cbranch_vccnz .LBB683_228
.LBB683_192:
	v_cmp_eq_u32_e32 vcc_lo, 0, v0
	s_and_b32 s0, vcc_lo, s14
	s_delay_alu instid0(SALU_CYCLE_1)
	s_and_saveexec_b32 s1, s0
	s_cbranch_execnz .LBB683_254
.LBB683_193:
	s_nop 0
	s_sendmsg sendmsg(MSG_DEALLOC_VGPRS)
	s_endpgm
.LBB683_194:
	v_cmp_lt_u32_e32 vcc_lo, v2, v48
	s_lshl_b64 s[0:1], s[12:13], 2
	s_delay_alu instid0(SALU_CYCLE_1) | instskip(SKIP_2) | instid1(SALU_CYCLE_1)
	s_add_u32 s0, s6, s0
	s_addc_u32 s1, s7, s1
	s_or_b32 s3, s18, vcc_lo
	s_and_saveexec_b32 s2, s3
	s_cbranch_execz .LBB683_197
; %bb.195:
	v_cmp_eq_u32_e32 vcc_lo, 1, v30
	s_and_b32 exec_lo, exec_lo, vcc_lo
	s_cbranch_execz .LBB683_197
; %bb.196:
	v_dual_mov_b32 v14, 0 :: v_dual_mov_b32 v13, v2
	s_delay_alu instid0(VALU_DEP_1) | instskip(NEXT) | instid1(VALU_DEP_1)
	v_lshlrev_b64 v[13:14], 2, v[13:14]
	v_add_co_u32 v13, vcc_lo, s0, v13
	s_delay_alu instid0(VALU_DEP_2)
	v_add_co_ci_u32_e32 v14, vcc_lo, s1, v14, vcc_lo
	global_store_b32 v[13:14], v28, off
.LBB683_197:
	s_or_b32 exec_lo, exec_lo, s2
	v_cmp_lt_u32_e32 vcc_lo, v3, v48
	s_or_b32 s3, s18, vcc_lo
	s_delay_alu instid0(SALU_CYCLE_1)
	s_and_saveexec_b32 s2, s3
	s_cbranch_execz .LBB683_200
; %bb.198:
	v_and_b32_e32 v1, 1, v47
	s_delay_alu instid0(VALU_DEP_1)
	v_cmp_eq_u32_e32 vcc_lo, 1, v1
	s_and_b32 exec_lo, exec_lo, vcc_lo
	s_cbranch_execz .LBB683_200
; %bb.199:
	v_dual_mov_b32 v14, 0 :: v_dual_mov_b32 v13, v3
	s_delay_alu instid0(VALU_DEP_1) | instskip(NEXT) | instid1(VALU_DEP_1)
	v_lshlrev_b64 v[13:14], 2, v[13:14]
	v_add_co_u32 v13, vcc_lo, s0, v13
	s_delay_alu instid0(VALU_DEP_2)
	v_add_co_ci_u32_e32 v14, vcc_lo, s1, v14, vcc_lo
	global_store_b32 v[13:14], v29, off
.LBB683_200:
	s_or_b32 exec_lo, exec_lo, s2
	v_cmp_lt_u32_e32 vcc_lo, v4, v48
	s_or_b32 s3, s18, vcc_lo
	s_delay_alu instid0(SALU_CYCLE_1)
	s_and_saveexec_b32 s2, s3
	s_cbranch_execz .LBB683_203
; %bb.201:
	v_and_b32_e32 v1, 1, v46
	s_delay_alu instid0(VALU_DEP_1)
	v_cmp_eq_u32_e32 vcc_lo, 1, v1
	s_and_b32 exec_lo, exec_lo, vcc_lo
	s_cbranch_execz .LBB683_203
; %bb.202:
	v_dual_mov_b32 v14, 0 :: v_dual_mov_b32 v13, v4
	s_delay_alu instid0(VALU_DEP_1) | instskip(NEXT) | instid1(VALU_DEP_1)
	v_lshlrev_b64 v[13:14], 2, v[13:14]
	v_add_co_u32 v13, vcc_lo, s0, v13
	s_delay_alu instid0(VALU_DEP_2)
	v_add_co_ci_u32_e32 v14, vcc_lo, s1, v14, vcc_lo
	global_store_b32 v[13:14], v26, off
.LBB683_203:
	;; [unrolled: 21-line block ×10, first 2 shown]
	s_or_b32 exec_lo, exec_lo, s2
	s_branch .LBB683_192
.LBB683_228:
	s_mov_b32 s0, exec_lo
	v_cmpx_eq_u32_e32 1, v30
	s_cbranch_execz .LBB683_230
; %bb.229:
	v_sub_nc_u32_e32 v1, v2, v32
	s_delay_alu instid0(VALU_DEP_1)
	v_lshlrev_b32_e32 v1, 2, v1
	ds_store_b32 v1, v28
.LBB683_230:
	s_or_b32 exec_lo, exec_lo, s0
	v_and_b32_e32 v1, 1, v47
	s_mov_b32 s0, exec_lo
	s_delay_alu instid0(VALU_DEP_1)
	v_cmpx_eq_u32_e32 1, v1
	s_cbranch_execz .LBB683_232
; %bb.231:
	v_sub_nc_u32_e32 v1, v3, v32
	s_delay_alu instid0(VALU_DEP_1)
	v_lshlrev_b32_e32 v1, 2, v1
	ds_store_b32 v1, v29
.LBB683_232:
	s_or_b32 exec_lo, exec_lo, s0
	v_and_b32_e32 v1, 1, v46
	s_mov_b32 s0, exec_lo
	s_delay_alu instid0(VALU_DEP_1)
	;; [unrolled: 12-line block ×10, first 2 shown]
	v_cmpx_eq_u32_e32 1, v1
	s_cbranch_execz .LBB683_250
; %bb.249:
	v_sub_nc_u32_e32 v1, v12, v32
	s_delay_alu instid0(VALU_DEP_1)
	v_lshlrev_b32_e32 v1, 2, v1
	ds_store_b32 v1, v36
.LBB683_250:
	s_or_b32 exec_lo, exec_lo, s0
	s_delay_alu instid0(SALU_CYCLE_1)
	s_mov_b32 s1, exec_lo
	s_waitcnt lgkmcnt(0)
	s_waitcnt_vscnt null, 0x0
	s_barrier
	buffer_gl0_inv
	v_cmpx_lt_u32_e64 v0, v17
	s_cbranch_execz .LBB683_253
; %bb.251:
	v_dual_mov_b32 v2, 0 :: v_dual_lshlrev_b32 v3, 2, v0
	s_lshl_b64 s[2:3], s[12:13], 2
	v_mov_b32_e32 v1, v0
	s_add_u32 s0, s6, s2
	s_delay_alu instid0(VALU_DEP_2) | instskip(SKIP_1) | instid1(VALU_DEP_1)
	v_mov_b32_e32 v33, v2
	s_addc_u32 s2, s7, s3
	v_lshlrev_b64 v[4:5], 2, v[32:33]
	s_delay_alu instid0(VALU_DEP_1) | instskip(NEXT) | instid1(VALU_DEP_2)
	v_add_co_u32 v4, vcc_lo, s0, v4
	v_add_co_ci_u32_e32 v5, vcc_lo, s2, v5, vcc_lo
	s_mov_b32 s2, 0
	.p2align	6
.LBB683_252:                            ; =>This Inner Loop Header: Depth=1
	ds_load_b32 v8, v3
	v_lshlrev_b64 v[6:7], 2, v[1:2]
	v_add_nc_u32_e32 v1, 0x80, v1
	v_add_nc_u32_e32 v3, 0x200, v3
	s_delay_alu instid0(VALU_DEP_2) | instskip(NEXT) | instid1(VALU_DEP_4)
	v_cmp_ge_u32_e32 vcc_lo, v1, v17
	v_add_co_u32 v6, s0, v4, v6
	s_delay_alu instid0(VALU_DEP_1)
	v_add_co_ci_u32_e64 v7, s0, v5, v7, s0
	s_or_b32 s2, vcc_lo, s2
	s_waitcnt lgkmcnt(0)
	global_store_b32 v[6:7], v8, off
	s_and_not1_b32 exec_lo, exec_lo, s2
	s_cbranch_execnz .LBB683_252
.LBB683_253:
	s_or_b32 exec_lo, exec_lo, s1
	v_cmp_eq_u32_e32 vcc_lo, 0, v0
	s_and_b32 s0, vcc_lo, s14
	s_delay_alu instid0(SALU_CYCLE_1)
	s_and_saveexec_b32 s1, s0
	s_cbranch_execz .LBB683_193
.LBB683_254:
	v_add_co_u32 v0, s0, s12, v17
	s_delay_alu instid0(VALU_DEP_1) | instskip(SKIP_1) | instid1(VALU_DEP_3)
	v_add_co_ci_u32_e64 v1, null, s13, 0, s0
	v_mov_b32_e32 v2, 0
	v_add_co_u32 v0, vcc_lo, v0, v32
	s_delay_alu instid0(VALU_DEP_3)
	v_add_co_ci_u32_e32 v1, vcc_lo, 0, v1, vcc_lo
	global_store_b64 v2, v[0:1], s[16:17]
	s_nop 0
	s_sendmsg sendmsg(MSG_DEALLOC_VGPRS)
	s_endpgm
.LBB683_255:
	s_or_b32 exec_lo, exec_lo, s3
	s_and_saveexec_b32 s3, s22
	s_cbranch_execnz .LBB683_72
	s_branch .LBB683_73
	.section	.rodata,"a",@progbits
	.p2align	6, 0x0
	.amdhsa_kernel _ZN7rocprim17ROCPRIM_400000_NS6detail17trampoline_kernelINS0_14default_configENS1_25partition_config_selectorILNS1_17partition_subalgoE9EsjbEEZZNS1_14partition_implILS5_9ELb0ES3_jN6thrust23THRUST_200600_302600_NS6detail15normal_iteratorINS9_10device_ptrIsEEEENSB_INSC_IjEEEEPNS0_10empty_typeENS0_5tupleIJSE_SH_EEENSJ_IJSG_SI_EEENS0_18inequality_wrapperINS9_8equal_toIsEEEEPmJSH_EEE10hipError_tPvRmT3_T4_T5_T6_T7_T9_mT8_P12ihipStream_tbDpT10_ENKUlT_T0_E_clISt17integral_constantIbLb1EES19_IbLb0EEEEDaS15_S16_EUlS15_E_NS1_11comp_targetILNS1_3genE9ELNS1_11target_archE1100ELNS1_3gpuE3ELNS1_3repE0EEENS1_30default_config_static_selectorELNS0_4arch9wavefront6targetE0EEEvT1_
		.amdhsa_group_segment_fixed_size 5640
		.amdhsa_private_segment_fixed_size 0
		.amdhsa_kernarg_size 112
		.amdhsa_user_sgpr_count 15
		.amdhsa_user_sgpr_dispatch_ptr 0
		.amdhsa_user_sgpr_queue_ptr 0
		.amdhsa_user_sgpr_kernarg_segment_ptr 1
		.amdhsa_user_sgpr_dispatch_id 0
		.amdhsa_user_sgpr_private_segment_size 0
		.amdhsa_wavefront_size32 1
		.amdhsa_uses_dynamic_stack 0
		.amdhsa_enable_private_segment 0
		.amdhsa_system_sgpr_workgroup_id_x 1
		.amdhsa_system_sgpr_workgroup_id_y 0
		.amdhsa_system_sgpr_workgroup_id_z 0
		.amdhsa_system_sgpr_workgroup_info 0
		.amdhsa_system_vgpr_workitem_id 0
		.amdhsa_next_free_vgpr 85
		.amdhsa_next_free_sgpr 24
		.amdhsa_reserve_vcc 1
		.amdhsa_float_round_mode_32 0
		.amdhsa_float_round_mode_16_64 0
		.amdhsa_float_denorm_mode_32 3
		.amdhsa_float_denorm_mode_16_64 3
		.amdhsa_dx10_clamp 1
		.amdhsa_ieee_mode 1
		.amdhsa_fp16_overflow 0
		.amdhsa_workgroup_processor_mode 1
		.amdhsa_memory_ordered 1
		.amdhsa_forward_progress 0
		.amdhsa_shared_vgpr_count 0
		.amdhsa_exception_fp_ieee_invalid_op 0
		.amdhsa_exception_fp_denorm_src 0
		.amdhsa_exception_fp_ieee_div_zero 0
		.amdhsa_exception_fp_ieee_overflow 0
		.amdhsa_exception_fp_ieee_underflow 0
		.amdhsa_exception_fp_ieee_inexact 0
		.amdhsa_exception_int_div_zero 0
	.end_amdhsa_kernel
	.section	.text._ZN7rocprim17ROCPRIM_400000_NS6detail17trampoline_kernelINS0_14default_configENS1_25partition_config_selectorILNS1_17partition_subalgoE9EsjbEEZZNS1_14partition_implILS5_9ELb0ES3_jN6thrust23THRUST_200600_302600_NS6detail15normal_iteratorINS9_10device_ptrIsEEEENSB_INSC_IjEEEEPNS0_10empty_typeENS0_5tupleIJSE_SH_EEENSJ_IJSG_SI_EEENS0_18inequality_wrapperINS9_8equal_toIsEEEEPmJSH_EEE10hipError_tPvRmT3_T4_T5_T6_T7_T9_mT8_P12ihipStream_tbDpT10_ENKUlT_T0_E_clISt17integral_constantIbLb1EES19_IbLb0EEEEDaS15_S16_EUlS15_E_NS1_11comp_targetILNS1_3genE9ELNS1_11target_archE1100ELNS1_3gpuE3ELNS1_3repE0EEENS1_30default_config_static_selectorELNS0_4arch9wavefront6targetE0EEEvT1_,"axG",@progbits,_ZN7rocprim17ROCPRIM_400000_NS6detail17trampoline_kernelINS0_14default_configENS1_25partition_config_selectorILNS1_17partition_subalgoE9EsjbEEZZNS1_14partition_implILS5_9ELb0ES3_jN6thrust23THRUST_200600_302600_NS6detail15normal_iteratorINS9_10device_ptrIsEEEENSB_INSC_IjEEEEPNS0_10empty_typeENS0_5tupleIJSE_SH_EEENSJ_IJSG_SI_EEENS0_18inequality_wrapperINS9_8equal_toIsEEEEPmJSH_EEE10hipError_tPvRmT3_T4_T5_T6_T7_T9_mT8_P12ihipStream_tbDpT10_ENKUlT_T0_E_clISt17integral_constantIbLb1EES19_IbLb0EEEEDaS15_S16_EUlS15_E_NS1_11comp_targetILNS1_3genE9ELNS1_11target_archE1100ELNS1_3gpuE3ELNS1_3repE0EEENS1_30default_config_static_selectorELNS0_4arch9wavefront6targetE0EEEvT1_,comdat
.Lfunc_end683:
	.size	_ZN7rocprim17ROCPRIM_400000_NS6detail17trampoline_kernelINS0_14default_configENS1_25partition_config_selectorILNS1_17partition_subalgoE9EsjbEEZZNS1_14partition_implILS5_9ELb0ES3_jN6thrust23THRUST_200600_302600_NS6detail15normal_iteratorINS9_10device_ptrIsEEEENSB_INSC_IjEEEEPNS0_10empty_typeENS0_5tupleIJSE_SH_EEENSJ_IJSG_SI_EEENS0_18inequality_wrapperINS9_8equal_toIsEEEEPmJSH_EEE10hipError_tPvRmT3_T4_T5_T6_T7_T9_mT8_P12ihipStream_tbDpT10_ENKUlT_T0_E_clISt17integral_constantIbLb1EES19_IbLb0EEEEDaS15_S16_EUlS15_E_NS1_11comp_targetILNS1_3genE9ELNS1_11target_archE1100ELNS1_3gpuE3ELNS1_3repE0EEENS1_30default_config_static_selectorELNS0_4arch9wavefront6targetE0EEEvT1_, .Lfunc_end683-_ZN7rocprim17ROCPRIM_400000_NS6detail17trampoline_kernelINS0_14default_configENS1_25partition_config_selectorILNS1_17partition_subalgoE9EsjbEEZZNS1_14partition_implILS5_9ELb0ES3_jN6thrust23THRUST_200600_302600_NS6detail15normal_iteratorINS9_10device_ptrIsEEEENSB_INSC_IjEEEEPNS0_10empty_typeENS0_5tupleIJSE_SH_EEENSJ_IJSG_SI_EEENS0_18inequality_wrapperINS9_8equal_toIsEEEEPmJSH_EEE10hipError_tPvRmT3_T4_T5_T6_T7_T9_mT8_P12ihipStream_tbDpT10_ENKUlT_T0_E_clISt17integral_constantIbLb1EES19_IbLb0EEEEDaS15_S16_EUlS15_E_NS1_11comp_targetILNS1_3genE9ELNS1_11target_archE1100ELNS1_3gpuE3ELNS1_3repE0EEENS1_30default_config_static_selectorELNS0_4arch9wavefront6targetE0EEEvT1_
                                        ; -- End function
	.section	.AMDGPU.csdata,"",@progbits
; Kernel info:
; codeLenInByte = 11968
; NumSgprs: 26
; NumVgprs: 85
; ScratchSize: 0
; MemoryBound: 0
; FloatMode: 240
; IeeeMode: 1
; LDSByteSize: 5640 bytes/workgroup (compile time only)
; SGPRBlocks: 3
; VGPRBlocks: 10
; NumSGPRsForWavesPerEU: 26
; NumVGPRsForWavesPerEU: 85
; Occupancy: 16
; WaveLimiterHint : 1
; COMPUTE_PGM_RSRC2:SCRATCH_EN: 0
; COMPUTE_PGM_RSRC2:USER_SGPR: 15
; COMPUTE_PGM_RSRC2:TRAP_HANDLER: 0
; COMPUTE_PGM_RSRC2:TGID_X_EN: 1
; COMPUTE_PGM_RSRC2:TGID_Y_EN: 0
; COMPUTE_PGM_RSRC2:TGID_Z_EN: 0
; COMPUTE_PGM_RSRC2:TIDIG_COMP_CNT: 0
	.section	.text._ZN7rocprim17ROCPRIM_400000_NS6detail17trampoline_kernelINS0_14default_configENS1_25partition_config_selectorILNS1_17partition_subalgoE9EsjbEEZZNS1_14partition_implILS5_9ELb0ES3_jN6thrust23THRUST_200600_302600_NS6detail15normal_iteratorINS9_10device_ptrIsEEEENSB_INSC_IjEEEEPNS0_10empty_typeENS0_5tupleIJSE_SH_EEENSJ_IJSG_SI_EEENS0_18inequality_wrapperINS9_8equal_toIsEEEEPmJSH_EEE10hipError_tPvRmT3_T4_T5_T6_T7_T9_mT8_P12ihipStream_tbDpT10_ENKUlT_T0_E_clISt17integral_constantIbLb1EES19_IbLb0EEEEDaS15_S16_EUlS15_E_NS1_11comp_targetILNS1_3genE8ELNS1_11target_archE1030ELNS1_3gpuE2ELNS1_3repE0EEENS1_30default_config_static_selectorELNS0_4arch9wavefront6targetE0EEEvT1_,"axG",@progbits,_ZN7rocprim17ROCPRIM_400000_NS6detail17trampoline_kernelINS0_14default_configENS1_25partition_config_selectorILNS1_17partition_subalgoE9EsjbEEZZNS1_14partition_implILS5_9ELb0ES3_jN6thrust23THRUST_200600_302600_NS6detail15normal_iteratorINS9_10device_ptrIsEEEENSB_INSC_IjEEEEPNS0_10empty_typeENS0_5tupleIJSE_SH_EEENSJ_IJSG_SI_EEENS0_18inequality_wrapperINS9_8equal_toIsEEEEPmJSH_EEE10hipError_tPvRmT3_T4_T5_T6_T7_T9_mT8_P12ihipStream_tbDpT10_ENKUlT_T0_E_clISt17integral_constantIbLb1EES19_IbLb0EEEEDaS15_S16_EUlS15_E_NS1_11comp_targetILNS1_3genE8ELNS1_11target_archE1030ELNS1_3gpuE2ELNS1_3repE0EEENS1_30default_config_static_selectorELNS0_4arch9wavefront6targetE0EEEvT1_,comdat
	.protected	_ZN7rocprim17ROCPRIM_400000_NS6detail17trampoline_kernelINS0_14default_configENS1_25partition_config_selectorILNS1_17partition_subalgoE9EsjbEEZZNS1_14partition_implILS5_9ELb0ES3_jN6thrust23THRUST_200600_302600_NS6detail15normal_iteratorINS9_10device_ptrIsEEEENSB_INSC_IjEEEEPNS0_10empty_typeENS0_5tupleIJSE_SH_EEENSJ_IJSG_SI_EEENS0_18inequality_wrapperINS9_8equal_toIsEEEEPmJSH_EEE10hipError_tPvRmT3_T4_T5_T6_T7_T9_mT8_P12ihipStream_tbDpT10_ENKUlT_T0_E_clISt17integral_constantIbLb1EES19_IbLb0EEEEDaS15_S16_EUlS15_E_NS1_11comp_targetILNS1_3genE8ELNS1_11target_archE1030ELNS1_3gpuE2ELNS1_3repE0EEENS1_30default_config_static_selectorELNS0_4arch9wavefront6targetE0EEEvT1_ ; -- Begin function _ZN7rocprim17ROCPRIM_400000_NS6detail17trampoline_kernelINS0_14default_configENS1_25partition_config_selectorILNS1_17partition_subalgoE9EsjbEEZZNS1_14partition_implILS5_9ELb0ES3_jN6thrust23THRUST_200600_302600_NS6detail15normal_iteratorINS9_10device_ptrIsEEEENSB_INSC_IjEEEEPNS0_10empty_typeENS0_5tupleIJSE_SH_EEENSJ_IJSG_SI_EEENS0_18inequality_wrapperINS9_8equal_toIsEEEEPmJSH_EEE10hipError_tPvRmT3_T4_T5_T6_T7_T9_mT8_P12ihipStream_tbDpT10_ENKUlT_T0_E_clISt17integral_constantIbLb1EES19_IbLb0EEEEDaS15_S16_EUlS15_E_NS1_11comp_targetILNS1_3genE8ELNS1_11target_archE1030ELNS1_3gpuE2ELNS1_3repE0EEENS1_30default_config_static_selectorELNS0_4arch9wavefront6targetE0EEEvT1_
	.globl	_ZN7rocprim17ROCPRIM_400000_NS6detail17trampoline_kernelINS0_14default_configENS1_25partition_config_selectorILNS1_17partition_subalgoE9EsjbEEZZNS1_14partition_implILS5_9ELb0ES3_jN6thrust23THRUST_200600_302600_NS6detail15normal_iteratorINS9_10device_ptrIsEEEENSB_INSC_IjEEEEPNS0_10empty_typeENS0_5tupleIJSE_SH_EEENSJ_IJSG_SI_EEENS0_18inequality_wrapperINS9_8equal_toIsEEEEPmJSH_EEE10hipError_tPvRmT3_T4_T5_T6_T7_T9_mT8_P12ihipStream_tbDpT10_ENKUlT_T0_E_clISt17integral_constantIbLb1EES19_IbLb0EEEEDaS15_S16_EUlS15_E_NS1_11comp_targetILNS1_3genE8ELNS1_11target_archE1030ELNS1_3gpuE2ELNS1_3repE0EEENS1_30default_config_static_selectorELNS0_4arch9wavefront6targetE0EEEvT1_
	.p2align	8
	.type	_ZN7rocprim17ROCPRIM_400000_NS6detail17trampoline_kernelINS0_14default_configENS1_25partition_config_selectorILNS1_17partition_subalgoE9EsjbEEZZNS1_14partition_implILS5_9ELb0ES3_jN6thrust23THRUST_200600_302600_NS6detail15normal_iteratorINS9_10device_ptrIsEEEENSB_INSC_IjEEEEPNS0_10empty_typeENS0_5tupleIJSE_SH_EEENSJ_IJSG_SI_EEENS0_18inequality_wrapperINS9_8equal_toIsEEEEPmJSH_EEE10hipError_tPvRmT3_T4_T5_T6_T7_T9_mT8_P12ihipStream_tbDpT10_ENKUlT_T0_E_clISt17integral_constantIbLb1EES19_IbLb0EEEEDaS15_S16_EUlS15_E_NS1_11comp_targetILNS1_3genE8ELNS1_11target_archE1030ELNS1_3gpuE2ELNS1_3repE0EEENS1_30default_config_static_selectorELNS0_4arch9wavefront6targetE0EEEvT1_,@function
_ZN7rocprim17ROCPRIM_400000_NS6detail17trampoline_kernelINS0_14default_configENS1_25partition_config_selectorILNS1_17partition_subalgoE9EsjbEEZZNS1_14partition_implILS5_9ELb0ES3_jN6thrust23THRUST_200600_302600_NS6detail15normal_iteratorINS9_10device_ptrIsEEEENSB_INSC_IjEEEEPNS0_10empty_typeENS0_5tupleIJSE_SH_EEENSJ_IJSG_SI_EEENS0_18inequality_wrapperINS9_8equal_toIsEEEEPmJSH_EEE10hipError_tPvRmT3_T4_T5_T6_T7_T9_mT8_P12ihipStream_tbDpT10_ENKUlT_T0_E_clISt17integral_constantIbLb1EES19_IbLb0EEEEDaS15_S16_EUlS15_E_NS1_11comp_targetILNS1_3genE8ELNS1_11target_archE1030ELNS1_3gpuE2ELNS1_3repE0EEENS1_30default_config_static_selectorELNS0_4arch9wavefront6targetE0EEEvT1_: ; @_ZN7rocprim17ROCPRIM_400000_NS6detail17trampoline_kernelINS0_14default_configENS1_25partition_config_selectorILNS1_17partition_subalgoE9EsjbEEZZNS1_14partition_implILS5_9ELb0ES3_jN6thrust23THRUST_200600_302600_NS6detail15normal_iteratorINS9_10device_ptrIsEEEENSB_INSC_IjEEEEPNS0_10empty_typeENS0_5tupleIJSE_SH_EEENSJ_IJSG_SI_EEENS0_18inequality_wrapperINS9_8equal_toIsEEEEPmJSH_EEE10hipError_tPvRmT3_T4_T5_T6_T7_T9_mT8_P12ihipStream_tbDpT10_ENKUlT_T0_E_clISt17integral_constantIbLb1EES19_IbLb0EEEEDaS15_S16_EUlS15_E_NS1_11comp_targetILNS1_3genE8ELNS1_11target_archE1030ELNS1_3gpuE2ELNS1_3repE0EEENS1_30default_config_static_selectorELNS0_4arch9wavefront6targetE0EEEvT1_
; %bb.0:
	.section	.rodata,"a",@progbits
	.p2align	6, 0x0
	.amdhsa_kernel _ZN7rocprim17ROCPRIM_400000_NS6detail17trampoline_kernelINS0_14default_configENS1_25partition_config_selectorILNS1_17partition_subalgoE9EsjbEEZZNS1_14partition_implILS5_9ELb0ES3_jN6thrust23THRUST_200600_302600_NS6detail15normal_iteratorINS9_10device_ptrIsEEEENSB_INSC_IjEEEEPNS0_10empty_typeENS0_5tupleIJSE_SH_EEENSJ_IJSG_SI_EEENS0_18inequality_wrapperINS9_8equal_toIsEEEEPmJSH_EEE10hipError_tPvRmT3_T4_T5_T6_T7_T9_mT8_P12ihipStream_tbDpT10_ENKUlT_T0_E_clISt17integral_constantIbLb1EES19_IbLb0EEEEDaS15_S16_EUlS15_E_NS1_11comp_targetILNS1_3genE8ELNS1_11target_archE1030ELNS1_3gpuE2ELNS1_3repE0EEENS1_30default_config_static_selectorELNS0_4arch9wavefront6targetE0EEEvT1_
		.amdhsa_group_segment_fixed_size 0
		.amdhsa_private_segment_fixed_size 0
		.amdhsa_kernarg_size 112
		.amdhsa_user_sgpr_count 15
		.amdhsa_user_sgpr_dispatch_ptr 0
		.amdhsa_user_sgpr_queue_ptr 0
		.amdhsa_user_sgpr_kernarg_segment_ptr 1
		.amdhsa_user_sgpr_dispatch_id 0
		.amdhsa_user_sgpr_private_segment_size 0
		.amdhsa_wavefront_size32 1
		.amdhsa_uses_dynamic_stack 0
		.amdhsa_enable_private_segment 0
		.amdhsa_system_sgpr_workgroup_id_x 1
		.amdhsa_system_sgpr_workgroup_id_y 0
		.amdhsa_system_sgpr_workgroup_id_z 0
		.amdhsa_system_sgpr_workgroup_info 0
		.amdhsa_system_vgpr_workitem_id 0
		.amdhsa_next_free_vgpr 1
		.amdhsa_next_free_sgpr 1
		.amdhsa_reserve_vcc 0
		.amdhsa_float_round_mode_32 0
		.amdhsa_float_round_mode_16_64 0
		.amdhsa_float_denorm_mode_32 3
		.amdhsa_float_denorm_mode_16_64 3
		.amdhsa_dx10_clamp 1
		.amdhsa_ieee_mode 1
		.amdhsa_fp16_overflow 0
		.amdhsa_workgroup_processor_mode 1
		.amdhsa_memory_ordered 1
		.amdhsa_forward_progress 0
		.amdhsa_shared_vgpr_count 0
		.amdhsa_exception_fp_ieee_invalid_op 0
		.amdhsa_exception_fp_denorm_src 0
		.amdhsa_exception_fp_ieee_div_zero 0
		.amdhsa_exception_fp_ieee_overflow 0
		.amdhsa_exception_fp_ieee_underflow 0
		.amdhsa_exception_fp_ieee_inexact 0
		.amdhsa_exception_int_div_zero 0
	.end_amdhsa_kernel
	.section	.text._ZN7rocprim17ROCPRIM_400000_NS6detail17trampoline_kernelINS0_14default_configENS1_25partition_config_selectorILNS1_17partition_subalgoE9EsjbEEZZNS1_14partition_implILS5_9ELb0ES3_jN6thrust23THRUST_200600_302600_NS6detail15normal_iteratorINS9_10device_ptrIsEEEENSB_INSC_IjEEEEPNS0_10empty_typeENS0_5tupleIJSE_SH_EEENSJ_IJSG_SI_EEENS0_18inequality_wrapperINS9_8equal_toIsEEEEPmJSH_EEE10hipError_tPvRmT3_T4_T5_T6_T7_T9_mT8_P12ihipStream_tbDpT10_ENKUlT_T0_E_clISt17integral_constantIbLb1EES19_IbLb0EEEEDaS15_S16_EUlS15_E_NS1_11comp_targetILNS1_3genE8ELNS1_11target_archE1030ELNS1_3gpuE2ELNS1_3repE0EEENS1_30default_config_static_selectorELNS0_4arch9wavefront6targetE0EEEvT1_,"axG",@progbits,_ZN7rocprim17ROCPRIM_400000_NS6detail17trampoline_kernelINS0_14default_configENS1_25partition_config_selectorILNS1_17partition_subalgoE9EsjbEEZZNS1_14partition_implILS5_9ELb0ES3_jN6thrust23THRUST_200600_302600_NS6detail15normal_iteratorINS9_10device_ptrIsEEEENSB_INSC_IjEEEEPNS0_10empty_typeENS0_5tupleIJSE_SH_EEENSJ_IJSG_SI_EEENS0_18inequality_wrapperINS9_8equal_toIsEEEEPmJSH_EEE10hipError_tPvRmT3_T4_T5_T6_T7_T9_mT8_P12ihipStream_tbDpT10_ENKUlT_T0_E_clISt17integral_constantIbLb1EES19_IbLb0EEEEDaS15_S16_EUlS15_E_NS1_11comp_targetILNS1_3genE8ELNS1_11target_archE1030ELNS1_3gpuE2ELNS1_3repE0EEENS1_30default_config_static_selectorELNS0_4arch9wavefront6targetE0EEEvT1_,comdat
.Lfunc_end684:
	.size	_ZN7rocprim17ROCPRIM_400000_NS6detail17trampoline_kernelINS0_14default_configENS1_25partition_config_selectorILNS1_17partition_subalgoE9EsjbEEZZNS1_14partition_implILS5_9ELb0ES3_jN6thrust23THRUST_200600_302600_NS6detail15normal_iteratorINS9_10device_ptrIsEEEENSB_INSC_IjEEEEPNS0_10empty_typeENS0_5tupleIJSE_SH_EEENSJ_IJSG_SI_EEENS0_18inequality_wrapperINS9_8equal_toIsEEEEPmJSH_EEE10hipError_tPvRmT3_T4_T5_T6_T7_T9_mT8_P12ihipStream_tbDpT10_ENKUlT_T0_E_clISt17integral_constantIbLb1EES19_IbLb0EEEEDaS15_S16_EUlS15_E_NS1_11comp_targetILNS1_3genE8ELNS1_11target_archE1030ELNS1_3gpuE2ELNS1_3repE0EEENS1_30default_config_static_selectorELNS0_4arch9wavefront6targetE0EEEvT1_, .Lfunc_end684-_ZN7rocprim17ROCPRIM_400000_NS6detail17trampoline_kernelINS0_14default_configENS1_25partition_config_selectorILNS1_17partition_subalgoE9EsjbEEZZNS1_14partition_implILS5_9ELb0ES3_jN6thrust23THRUST_200600_302600_NS6detail15normal_iteratorINS9_10device_ptrIsEEEENSB_INSC_IjEEEEPNS0_10empty_typeENS0_5tupleIJSE_SH_EEENSJ_IJSG_SI_EEENS0_18inequality_wrapperINS9_8equal_toIsEEEEPmJSH_EEE10hipError_tPvRmT3_T4_T5_T6_T7_T9_mT8_P12ihipStream_tbDpT10_ENKUlT_T0_E_clISt17integral_constantIbLb1EES19_IbLb0EEEEDaS15_S16_EUlS15_E_NS1_11comp_targetILNS1_3genE8ELNS1_11target_archE1030ELNS1_3gpuE2ELNS1_3repE0EEENS1_30default_config_static_selectorELNS0_4arch9wavefront6targetE0EEEvT1_
                                        ; -- End function
	.section	.AMDGPU.csdata,"",@progbits
; Kernel info:
; codeLenInByte = 0
; NumSgprs: 0
; NumVgprs: 0
; ScratchSize: 0
; MemoryBound: 0
; FloatMode: 240
; IeeeMode: 1
; LDSByteSize: 0 bytes/workgroup (compile time only)
; SGPRBlocks: 0
; VGPRBlocks: 0
; NumSGPRsForWavesPerEU: 1
; NumVGPRsForWavesPerEU: 1
; Occupancy: 16
; WaveLimiterHint : 0
; COMPUTE_PGM_RSRC2:SCRATCH_EN: 0
; COMPUTE_PGM_RSRC2:USER_SGPR: 15
; COMPUTE_PGM_RSRC2:TRAP_HANDLER: 0
; COMPUTE_PGM_RSRC2:TGID_X_EN: 1
; COMPUTE_PGM_RSRC2:TGID_Y_EN: 0
; COMPUTE_PGM_RSRC2:TGID_Z_EN: 0
; COMPUTE_PGM_RSRC2:TIDIG_COMP_CNT: 0
	.section	.text._ZN7rocprim17ROCPRIM_400000_NS6detail17trampoline_kernelINS0_14default_configENS1_25partition_config_selectorILNS1_17partition_subalgoE9EsjbEEZZNS1_14partition_implILS5_9ELb0ES3_jN6thrust23THRUST_200600_302600_NS6detail15normal_iteratorINS9_10device_ptrIsEEEENSB_INSC_IjEEEEPNS0_10empty_typeENS0_5tupleIJSE_SH_EEENSJ_IJSG_SI_EEENS0_18inequality_wrapperINS9_8equal_toIsEEEEPmJSH_EEE10hipError_tPvRmT3_T4_T5_T6_T7_T9_mT8_P12ihipStream_tbDpT10_ENKUlT_T0_E_clISt17integral_constantIbLb0EES19_IbLb1EEEEDaS15_S16_EUlS15_E_NS1_11comp_targetILNS1_3genE0ELNS1_11target_archE4294967295ELNS1_3gpuE0ELNS1_3repE0EEENS1_30default_config_static_selectorELNS0_4arch9wavefront6targetE0EEEvT1_,"axG",@progbits,_ZN7rocprim17ROCPRIM_400000_NS6detail17trampoline_kernelINS0_14default_configENS1_25partition_config_selectorILNS1_17partition_subalgoE9EsjbEEZZNS1_14partition_implILS5_9ELb0ES3_jN6thrust23THRUST_200600_302600_NS6detail15normal_iteratorINS9_10device_ptrIsEEEENSB_INSC_IjEEEEPNS0_10empty_typeENS0_5tupleIJSE_SH_EEENSJ_IJSG_SI_EEENS0_18inequality_wrapperINS9_8equal_toIsEEEEPmJSH_EEE10hipError_tPvRmT3_T4_T5_T6_T7_T9_mT8_P12ihipStream_tbDpT10_ENKUlT_T0_E_clISt17integral_constantIbLb0EES19_IbLb1EEEEDaS15_S16_EUlS15_E_NS1_11comp_targetILNS1_3genE0ELNS1_11target_archE4294967295ELNS1_3gpuE0ELNS1_3repE0EEENS1_30default_config_static_selectorELNS0_4arch9wavefront6targetE0EEEvT1_,comdat
	.protected	_ZN7rocprim17ROCPRIM_400000_NS6detail17trampoline_kernelINS0_14default_configENS1_25partition_config_selectorILNS1_17partition_subalgoE9EsjbEEZZNS1_14partition_implILS5_9ELb0ES3_jN6thrust23THRUST_200600_302600_NS6detail15normal_iteratorINS9_10device_ptrIsEEEENSB_INSC_IjEEEEPNS0_10empty_typeENS0_5tupleIJSE_SH_EEENSJ_IJSG_SI_EEENS0_18inequality_wrapperINS9_8equal_toIsEEEEPmJSH_EEE10hipError_tPvRmT3_T4_T5_T6_T7_T9_mT8_P12ihipStream_tbDpT10_ENKUlT_T0_E_clISt17integral_constantIbLb0EES19_IbLb1EEEEDaS15_S16_EUlS15_E_NS1_11comp_targetILNS1_3genE0ELNS1_11target_archE4294967295ELNS1_3gpuE0ELNS1_3repE0EEENS1_30default_config_static_selectorELNS0_4arch9wavefront6targetE0EEEvT1_ ; -- Begin function _ZN7rocprim17ROCPRIM_400000_NS6detail17trampoline_kernelINS0_14default_configENS1_25partition_config_selectorILNS1_17partition_subalgoE9EsjbEEZZNS1_14partition_implILS5_9ELb0ES3_jN6thrust23THRUST_200600_302600_NS6detail15normal_iteratorINS9_10device_ptrIsEEEENSB_INSC_IjEEEEPNS0_10empty_typeENS0_5tupleIJSE_SH_EEENSJ_IJSG_SI_EEENS0_18inequality_wrapperINS9_8equal_toIsEEEEPmJSH_EEE10hipError_tPvRmT3_T4_T5_T6_T7_T9_mT8_P12ihipStream_tbDpT10_ENKUlT_T0_E_clISt17integral_constantIbLb0EES19_IbLb1EEEEDaS15_S16_EUlS15_E_NS1_11comp_targetILNS1_3genE0ELNS1_11target_archE4294967295ELNS1_3gpuE0ELNS1_3repE0EEENS1_30default_config_static_selectorELNS0_4arch9wavefront6targetE0EEEvT1_
	.globl	_ZN7rocprim17ROCPRIM_400000_NS6detail17trampoline_kernelINS0_14default_configENS1_25partition_config_selectorILNS1_17partition_subalgoE9EsjbEEZZNS1_14partition_implILS5_9ELb0ES3_jN6thrust23THRUST_200600_302600_NS6detail15normal_iteratorINS9_10device_ptrIsEEEENSB_INSC_IjEEEEPNS0_10empty_typeENS0_5tupleIJSE_SH_EEENSJ_IJSG_SI_EEENS0_18inequality_wrapperINS9_8equal_toIsEEEEPmJSH_EEE10hipError_tPvRmT3_T4_T5_T6_T7_T9_mT8_P12ihipStream_tbDpT10_ENKUlT_T0_E_clISt17integral_constantIbLb0EES19_IbLb1EEEEDaS15_S16_EUlS15_E_NS1_11comp_targetILNS1_3genE0ELNS1_11target_archE4294967295ELNS1_3gpuE0ELNS1_3repE0EEENS1_30default_config_static_selectorELNS0_4arch9wavefront6targetE0EEEvT1_
	.p2align	8
	.type	_ZN7rocprim17ROCPRIM_400000_NS6detail17trampoline_kernelINS0_14default_configENS1_25partition_config_selectorILNS1_17partition_subalgoE9EsjbEEZZNS1_14partition_implILS5_9ELb0ES3_jN6thrust23THRUST_200600_302600_NS6detail15normal_iteratorINS9_10device_ptrIsEEEENSB_INSC_IjEEEEPNS0_10empty_typeENS0_5tupleIJSE_SH_EEENSJ_IJSG_SI_EEENS0_18inequality_wrapperINS9_8equal_toIsEEEEPmJSH_EEE10hipError_tPvRmT3_T4_T5_T6_T7_T9_mT8_P12ihipStream_tbDpT10_ENKUlT_T0_E_clISt17integral_constantIbLb0EES19_IbLb1EEEEDaS15_S16_EUlS15_E_NS1_11comp_targetILNS1_3genE0ELNS1_11target_archE4294967295ELNS1_3gpuE0ELNS1_3repE0EEENS1_30default_config_static_selectorELNS0_4arch9wavefront6targetE0EEEvT1_,@function
_ZN7rocprim17ROCPRIM_400000_NS6detail17trampoline_kernelINS0_14default_configENS1_25partition_config_selectorILNS1_17partition_subalgoE9EsjbEEZZNS1_14partition_implILS5_9ELb0ES3_jN6thrust23THRUST_200600_302600_NS6detail15normal_iteratorINS9_10device_ptrIsEEEENSB_INSC_IjEEEEPNS0_10empty_typeENS0_5tupleIJSE_SH_EEENSJ_IJSG_SI_EEENS0_18inequality_wrapperINS9_8equal_toIsEEEEPmJSH_EEE10hipError_tPvRmT3_T4_T5_T6_T7_T9_mT8_P12ihipStream_tbDpT10_ENKUlT_T0_E_clISt17integral_constantIbLb0EES19_IbLb1EEEEDaS15_S16_EUlS15_E_NS1_11comp_targetILNS1_3genE0ELNS1_11target_archE4294967295ELNS1_3gpuE0ELNS1_3repE0EEENS1_30default_config_static_selectorELNS0_4arch9wavefront6targetE0EEEvT1_: ; @_ZN7rocprim17ROCPRIM_400000_NS6detail17trampoline_kernelINS0_14default_configENS1_25partition_config_selectorILNS1_17partition_subalgoE9EsjbEEZZNS1_14partition_implILS5_9ELb0ES3_jN6thrust23THRUST_200600_302600_NS6detail15normal_iteratorINS9_10device_ptrIsEEEENSB_INSC_IjEEEEPNS0_10empty_typeENS0_5tupleIJSE_SH_EEENSJ_IJSG_SI_EEENS0_18inequality_wrapperINS9_8equal_toIsEEEEPmJSH_EEE10hipError_tPvRmT3_T4_T5_T6_T7_T9_mT8_P12ihipStream_tbDpT10_ENKUlT_T0_E_clISt17integral_constantIbLb0EES19_IbLb1EEEEDaS15_S16_EUlS15_E_NS1_11comp_targetILNS1_3genE0ELNS1_11target_archE4294967295ELNS1_3gpuE0ELNS1_3repE0EEENS1_30default_config_static_selectorELNS0_4arch9wavefront6targetE0EEEvT1_
; %bb.0:
	.section	.rodata,"a",@progbits
	.p2align	6, 0x0
	.amdhsa_kernel _ZN7rocprim17ROCPRIM_400000_NS6detail17trampoline_kernelINS0_14default_configENS1_25partition_config_selectorILNS1_17partition_subalgoE9EsjbEEZZNS1_14partition_implILS5_9ELb0ES3_jN6thrust23THRUST_200600_302600_NS6detail15normal_iteratorINS9_10device_ptrIsEEEENSB_INSC_IjEEEEPNS0_10empty_typeENS0_5tupleIJSE_SH_EEENSJ_IJSG_SI_EEENS0_18inequality_wrapperINS9_8equal_toIsEEEEPmJSH_EEE10hipError_tPvRmT3_T4_T5_T6_T7_T9_mT8_P12ihipStream_tbDpT10_ENKUlT_T0_E_clISt17integral_constantIbLb0EES19_IbLb1EEEEDaS15_S16_EUlS15_E_NS1_11comp_targetILNS1_3genE0ELNS1_11target_archE4294967295ELNS1_3gpuE0ELNS1_3repE0EEENS1_30default_config_static_selectorELNS0_4arch9wavefront6targetE0EEEvT1_
		.amdhsa_group_segment_fixed_size 0
		.amdhsa_private_segment_fixed_size 0
		.amdhsa_kernarg_size 128
		.amdhsa_user_sgpr_count 15
		.amdhsa_user_sgpr_dispatch_ptr 0
		.amdhsa_user_sgpr_queue_ptr 0
		.amdhsa_user_sgpr_kernarg_segment_ptr 1
		.amdhsa_user_sgpr_dispatch_id 0
		.amdhsa_user_sgpr_private_segment_size 0
		.amdhsa_wavefront_size32 1
		.amdhsa_uses_dynamic_stack 0
		.amdhsa_enable_private_segment 0
		.amdhsa_system_sgpr_workgroup_id_x 1
		.amdhsa_system_sgpr_workgroup_id_y 0
		.amdhsa_system_sgpr_workgroup_id_z 0
		.amdhsa_system_sgpr_workgroup_info 0
		.amdhsa_system_vgpr_workitem_id 0
		.amdhsa_next_free_vgpr 1
		.amdhsa_next_free_sgpr 1
		.amdhsa_reserve_vcc 0
		.amdhsa_float_round_mode_32 0
		.amdhsa_float_round_mode_16_64 0
		.amdhsa_float_denorm_mode_32 3
		.amdhsa_float_denorm_mode_16_64 3
		.amdhsa_dx10_clamp 1
		.amdhsa_ieee_mode 1
		.amdhsa_fp16_overflow 0
		.amdhsa_workgroup_processor_mode 1
		.amdhsa_memory_ordered 1
		.amdhsa_forward_progress 0
		.amdhsa_shared_vgpr_count 0
		.amdhsa_exception_fp_ieee_invalid_op 0
		.amdhsa_exception_fp_denorm_src 0
		.amdhsa_exception_fp_ieee_div_zero 0
		.amdhsa_exception_fp_ieee_overflow 0
		.amdhsa_exception_fp_ieee_underflow 0
		.amdhsa_exception_fp_ieee_inexact 0
		.amdhsa_exception_int_div_zero 0
	.end_amdhsa_kernel
	.section	.text._ZN7rocprim17ROCPRIM_400000_NS6detail17trampoline_kernelINS0_14default_configENS1_25partition_config_selectorILNS1_17partition_subalgoE9EsjbEEZZNS1_14partition_implILS5_9ELb0ES3_jN6thrust23THRUST_200600_302600_NS6detail15normal_iteratorINS9_10device_ptrIsEEEENSB_INSC_IjEEEEPNS0_10empty_typeENS0_5tupleIJSE_SH_EEENSJ_IJSG_SI_EEENS0_18inequality_wrapperINS9_8equal_toIsEEEEPmJSH_EEE10hipError_tPvRmT3_T4_T5_T6_T7_T9_mT8_P12ihipStream_tbDpT10_ENKUlT_T0_E_clISt17integral_constantIbLb0EES19_IbLb1EEEEDaS15_S16_EUlS15_E_NS1_11comp_targetILNS1_3genE0ELNS1_11target_archE4294967295ELNS1_3gpuE0ELNS1_3repE0EEENS1_30default_config_static_selectorELNS0_4arch9wavefront6targetE0EEEvT1_,"axG",@progbits,_ZN7rocprim17ROCPRIM_400000_NS6detail17trampoline_kernelINS0_14default_configENS1_25partition_config_selectorILNS1_17partition_subalgoE9EsjbEEZZNS1_14partition_implILS5_9ELb0ES3_jN6thrust23THRUST_200600_302600_NS6detail15normal_iteratorINS9_10device_ptrIsEEEENSB_INSC_IjEEEEPNS0_10empty_typeENS0_5tupleIJSE_SH_EEENSJ_IJSG_SI_EEENS0_18inequality_wrapperINS9_8equal_toIsEEEEPmJSH_EEE10hipError_tPvRmT3_T4_T5_T6_T7_T9_mT8_P12ihipStream_tbDpT10_ENKUlT_T0_E_clISt17integral_constantIbLb0EES19_IbLb1EEEEDaS15_S16_EUlS15_E_NS1_11comp_targetILNS1_3genE0ELNS1_11target_archE4294967295ELNS1_3gpuE0ELNS1_3repE0EEENS1_30default_config_static_selectorELNS0_4arch9wavefront6targetE0EEEvT1_,comdat
.Lfunc_end685:
	.size	_ZN7rocprim17ROCPRIM_400000_NS6detail17trampoline_kernelINS0_14default_configENS1_25partition_config_selectorILNS1_17partition_subalgoE9EsjbEEZZNS1_14partition_implILS5_9ELb0ES3_jN6thrust23THRUST_200600_302600_NS6detail15normal_iteratorINS9_10device_ptrIsEEEENSB_INSC_IjEEEEPNS0_10empty_typeENS0_5tupleIJSE_SH_EEENSJ_IJSG_SI_EEENS0_18inequality_wrapperINS9_8equal_toIsEEEEPmJSH_EEE10hipError_tPvRmT3_T4_T5_T6_T7_T9_mT8_P12ihipStream_tbDpT10_ENKUlT_T0_E_clISt17integral_constantIbLb0EES19_IbLb1EEEEDaS15_S16_EUlS15_E_NS1_11comp_targetILNS1_3genE0ELNS1_11target_archE4294967295ELNS1_3gpuE0ELNS1_3repE0EEENS1_30default_config_static_selectorELNS0_4arch9wavefront6targetE0EEEvT1_, .Lfunc_end685-_ZN7rocprim17ROCPRIM_400000_NS6detail17trampoline_kernelINS0_14default_configENS1_25partition_config_selectorILNS1_17partition_subalgoE9EsjbEEZZNS1_14partition_implILS5_9ELb0ES3_jN6thrust23THRUST_200600_302600_NS6detail15normal_iteratorINS9_10device_ptrIsEEEENSB_INSC_IjEEEEPNS0_10empty_typeENS0_5tupleIJSE_SH_EEENSJ_IJSG_SI_EEENS0_18inequality_wrapperINS9_8equal_toIsEEEEPmJSH_EEE10hipError_tPvRmT3_T4_T5_T6_T7_T9_mT8_P12ihipStream_tbDpT10_ENKUlT_T0_E_clISt17integral_constantIbLb0EES19_IbLb1EEEEDaS15_S16_EUlS15_E_NS1_11comp_targetILNS1_3genE0ELNS1_11target_archE4294967295ELNS1_3gpuE0ELNS1_3repE0EEENS1_30default_config_static_selectorELNS0_4arch9wavefront6targetE0EEEvT1_
                                        ; -- End function
	.section	.AMDGPU.csdata,"",@progbits
; Kernel info:
; codeLenInByte = 0
; NumSgprs: 0
; NumVgprs: 0
; ScratchSize: 0
; MemoryBound: 0
; FloatMode: 240
; IeeeMode: 1
; LDSByteSize: 0 bytes/workgroup (compile time only)
; SGPRBlocks: 0
; VGPRBlocks: 0
; NumSGPRsForWavesPerEU: 1
; NumVGPRsForWavesPerEU: 1
; Occupancy: 16
; WaveLimiterHint : 0
; COMPUTE_PGM_RSRC2:SCRATCH_EN: 0
; COMPUTE_PGM_RSRC2:USER_SGPR: 15
; COMPUTE_PGM_RSRC2:TRAP_HANDLER: 0
; COMPUTE_PGM_RSRC2:TGID_X_EN: 1
; COMPUTE_PGM_RSRC2:TGID_Y_EN: 0
; COMPUTE_PGM_RSRC2:TGID_Z_EN: 0
; COMPUTE_PGM_RSRC2:TIDIG_COMP_CNT: 0
	.section	.text._ZN7rocprim17ROCPRIM_400000_NS6detail17trampoline_kernelINS0_14default_configENS1_25partition_config_selectorILNS1_17partition_subalgoE9EsjbEEZZNS1_14partition_implILS5_9ELb0ES3_jN6thrust23THRUST_200600_302600_NS6detail15normal_iteratorINS9_10device_ptrIsEEEENSB_INSC_IjEEEEPNS0_10empty_typeENS0_5tupleIJSE_SH_EEENSJ_IJSG_SI_EEENS0_18inequality_wrapperINS9_8equal_toIsEEEEPmJSH_EEE10hipError_tPvRmT3_T4_T5_T6_T7_T9_mT8_P12ihipStream_tbDpT10_ENKUlT_T0_E_clISt17integral_constantIbLb0EES19_IbLb1EEEEDaS15_S16_EUlS15_E_NS1_11comp_targetILNS1_3genE5ELNS1_11target_archE942ELNS1_3gpuE9ELNS1_3repE0EEENS1_30default_config_static_selectorELNS0_4arch9wavefront6targetE0EEEvT1_,"axG",@progbits,_ZN7rocprim17ROCPRIM_400000_NS6detail17trampoline_kernelINS0_14default_configENS1_25partition_config_selectorILNS1_17partition_subalgoE9EsjbEEZZNS1_14partition_implILS5_9ELb0ES3_jN6thrust23THRUST_200600_302600_NS6detail15normal_iteratorINS9_10device_ptrIsEEEENSB_INSC_IjEEEEPNS0_10empty_typeENS0_5tupleIJSE_SH_EEENSJ_IJSG_SI_EEENS0_18inequality_wrapperINS9_8equal_toIsEEEEPmJSH_EEE10hipError_tPvRmT3_T4_T5_T6_T7_T9_mT8_P12ihipStream_tbDpT10_ENKUlT_T0_E_clISt17integral_constantIbLb0EES19_IbLb1EEEEDaS15_S16_EUlS15_E_NS1_11comp_targetILNS1_3genE5ELNS1_11target_archE942ELNS1_3gpuE9ELNS1_3repE0EEENS1_30default_config_static_selectorELNS0_4arch9wavefront6targetE0EEEvT1_,comdat
	.protected	_ZN7rocprim17ROCPRIM_400000_NS6detail17trampoline_kernelINS0_14default_configENS1_25partition_config_selectorILNS1_17partition_subalgoE9EsjbEEZZNS1_14partition_implILS5_9ELb0ES3_jN6thrust23THRUST_200600_302600_NS6detail15normal_iteratorINS9_10device_ptrIsEEEENSB_INSC_IjEEEEPNS0_10empty_typeENS0_5tupleIJSE_SH_EEENSJ_IJSG_SI_EEENS0_18inequality_wrapperINS9_8equal_toIsEEEEPmJSH_EEE10hipError_tPvRmT3_T4_T5_T6_T7_T9_mT8_P12ihipStream_tbDpT10_ENKUlT_T0_E_clISt17integral_constantIbLb0EES19_IbLb1EEEEDaS15_S16_EUlS15_E_NS1_11comp_targetILNS1_3genE5ELNS1_11target_archE942ELNS1_3gpuE9ELNS1_3repE0EEENS1_30default_config_static_selectorELNS0_4arch9wavefront6targetE0EEEvT1_ ; -- Begin function _ZN7rocprim17ROCPRIM_400000_NS6detail17trampoline_kernelINS0_14default_configENS1_25partition_config_selectorILNS1_17partition_subalgoE9EsjbEEZZNS1_14partition_implILS5_9ELb0ES3_jN6thrust23THRUST_200600_302600_NS6detail15normal_iteratorINS9_10device_ptrIsEEEENSB_INSC_IjEEEEPNS0_10empty_typeENS0_5tupleIJSE_SH_EEENSJ_IJSG_SI_EEENS0_18inequality_wrapperINS9_8equal_toIsEEEEPmJSH_EEE10hipError_tPvRmT3_T4_T5_T6_T7_T9_mT8_P12ihipStream_tbDpT10_ENKUlT_T0_E_clISt17integral_constantIbLb0EES19_IbLb1EEEEDaS15_S16_EUlS15_E_NS1_11comp_targetILNS1_3genE5ELNS1_11target_archE942ELNS1_3gpuE9ELNS1_3repE0EEENS1_30default_config_static_selectorELNS0_4arch9wavefront6targetE0EEEvT1_
	.globl	_ZN7rocprim17ROCPRIM_400000_NS6detail17trampoline_kernelINS0_14default_configENS1_25partition_config_selectorILNS1_17partition_subalgoE9EsjbEEZZNS1_14partition_implILS5_9ELb0ES3_jN6thrust23THRUST_200600_302600_NS6detail15normal_iteratorINS9_10device_ptrIsEEEENSB_INSC_IjEEEEPNS0_10empty_typeENS0_5tupleIJSE_SH_EEENSJ_IJSG_SI_EEENS0_18inequality_wrapperINS9_8equal_toIsEEEEPmJSH_EEE10hipError_tPvRmT3_T4_T5_T6_T7_T9_mT8_P12ihipStream_tbDpT10_ENKUlT_T0_E_clISt17integral_constantIbLb0EES19_IbLb1EEEEDaS15_S16_EUlS15_E_NS1_11comp_targetILNS1_3genE5ELNS1_11target_archE942ELNS1_3gpuE9ELNS1_3repE0EEENS1_30default_config_static_selectorELNS0_4arch9wavefront6targetE0EEEvT1_
	.p2align	8
	.type	_ZN7rocprim17ROCPRIM_400000_NS6detail17trampoline_kernelINS0_14default_configENS1_25partition_config_selectorILNS1_17partition_subalgoE9EsjbEEZZNS1_14partition_implILS5_9ELb0ES3_jN6thrust23THRUST_200600_302600_NS6detail15normal_iteratorINS9_10device_ptrIsEEEENSB_INSC_IjEEEEPNS0_10empty_typeENS0_5tupleIJSE_SH_EEENSJ_IJSG_SI_EEENS0_18inequality_wrapperINS9_8equal_toIsEEEEPmJSH_EEE10hipError_tPvRmT3_T4_T5_T6_T7_T9_mT8_P12ihipStream_tbDpT10_ENKUlT_T0_E_clISt17integral_constantIbLb0EES19_IbLb1EEEEDaS15_S16_EUlS15_E_NS1_11comp_targetILNS1_3genE5ELNS1_11target_archE942ELNS1_3gpuE9ELNS1_3repE0EEENS1_30default_config_static_selectorELNS0_4arch9wavefront6targetE0EEEvT1_,@function
_ZN7rocprim17ROCPRIM_400000_NS6detail17trampoline_kernelINS0_14default_configENS1_25partition_config_selectorILNS1_17partition_subalgoE9EsjbEEZZNS1_14partition_implILS5_9ELb0ES3_jN6thrust23THRUST_200600_302600_NS6detail15normal_iteratorINS9_10device_ptrIsEEEENSB_INSC_IjEEEEPNS0_10empty_typeENS0_5tupleIJSE_SH_EEENSJ_IJSG_SI_EEENS0_18inequality_wrapperINS9_8equal_toIsEEEEPmJSH_EEE10hipError_tPvRmT3_T4_T5_T6_T7_T9_mT8_P12ihipStream_tbDpT10_ENKUlT_T0_E_clISt17integral_constantIbLb0EES19_IbLb1EEEEDaS15_S16_EUlS15_E_NS1_11comp_targetILNS1_3genE5ELNS1_11target_archE942ELNS1_3gpuE9ELNS1_3repE0EEENS1_30default_config_static_selectorELNS0_4arch9wavefront6targetE0EEEvT1_: ; @_ZN7rocprim17ROCPRIM_400000_NS6detail17trampoline_kernelINS0_14default_configENS1_25partition_config_selectorILNS1_17partition_subalgoE9EsjbEEZZNS1_14partition_implILS5_9ELb0ES3_jN6thrust23THRUST_200600_302600_NS6detail15normal_iteratorINS9_10device_ptrIsEEEENSB_INSC_IjEEEEPNS0_10empty_typeENS0_5tupleIJSE_SH_EEENSJ_IJSG_SI_EEENS0_18inequality_wrapperINS9_8equal_toIsEEEEPmJSH_EEE10hipError_tPvRmT3_T4_T5_T6_T7_T9_mT8_P12ihipStream_tbDpT10_ENKUlT_T0_E_clISt17integral_constantIbLb0EES19_IbLb1EEEEDaS15_S16_EUlS15_E_NS1_11comp_targetILNS1_3genE5ELNS1_11target_archE942ELNS1_3gpuE9ELNS1_3repE0EEENS1_30default_config_static_selectorELNS0_4arch9wavefront6targetE0EEEvT1_
; %bb.0:
	.section	.rodata,"a",@progbits
	.p2align	6, 0x0
	.amdhsa_kernel _ZN7rocprim17ROCPRIM_400000_NS6detail17trampoline_kernelINS0_14default_configENS1_25partition_config_selectorILNS1_17partition_subalgoE9EsjbEEZZNS1_14partition_implILS5_9ELb0ES3_jN6thrust23THRUST_200600_302600_NS6detail15normal_iteratorINS9_10device_ptrIsEEEENSB_INSC_IjEEEEPNS0_10empty_typeENS0_5tupleIJSE_SH_EEENSJ_IJSG_SI_EEENS0_18inequality_wrapperINS9_8equal_toIsEEEEPmJSH_EEE10hipError_tPvRmT3_T4_T5_T6_T7_T9_mT8_P12ihipStream_tbDpT10_ENKUlT_T0_E_clISt17integral_constantIbLb0EES19_IbLb1EEEEDaS15_S16_EUlS15_E_NS1_11comp_targetILNS1_3genE5ELNS1_11target_archE942ELNS1_3gpuE9ELNS1_3repE0EEENS1_30default_config_static_selectorELNS0_4arch9wavefront6targetE0EEEvT1_
		.amdhsa_group_segment_fixed_size 0
		.amdhsa_private_segment_fixed_size 0
		.amdhsa_kernarg_size 128
		.amdhsa_user_sgpr_count 15
		.amdhsa_user_sgpr_dispatch_ptr 0
		.amdhsa_user_sgpr_queue_ptr 0
		.amdhsa_user_sgpr_kernarg_segment_ptr 1
		.amdhsa_user_sgpr_dispatch_id 0
		.amdhsa_user_sgpr_private_segment_size 0
		.amdhsa_wavefront_size32 1
		.amdhsa_uses_dynamic_stack 0
		.amdhsa_enable_private_segment 0
		.amdhsa_system_sgpr_workgroup_id_x 1
		.amdhsa_system_sgpr_workgroup_id_y 0
		.amdhsa_system_sgpr_workgroup_id_z 0
		.amdhsa_system_sgpr_workgroup_info 0
		.amdhsa_system_vgpr_workitem_id 0
		.amdhsa_next_free_vgpr 1
		.amdhsa_next_free_sgpr 1
		.amdhsa_reserve_vcc 0
		.amdhsa_float_round_mode_32 0
		.amdhsa_float_round_mode_16_64 0
		.amdhsa_float_denorm_mode_32 3
		.amdhsa_float_denorm_mode_16_64 3
		.amdhsa_dx10_clamp 1
		.amdhsa_ieee_mode 1
		.amdhsa_fp16_overflow 0
		.amdhsa_workgroup_processor_mode 1
		.amdhsa_memory_ordered 1
		.amdhsa_forward_progress 0
		.amdhsa_shared_vgpr_count 0
		.amdhsa_exception_fp_ieee_invalid_op 0
		.amdhsa_exception_fp_denorm_src 0
		.amdhsa_exception_fp_ieee_div_zero 0
		.amdhsa_exception_fp_ieee_overflow 0
		.amdhsa_exception_fp_ieee_underflow 0
		.amdhsa_exception_fp_ieee_inexact 0
		.amdhsa_exception_int_div_zero 0
	.end_amdhsa_kernel
	.section	.text._ZN7rocprim17ROCPRIM_400000_NS6detail17trampoline_kernelINS0_14default_configENS1_25partition_config_selectorILNS1_17partition_subalgoE9EsjbEEZZNS1_14partition_implILS5_9ELb0ES3_jN6thrust23THRUST_200600_302600_NS6detail15normal_iteratorINS9_10device_ptrIsEEEENSB_INSC_IjEEEEPNS0_10empty_typeENS0_5tupleIJSE_SH_EEENSJ_IJSG_SI_EEENS0_18inequality_wrapperINS9_8equal_toIsEEEEPmJSH_EEE10hipError_tPvRmT3_T4_T5_T6_T7_T9_mT8_P12ihipStream_tbDpT10_ENKUlT_T0_E_clISt17integral_constantIbLb0EES19_IbLb1EEEEDaS15_S16_EUlS15_E_NS1_11comp_targetILNS1_3genE5ELNS1_11target_archE942ELNS1_3gpuE9ELNS1_3repE0EEENS1_30default_config_static_selectorELNS0_4arch9wavefront6targetE0EEEvT1_,"axG",@progbits,_ZN7rocprim17ROCPRIM_400000_NS6detail17trampoline_kernelINS0_14default_configENS1_25partition_config_selectorILNS1_17partition_subalgoE9EsjbEEZZNS1_14partition_implILS5_9ELb0ES3_jN6thrust23THRUST_200600_302600_NS6detail15normal_iteratorINS9_10device_ptrIsEEEENSB_INSC_IjEEEEPNS0_10empty_typeENS0_5tupleIJSE_SH_EEENSJ_IJSG_SI_EEENS0_18inequality_wrapperINS9_8equal_toIsEEEEPmJSH_EEE10hipError_tPvRmT3_T4_T5_T6_T7_T9_mT8_P12ihipStream_tbDpT10_ENKUlT_T0_E_clISt17integral_constantIbLb0EES19_IbLb1EEEEDaS15_S16_EUlS15_E_NS1_11comp_targetILNS1_3genE5ELNS1_11target_archE942ELNS1_3gpuE9ELNS1_3repE0EEENS1_30default_config_static_selectorELNS0_4arch9wavefront6targetE0EEEvT1_,comdat
.Lfunc_end686:
	.size	_ZN7rocprim17ROCPRIM_400000_NS6detail17trampoline_kernelINS0_14default_configENS1_25partition_config_selectorILNS1_17partition_subalgoE9EsjbEEZZNS1_14partition_implILS5_9ELb0ES3_jN6thrust23THRUST_200600_302600_NS6detail15normal_iteratorINS9_10device_ptrIsEEEENSB_INSC_IjEEEEPNS0_10empty_typeENS0_5tupleIJSE_SH_EEENSJ_IJSG_SI_EEENS0_18inequality_wrapperINS9_8equal_toIsEEEEPmJSH_EEE10hipError_tPvRmT3_T4_T5_T6_T7_T9_mT8_P12ihipStream_tbDpT10_ENKUlT_T0_E_clISt17integral_constantIbLb0EES19_IbLb1EEEEDaS15_S16_EUlS15_E_NS1_11comp_targetILNS1_3genE5ELNS1_11target_archE942ELNS1_3gpuE9ELNS1_3repE0EEENS1_30default_config_static_selectorELNS0_4arch9wavefront6targetE0EEEvT1_, .Lfunc_end686-_ZN7rocprim17ROCPRIM_400000_NS6detail17trampoline_kernelINS0_14default_configENS1_25partition_config_selectorILNS1_17partition_subalgoE9EsjbEEZZNS1_14partition_implILS5_9ELb0ES3_jN6thrust23THRUST_200600_302600_NS6detail15normal_iteratorINS9_10device_ptrIsEEEENSB_INSC_IjEEEEPNS0_10empty_typeENS0_5tupleIJSE_SH_EEENSJ_IJSG_SI_EEENS0_18inequality_wrapperINS9_8equal_toIsEEEEPmJSH_EEE10hipError_tPvRmT3_T4_T5_T6_T7_T9_mT8_P12ihipStream_tbDpT10_ENKUlT_T0_E_clISt17integral_constantIbLb0EES19_IbLb1EEEEDaS15_S16_EUlS15_E_NS1_11comp_targetILNS1_3genE5ELNS1_11target_archE942ELNS1_3gpuE9ELNS1_3repE0EEENS1_30default_config_static_selectorELNS0_4arch9wavefront6targetE0EEEvT1_
                                        ; -- End function
	.section	.AMDGPU.csdata,"",@progbits
; Kernel info:
; codeLenInByte = 0
; NumSgprs: 0
; NumVgprs: 0
; ScratchSize: 0
; MemoryBound: 0
; FloatMode: 240
; IeeeMode: 1
; LDSByteSize: 0 bytes/workgroup (compile time only)
; SGPRBlocks: 0
; VGPRBlocks: 0
; NumSGPRsForWavesPerEU: 1
; NumVGPRsForWavesPerEU: 1
; Occupancy: 16
; WaveLimiterHint : 0
; COMPUTE_PGM_RSRC2:SCRATCH_EN: 0
; COMPUTE_PGM_RSRC2:USER_SGPR: 15
; COMPUTE_PGM_RSRC2:TRAP_HANDLER: 0
; COMPUTE_PGM_RSRC2:TGID_X_EN: 1
; COMPUTE_PGM_RSRC2:TGID_Y_EN: 0
; COMPUTE_PGM_RSRC2:TGID_Z_EN: 0
; COMPUTE_PGM_RSRC2:TIDIG_COMP_CNT: 0
	.section	.text._ZN7rocprim17ROCPRIM_400000_NS6detail17trampoline_kernelINS0_14default_configENS1_25partition_config_selectorILNS1_17partition_subalgoE9EsjbEEZZNS1_14partition_implILS5_9ELb0ES3_jN6thrust23THRUST_200600_302600_NS6detail15normal_iteratorINS9_10device_ptrIsEEEENSB_INSC_IjEEEEPNS0_10empty_typeENS0_5tupleIJSE_SH_EEENSJ_IJSG_SI_EEENS0_18inequality_wrapperINS9_8equal_toIsEEEEPmJSH_EEE10hipError_tPvRmT3_T4_T5_T6_T7_T9_mT8_P12ihipStream_tbDpT10_ENKUlT_T0_E_clISt17integral_constantIbLb0EES19_IbLb1EEEEDaS15_S16_EUlS15_E_NS1_11comp_targetILNS1_3genE4ELNS1_11target_archE910ELNS1_3gpuE8ELNS1_3repE0EEENS1_30default_config_static_selectorELNS0_4arch9wavefront6targetE0EEEvT1_,"axG",@progbits,_ZN7rocprim17ROCPRIM_400000_NS6detail17trampoline_kernelINS0_14default_configENS1_25partition_config_selectorILNS1_17partition_subalgoE9EsjbEEZZNS1_14partition_implILS5_9ELb0ES3_jN6thrust23THRUST_200600_302600_NS6detail15normal_iteratorINS9_10device_ptrIsEEEENSB_INSC_IjEEEEPNS0_10empty_typeENS0_5tupleIJSE_SH_EEENSJ_IJSG_SI_EEENS0_18inequality_wrapperINS9_8equal_toIsEEEEPmJSH_EEE10hipError_tPvRmT3_T4_T5_T6_T7_T9_mT8_P12ihipStream_tbDpT10_ENKUlT_T0_E_clISt17integral_constantIbLb0EES19_IbLb1EEEEDaS15_S16_EUlS15_E_NS1_11comp_targetILNS1_3genE4ELNS1_11target_archE910ELNS1_3gpuE8ELNS1_3repE0EEENS1_30default_config_static_selectorELNS0_4arch9wavefront6targetE0EEEvT1_,comdat
	.protected	_ZN7rocprim17ROCPRIM_400000_NS6detail17trampoline_kernelINS0_14default_configENS1_25partition_config_selectorILNS1_17partition_subalgoE9EsjbEEZZNS1_14partition_implILS5_9ELb0ES3_jN6thrust23THRUST_200600_302600_NS6detail15normal_iteratorINS9_10device_ptrIsEEEENSB_INSC_IjEEEEPNS0_10empty_typeENS0_5tupleIJSE_SH_EEENSJ_IJSG_SI_EEENS0_18inequality_wrapperINS9_8equal_toIsEEEEPmJSH_EEE10hipError_tPvRmT3_T4_T5_T6_T7_T9_mT8_P12ihipStream_tbDpT10_ENKUlT_T0_E_clISt17integral_constantIbLb0EES19_IbLb1EEEEDaS15_S16_EUlS15_E_NS1_11comp_targetILNS1_3genE4ELNS1_11target_archE910ELNS1_3gpuE8ELNS1_3repE0EEENS1_30default_config_static_selectorELNS0_4arch9wavefront6targetE0EEEvT1_ ; -- Begin function _ZN7rocprim17ROCPRIM_400000_NS6detail17trampoline_kernelINS0_14default_configENS1_25partition_config_selectorILNS1_17partition_subalgoE9EsjbEEZZNS1_14partition_implILS5_9ELb0ES3_jN6thrust23THRUST_200600_302600_NS6detail15normal_iteratorINS9_10device_ptrIsEEEENSB_INSC_IjEEEEPNS0_10empty_typeENS0_5tupleIJSE_SH_EEENSJ_IJSG_SI_EEENS0_18inequality_wrapperINS9_8equal_toIsEEEEPmJSH_EEE10hipError_tPvRmT3_T4_T5_T6_T7_T9_mT8_P12ihipStream_tbDpT10_ENKUlT_T0_E_clISt17integral_constantIbLb0EES19_IbLb1EEEEDaS15_S16_EUlS15_E_NS1_11comp_targetILNS1_3genE4ELNS1_11target_archE910ELNS1_3gpuE8ELNS1_3repE0EEENS1_30default_config_static_selectorELNS0_4arch9wavefront6targetE0EEEvT1_
	.globl	_ZN7rocprim17ROCPRIM_400000_NS6detail17trampoline_kernelINS0_14default_configENS1_25partition_config_selectorILNS1_17partition_subalgoE9EsjbEEZZNS1_14partition_implILS5_9ELb0ES3_jN6thrust23THRUST_200600_302600_NS6detail15normal_iteratorINS9_10device_ptrIsEEEENSB_INSC_IjEEEEPNS0_10empty_typeENS0_5tupleIJSE_SH_EEENSJ_IJSG_SI_EEENS0_18inequality_wrapperINS9_8equal_toIsEEEEPmJSH_EEE10hipError_tPvRmT3_T4_T5_T6_T7_T9_mT8_P12ihipStream_tbDpT10_ENKUlT_T0_E_clISt17integral_constantIbLb0EES19_IbLb1EEEEDaS15_S16_EUlS15_E_NS1_11comp_targetILNS1_3genE4ELNS1_11target_archE910ELNS1_3gpuE8ELNS1_3repE0EEENS1_30default_config_static_selectorELNS0_4arch9wavefront6targetE0EEEvT1_
	.p2align	8
	.type	_ZN7rocprim17ROCPRIM_400000_NS6detail17trampoline_kernelINS0_14default_configENS1_25partition_config_selectorILNS1_17partition_subalgoE9EsjbEEZZNS1_14partition_implILS5_9ELb0ES3_jN6thrust23THRUST_200600_302600_NS6detail15normal_iteratorINS9_10device_ptrIsEEEENSB_INSC_IjEEEEPNS0_10empty_typeENS0_5tupleIJSE_SH_EEENSJ_IJSG_SI_EEENS0_18inequality_wrapperINS9_8equal_toIsEEEEPmJSH_EEE10hipError_tPvRmT3_T4_T5_T6_T7_T9_mT8_P12ihipStream_tbDpT10_ENKUlT_T0_E_clISt17integral_constantIbLb0EES19_IbLb1EEEEDaS15_S16_EUlS15_E_NS1_11comp_targetILNS1_3genE4ELNS1_11target_archE910ELNS1_3gpuE8ELNS1_3repE0EEENS1_30default_config_static_selectorELNS0_4arch9wavefront6targetE0EEEvT1_,@function
_ZN7rocprim17ROCPRIM_400000_NS6detail17trampoline_kernelINS0_14default_configENS1_25partition_config_selectorILNS1_17partition_subalgoE9EsjbEEZZNS1_14partition_implILS5_9ELb0ES3_jN6thrust23THRUST_200600_302600_NS6detail15normal_iteratorINS9_10device_ptrIsEEEENSB_INSC_IjEEEEPNS0_10empty_typeENS0_5tupleIJSE_SH_EEENSJ_IJSG_SI_EEENS0_18inequality_wrapperINS9_8equal_toIsEEEEPmJSH_EEE10hipError_tPvRmT3_T4_T5_T6_T7_T9_mT8_P12ihipStream_tbDpT10_ENKUlT_T0_E_clISt17integral_constantIbLb0EES19_IbLb1EEEEDaS15_S16_EUlS15_E_NS1_11comp_targetILNS1_3genE4ELNS1_11target_archE910ELNS1_3gpuE8ELNS1_3repE0EEENS1_30default_config_static_selectorELNS0_4arch9wavefront6targetE0EEEvT1_: ; @_ZN7rocprim17ROCPRIM_400000_NS6detail17trampoline_kernelINS0_14default_configENS1_25partition_config_selectorILNS1_17partition_subalgoE9EsjbEEZZNS1_14partition_implILS5_9ELb0ES3_jN6thrust23THRUST_200600_302600_NS6detail15normal_iteratorINS9_10device_ptrIsEEEENSB_INSC_IjEEEEPNS0_10empty_typeENS0_5tupleIJSE_SH_EEENSJ_IJSG_SI_EEENS0_18inequality_wrapperINS9_8equal_toIsEEEEPmJSH_EEE10hipError_tPvRmT3_T4_T5_T6_T7_T9_mT8_P12ihipStream_tbDpT10_ENKUlT_T0_E_clISt17integral_constantIbLb0EES19_IbLb1EEEEDaS15_S16_EUlS15_E_NS1_11comp_targetILNS1_3genE4ELNS1_11target_archE910ELNS1_3gpuE8ELNS1_3repE0EEENS1_30default_config_static_selectorELNS0_4arch9wavefront6targetE0EEEvT1_
; %bb.0:
	.section	.rodata,"a",@progbits
	.p2align	6, 0x0
	.amdhsa_kernel _ZN7rocprim17ROCPRIM_400000_NS6detail17trampoline_kernelINS0_14default_configENS1_25partition_config_selectorILNS1_17partition_subalgoE9EsjbEEZZNS1_14partition_implILS5_9ELb0ES3_jN6thrust23THRUST_200600_302600_NS6detail15normal_iteratorINS9_10device_ptrIsEEEENSB_INSC_IjEEEEPNS0_10empty_typeENS0_5tupleIJSE_SH_EEENSJ_IJSG_SI_EEENS0_18inequality_wrapperINS9_8equal_toIsEEEEPmJSH_EEE10hipError_tPvRmT3_T4_T5_T6_T7_T9_mT8_P12ihipStream_tbDpT10_ENKUlT_T0_E_clISt17integral_constantIbLb0EES19_IbLb1EEEEDaS15_S16_EUlS15_E_NS1_11comp_targetILNS1_3genE4ELNS1_11target_archE910ELNS1_3gpuE8ELNS1_3repE0EEENS1_30default_config_static_selectorELNS0_4arch9wavefront6targetE0EEEvT1_
		.amdhsa_group_segment_fixed_size 0
		.amdhsa_private_segment_fixed_size 0
		.amdhsa_kernarg_size 128
		.amdhsa_user_sgpr_count 15
		.amdhsa_user_sgpr_dispatch_ptr 0
		.amdhsa_user_sgpr_queue_ptr 0
		.amdhsa_user_sgpr_kernarg_segment_ptr 1
		.amdhsa_user_sgpr_dispatch_id 0
		.amdhsa_user_sgpr_private_segment_size 0
		.amdhsa_wavefront_size32 1
		.amdhsa_uses_dynamic_stack 0
		.amdhsa_enable_private_segment 0
		.amdhsa_system_sgpr_workgroup_id_x 1
		.amdhsa_system_sgpr_workgroup_id_y 0
		.amdhsa_system_sgpr_workgroup_id_z 0
		.amdhsa_system_sgpr_workgroup_info 0
		.amdhsa_system_vgpr_workitem_id 0
		.amdhsa_next_free_vgpr 1
		.amdhsa_next_free_sgpr 1
		.amdhsa_reserve_vcc 0
		.amdhsa_float_round_mode_32 0
		.amdhsa_float_round_mode_16_64 0
		.amdhsa_float_denorm_mode_32 3
		.amdhsa_float_denorm_mode_16_64 3
		.amdhsa_dx10_clamp 1
		.amdhsa_ieee_mode 1
		.amdhsa_fp16_overflow 0
		.amdhsa_workgroup_processor_mode 1
		.amdhsa_memory_ordered 1
		.amdhsa_forward_progress 0
		.amdhsa_shared_vgpr_count 0
		.amdhsa_exception_fp_ieee_invalid_op 0
		.amdhsa_exception_fp_denorm_src 0
		.amdhsa_exception_fp_ieee_div_zero 0
		.amdhsa_exception_fp_ieee_overflow 0
		.amdhsa_exception_fp_ieee_underflow 0
		.amdhsa_exception_fp_ieee_inexact 0
		.amdhsa_exception_int_div_zero 0
	.end_amdhsa_kernel
	.section	.text._ZN7rocprim17ROCPRIM_400000_NS6detail17trampoline_kernelINS0_14default_configENS1_25partition_config_selectorILNS1_17partition_subalgoE9EsjbEEZZNS1_14partition_implILS5_9ELb0ES3_jN6thrust23THRUST_200600_302600_NS6detail15normal_iteratorINS9_10device_ptrIsEEEENSB_INSC_IjEEEEPNS0_10empty_typeENS0_5tupleIJSE_SH_EEENSJ_IJSG_SI_EEENS0_18inequality_wrapperINS9_8equal_toIsEEEEPmJSH_EEE10hipError_tPvRmT3_T4_T5_T6_T7_T9_mT8_P12ihipStream_tbDpT10_ENKUlT_T0_E_clISt17integral_constantIbLb0EES19_IbLb1EEEEDaS15_S16_EUlS15_E_NS1_11comp_targetILNS1_3genE4ELNS1_11target_archE910ELNS1_3gpuE8ELNS1_3repE0EEENS1_30default_config_static_selectorELNS0_4arch9wavefront6targetE0EEEvT1_,"axG",@progbits,_ZN7rocprim17ROCPRIM_400000_NS6detail17trampoline_kernelINS0_14default_configENS1_25partition_config_selectorILNS1_17partition_subalgoE9EsjbEEZZNS1_14partition_implILS5_9ELb0ES3_jN6thrust23THRUST_200600_302600_NS6detail15normal_iteratorINS9_10device_ptrIsEEEENSB_INSC_IjEEEEPNS0_10empty_typeENS0_5tupleIJSE_SH_EEENSJ_IJSG_SI_EEENS0_18inequality_wrapperINS9_8equal_toIsEEEEPmJSH_EEE10hipError_tPvRmT3_T4_T5_T6_T7_T9_mT8_P12ihipStream_tbDpT10_ENKUlT_T0_E_clISt17integral_constantIbLb0EES19_IbLb1EEEEDaS15_S16_EUlS15_E_NS1_11comp_targetILNS1_3genE4ELNS1_11target_archE910ELNS1_3gpuE8ELNS1_3repE0EEENS1_30default_config_static_selectorELNS0_4arch9wavefront6targetE0EEEvT1_,comdat
.Lfunc_end687:
	.size	_ZN7rocprim17ROCPRIM_400000_NS6detail17trampoline_kernelINS0_14default_configENS1_25partition_config_selectorILNS1_17partition_subalgoE9EsjbEEZZNS1_14partition_implILS5_9ELb0ES3_jN6thrust23THRUST_200600_302600_NS6detail15normal_iteratorINS9_10device_ptrIsEEEENSB_INSC_IjEEEEPNS0_10empty_typeENS0_5tupleIJSE_SH_EEENSJ_IJSG_SI_EEENS0_18inequality_wrapperINS9_8equal_toIsEEEEPmJSH_EEE10hipError_tPvRmT3_T4_T5_T6_T7_T9_mT8_P12ihipStream_tbDpT10_ENKUlT_T0_E_clISt17integral_constantIbLb0EES19_IbLb1EEEEDaS15_S16_EUlS15_E_NS1_11comp_targetILNS1_3genE4ELNS1_11target_archE910ELNS1_3gpuE8ELNS1_3repE0EEENS1_30default_config_static_selectorELNS0_4arch9wavefront6targetE0EEEvT1_, .Lfunc_end687-_ZN7rocprim17ROCPRIM_400000_NS6detail17trampoline_kernelINS0_14default_configENS1_25partition_config_selectorILNS1_17partition_subalgoE9EsjbEEZZNS1_14partition_implILS5_9ELb0ES3_jN6thrust23THRUST_200600_302600_NS6detail15normal_iteratorINS9_10device_ptrIsEEEENSB_INSC_IjEEEEPNS0_10empty_typeENS0_5tupleIJSE_SH_EEENSJ_IJSG_SI_EEENS0_18inequality_wrapperINS9_8equal_toIsEEEEPmJSH_EEE10hipError_tPvRmT3_T4_T5_T6_T7_T9_mT8_P12ihipStream_tbDpT10_ENKUlT_T0_E_clISt17integral_constantIbLb0EES19_IbLb1EEEEDaS15_S16_EUlS15_E_NS1_11comp_targetILNS1_3genE4ELNS1_11target_archE910ELNS1_3gpuE8ELNS1_3repE0EEENS1_30default_config_static_selectorELNS0_4arch9wavefront6targetE0EEEvT1_
                                        ; -- End function
	.section	.AMDGPU.csdata,"",@progbits
; Kernel info:
; codeLenInByte = 0
; NumSgprs: 0
; NumVgprs: 0
; ScratchSize: 0
; MemoryBound: 0
; FloatMode: 240
; IeeeMode: 1
; LDSByteSize: 0 bytes/workgroup (compile time only)
; SGPRBlocks: 0
; VGPRBlocks: 0
; NumSGPRsForWavesPerEU: 1
; NumVGPRsForWavesPerEU: 1
; Occupancy: 15
; WaveLimiterHint : 0
; COMPUTE_PGM_RSRC2:SCRATCH_EN: 0
; COMPUTE_PGM_RSRC2:USER_SGPR: 15
; COMPUTE_PGM_RSRC2:TRAP_HANDLER: 0
; COMPUTE_PGM_RSRC2:TGID_X_EN: 1
; COMPUTE_PGM_RSRC2:TGID_Y_EN: 0
; COMPUTE_PGM_RSRC2:TGID_Z_EN: 0
; COMPUTE_PGM_RSRC2:TIDIG_COMP_CNT: 0
	.section	.text._ZN7rocprim17ROCPRIM_400000_NS6detail17trampoline_kernelINS0_14default_configENS1_25partition_config_selectorILNS1_17partition_subalgoE9EsjbEEZZNS1_14partition_implILS5_9ELb0ES3_jN6thrust23THRUST_200600_302600_NS6detail15normal_iteratorINS9_10device_ptrIsEEEENSB_INSC_IjEEEEPNS0_10empty_typeENS0_5tupleIJSE_SH_EEENSJ_IJSG_SI_EEENS0_18inequality_wrapperINS9_8equal_toIsEEEEPmJSH_EEE10hipError_tPvRmT3_T4_T5_T6_T7_T9_mT8_P12ihipStream_tbDpT10_ENKUlT_T0_E_clISt17integral_constantIbLb0EES19_IbLb1EEEEDaS15_S16_EUlS15_E_NS1_11comp_targetILNS1_3genE3ELNS1_11target_archE908ELNS1_3gpuE7ELNS1_3repE0EEENS1_30default_config_static_selectorELNS0_4arch9wavefront6targetE0EEEvT1_,"axG",@progbits,_ZN7rocprim17ROCPRIM_400000_NS6detail17trampoline_kernelINS0_14default_configENS1_25partition_config_selectorILNS1_17partition_subalgoE9EsjbEEZZNS1_14partition_implILS5_9ELb0ES3_jN6thrust23THRUST_200600_302600_NS6detail15normal_iteratorINS9_10device_ptrIsEEEENSB_INSC_IjEEEEPNS0_10empty_typeENS0_5tupleIJSE_SH_EEENSJ_IJSG_SI_EEENS0_18inequality_wrapperINS9_8equal_toIsEEEEPmJSH_EEE10hipError_tPvRmT3_T4_T5_T6_T7_T9_mT8_P12ihipStream_tbDpT10_ENKUlT_T0_E_clISt17integral_constantIbLb0EES19_IbLb1EEEEDaS15_S16_EUlS15_E_NS1_11comp_targetILNS1_3genE3ELNS1_11target_archE908ELNS1_3gpuE7ELNS1_3repE0EEENS1_30default_config_static_selectorELNS0_4arch9wavefront6targetE0EEEvT1_,comdat
	.protected	_ZN7rocprim17ROCPRIM_400000_NS6detail17trampoline_kernelINS0_14default_configENS1_25partition_config_selectorILNS1_17partition_subalgoE9EsjbEEZZNS1_14partition_implILS5_9ELb0ES3_jN6thrust23THRUST_200600_302600_NS6detail15normal_iteratorINS9_10device_ptrIsEEEENSB_INSC_IjEEEEPNS0_10empty_typeENS0_5tupleIJSE_SH_EEENSJ_IJSG_SI_EEENS0_18inequality_wrapperINS9_8equal_toIsEEEEPmJSH_EEE10hipError_tPvRmT3_T4_T5_T6_T7_T9_mT8_P12ihipStream_tbDpT10_ENKUlT_T0_E_clISt17integral_constantIbLb0EES19_IbLb1EEEEDaS15_S16_EUlS15_E_NS1_11comp_targetILNS1_3genE3ELNS1_11target_archE908ELNS1_3gpuE7ELNS1_3repE0EEENS1_30default_config_static_selectorELNS0_4arch9wavefront6targetE0EEEvT1_ ; -- Begin function _ZN7rocprim17ROCPRIM_400000_NS6detail17trampoline_kernelINS0_14default_configENS1_25partition_config_selectorILNS1_17partition_subalgoE9EsjbEEZZNS1_14partition_implILS5_9ELb0ES3_jN6thrust23THRUST_200600_302600_NS6detail15normal_iteratorINS9_10device_ptrIsEEEENSB_INSC_IjEEEEPNS0_10empty_typeENS0_5tupleIJSE_SH_EEENSJ_IJSG_SI_EEENS0_18inequality_wrapperINS9_8equal_toIsEEEEPmJSH_EEE10hipError_tPvRmT3_T4_T5_T6_T7_T9_mT8_P12ihipStream_tbDpT10_ENKUlT_T0_E_clISt17integral_constantIbLb0EES19_IbLb1EEEEDaS15_S16_EUlS15_E_NS1_11comp_targetILNS1_3genE3ELNS1_11target_archE908ELNS1_3gpuE7ELNS1_3repE0EEENS1_30default_config_static_selectorELNS0_4arch9wavefront6targetE0EEEvT1_
	.globl	_ZN7rocprim17ROCPRIM_400000_NS6detail17trampoline_kernelINS0_14default_configENS1_25partition_config_selectorILNS1_17partition_subalgoE9EsjbEEZZNS1_14partition_implILS5_9ELb0ES3_jN6thrust23THRUST_200600_302600_NS6detail15normal_iteratorINS9_10device_ptrIsEEEENSB_INSC_IjEEEEPNS0_10empty_typeENS0_5tupleIJSE_SH_EEENSJ_IJSG_SI_EEENS0_18inequality_wrapperINS9_8equal_toIsEEEEPmJSH_EEE10hipError_tPvRmT3_T4_T5_T6_T7_T9_mT8_P12ihipStream_tbDpT10_ENKUlT_T0_E_clISt17integral_constantIbLb0EES19_IbLb1EEEEDaS15_S16_EUlS15_E_NS1_11comp_targetILNS1_3genE3ELNS1_11target_archE908ELNS1_3gpuE7ELNS1_3repE0EEENS1_30default_config_static_selectorELNS0_4arch9wavefront6targetE0EEEvT1_
	.p2align	8
	.type	_ZN7rocprim17ROCPRIM_400000_NS6detail17trampoline_kernelINS0_14default_configENS1_25partition_config_selectorILNS1_17partition_subalgoE9EsjbEEZZNS1_14partition_implILS5_9ELb0ES3_jN6thrust23THRUST_200600_302600_NS6detail15normal_iteratorINS9_10device_ptrIsEEEENSB_INSC_IjEEEEPNS0_10empty_typeENS0_5tupleIJSE_SH_EEENSJ_IJSG_SI_EEENS0_18inequality_wrapperINS9_8equal_toIsEEEEPmJSH_EEE10hipError_tPvRmT3_T4_T5_T6_T7_T9_mT8_P12ihipStream_tbDpT10_ENKUlT_T0_E_clISt17integral_constantIbLb0EES19_IbLb1EEEEDaS15_S16_EUlS15_E_NS1_11comp_targetILNS1_3genE3ELNS1_11target_archE908ELNS1_3gpuE7ELNS1_3repE0EEENS1_30default_config_static_selectorELNS0_4arch9wavefront6targetE0EEEvT1_,@function
_ZN7rocprim17ROCPRIM_400000_NS6detail17trampoline_kernelINS0_14default_configENS1_25partition_config_selectorILNS1_17partition_subalgoE9EsjbEEZZNS1_14partition_implILS5_9ELb0ES3_jN6thrust23THRUST_200600_302600_NS6detail15normal_iteratorINS9_10device_ptrIsEEEENSB_INSC_IjEEEEPNS0_10empty_typeENS0_5tupleIJSE_SH_EEENSJ_IJSG_SI_EEENS0_18inequality_wrapperINS9_8equal_toIsEEEEPmJSH_EEE10hipError_tPvRmT3_T4_T5_T6_T7_T9_mT8_P12ihipStream_tbDpT10_ENKUlT_T0_E_clISt17integral_constantIbLb0EES19_IbLb1EEEEDaS15_S16_EUlS15_E_NS1_11comp_targetILNS1_3genE3ELNS1_11target_archE908ELNS1_3gpuE7ELNS1_3repE0EEENS1_30default_config_static_selectorELNS0_4arch9wavefront6targetE0EEEvT1_: ; @_ZN7rocprim17ROCPRIM_400000_NS6detail17trampoline_kernelINS0_14default_configENS1_25partition_config_selectorILNS1_17partition_subalgoE9EsjbEEZZNS1_14partition_implILS5_9ELb0ES3_jN6thrust23THRUST_200600_302600_NS6detail15normal_iteratorINS9_10device_ptrIsEEEENSB_INSC_IjEEEEPNS0_10empty_typeENS0_5tupleIJSE_SH_EEENSJ_IJSG_SI_EEENS0_18inequality_wrapperINS9_8equal_toIsEEEEPmJSH_EEE10hipError_tPvRmT3_T4_T5_T6_T7_T9_mT8_P12ihipStream_tbDpT10_ENKUlT_T0_E_clISt17integral_constantIbLb0EES19_IbLb1EEEEDaS15_S16_EUlS15_E_NS1_11comp_targetILNS1_3genE3ELNS1_11target_archE908ELNS1_3gpuE7ELNS1_3repE0EEENS1_30default_config_static_selectorELNS0_4arch9wavefront6targetE0EEEvT1_
; %bb.0:
	.section	.rodata,"a",@progbits
	.p2align	6, 0x0
	.amdhsa_kernel _ZN7rocprim17ROCPRIM_400000_NS6detail17trampoline_kernelINS0_14default_configENS1_25partition_config_selectorILNS1_17partition_subalgoE9EsjbEEZZNS1_14partition_implILS5_9ELb0ES3_jN6thrust23THRUST_200600_302600_NS6detail15normal_iteratorINS9_10device_ptrIsEEEENSB_INSC_IjEEEEPNS0_10empty_typeENS0_5tupleIJSE_SH_EEENSJ_IJSG_SI_EEENS0_18inequality_wrapperINS9_8equal_toIsEEEEPmJSH_EEE10hipError_tPvRmT3_T4_T5_T6_T7_T9_mT8_P12ihipStream_tbDpT10_ENKUlT_T0_E_clISt17integral_constantIbLb0EES19_IbLb1EEEEDaS15_S16_EUlS15_E_NS1_11comp_targetILNS1_3genE3ELNS1_11target_archE908ELNS1_3gpuE7ELNS1_3repE0EEENS1_30default_config_static_selectorELNS0_4arch9wavefront6targetE0EEEvT1_
		.amdhsa_group_segment_fixed_size 0
		.amdhsa_private_segment_fixed_size 0
		.amdhsa_kernarg_size 128
		.amdhsa_user_sgpr_count 15
		.amdhsa_user_sgpr_dispatch_ptr 0
		.amdhsa_user_sgpr_queue_ptr 0
		.amdhsa_user_sgpr_kernarg_segment_ptr 1
		.amdhsa_user_sgpr_dispatch_id 0
		.amdhsa_user_sgpr_private_segment_size 0
		.amdhsa_wavefront_size32 1
		.amdhsa_uses_dynamic_stack 0
		.amdhsa_enable_private_segment 0
		.amdhsa_system_sgpr_workgroup_id_x 1
		.amdhsa_system_sgpr_workgroup_id_y 0
		.amdhsa_system_sgpr_workgroup_id_z 0
		.amdhsa_system_sgpr_workgroup_info 0
		.amdhsa_system_vgpr_workitem_id 0
		.amdhsa_next_free_vgpr 1
		.amdhsa_next_free_sgpr 1
		.amdhsa_reserve_vcc 0
		.amdhsa_float_round_mode_32 0
		.amdhsa_float_round_mode_16_64 0
		.amdhsa_float_denorm_mode_32 3
		.amdhsa_float_denorm_mode_16_64 3
		.amdhsa_dx10_clamp 1
		.amdhsa_ieee_mode 1
		.amdhsa_fp16_overflow 0
		.amdhsa_workgroup_processor_mode 1
		.amdhsa_memory_ordered 1
		.amdhsa_forward_progress 0
		.amdhsa_shared_vgpr_count 0
		.amdhsa_exception_fp_ieee_invalid_op 0
		.amdhsa_exception_fp_denorm_src 0
		.amdhsa_exception_fp_ieee_div_zero 0
		.amdhsa_exception_fp_ieee_overflow 0
		.amdhsa_exception_fp_ieee_underflow 0
		.amdhsa_exception_fp_ieee_inexact 0
		.amdhsa_exception_int_div_zero 0
	.end_amdhsa_kernel
	.section	.text._ZN7rocprim17ROCPRIM_400000_NS6detail17trampoline_kernelINS0_14default_configENS1_25partition_config_selectorILNS1_17partition_subalgoE9EsjbEEZZNS1_14partition_implILS5_9ELb0ES3_jN6thrust23THRUST_200600_302600_NS6detail15normal_iteratorINS9_10device_ptrIsEEEENSB_INSC_IjEEEEPNS0_10empty_typeENS0_5tupleIJSE_SH_EEENSJ_IJSG_SI_EEENS0_18inequality_wrapperINS9_8equal_toIsEEEEPmJSH_EEE10hipError_tPvRmT3_T4_T5_T6_T7_T9_mT8_P12ihipStream_tbDpT10_ENKUlT_T0_E_clISt17integral_constantIbLb0EES19_IbLb1EEEEDaS15_S16_EUlS15_E_NS1_11comp_targetILNS1_3genE3ELNS1_11target_archE908ELNS1_3gpuE7ELNS1_3repE0EEENS1_30default_config_static_selectorELNS0_4arch9wavefront6targetE0EEEvT1_,"axG",@progbits,_ZN7rocprim17ROCPRIM_400000_NS6detail17trampoline_kernelINS0_14default_configENS1_25partition_config_selectorILNS1_17partition_subalgoE9EsjbEEZZNS1_14partition_implILS5_9ELb0ES3_jN6thrust23THRUST_200600_302600_NS6detail15normal_iteratorINS9_10device_ptrIsEEEENSB_INSC_IjEEEEPNS0_10empty_typeENS0_5tupleIJSE_SH_EEENSJ_IJSG_SI_EEENS0_18inequality_wrapperINS9_8equal_toIsEEEEPmJSH_EEE10hipError_tPvRmT3_T4_T5_T6_T7_T9_mT8_P12ihipStream_tbDpT10_ENKUlT_T0_E_clISt17integral_constantIbLb0EES19_IbLb1EEEEDaS15_S16_EUlS15_E_NS1_11comp_targetILNS1_3genE3ELNS1_11target_archE908ELNS1_3gpuE7ELNS1_3repE0EEENS1_30default_config_static_selectorELNS0_4arch9wavefront6targetE0EEEvT1_,comdat
.Lfunc_end688:
	.size	_ZN7rocprim17ROCPRIM_400000_NS6detail17trampoline_kernelINS0_14default_configENS1_25partition_config_selectorILNS1_17partition_subalgoE9EsjbEEZZNS1_14partition_implILS5_9ELb0ES3_jN6thrust23THRUST_200600_302600_NS6detail15normal_iteratorINS9_10device_ptrIsEEEENSB_INSC_IjEEEEPNS0_10empty_typeENS0_5tupleIJSE_SH_EEENSJ_IJSG_SI_EEENS0_18inequality_wrapperINS9_8equal_toIsEEEEPmJSH_EEE10hipError_tPvRmT3_T4_T5_T6_T7_T9_mT8_P12ihipStream_tbDpT10_ENKUlT_T0_E_clISt17integral_constantIbLb0EES19_IbLb1EEEEDaS15_S16_EUlS15_E_NS1_11comp_targetILNS1_3genE3ELNS1_11target_archE908ELNS1_3gpuE7ELNS1_3repE0EEENS1_30default_config_static_selectorELNS0_4arch9wavefront6targetE0EEEvT1_, .Lfunc_end688-_ZN7rocprim17ROCPRIM_400000_NS6detail17trampoline_kernelINS0_14default_configENS1_25partition_config_selectorILNS1_17partition_subalgoE9EsjbEEZZNS1_14partition_implILS5_9ELb0ES3_jN6thrust23THRUST_200600_302600_NS6detail15normal_iteratorINS9_10device_ptrIsEEEENSB_INSC_IjEEEEPNS0_10empty_typeENS0_5tupleIJSE_SH_EEENSJ_IJSG_SI_EEENS0_18inequality_wrapperINS9_8equal_toIsEEEEPmJSH_EEE10hipError_tPvRmT3_T4_T5_T6_T7_T9_mT8_P12ihipStream_tbDpT10_ENKUlT_T0_E_clISt17integral_constantIbLb0EES19_IbLb1EEEEDaS15_S16_EUlS15_E_NS1_11comp_targetILNS1_3genE3ELNS1_11target_archE908ELNS1_3gpuE7ELNS1_3repE0EEENS1_30default_config_static_selectorELNS0_4arch9wavefront6targetE0EEEvT1_
                                        ; -- End function
	.section	.AMDGPU.csdata,"",@progbits
; Kernel info:
; codeLenInByte = 0
; NumSgprs: 0
; NumVgprs: 0
; ScratchSize: 0
; MemoryBound: 0
; FloatMode: 240
; IeeeMode: 1
; LDSByteSize: 0 bytes/workgroup (compile time only)
; SGPRBlocks: 0
; VGPRBlocks: 0
; NumSGPRsForWavesPerEU: 1
; NumVGPRsForWavesPerEU: 1
; Occupancy: 16
; WaveLimiterHint : 0
; COMPUTE_PGM_RSRC2:SCRATCH_EN: 0
; COMPUTE_PGM_RSRC2:USER_SGPR: 15
; COMPUTE_PGM_RSRC2:TRAP_HANDLER: 0
; COMPUTE_PGM_RSRC2:TGID_X_EN: 1
; COMPUTE_PGM_RSRC2:TGID_Y_EN: 0
; COMPUTE_PGM_RSRC2:TGID_Z_EN: 0
; COMPUTE_PGM_RSRC2:TIDIG_COMP_CNT: 0
	.section	.text._ZN7rocprim17ROCPRIM_400000_NS6detail17trampoline_kernelINS0_14default_configENS1_25partition_config_selectorILNS1_17partition_subalgoE9EsjbEEZZNS1_14partition_implILS5_9ELb0ES3_jN6thrust23THRUST_200600_302600_NS6detail15normal_iteratorINS9_10device_ptrIsEEEENSB_INSC_IjEEEEPNS0_10empty_typeENS0_5tupleIJSE_SH_EEENSJ_IJSG_SI_EEENS0_18inequality_wrapperINS9_8equal_toIsEEEEPmJSH_EEE10hipError_tPvRmT3_T4_T5_T6_T7_T9_mT8_P12ihipStream_tbDpT10_ENKUlT_T0_E_clISt17integral_constantIbLb0EES19_IbLb1EEEEDaS15_S16_EUlS15_E_NS1_11comp_targetILNS1_3genE2ELNS1_11target_archE906ELNS1_3gpuE6ELNS1_3repE0EEENS1_30default_config_static_selectorELNS0_4arch9wavefront6targetE0EEEvT1_,"axG",@progbits,_ZN7rocprim17ROCPRIM_400000_NS6detail17trampoline_kernelINS0_14default_configENS1_25partition_config_selectorILNS1_17partition_subalgoE9EsjbEEZZNS1_14partition_implILS5_9ELb0ES3_jN6thrust23THRUST_200600_302600_NS6detail15normal_iteratorINS9_10device_ptrIsEEEENSB_INSC_IjEEEEPNS0_10empty_typeENS0_5tupleIJSE_SH_EEENSJ_IJSG_SI_EEENS0_18inequality_wrapperINS9_8equal_toIsEEEEPmJSH_EEE10hipError_tPvRmT3_T4_T5_T6_T7_T9_mT8_P12ihipStream_tbDpT10_ENKUlT_T0_E_clISt17integral_constantIbLb0EES19_IbLb1EEEEDaS15_S16_EUlS15_E_NS1_11comp_targetILNS1_3genE2ELNS1_11target_archE906ELNS1_3gpuE6ELNS1_3repE0EEENS1_30default_config_static_selectorELNS0_4arch9wavefront6targetE0EEEvT1_,comdat
	.protected	_ZN7rocprim17ROCPRIM_400000_NS6detail17trampoline_kernelINS0_14default_configENS1_25partition_config_selectorILNS1_17partition_subalgoE9EsjbEEZZNS1_14partition_implILS5_9ELb0ES3_jN6thrust23THRUST_200600_302600_NS6detail15normal_iteratorINS9_10device_ptrIsEEEENSB_INSC_IjEEEEPNS0_10empty_typeENS0_5tupleIJSE_SH_EEENSJ_IJSG_SI_EEENS0_18inequality_wrapperINS9_8equal_toIsEEEEPmJSH_EEE10hipError_tPvRmT3_T4_T5_T6_T7_T9_mT8_P12ihipStream_tbDpT10_ENKUlT_T0_E_clISt17integral_constantIbLb0EES19_IbLb1EEEEDaS15_S16_EUlS15_E_NS1_11comp_targetILNS1_3genE2ELNS1_11target_archE906ELNS1_3gpuE6ELNS1_3repE0EEENS1_30default_config_static_selectorELNS0_4arch9wavefront6targetE0EEEvT1_ ; -- Begin function _ZN7rocprim17ROCPRIM_400000_NS6detail17trampoline_kernelINS0_14default_configENS1_25partition_config_selectorILNS1_17partition_subalgoE9EsjbEEZZNS1_14partition_implILS5_9ELb0ES3_jN6thrust23THRUST_200600_302600_NS6detail15normal_iteratorINS9_10device_ptrIsEEEENSB_INSC_IjEEEEPNS0_10empty_typeENS0_5tupleIJSE_SH_EEENSJ_IJSG_SI_EEENS0_18inequality_wrapperINS9_8equal_toIsEEEEPmJSH_EEE10hipError_tPvRmT3_T4_T5_T6_T7_T9_mT8_P12ihipStream_tbDpT10_ENKUlT_T0_E_clISt17integral_constantIbLb0EES19_IbLb1EEEEDaS15_S16_EUlS15_E_NS1_11comp_targetILNS1_3genE2ELNS1_11target_archE906ELNS1_3gpuE6ELNS1_3repE0EEENS1_30default_config_static_selectorELNS0_4arch9wavefront6targetE0EEEvT1_
	.globl	_ZN7rocprim17ROCPRIM_400000_NS6detail17trampoline_kernelINS0_14default_configENS1_25partition_config_selectorILNS1_17partition_subalgoE9EsjbEEZZNS1_14partition_implILS5_9ELb0ES3_jN6thrust23THRUST_200600_302600_NS6detail15normal_iteratorINS9_10device_ptrIsEEEENSB_INSC_IjEEEEPNS0_10empty_typeENS0_5tupleIJSE_SH_EEENSJ_IJSG_SI_EEENS0_18inequality_wrapperINS9_8equal_toIsEEEEPmJSH_EEE10hipError_tPvRmT3_T4_T5_T6_T7_T9_mT8_P12ihipStream_tbDpT10_ENKUlT_T0_E_clISt17integral_constantIbLb0EES19_IbLb1EEEEDaS15_S16_EUlS15_E_NS1_11comp_targetILNS1_3genE2ELNS1_11target_archE906ELNS1_3gpuE6ELNS1_3repE0EEENS1_30default_config_static_selectorELNS0_4arch9wavefront6targetE0EEEvT1_
	.p2align	8
	.type	_ZN7rocprim17ROCPRIM_400000_NS6detail17trampoline_kernelINS0_14default_configENS1_25partition_config_selectorILNS1_17partition_subalgoE9EsjbEEZZNS1_14partition_implILS5_9ELb0ES3_jN6thrust23THRUST_200600_302600_NS6detail15normal_iteratorINS9_10device_ptrIsEEEENSB_INSC_IjEEEEPNS0_10empty_typeENS0_5tupleIJSE_SH_EEENSJ_IJSG_SI_EEENS0_18inequality_wrapperINS9_8equal_toIsEEEEPmJSH_EEE10hipError_tPvRmT3_T4_T5_T6_T7_T9_mT8_P12ihipStream_tbDpT10_ENKUlT_T0_E_clISt17integral_constantIbLb0EES19_IbLb1EEEEDaS15_S16_EUlS15_E_NS1_11comp_targetILNS1_3genE2ELNS1_11target_archE906ELNS1_3gpuE6ELNS1_3repE0EEENS1_30default_config_static_selectorELNS0_4arch9wavefront6targetE0EEEvT1_,@function
_ZN7rocprim17ROCPRIM_400000_NS6detail17trampoline_kernelINS0_14default_configENS1_25partition_config_selectorILNS1_17partition_subalgoE9EsjbEEZZNS1_14partition_implILS5_9ELb0ES3_jN6thrust23THRUST_200600_302600_NS6detail15normal_iteratorINS9_10device_ptrIsEEEENSB_INSC_IjEEEEPNS0_10empty_typeENS0_5tupleIJSE_SH_EEENSJ_IJSG_SI_EEENS0_18inequality_wrapperINS9_8equal_toIsEEEEPmJSH_EEE10hipError_tPvRmT3_T4_T5_T6_T7_T9_mT8_P12ihipStream_tbDpT10_ENKUlT_T0_E_clISt17integral_constantIbLb0EES19_IbLb1EEEEDaS15_S16_EUlS15_E_NS1_11comp_targetILNS1_3genE2ELNS1_11target_archE906ELNS1_3gpuE6ELNS1_3repE0EEENS1_30default_config_static_selectorELNS0_4arch9wavefront6targetE0EEEvT1_: ; @_ZN7rocprim17ROCPRIM_400000_NS6detail17trampoline_kernelINS0_14default_configENS1_25partition_config_selectorILNS1_17partition_subalgoE9EsjbEEZZNS1_14partition_implILS5_9ELb0ES3_jN6thrust23THRUST_200600_302600_NS6detail15normal_iteratorINS9_10device_ptrIsEEEENSB_INSC_IjEEEEPNS0_10empty_typeENS0_5tupleIJSE_SH_EEENSJ_IJSG_SI_EEENS0_18inequality_wrapperINS9_8equal_toIsEEEEPmJSH_EEE10hipError_tPvRmT3_T4_T5_T6_T7_T9_mT8_P12ihipStream_tbDpT10_ENKUlT_T0_E_clISt17integral_constantIbLb0EES19_IbLb1EEEEDaS15_S16_EUlS15_E_NS1_11comp_targetILNS1_3genE2ELNS1_11target_archE906ELNS1_3gpuE6ELNS1_3repE0EEENS1_30default_config_static_selectorELNS0_4arch9wavefront6targetE0EEEvT1_
; %bb.0:
	.section	.rodata,"a",@progbits
	.p2align	6, 0x0
	.amdhsa_kernel _ZN7rocprim17ROCPRIM_400000_NS6detail17trampoline_kernelINS0_14default_configENS1_25partition_config_selectorILNS1_17partition_subalgoE9EsjbEEZZNS1_14partition_implILS5_9ELb0ES3_jN6thrust23THRUST_200600_302600_NS6detail15normal_iteratorINS9_10device_ptrIsEEEENSB_INSC_IjEEEEPNS0_10empty_typeENS0_5tupleIJSE_SH_EEENSJ_IJSG_SI_EEENS0_18inequality_wrapperINS9_8equal_toIsEEEEPmJSH_EEE10hipError_tPvRmT3_T4_T5_T6_T7_T9_mT8_P12ihipStream_tbDpT10_ENKUlT_T0_E_clISt17integral_constantIbLb0EES19_IbLb1EEEEDaS15_S16_EUlS15_E_NS1_11comp_targetILNS1_3genE2ELNS1_11target_archE906ELNS1_3gpuE6ELNS1_3repE0EEENS1_30default_config_static_selectorELNS0_4arch9wavefront6targetE0EEEvT1_
		.amdhsa_group_segment_fixed_size 0
		.amdhsa_private_segment_fixed_size 0
		.amdhsa_kernarg_size 128
		.amdhsa_user_sgpr_count 15
		.amdhsa_user_sgpr_dispatch_ptr 0
		.amdhsa_user_sgpr_queue_ptr 0
		.amdhsa_user_sgpr_kernarg_segment_ptr 1
		.amdhsa_user_sgpr_dispatch_id 0
		.amdhsa_user_sgpr_private_segment_size 0
		.amdhsa_wavefront_size32 1
		.amdhsa_uses_dynamic_stack 0
		.amdhsa_enable_private_segment 0
		.amdhsa_system_sgpr_workgroup_id_x 1
		.amdhsa_system_sgpr_workgroup_id_y 0
		.amdhsa_system_sgpr_workgroup_id_z 0
		.amdhsa_system_sgpr_workgroup_info 0
		.amdhsa_system_vgpr_workitem_id 0
		.amdhsa_next_free_vgpr 1
		.amdhsa_next_free_sgpr 1
		.amdhsa_reserve_vcc 0
		.amdhsa_float_round_mode_32 0
		.amdhsa_float_round_mode_16_64 0
		.amdhsa_float_denorm_mode_32 3
		.amdhsa_float_denorm_mode_16_64 3
		.amdhsa_dx10_clamp 1
		.amdhsa_ieee_mode 1
		.amdhsa_fp16_overflow 0
		.amdhsa_workgroup_processor_mode 1
		.amdhsa_memory_ordered 1
		.amdhsa_forward_progress 0
		.amdhsa_shared_vgpr_count 0
		.amdhsa_exception_fp_ieee_invalid_op 0
		.amdhsa_exception_fp_denorm_src 0
		.amdhsa_exception_fp_ieee_div_zero 0
		.amdhsa_exception_fp_ieee_overflow 0
		.amdhsa_exception_fp_ieee_underflow 0
		.amdhsa_exception_fp_ieee_inexact 0
		.amdhsa_exception_int_div_zero 0
	.end_amdhsa_kernel
	.section	.text._ZN7rocprim17ROCPRIM_400000_NS6detail17trampoline_kernelINS0_14default_configENS1_25partition_config_selectorILNS1_17partition_subalgoE9EsjbEEZZNS1_14partition_implILS5_9ELb0ES3_jN6thrust23THRUST_200600_302600_NS6detail15normal_iteratorINS9_10device_ptrIsEEEENSB_INSC_IjEEEEPNS0_10empty_typeENS0_5tupleIJSE_SH_EEENSJ_IJSG_SI_EEENS0_18inequality_wrapperINS9_8equal_toIsEEEEPmJSH_EEE10hipError_tPvRmT3_T4_T5_T6_T7_T9_mT8_P12ihipStream_tbDpT10_ENKUlT_T0_E_clISt17integral_constantIbLb0EES19_IbLb1EEEEDaS15_S16_EUlS15_E_NS1_11comp_targetILNS1_3genE2ELNS1_11target_archE906ELNS1_3gpuE6ELNS1_3repE0EEENS1_30default_config_static_selectorELNS0_4arch9wavefront6targetE0EEEvT1_,"axG",@progbits,_ZN7rocprim17ROCPRIM_400000_NS6detail17trampoline_kernelINS0_14default_configENS1_25partition_config_selectorILNS1_17partition_subalgoE9EsjbEEZZNS1_14partition_implILS5_9ELb0ES3_jN6thrust23THRUST_200600_302600_NS6detail15normal_iteratorINS9_10device_ptrIsEEEENSB_INSC_IjEEEEPNS0_10empty_typeENS0_5tupleIJSE_SH_EEENSJ_IJSG_SI_EEENS0_18inequality_wrapperINS9_8equal_toIsEEEEPmJSH_EEE10hipError_tPvRmT3_T4_T5_T6_T7_T9_mT8_P12ihipStream_tbDpT10_ENKUlT_T0_E_clISt17integral_constantIbLb0EES19_IbLb1EEEEDaS15_S16_EUlS15_E_NS1_11comp_targetILNS1_3genE2ELNS1_11target_archE906ELNS1_3gpuE6ELNS1_3repE0EEENS1_30default_config_static_selectorELNS0_4arch9wavefront6targetE0EEEvT1_,comdat
.Lfunc_end689:
	.size	_ZN7rocprim17ROCPRIM_400000_NS6detail17trampoline_kernelINS0_14default_configENS1_25partition_config_selectorILNS1_17partition_subalgoE9EsjbEEZZNS1_14partition_implILS5_9ELb0ES3_jN6thrust23THRUST_200600_302600_NS6detail15normal_iteratorINS9_10device_ptrIsEEEENSB_INSC_IjEEEEPNS0_10empty_typeENS0_5tupleIJSE_SH_EEENSJ_IJSG_SI_EEENS0_18inequality_wrapperINS9_8equal_toIsEEEEPmJSH_EEE10hipError_tPvRmT3_T4_T5_T6_T7_T9_mT8_P12ihipStream_tbDpT10_ENKUlT_T0_E_clISt17integral_constantIbLb0EES19_IbLb1EEEEDaS15_S16_EUlS15_E_NS1_11comp_targetILNS1_3genE2ELNS1_11target_archE906ELNS1_3gpuE6ELNS1_3repE0EEENS1_30default_config_static_selectorELNS0_4arch9wavefront6targetE0EEEvT1_, .Lfunc_end689-_ZN7rocprim17ROCPRIM_400000_NS6detail17trampoline_kernelINS0_14default_configENS1_25partition_config_selectorILNS1_17partition_subalgoE9EsjbEEZZNS1_14partition_implILS5_9ELb0ES3_jN6thrust23THRUST_200600_302600_NS6detail15normal_iteratorINS9_10device_ptrIsEEEENSB_INSC_IjEEEEPNS0_10empty_typeENS0_5tupleIJSE_SH_EEENSJ_IJSG_SI_EEENS0_18inequality_wrapperINS9_8equal_toIsEEEEPmJSH_EEE10hipError_tPvRmT3_T4_T5_T6_T7_T9_mT8_P12ihipStream_tbDpT10_ENKUlT_T0_E_clISt17integral_constantIbLb0EES19_IbLb1EEEEDaS15_S16_EUlS15_E_NS1_11comp_targetILNS1_3genE2ELNS1_11target_archE906ELNS1_3gpuE6ELNS1_3repE0EEENS1_30default_config_static_selectorELNS0_4arch9wavefront6targetE0EEEvT1_
                                        ; -- End function
	.section	.AMDGPU.csdata,"",@progbits
; Kernel info:
; codeLenInByte = 0
; NumSgprs: 0
; NumVgprs: 0
; ScratchSize: 0
; MemoryBound: 0
; FloatMode: 240
; IeeeMode: 1
; LDSByteSize: 0 bytes/workgroup (compile time only)
; SGPRBlocks: 0
; VGPRBlocks: 0
; NumSGPRsForWavesPerEU: 1
; NumVGPRsForWavesPerEU: 1
; Occupancy: 16
; WaveLimiterHint : 0
; COMPUTE_PGM_RSRC2:SCRATCH_EN: 0
; COMPUTE_PGM_RSRC2:USER_SGPR: 15
; COMPUTE_PGM_RSRC2:TRAP_HANDLER: 0
; COMPUTE_PGM_RSRC2:TGID_X_EN: 1
; COMPUTE_PGM_RSRC2:TGID_Y_EN: 0
; COMPUTE_PGM_RSRC2:TGID_Z_EN: 0
; COMPUTE_PGM_RSRC2:TIDIG_COMP_CNT: 0
	.section	.text._ZN7rocprim17ROCPRIM_400000_NS6detail17trampoline_kernelINS0_14default_configENS1_25partition_config_selectorILNS1_17partition_subalgoE9EsjbEEZZNS1_14partition_implILS5_9ELb0ES3_jN6thrust23THRUST_200600_302600_NS6detail15normal_iteratorINS9_10device_ptrIsEEEENSB_INSC_IjEEEEPNS0_10empty_typeENS0_5tupleIJSE_SH_EEENSJ_IJSG_SI_EEENS0_18inequality_wrapperINS9_8equal_toIsEEEEPmJSH_EEE10hipError_tPvRmT3_T4_T5_T6_T7_T9_mT8_P12ihipStream_tbDpT10_ENKUlT_T0_E_clISt17integral_constantIbLb0EES19_IbLb1EEEEDaS15_S16_EUlS15_E_NS1_11comp_targetILNS1_3genE10ELNS1_11target_archE1200ELNS1_3gpuE4ELNS1_3repE0EEENS1_30default_config_static_selectorELNS0_4arch9wavefront6targetE0EEEvT1_,"axG",@progbits,_ZN7rocprim17ROCPRIM_400000_NS6detail17trampoline_kernelINS0_14default_configENS1_25partition_config_selectorILNS1_17partition_subalgoE9EsjbEEZZNS1_14partition_implILS5_9ELb0ES3_jN6thrust23THRUST_200600_302600_NS6detail15normal_iteratorINS9_10device_ptrIsEEEENSB_INSC_IjEEEEPNS0_10empty_typeENS0_5tupleIJSE_SH_EEENSJ_IJSG_SI_EEENS0_18inequality_wrapperINS9_8equal_toIsEEEEPmJSH_EEE10hipError_tPvRmT3_T4_T5_T6_T7_T9_mT8_P12ihipStream_tbDpT10_ENKUlT_T0_E_clISt17integral_constantIbLb0EES19_IbLb1EEEEDaS15_S16_EUlS15_E_NS1_11comp_targetILNS1_3genE10ELNS1_11target_archE1200ELNS1_3gpuE4ELNS1_3repE0EEENS1_30default_config_static_selectorELNS0_4arch9wavefront6targetE0EEEvT1_,comdat
	.protected	_ZN7rocprim17ROCPRIM_400000_NS6detail17trampoline_kernelINS0_14default_configENS1_25partition_config_selectorILNS1_17partition_subalgoE9EsjbEEZZNS1_14partition_implILS5_9ELb0ES3_jN6thrust23THRUST_200600_302600_NS6detail15normal_iteratorINS9_10device_ptrIsEEEENSB_INSC_IjEEEEPNS0_10empty_typeENS0_5tupleIJSE_SH_EEENSJ_IJSG_SI_EEENS0_18inequality_wrapperINS9_8equal_toIsEEEEPmJSH_EEE10hipError_tPvRmT3_T4_T5_T6_T7_T9_mT8_P12ihipStream_tbDpT10_ENKUlT_T0_E_clISt17integral_constantIbLb0EES19_IbLb1EEEEDaS15_S16_EUlS15_E_NS1_11comp_targetILNS1_3genE10ELNS1_11target_archE1200ELNS1_3gpuE4ELNS1_3repE0EEENS1_30default_config_static_selectorELNS0_4arch9wavefront6targetE0EEEvT1_ ; -- Begin function _ZN7rocprim17ROCPRIM_400000_NS6detail17trampoline_kernelINS0_14default_configENS1_25partition_config_selectorILNS1_17partition_subalgoE9EsjbEEZZNS1_14partition_implILS5_9ELb0ES3_jN6thrust23THRUST_200600_302600_NS6detail15normal_iteratorINS9_10device_ptrIsEEEENSB_INSC_IjEEEEPNS0_10empty_typeENS0_5tupleIJSE_SH_EEENSJ_IJSG_SI_EEENS0_18inequality_wrapperINS9_8equal_toIsEEEEPmJSH_EEE10hipError_tPvRmT3_T4_T5_T6_T7_T9_mT8_P12ihipStream_tbDpT10_ENKUlT_T0_E_clISt17integral_constantIbLb0EES19_IbLb1EEEEDaS15_S16_EUlS15_E_NS1_11comp_targetILNS1_3genE10ELNS1_11target_archE1200ELNS1_3gpuE4ELNS1_3repE0EEENS1_30default_config_static_selectorELNS0_4arch9wavefront6targetE0EEEvT1_
	.globl	_ZN7rocprim17ROCPRIM_400000_NS6detail17trampoline_kernelINS0_14default_configENS1_25partition_config_selectorILNS1_17partition_subalgoE9EsjbEEZZNS1_14partition_implILS5_9ELb0ES3_jN6thrust23THRUST_200600_302600_NS6detail15normal_iteratorINS9_10device_ptrIsEEEENSB_INSC_IjEEEEPNS0_10empty_typeENS0_5tupleIJSE_SH_EEENSJ_IJSG_SI_EEENS0_18inequality_wrapperINS9_8equal_toIsEEEEPmJSH_EEE10hipError_tPvRmT3_T4_T5_T6_T7_T9_mT8_P12ihipStream_tbDpT10_ENKUlT_T0_E_clISt17integral_constantIbLb0EES19_IbLb1EEEEDaS15_S16_EUlS15_E_NS1_11comp_targetILNS1_3genE10ELNS1_11target_archE1200ELNS1_3gpuE4ELNS1_3repE0EEENS1_30default_config_static_selectorELNS0_4arch9wavefront6targetE0EEEvT1_
	.p2align	8
	.type	_ZN7rocprim17ROCPRIM_400000_NS6detail17trampoline_kernelINS0_14default_configENS1_25partition_config_selectorILNS1_17partition_subalgoE9EsjbEEZZNS1_14partition_implILS5_9ELb0ES3_jN6thrust23THRUST_200600_302600_NS6detail15normal_iteratorINS9_10device_ptrIsEEEENSB_INSC_IjEEEEPNS0_10empty_typeENS0_5tupleIJSE_SH_EEENSJ_IJSG_SI_EEENS0_18inequality_wrapperINS9_8equal_toIsEEEEPmJSH_EEE10hipError_tPvRmT3_T4_T5_T6_T7_T9_mT8_P12ihipStream_tbDpT10_ENKUlT_T0_E_clISt17integral_constantIbLb0EES19_IbLb1EEEEDaS15_S16_EUlS15_E_NS1_11comp_targetILNS1_3genE10ELNS1_11target_archE1200ELNS1_3gpuE4ELNS1_3repE0EEENS1_30default_config_static_selectorELNS0_4arch9wavefront6targetE0EEEvT1_,@function
_ZN7rocprim17ROCPRIM_400000_NS6detail17trampoline_kernelINS0_14default_configENS1_25partition_config_selectorILNS1_17partition_subalgoE9EsjbEEZZNS1_14partition_implILS5_9ELb0ES3_jN6thrust23THRUST_200600_302600_NS6detail15normal_iteratorINS9_10device_ptrIsEEEENSB_INSC_IjEEEEPNS0_10empty_typeENS0_5tupleIJSE_SH_EEENSJ_IJSG_SI_EEENS0_18inequality_wrapperINS9_8equal_toIsEEEEPmJSH_EEE10hipError_tPvRmT3_T4_T5_T6_T7_T9_mT8_P12ihipStream_tbDpT10_ENKUlT_T0_E_clISt17integral_constantIbLb0EES19_IbLb1EEEEDaS15_S16_EUlS15_E_NS1_11comp_targetILNS1_3genE10ELNS1_11target_archE1200ELNS1_3gpuE4ELNS1_3repE0EEENS1_30default_config_static_selectorELNS0_4arch9wavefront6targetE0EEEvT1_: ; @_ZN7rocprim17ROCPRIM_400000_NS6detail17trampoline_kernelINS0_14default_configENS1_25partition_config_selectorILNS1_17partition_subalgoE9EsjbEEZZNS1_14partition_implILS5_9ELb0ES3_jN6thrust23THRUST_200600_302600_NS6detail15normal_iteratorINS9_10device_ptrIsEEEENSB_INSC_IjEEEEPNS0_10empty_typeENS0_5tupleIJSE_SH_EEENSJ_IJSG_SI_EEENS0_18inequality_wrapperINS9_8equal_toIsEEEEPmJSH_EEE10hipError_tPvRmT3_T4_T5_T6_T7_T9_mT8_P12ihipStream_tbDpT10_ENKUlT_T0_E_clISt17integral_constantIbLb0EES19_IbLb1EEEEDaS15_S16_EUlS15_E_NS1_11comp_targetILNS1_3genE10ELNS1_11target_archE1200ELNS1_3gpuE4ELNS1_3repE0EEENS1_30default_config_static_selectorELNS0_4arch9wavefront6targetE0EEEvT1_
; %bb.0:
	.section	.rodata,"a",@progbits
	.p2align	6, 0x0
	.amdhsa_kernel _ZN7rocprim17ROCPRIM_400000_NS6detail17trampoline_kernelINS0_14default_configENS1_25partition_config_selectorILNS1_17partition_subalgoE9EsjbEEZZNS1_14partition_implILS5_9ELb0ES3_jN6thrust23THRUST_200600_302600_NS6detail15normal_iteratorINS9_10device_ptrIsEEEENSB_INSC_IjEEEEPNS0_10empty_typeENS0_5tupleIJSE_SH_EEENSJ_IJSG_SI_EEENS0_18inequality_wrapperINS9_8equal_toIsEEEEPmJSH_EEE10hipError_tPvRmT3_T4_T5_T6_T7_T9_mT8_P12ihipStream_tbDpT10_ENKUlT_T0_E_clISt17integral_constantIbLb0EES19_IbLb1EEEEDaS15_S16_EUlS15_E_NS1_11comp_targetILNS1_3genE10ELNS1_11target_archE1200ELNS1_3gpuE4ELNS1_3repE0EEENS1_30default_config_static_selectorELNS0_4arch9wavefront6targetE0EEEvT1_
		.amdhsa_group_segment_fixed_size 0
		.amdhsa_private_segment_fixed_size 0
		.amdhsa_kernarg_size 128
		.amdhsa_user_sgpr_count 15
		.amdhsa_user_sgpr_dispatch_ptr 0
		.amdhsa_user_sgpr_queue_ptr 0
		.amdhsa_user_sgpr_kernarg_segment_ptr 1
		.amdhsa_user_sgpr_dispatch_id 0
		.amdhsa_user_sgpr_private_segment_size 0
		.amdhsa_wavefront_size32 1
		.amdhsa_uses_dynamic_stack 0
		.amdhsa_enable_private_segment 0
		.amdhsa_system_sgpr_workgroup_id_x 1
		.amdhsa_system_sgpr_workgroup_id_y 0
		.amdhsa_system_sgpr_workgroup_id_z 0
		.amdhsa_system_sgpr_workgroup_info 0
		.amdhsa_system_vgpr_workitem_id 0
		.amdhsa_next_free_vgpr 1
		.amdhsa_next_free_sgpr 1
		.amdhsa_reserve_vcc 0
		.amdhsa_float_round_mode_32 0
		.amdhsa_float_round_mode_16_64 0
		.amdhsa_float_denorm_mode_32 3
		.amdhsa_float_denorm_mode_16_64 3
		.amdhsa_dx10_clamp 1
		.amdhsa_ieee_mode 1
		.amdhsa_fp16_overflow 0
		.amdhsa_workgroup_processor_mode 1
		.amdhsa_memory_ordered 1
		.amdhsa_forward_progress 0
		.amdhsa_shared_vgpr_count 0
		.amdhsa_exception_fp_ieee_invalid_op 0
		.amdhsa_exception_fp_denorm_src 0
		.amdhsa_exception_fp_ieee_div_zero 0
		.amdhsa_exception_fp_ieee_overflow 0
		.amdhsa_exception_fp_ieee_underflow 0
		.amdhsa_exception_fp_ieee_inexact 0
		.amdhsa_exception_int_div_zero 0
	.end_amdhsa_kernel
	.section	.text._ZN7rocprim17ROCPRIM_400000_NS6detail17trampoline_kernelINS0_14default_configENS1_25partition_config_selectorILNS1_17partition_subalgoE9EsjbEEZZNS1_14partition_implILS5_9ELb0ES3_jN6thrust23THRUST_200600_302600_NS6detail15normal_iteratorINS9_10device_ptrIsEEEENSB_INSC_IjEEEEPNS0_10empty_typeENS0_5tupleIJSE_SH_EEENSJ_IJSG_SI_EEENS0_18inequality_wrapperINS9_8equal_toIsEEEEPmJSH_EEE10hipError_tPvRmT3_T4_T5_T6_T7_T9_mT8_P12ihipStream_tbDpT10_ENKUlT_T0_E_clISt17integral_constantIbLb0EES19_IbLb1EEEEDaS15_S16_EUlS15_E_NS1_11comp_targetILNS1_3genE10ELNS1_11target_archE1200ELNS1_3gpuE4ELNS1_3repE0EEENS1_30default_config_static_selectorELNS0_4arch9wavefront6targetE0EEEvT1_,"axG",@progbits,_ZN7rocprim17ROCPRIM_400000_NS6detail17trampoline_kernelINS0_14default_configENS1_25partition_config_selectorILNS1_17partition_subalgoE9EsjbEEZZNS1_14partition_implILS5_9ELb0ES3_jN6thrust23THRUST_200600_302600_NS6detail15normal_iteratorINS9_10device_ptrIsEEEENSB_INSC_IjEEEEPNS0_10empty_typeENS0_5tupleIJSE_SH_EEENSJ_IJSG_SI_EEENS0_18inequality_wrapperINS9_8equal_toIsEEEEPmJSH_EEE10hipError_tPvRmT3_T4_T5_T6_T7_T9_mT8_P12ihipStream_tbDpT10_ENKUlT_T0_E_clISt17integral_constantIbLb0EES19_IbLb1EEEEDaS15_S16_EUlS15_E_NS1_11comp_targetILNS1_3genE10ELNS1_11target_archE1200ELNS1_3gpuE4ELNS1_3repE0EEENS1_30default_config_static_selectorELNS0_4arch9wavefront6targetE0EEEvT1_,comdat
.Lfunc_end690:
	.size	_ZN7rocprim17ROCPRIM_400000_NS6detail17trampoline_kernelINS0_14default_configENS1_25partition_config_selectorILNS1_17partition_subalgoE9EsjbEEZZNS1_14partition_implILS5_9ELb0ES3_jN6thrust23THRUST_200600_302600_NS6detail15normal_iteratorINS9_10device_ptrIsEEEENSB_INSC_IjEEEEPNS0_10empty_typeENS0_5tupleIJSE_SH_EEENSJ_IJSG_SI_EEENS0_18inequality_wrapperINS9_8equal_toIsEEEEPmJSH_EEE10hipError_tPvRmT3_T4_T5_T6_T7_T9_mT8_P12ihipStream_tbDpT10_ENKUlT_T0_E_clISt17integral_constantIbLb0EES19_IbLb1EEEEDaS15_S16_EUlS15_E_NS1_11comp_targetILNS1_3genE10ELNS1_11target_archE1200ELNS1_3gpuE4ELNS1_3repE0EEENS1_30default_config_static_selectorELNS0_4arch9wavefront6targetE0EEEvT1_, .Lfunc_end690-_ZN7rocprim17ROCPRIM_400000_NS6detail17trampoline_kernelINS0_14default_configENS1_25partition_config_selectorILNS1_17partition_subalgoE9EsjbEEZZNS1_14partition_implILS5_9ELb0ES3_jN6thrust23THRUST_200600_302600_NS6detail15normal_iteratorINS9_10device_ptrIsEEEENSB_INSC_IjEEEEPNS0_10empty_typeENS0_5tupleIJSE_SH_EEENSJ_IJSG_SI_EEENS0_18inequality_wrapperINS9_8equal_toIsEEEEPmJSH_EEE10hipError_tPvRmT3_T4_T5_T6_T7_T9_mT8_P12ihipStream_tbDpT10_ENKUlT_T0_E_clISt17integral_constantIbLb0EES19_IbLb1EEEEDaS15_S16_EUlS15_E_NS1_11comp_targetILNS1_3genE10ELNS1_11target_archE1200ELNS1_3gpuE4ELNS1_3repE0EEENS1_30default_config_static_selectorELNS0_4arch9wavefront6targetE0EEEvT1_
                                        ; -- End function
	.section	.AMDGPU.csdata,"",@progbits
; Kernel info:
; codeLenInByte = 0
; NumSgprs: 0
; NumVgprs: 0
; ScratchSize: 0
; MemoryBound: 0
; FloatMode: 240
; IeeeMode: 1
; LDSByteSize: 0 bytes/workgroup (compile time only)
; SGPRBlocks: 0
; VGPRBlocks: 0
; NumSGPRsForWavesPerEU: 1
; NumVGPRsForWavesPerEU: 1
; Occupancy: 16
; WaveLimiterHint : 0
; COMPUTE_PGM_RSRC2:SCRATCH_EN: 0
; COMPUTE_PGM_RSRC2:USER_SGPR: 15
; COMPUTE_PGM_RSRC2:TRAP_HANDLER: 0
; COMPUTE_PGM_RSRC2:TGID_X_EN: 1
; COMPUTE_PGM_RSRC2:TGID_Y_EN: 0
; COMPUTE_PGM_RSRC2:TGID_Z_EN: 0
; COMPUTE_PGM_RSRC2:TIDIG_COMP_CNT: 0
	.section	.text._ZN7rocprim17ROCPRIM_400000_NS6detail17trampoline_kernelINS0_14default_configENS1_25partition_config_selectorILNS1_17partition_subalgoE9EsjbEEZZNS1_14partition_implILS5_9ELb0ES3_jN6thrust23THRUST_200600_302600_NS6detail15normal_iteratorINS9_10device_ptrIsEEEENSB_INSC_IjEEEEPNS0_10empty_typeENS0_5tupleIJSE_SH_EEENSJ_IJSG_SI_EEENS0_18inequality_wrapperINS9_8equal_toIsEEEEPmJSH_EEE10hipError_tPvRmT3_T4_T5_T6_T7_T9_mT8_P12ihipStream_tbDpT10_ENKUlT_T0_E_clISt17integral_constantIbLb0EES19_IbLb1EEEEDaS15_S16_EUlS15_E_NS1_11comp_targetILNS1_3genE9ELNS1_11target_archE1100ELNS1_3gpuE3ELNS1_3repE0EEENS1_30default_config_static_selectorELNS0_4arch9wavefront6targetE0EEEvT1_,"axG",@progbits,_ZN7rocprim17ROCPRIM_400000_NS6detail17trampoline_kernelINS0_14default_configENS1_25partition_config_selectorILNS1_17partition_subalgoE9EsjbEEZZNS1_14partition_implILS5_9ELb0ES3_jN6thrust23THRUST_200600_302600_NS6detail15normal_iteratorINS9_10device_ptrIsEEEENSB_INSC_IjEEEEPNS0_10empty_typeENS0_5tupleIJSE_SH_EEENSJ_IJSG_SI_EEENS0_18inequality_wrapperINS9_8equal_toIsEEEEPmJSH_EEE10hipError_tPvRmT3_T4_T5_T6_T7_T9_mT8_P12ihipStream_tbDpT10_ENKUlT_T0_E_clISt17integral_constantIbLb0EES19_IbLb1EEEEDaS15_S16_EUlS15_E_NS1_11comp_targetILNS1_3genE9ELNS1_11target_archE1100ELNS1_3gpuE3ELNS1_3repE0EEENS1_30default_config_static_selectorELNS0_4arch9wavefront6targetE0EEEvT1_,comdat
	.protected	_ZN7rocprim17ROCPRIM_400000_NS6detail17trampoline_kernelINS0_14default_configENS1_25partition_config_selectorILNS1_17partition_subalgoE9EsjbEEZZNS1_14partition_implILS5_9ELb0ES3_jN6thrust23THRUST_200600_302600_NS6detail15normal_iteratorINS9_10device_ptrIsEEEENSB_INSC_IjEEEEPNS0_10empty_typeENS0_5tupleIJSE_SH_EEENSJ_IJSG_SI_EEENS0_18inequality_wrapperINS9_8equal_toIsEEEEPmJSH_EEE10hipError_tPvRmT3_T4_T5_T6_T7_T9_mT8_P12ihipStream_tbDpT10_ENKUlT_T0_E_clISt17integral_constantIbLb0EES19_IbLb1EEEEDaS15_S16_EUlS15_E_NS1_11comp_targetILNS1_3genE9ELNS1_11target_archE1100ELNS1_3gpuE3ELNS1_3repE0EEENS1_30default_config_static_selectorELNS0_4arch9wavefront6targetE0EEEvT1_ ; -- Begin function _ZN7rocprim17ROCPRIM_400000_NS6detail17trampoline_kernelINS0_14default_configENS1_25partition_config_selectorILNS1_17partition_subalgoE9EsjbEEZZNS1_14partition_implILS5_9ELb0ES3_jN6thrust23THRUST_200600_302600_NS6detail15normal_iteratorINS9_10device_ptrIsEEEENSB_INSC_IjEEEEPNS0_10empty_typeENS0_5tupleIJSE_SH_EEENSJ_IJSG_SI_EEENS0_18inequality_wrapperINS9_8equal_toIsEEEEPmJSH_EEE10hipError_tPvRmT3_T4_T5_T6_T7_T9_mT8_P12ihipStream_tbDpT10_ENKUlT_T0_E_clISt17integral_constantIbLb0EES19_IbLb1EEEEDaS15_S16_EUlS15_E_NS1_11comp_targetILNS1_3genE9ELNS1_11target_archE1100ELNS1_3gpuE3ELNS1_3repE0EEENS1_30default_config_static_selectorELNS0_4arch9wavefront6targetE0EEEvT1_
	.globl	_ZN7rocprim17ROCPRIM_400000_NS6detail17trampoline_kernelINS0_14default_configENS1_25partition_config_selectorILNS1_17partition_subalgoE9EsjbEEZZNS1_14partition_implILS5_9ELb0ES3_jN6thrust23THRUST_200600_302600_NS6detail15normal_iteratorINS9_10device_ptrIsEEEENSB_INSC_IjEEEEPNS0_10empty_typeENS0_5tupleIJSE_SH_EEENSJ_IJSG_SI_EEENS0_18inequality_wrapperINS9_8equal_toIsEEEEPmJSH_EEE10hipError_tPvRmT3_T4_T5_T6_T7_T9_mT8_P12ihipStream_tbDpT10_ENKUlT_T0_E_clISt17integral_constantIbLb0EES19_IbLb1EEEEDaS15_S16_EUlS15_E_NS1_11comp_targetILNS1_3genE9ELNS1_11target_archE1100ELNS1_3gpuE3ELNS1_3repE0EEENS1_30default_config_static_selectorELNS0_4arch9wavefront6targetE0EEEvT1_
	.p2align	8
	.type	_ZN7rocprim17ROCPRIM_400000_NS6detail17trampoline_kernelINS0_14default_configENS1_25partition_config_selectorILNS1_17partition_subalgoE9EsjbEEZZNS1_14partition_implILS5_9ELb0ES3_jN6thrust23THRUST_200600_302600_NS6detail15normal_iteratorINS9_10device_ptrIsEEEENSB_INSC_IjEEEEPNS0_10empty_typeENS0_5tupleIJSE_SH_EEENSJ_IJSG_SI_EEENS0_18inequality_wrapperINS9_8equal_toIsEEEEPmJSH_EEE10hipError_tPvRmT3_T4_T5_T6_T7_T9_mT8_P12ihipStream_tbDpT10_ENKUlT_T0_E_clISt17integral_constantIbLb0EES19_IbLb1EEEEDaS15_S16_EUlS15_E_NS1_11comp_targetILNS1_3genE9ELNS1_11target_archE1100ELNS1_3gpuE3ELNS1_3repE0EEENS1_30default_config_static_selectorELNS0_4arch9wavefront6targetE0EEEvT1_,@function
_ZN7rocprim17ROCPRIM_400000_NS6detail17trampoline_kernelINS0_14default_configENS1_25partition_config_selectorILNS1_17partition_subalgoE9EsjbEEZZNS1_14partition_implILS5_9ELb0ES3_jN6thrust23THRUST_200600_302600_NS6detail15normal_iteratorINS9_10device_ptrIsEEEENSB_INSC_IjEEEEPNS0_10empty_typeENS0_5tupleIJSE_SH_EEENSJ_IJSG_SI_EEENS0_18inequality_wrapperINS9_8equal_toIsEEEEPmJSH_EEE10hipError_tPvRmT3_T4_T5_T6_T7_T9_mT8_P12ihipStream_tbDpT10_ENKUlT_T0_E_clISt17integral_constantIbLb0EES19_IbLb1EEEEDaS15_S16_EUlS15_E_NS1_11comp_targetILNS1_3genE9ELNS1_11target_archE1100ELNS1_3gpuE3ELNS1_3repE0EEENS1_30default_config_static_selectorELNS0_4arch9wavefront6targetE0EEEvT1_: ; @_ZN7rocprim17ROCPRIM_400000_NS6detail17trampoline_kernelINS0_14default_configENS1_25partition_config_selectorILNS1_17partition_subalgoE9EsjbEEZZNS1_14partition_implILS5_9ELb0ES3_jN6thrust23THRUST_200600_302600_NS6detail15normal_iteratorINS9_10device_ptrIsEEEENSB_INSC_IjEEEEPNS0_10empty_typeENS0_5tupleIJSE_SH_EEENSJ_IJSG_SI_EEENS0_18inequality_wrapperINS9_8equal_toIsEEEEPmJSH_EEE10hipError_tPvRmT3_T4_T5_T6_T7_T9_mT8_P12ihipStream_tbDpT10_ENKUlT_T0_E_clISt17integral_constantIbLb0EES19_IbLb1EEEEDaS15_S16_EUlS15_E_NS1_11comp_targetILNS1_3genE9ELNS1_11target_archE1100ELNS1_3gpuE3ELNS1_3repE0EEENS1_30default_config_static_selectorELNS0_4arch9wavefront6targetE0EEEvT1_
; %bb.0:
	s_clause 0x4
	s_load_b128 s[4:7], s[0:1], 0x8
	s_load_b64 s[8:9], s[0:1], 0x18
	s_load_b128 s[12:15], s[0:1], 0x40
	s_load_b64 s[10:11], s[0:1], 0x50
	s_load_b64 s[20:21], s[0:1], 0x60
	v_cmp_ne_u32_e64 s3, 0, v0
	v_cmp_eq_u32_e64 s2, 0, v0
	s_delay_alu instid0(VALU_DEP_1)
	s_and_saveexec_b32 s16, s2
	s_cbranch_execz .LBB691_4
; %bb.1:
	s_mov_b32 s18, exec_lo
	s_mov_b32 s17, exec_lo
	v_mbcnt_lo_u32_b32 v1, s18, 0
                                        ; implicit-def: $vgpr2
	s_delay_alu instid0(VALU_DEP_1)
	v_cmpx_eq_u32_e32 0, v1
	s_cbranch_execz .LBB691_3
; %bb.2:
	s_load_b64 s[22:23], s[0:1], 0x70
	s_bcnt1_i32_b32 s18, s18
	s_delay_alu instid0(SALU_CYCLE_1)
	v_dual_mov_b32 v2, 0 :: v_dual_mov_b32 v3, s18
	s_waitcnt lgkmcnt(0)
	global_atomic_add_u32 v2, v2, v3, s[22:23] glc
.LBB691_3:
	s_or_b32 exec_lo, exec_lo, s17
	s_waitcnt vmcnt(0)
	v_readfirstlane_b32 s17, v2
	s_delay_alu instid0(VALU_DEP_1)
	v_dual_mov_b32 v2, 0 :: v_dual_add_nc_u32 v1, s17, v1
	ds_store_b32 v2, v1
.LBB691_4:
	s_or_b32 exec_lo, exec_lo, s16
	v_mov_b32_e32 v1, 0
	s_clause 0x1
	s_load_b128 s[16:19], s[0:1], 0x28
	s_load_b32 s0, s[0:1], 0x68
	s_waitcnt lgkmcnt(0)
	s_barrier
	buffer_gl0_inv
	ds_load_b32 v3, v1
	s_waitcnt lgkmcnt(0)
	s_barrier
	buffer_gl0_inv
	global_load_b64 v[1:2], v1, s[14:15]
	s_lshl_b64 s[14:15], s[6:7], 1
	s_delay_alu instid0(SALU_CYCLE_1) | instskip(SKIP_3) | instid1(SALU_CYCLE_1)
	s_add_u32 s14, s4, s14
	s_addc_u32 s15, s5, s15
	s_mov_b32 s5, 0
	s_mul_i32 s1, s0, 0x580
	s_add_i32 s4, s1, s6
	s_delay_alu instid0(SALU_CYCLE_1)
	s_sub_i32 s25, s10, s4
	s_add_i32 s4, s0, -1
	s_addk_i32 s25, 0x580
	s_add_u32 s0, s6, s1
	v_readfirstlane_b32 s24, v3
	s_addc_u32 s1, s7, 0
	s_delay_alu instid0(SALU_CYCLE_1) | instskip(SKIP_1) | instid1(VALU_DEP_2)
	v_cmp_ge_u64_e64 s0, s[0:1], s[10:11]
	s_mov_b32 s11, -1
	s_cmp_eq_u32 s24, s4
	s_mul_i32 s4, s24, 0x580
	s_cselect_b32 s22, -1, 0
	s_delay_alu instid0(VALU_DEP_1) | instid1(SALU_CYCLE_1)
	s_and_b32 s26, s0, s22
	s_lshl_b64 s[0:1], s[4:5], 1
	s_xor_b32 s23, s26, -1
	s_add_u32 s10, s14, s0
	s_addc_u32 s1, s15, s1
	s_and_b32 vcc_lo, exec_lo, s23
	s_waitcnt vmcnt(0)
	v_readfirstlane_b32 s14, v1
	v_readfirstlane_b32 s15, v2
	s_cbranch_vccz .LBB691_6
; %bb.5:
	v_lshlrev_b32_e32 v3, 1, v0
	s_mov_b32 s11, s5
	s_delay_alu instid0(VALU_DEP_1) | instskip(NEXT) | instid1(VALU_DEP_1)
	v_add_co_u32 v1, s0, s10, v3
	v_add_co_ci_u32_e64 v2, null, s1, 0, s0
	s_clause 0xa
	flat_load_u16 v4, v[1:2]
	flat_load_u16 v5, v[1:2] offset:256
	flat_load_u16 v6, v[1:2] offset:512
	;; [unrolled: 1-line block ×10, first 2 shown]
	s_waitcnt vmcnt(10) lgkmcnt(10)
	ds_store_b16 v3, v4
	s_waitcnt vmcnt(9) lgkmcnt(10)
	ds_store_b16 v3, v5 offset:256
	s_waitcnt vmcnt(8) lgkmcnt(10)
	ds_store_b16 v3, v6 offset:512
	;; [unrolled: 2-line block ×10, first 2 shown]
	s_waitcnt lgkmcnt(0)
	s_barrier
.LBB691_6:
	v_cmp_gt_u32_e64 s0, s25, v0
	s_and_not1_b32 vcc_lo, exec_lo, s11
	s_cbranch_vccnz .LBB691_30
; %bb.7:
                                        ; implicit-def: $vgpr1_vgpr2_vgpr3_vgpr4_vgpr5_vgpr6_vgpr7_vgpr8
	s_delay_alu instid0(VALU_DEP_1)
	s_and_saveexec_b32 s11, s0
	s_cbranch_execz .LBB691_9
; %bb.8:
	v_lshlrev_b32_e32 v1, 1, v0
	s_delay_alu instid0(VALU_DEP_1) | instskip(NEXT) | instid1(VALU_DEP_1)
	v_add_co_u32 v1, s0, s10, v1
	v_add_co_ci_u32_e64 v2, null, s1, 0, s0
	flat_load_d16_b16 v1, v[1:2]
.LBB691_9:
	s_or_b32 exec_lo, exec_lo, s11
	v_or_b32_e32 v7, 0x80, v0
	s_mov_b32 s0, exec_lo
	s_delay_alu instid0(VALU_DEP_1)
	v_cmpx_gt_u32_e64 s25, v7
	s_cbranch_execz .LBB691_11
; %bb.10:
	v_lshlrev_b32_e32 v7, 1, v0
	s_delay_alu instid0(VALU_DEP_1) | instskip(NEXT) | instid1(VALU_DEP_1)
	v_add_co_u32 v7, s11, s10, v7
	v_add_co_ci_u32_e64 v8, null, s1, 0, s11
	s_waitcnt vmcnt(0) lgkmcnt(0)
	flat_load_d16_hi_b16 v1, v[7:8] offset:256
.LBB691_11:
	s_or_b32 exec_lo, exec_lo, s0
	v_or_b32_e32 v7, 0x100, v0
	s_mov_b32 s0, exec_lo
	s_delay_alu instid0(VALU_DEP_1)
	v_cmpx_gt_u32_e64 s25, v7
	s_cbranch_execz .LBB691_13
; %bb.12:
	v_lshlrev_b32_e32 v7, 1, v0
	s_delay_alu instid0(VALU_DEP_1) | instskip(NEXT) | instid1(VALU_DEP_1)
	v_add_co_u32 v7, s11, s10, v7
	v_add_co_ci_u32_e64 v8, null, s1, 0, s11
	flat_load_d16_b16 v2, v[7:8] offset:512
.LBB691_13:
	s_or_b32 exec_lo, exec_lo, s0
	v_or_b32_e32 v7, 0x180, v0
	s_mov_b32 s0, exec_lo
	s_delay_alu instid0(VALU_DEP_1)
	v_cmpx_gt_u32_e64 s25, v7
	s_cbranch_execz .LBB691_15
; %bb.14:
	v_lshlrev_b32_e32 v7, 1, v0
	s_delay_alu instid0(VALU_DEP_1) | instskip(NEXT) | instid1(VALU_DEP_1)
	v_add_co_u32 v7, s11, s10, v7
	v_add_co_ci_u32_e64 v8, null, s1, 0, s11
	s_waitcnt vmcnt(0) lgkmcnt(0)
	flat_load_d16_hi_b16 v2, v[7:8] offset:768
.LBB691_15:
	s_or_b32 exec_lo, exec_lo, s0
	v_or_b32_e32 v7, 0x200, v0
	s_mov_b32 s0, exec_lo
	s_delay_alu instid0(VALU_DEP_1)
	v_cmpx_gt_u32_e64 s25, v7
	s_cbranch_execz .LBB691_17
; %bb.16:
	v_lshlrev_b32_e32 v7, 1, v0
	s_delay_alu instid0(VALU_DEP_1) | instskip(NEXT) | instid1(VALU_DEP_1)
	v_add_co_u32 v7, s11, s10, v7
	v_add_co_ci_u32_e64 v8, null, s1, 0, s11
	flat_load_d16_b16 v3, v[7:8] offset:1024
.LBB691_17:
	s_or_b32 exec_lo, exec_lo, s0
	v_or_b32_e32 v7, 0x280, v0
	s_mov_b32 s0, exec_lo
	s_delay_alu instid0(VALU_DEP_1)
	v_cmpx_gt_u32_e64 s25, v7
	s_cbranch_execz .LBB691_19
; %bb.18:
	v_lshlrev_b32_e32 v7, 1, v0
	s_delay_alu instid0(VALU_DEP_1) | instskip(NEXT) | instid1(VALU_DEP_1)
	v_add_co_u32 v7, s11, s10, v7
	v_add_co_ci_u32_e64 v8, null, s1, 0, s11
	s_waitcnt vmcnt(0) lgkmcnt(0)
	flat_load_d16_hi_b16 v3, v[7:8] offset:1280
.LBB691_19:
	s_or_b32 exec_lo, exec_lo, s0
	v_or_b32_e32 v7, 0x300, v0
	s_mov_b32 s0, exec_lo
	s_delay_alu instid0(VALU_DEP_1)
	v_cmpx_gt_u32_e64 s25, v7
	s_cbranch_execz .LBB691_21
; %bb.20:
	v_lshlrev_b32_e32 v7, 1, v0
	s_delay_alu instid0(VALU_DEP_1) | instskip(NEXT) | instid1(VALU_DEP_1)
	v_add_co_u32 v7, s11, s10, v7
	v_add_co_ci_u32_e64 v8, null, s1, 0, s11
	flat_load_d16_b16 v4, v[7:8] offset:1536
.LBB691_21:
	s_or_b32 exec_lo, exec_lo, s0
	v_or_b32_e32 v7, 0x380, v0
	s_mov_b32 s0, exec_lo
	s_delay_alu instid0(VALU_DEP_1)
	v_cmpx_gt_u32_e64 s25, v7
	s_cbranch_execz .LBB691_23
; %bb.22:
	v_lshlrev_b32_e32 v7, 1, v0
	s_delay_alu instid0(VALU_DEP_1) | instskip(NEXT) | instid1(VALU_DEP_1)
	v_add_co_u32 v7, s11, s10, v7
	v_add_co_ci_u32_e64 v8, null, s1, 0, s11
	s_waitcnt vmcnt(0) lgkmcnt(0)
	flat_load_d16_hi_b16 v4, v[7:8] offset:1792
.LBB691_23:
	s_or_b32 exec_lo, exec_lo, s0
	v_or_b32_e32 v7, 0x400, v0
	s_mov_b32 s0, exec_lo
	s_delay_alu instid0(VALU_DEP_1)
	v_cmpx_gt_u32_e64 s25, v7
	s_cbranch_execz .LBB691_25
; %bb.24:
	v_lshlrev_b32_e32 v7, 1, v0
	s_delay_alu instid0(VALU_DEP_1) | instskip(NEXT) | instid1(VALU_DEP_1)
	v_add_co_u32 v7, s11, s10, v7
	v_add_co_ci_u32_e64 v8, null, s1, 0, s11
	flat_load_d16_b16 v5, v[7:8] offset:2048
.LBB691_25:
	s_or_b32 exec_lo, exec_lo, s0
	v_or_b32_e32 v7, 0x480, v0
	s_mov_b32 s0, exec_lo
	s_delay_alu instid0(VALU_DEP_1)
	v_cmpx_gt_u32_e64 s25, v7
	s_cbranch_execz .LBB691_27
; %bb.26:
	v_lshlrev_b32_e32 v7, 1, v0
	s_delay_alu instid0(VALU_DEP_1) | instskip(NEXT) | instid1(VALU_DEP_1)
	v_add_co_u32 v7, s11, s10, v7
	v_add_co_ci_u32_e64 v8, null, s1, 0, s11
	s_waitcnt vmcnt(0) lgkmcnt(0)
	flat_load_d16_hi_b16 v5, v[7:8] offset:2304
.LBB691_27:
	s_or_b32 exec_lo, exec_lo, s0
	v_or_b32_e32 v7, 0x500, v0
	s_mov_b32 s0, exec_lo
	s_delay_alu instid0(VALU_DEP_1)
	v_cmpx_gt_u32_e64 s25, v7
	s_cbranch_execz .LBB691_29
; %bb.28:
	v_lshlrev_b32_e32 v6, 1, v0
	s_delay_alu instid0(VALU_DEP_1) | instskip(NEXT) | instid1(VALU_DEP_1)
	v_add_co_u32 v6, s11, s10, v6
	v_add_co_ci_u32_e64 v7, null, s1, 0, s11
	flat_load_d16_b16 v6, v[6:7] offset:2560
.LBB691_29:
	s_or_b32 exec_lo, exec_lo, s0
	v_lshlrev_b32_e32 v7, 1, v0
	s_waitcnt vmcnt(0) lgkmcnt(0)
	ds_store_b16 v7, v1
	ds_store_b16_d16_hi v7, v1 offset:256
	ds_store_b16 v7, v2 offset:512
	ds_store_b16_d16_hi v7, v2 offset:768
	ds_store_b16 v7, v3 offset:1024
	ds_store_b16_d16_hi v7, v3 offset:1280
	ds_store_b16 v7, v4 offset:1536
	ds_store_b16_d16_hi v7, v4 offset:1792
	ds_store_b16 v7, v5 offset:2048
	ds_store_b16_d16_hi v7, v5 offset:2304
	ds_store_b16 v7, v6 offset:2560
	s_waitcnt lgkmcnt(0)
	s_barrier
.LBB691_30:
	v_mul_u32_u24_e32 v1, 11, v0
	buffer_gl0_inv
	s_lshl_b64 s[28:29], s[6:7], 2
	s_delay_alu instid0(SALU_CYCLE_1)
	s_add_u32 s0, s8, s28
	v_lshlrev_b32_e32 v2, 1, v1
	s_addc_u32 s8, s9, s29
	s_lshl_b64 s[4:5], s[4:5], 2
	ds_load_b128 v[13:16], v2
	ds_load_u16 v38, v2 offset:16
	ds_load_u16 v37, v2 offset:18
	;; [unrolled: 1-line block ×3, first 2 shown]
	s_add_u32 s0, s0, s4
	s_addc_u32 s4, s8, s5
	s_and_b32 vcc_lo, exec_lo, s23
	s_mov_b32 s5, -1
	s_waitcnt lgkmcnt(0)
	s_barrier
	buffer_gl0_inv
	s_cbranch_vccz .LBB691_32
; %bb.31:
	v_lshlrev_b32_e32 v7, 2, v0
	s_delay_alu instid0(VALU_DEP_1) | instskip(NEXT) | instid1(VALU_DEP_1)
	v_add_co_u32 v3, s5, s0, v7
	v_add_co_ci_u32_e64 v4, null, s4, 0, s5
	s_mov_b32 s5, 0
	s_delay_alu instid0(VALU_DEP_2) | instskip(NEXT) | instid1(VALU_DEP_2)
	v_add_co_u32 v5, vcc_lo, 0x1000, v3
	v_add_co_ci_u32_e32 v6, vcc_lo, 0, v4, vcc_lo
	s_clause 0xa
	flat_load_b32 v8, v[3:4]
	flat_load_b32 v9, v[3:4] offset:512
	flat_load_b32 v10, v[3:4] offset:1024
	;; [unrolled: 1-line block ×7, first 2 shown]
	flat_load_b32 v4, v[5:6]
	flat_load_b32 v19, v[5:6] offset:512
	flat_load_b32 v5, v[5:6] offset:1024
	s_waitcnt vmcnt(9) lgkmcnt(9)
	ds_store_2addr_stride64_b32 v7, v8, v9 offset1:2
	s_waitcnt vmcnt(7) lgkmcnt(8)
	ds_store_2addr_stride64_b32 v7, v10, v11 offset0:4 offset1:6
	s_waitcnt vmcnt(5) lgkmcnt(7)
	ds_store_2addr_stride64_b32 v7, v12, v17 offset0:8 offset1:10
	;; [unrolled: 2-line block ×4, first 2 shown]
	s_waitcnt vmcnt(0) lgkmcnt(5)
	ds_store_b32 v7, v5 offset:5120
	s_waitcnt lgkmcnt(0)
	s_barrier
.LBB691_32:
	s_and_not1_b32 vcc_lo, exec_lo, s5
	s_cbranch_vccnz .LBB691_56
; %bb.33:
	s_mov_b32 s5, exec_lo
                                        ; implicit-def: $vgpr3
	v_cmpx_gt_u32_e64 s25, v0
	s_cbranch_execz .LBB691_35
; %bb.34:
	v_lshlrev_b32_e32 v3, 2, v0
	s_delay_alu instid0(VALU_DEP_1) | instskip(NEXT) | instid1(VALU_DEP_1)
	v_add_co_u32 v3, s8, s0, v3
	v_add_co_ci_u32_e64 v4, null, s4, 0, s8
	flat_load_b32 v3, v[3:4]
.LBB691_35:
	s_or_b32 exec_lo, exec_lo, s5
	v_or_b32_e32 v4, 0x80, v0
	s_delay_alu instid0(VALU_DEP_1)
	v_cmp_gt_u32_e32 vcc_lo, s25, v4
                                        ; implicit-def: $vgpr4
	s_and_saveexec_b32 s5, vcc_lo
	s_cbranch_execz .LBB691_37
; %bb.36:
	v_lshlrev_b32_e32 v4, 2, v0
	s_delay_alu instid0(VALU_DEP_1) | instskip(NEXT) | instid1(VALU_DEP_1)
	v_add_co_u32 v4, s8, s0, v4
	v_add_co_ci_u32_e64 v5, null, s4, 0, s8
	flat_load_b32 v4, v[4:5] offset:512
.LBB691_37:
	s_or_b32 exec_lo, exec_lo, s5
	v_or_b32_e32 v5, 0x100, v0
	s_delay_alu instid0(VALU_DEP_1)
	v_cmp_gt_u32_e32 vcc_lo, s25, v5
                                        ; implicit-def: $vgpr5
	s_and_saveexec_b32 s5, vcc_lo
	s_cbranch_execz .LBB691_39
; %bb.38:
	v_lshlrev_b32_e32 v5, 2, v0
	s_delay_alu instid0(VALU_DEP_1) | instskip(NEXT) | instid1(VALU_DEP_1)
	v_add_co_u32 v5, s8, s0, v5
	v_add_co_ci_u32_e64 v6, null, s4, 0, s8
	flat_load_b32 v5, v[5:6] offset:1024
.LBB691_39:
	s_or_b32 exec_lo, exec_lo, s5
	v_or_b32_e32 v6, 0x180, v0
	s_delay_alu instid0(VALU_DEP_1)
	v_cmp_gt_u32_e32 vcc_lo, s25, v6
                                        ; implicit-def: $vgpr6
	s_and_saveexec_b32 s5, vcc_lo
	s_cbranch_execz .LBB691_41
; %bb.40:
	v_lshlrev_b32_e32 v6, 2, v0
	s_delay_alu instid0(VALU_DEP_1) | instskip(NEXT) | instid1(VALU_DEP_1)
	v_add_co_u32 v6, s8, s0, v6
	v_add_co_ci_u32_e64 v7, null, s4, 0, s8
	flat_load_b32 v6, v[6:7] offset:1536
.LBB691_41:
	s_or_b32 exec_lo, exec_lo, s5
	v_or_b32_e32 v7, 0x200, v0
	s_delay_alu instid0(VALU_DEP_1)
	v_cmp_gt_u32_e32 vcc_lo, s25, v7
                                        ; implicit-def: $vgpr7
	s_and_saveexec_b32 s5, vcc_lo
	s_cbranch_execz .LBB691_43
; %bb.42:
	v_lshlrev_b32_e32 v7, 2, v0
	s_delay_alu instid0(VALU_DEP_1) | instskip(NEXT) | instid1(VALU_DEP_1)
	v_add_co_u32 v7, s8, s0, v7
	v_add_co_ci_u32_e64 v8, null, s4, 0, s8
	flat_load_b32 v7, v[7:8] offset:2048
.LBB691_43:
	s_or_b32 exec_lo, exec_lo, s5
	v_or_b32_e32 v8, 0x280, v0
	s_delay_alu instid0(VALU_DEP_1)
	v_cmp_gt_u32_e32 vcc_lo, s25, v8
                                        ; implicit-def: $vgpr8
	s_and_saveexec_b32 s5, vcc_lo
	s_cbranch_execz .LBB691_45
; %bb.44:
	v_lshlrev_b32_e32 v8, 2, v0
	s_delay_alu instid0(VALU_DEP_1) | instskip(NEXT) | instid1(VALU_DEP_1)
	v_add_co_u32 v8, s8, s0, v8
	v_add_co_ci_u32_e64 v9, null, s4, 0, s8
	flat_load_b32 v8, v[8:9] offset:2560
.LBB691_45:
	s_or_b32 exec_lo, exec_lo, s5
	v_or_b32_e32 v9, 0x300, v0
	s_delay_alu instid0(VALU_DEP_1)
	v_cmp_gt_u32_e32 vcc_lo, s25, v9
                                        ; implicit-def: $vgpr9
	s_and_saveexec_b32 s5, vcc_lo
	s_cbranch_execz .LBB691_47
; %bb.46:
	v_lshlrev_b32_e32 v9, 2, v0
	s_delay_alu instid0(VALU_DEP_1) | instskip(NEXT) | instid1(VALU_DEP_1)
	v_add_co_u32 v9, s8, s0, v9
	v_add_co_ci_u32_e64 v10, null, s4, 0, s8
	flat_load_b32 v9, v[9:10] offset:3072
.LBB691_47:
	s_or_b32 exec_lo, exec_lo, s5
	v_or_b32_e32 v10, 0x380, v0
	s_delay_alu instid0(VALU_DEP_1)
	v_cmp_gt_u32_e32 vcc_lo, s25, v10
                                        ; implicit-def: $vgpr10
	s_and_saveexec_b32 s5, vcc_lo
	s_cbranch_execz .LBB691_49
; %bb.48:
	v_lshlrev_b32_e32 v10, 2, v0
	s_delay_alu instid0(VALU_DEP_1) | instskip(NEXT) | instid1(VALU_DEP_1)
	v_add_co_u32 v10, s8, s0, v10
	v_add_co_ci_u32_e64 v11, null, s4, 0, s8
	flat_load_b32 v10, v[10:11] offset:3584
.LBB691_49:
	s_or_b32 exec_lo, exec_lo, s5
	v_or_b32_e32 v12, 0x400, v0
	s_mov_b32 s5, exec_lo
                                        ; implicit-def: $vgpr11
	s_delay_alu instid0(VALU_DEP_1)
	v_cmpx_gt_u32_e64 s25, v12
	s_cbranch_execz .LBB691_51
; %bb.50:
	v_lshlrev_b32_e32 v11, 2, v12
	s_delay_alu instid0(VALU_DEP_1) | instskip(NEXT) | instid1(VALU_DEP_1)
	v_add_co_u32 v11, s8, s0, v11
	v_add_co_ci_u32_e64 v12, null, s4, 0, s8
	flat_load_b32 v11, v[11:12]
.LBB691_51:
	s_or_b32 exec_lo, exec_lo, s5
	v_or_b32_e32 v17, 0x480, v0
	s_mov_b32 s5, exec_lo
                                        ; implicit-def: $vgpr12
	s_delay_alu instid0(VALU_DEP_1)
	v_cmpx_gt_u32_e64 s25, v17
	s_cbranch_execz .LBB691_53
; %bb.52:
	v_lshlrev_b32_e32 v12, 2, v17
	s_delay_alu instid0(VALU_DEP_1) | instskip(NEXT) | instid1(VALU_DEP_1)
	v_add_co_u32 v17, s8, s0, v12
	v_add_co_ci_u32_e64 v18, null, s4, 0, s8
	flat_load_b32 v12, v[17:18]
.LBB691_53:
	s_or_b32 exec_lo, exec_lo, s5
	v_or_b32_e32 v18, 0x500, v0
	s_mov_b32 s5, exec_lo
                                        ; implicit-def: $vgpr17
	s_delay_alu instid0(VALU_DEP_1)
	v_cmpx_gt_u32_e64 s25, v18
	s_cbranch_execz .LBB691_55
; %bb.54:
	v_lshlrev_b32_e32 v17, 2, v18
	s_delay_alu instid0(VALU_DEP_1) | instskip(NEXT) | instid1(VALU_DEP_1)
	v_add_co_u32 v17, s0, s0, v17
	v_add_co_ci_u32_e64 v18, null, s4, 0, s0
	flat_load_b32 v17, v[17:18]
.LBB691_55:
	s_or_b32 exec_lo, exec_lo, s5
	v_mad_i32_i24 v2, 0xffffffee, v0, v2
	s_waitcnt vmcnt(0) lgkmcnt(0)
	ds_store_2addr_stride64_b32 v2, v3, v4 offset1:2
	ds_store_2addr_stride64_b32 v2, v5, v6 offset0:4 offset1:6
	ds_store_2addr_stride64_b32 v2, v7, v8 offset0:8 offset1:10
	ds_store_2addr_stride64_b32 v2, v9, v10 offset0:12 offset1:14
	ds_store_2addr_stride64_b32 v2, v11, v12 offset0:16 offset1:18
	ds_store_b32 v2, v17 offset:5120
	s_waitcnt lgkmcnt(0)
	s_barrier
.LBB691_56:
	v_lshlrev_b32_e32 v44, 2, v1
	buffer_gl0_inv
	s_cmp_lg_u32 s24, 0
	v_lshrrev_b32_e32 v43, 16, v13
	s_cselect_b32 s27, -1, 0
	ds_load_2addr_b32 v[28:29], v44 offset1:1
	ds_load_2addr_b32 v[26:27], v44 offset0:2 offset1:3
	ds_load_2addr_b32 v[24:25], v44 offset0:4 offset1:5
	;; [unrolled: 1-line block ×4, first 2 shown]
	ds_load_b32 v36, v44 offset:40
	s_cmp_lg_u64 s[6:7], 0
	v_lshrrev_b32_e32 v42, 16, v14
	s_cselect_b32 s0, -1, 0
	v_lshrrev_b32_e32 v41, 16, v15
	v_lshrrev_b32_e32 v40, 16, v16
	v_add_nc_u32_e32 v5, 1, v1
	v_add_nc_u32_e32 v6, 2, v1
	;; [unrolled: 1-line block ×10, first 2 shown]
	s_or_b32 s0, s0, s27
	s_mov_b32 s28, 0
	s_and_b32 vcc_lo, exec_lo, s0
	s_waitcnt lgkmcnt(0)
	s_barrier
	buffer_gl0_inv
	s_cbranch_vccz .LBB691_61
; %bb.57:
	v_add_co_u32 v17, s0, -2, s10
	s_delay_alu instid0(VALU_DEP_1)
	v_add_co_ci_u32_e64 v18, null, -1, s1, s0
	s_mov_b32 s1, -1
	s_and_b32 vcc_lo, exec_lo, s23
	flat_load_u16 v17, v[17:18]
	v_lshlrev_b32_e32 v18, 1, v0
	ds_store_b16 v18, v33
	s_cbranch_vccz .LBB691_63
; %bb.58:
	s_waitcnt vmcnt(0) lgkmcnt(1)
	v_mov_b32_e32 v19, v17
	s_waitcnt lgkmcnt(0)
	s_barrier
	buffer_gl0_inv
	s_and_saveexec_b32 s0, s3
	s_cbranch_execz .LBB691_60
; %bb.59:
	v_add_nc_u32_e32 v12, -2, v18
	ds_load_u16 v19, v12
.LBB691_60:
	s_or_b32 exec_lo, exec_lo, s0
	v_cmp_ne_u16_e32 vcc_lo, v16, v40
	s_waitcnt lgkmcnt(0)
	v_cmp_ne_u16_e64 s0, v19, v13
	v_cndmask_b32_e64 v12, 0, 1, vcc_lo
	v_cmp_ne_u16_e32 vcc_lo, v41, v16
	s_delay_alu instid0(VALU_DEP_2) | instskip(SKIP_2) | instid1(VALU_DEP_2)
	v_lshlrev_b16 v12, 8, v12
	v_cndmask_b32_e64 v30, 0, 1, vcc_lo
	v_cmp_ne_u16_e32 vcc_lo, v15, v41
	v_or_b32_e32 v30, v30, v12
	v_cndmask_b32_e64 v31, 0, 1, vcc_lo
	v_cmp_ne_u16_e32 vcc_lo, v42, v15
	s_delay_alu instid0(VALU_DEP_2) | instskip(SKIP_2) | instid1(VALU_DEP_2)
	v_lshlrev_b16 v31, 8, v31
	v_cndmask_b32_e64 v32, 0, 1, vcc_lo
	v_cmp_ne_u16_e32 vcc_lo, v14, v42
	v_or_b32_e32 v31, v32, v31
	v_cndmask_b32_e64 v34, 0, 1, vcc_lo
	v_cmp_ne_u16_e32 vcc_lo, v43, v14
	s_delay_alu instid0(VALU_DEP_3) | instskip(NEXT) | instid1(VALU_DEP_3)
	v_and_b32_e32 v31, 0xffff, v31
	v_lshlrev_b16 v45, 8, v34
	v_cndmask_b32_e64 v35, 0, 1, vcc_lo
	v_cmp_ne_u16_e32 vcc_lo, v13, v43
	s_delay_alu instid0(VALU_DEP_2) | instskip(SKIP_3) | instid1(VALU_DEP_4)
	v_or_b32_e32 v35, v35, v45
	v_cndmask_b32_e64 v39, 0, 1, vcc_lo
	v_cmp_ne_u16_e32 vcc_lo, v37, v33
	v_lshlrev_b32_e32 v45, 16, v30
	v_lshlrev_b32_e32 v35, 16, v35
	s_delay_alu instid0(VALU_DEP_4) | instskip(SKIP_3) | instid1(VALU_DEP_4)
	v_lshlrev_b16 v39, 8, v39
	v_cndmask_b32_e64 v34, 0, 1, vcc_lo
	v_cmp_ne_u16_e32 vcc_lo, v38, v37
	v_or_b32_e32 v31, v31, v45
	v_and_b32_e32 v39, 0xffff, v39
	v_cndmask_b32_e64 v12, 0, 1, vcc_lo
	v_cmp_ne_u16_e32 vcc_lo, v40, v38
	s_delay_alu instid0(VALU_DEP_3)
	v_or_b32_e32 v30, v39, v35
	v_cndmask_b32_e64 v32, 0, 1, vcc_lo
	s_branch .LBB691_67
.LBB691_61:
                                        ; implicit-def: $sgpr0
                                        ; implicit-def: $vgpr34
                                        ; implicit-def: $vgpr12
                                        ; implicit-def: $vgpr32
                                        ; implicit-def: $vgpr31
	s_branch .LBB691_68
.LBB691_62:
                                        ; implicit-def: $vgpr17_vgpr18_vgpr19
	s_and_saveexec_b32 s1, s28
	s_cbranch_execnz .LBB691_76
	s_branch .LBB691_77
.LBB691_63:
                                        ; implicit-def: $sgpr0
                                        ; implicit-def: $vgpr34
                                        ; implicit-def: $vgpr12
                                        ; implicit-def: $vgpr32
                                        ; implicit-def: $vgpr31
	s_and_b32 vcc_lo, exec_lo, s1
	s_cbranch_vccz .LBB691_67
; %bb.64:
	s_waitcnt vmcnt(0) lgkmcnt(0)
	s_barrier
	buffer_gl0_inv
	s_and_saveexec_b32 s0, s3
	s_cbranch_execz .LBB691_66
; %bb.65:
	v_add_nc_u32_e32 v12, -2, v18
	ds_load_u16 v17, v12
.LBB691_66:
	s_or_b32 exec_lo, exec_lo, s0
	v_cmp_gt_u32_e32 vcc_lo, s25, v9
	v_cmp_ne_u16_e64 s0, v37, v33
	v_cmp_gt_u32_e64 s1, s25, v10
	v_cmp_ne_u16_e64 s4, v38, v37
	v_cmp_gt_u32_e64 s5, s25, v5
	v_cmp_ne_u16_e64 s6, v13, v43
	s_and_b32 s0, vcc_lo, s0
	v_cmp_gt_u32_e32 vcc_lo, s25, v2
	v_cndmask_b32_e64 v34, 0, 1, s0
	v_cmp_ne_u16_e64 s0, v16, v40
	s_and_b32 s1, s1, s4
	v_cmp_ne_u16_e64 s4, v41, v16
	v_cndmask_b32_e64 v12, 0, 1, s1
	v_cmp_gt_u32_e64 s1, s25, v4
	s_and_b32 s0, vcc_lo, s0
	v_cmp_gt_u32_e32 vcc_lo, s25, v7
	v_cndmask_b32_e64 v18, 0, 1, s0
	v_cmp_ne_u16_e64 s0, v15, v41
	s_and_b32 s1, s1, s4
	v_cmp_ne_u16_e64 s4, v14, v42
	v_cndmask_b32_e64 v19, 0, 1, s1
	v_cmp_gt_u32_e64 s1, s25, v3
	;; [unrolled: 8-line block ×3, first 2 shown]
	s_and_b32 s0, vcc_lo, s0
	v_lshlrev_b16 v30, 8, v30
	v_cndmask_b32_e64 v32, 0, 1, s0
	v_lshlrev_b16 v31, 8, v31
	s_and_b32 s0, s1, s4
	v_lshlrev_b16 v18, 8, v18
	v_cndmask_b32_e64 v35, 0, 1, s0
	s_and_b32 s0, s5, s6
	v_or_b32_e32 v30, v32, v30
	v_cndmask_b32_e64 v39, 0, 1, s0
	v_or_b32_e32 v18, v19, v18
	v_or_b32_e32 v31, v35, v31
	v_cmp_gt_u32_e32 vcc_lo, s25, v11
	v_cmp_ne_u16_e64 s0, v40, v38
	v_lshlrev_b16 v35, 8, v39
	v_lshlrev_b32_e32 v18, 16, v18
	v_lshlrev_b32_e32 v19, 16, v31
	s_delay_alu instid0(VALU_DEP_4) | instskip(NEXT) | instid1(VALU_DEP_3)
	s_and_b32 s0, vcc_lo, s0
	v_and_b32_e32 v31, 0xffff, v35
	v_and_b32_e32 v35, 0xffff, v30
	v_cndmask_b32_e64 v32, 0, 1, s0
	v_cmp_gt_u32_e32 vcc_lo, s25, v1
	s_waitcnt lgkmcnt(0)
	v_cmp_ne_u16_e64 s0, v17, v13
	v_or_b32_e32 v30, v31, v19
	v_or_b32_e32 v31, v35, v18
	s_delay_alu instid0(VALU_DEP_3)
	s_and_b32 s0, vcc_lo, s0
.LBB691_67:
	s_mov_b32 s28, -1
	s_cbranch_execnz .LBB691_62
.LBB691_68:
	v_mad_i32_i24 v35, 0xffffffd6, v0, v44
	v_cmp_ne_u16_e64 s0, v37, v33
	v_cmp_ne_u16_e64 s9, v38, v37
	;; [unrolled: 1-line block ×10, first 2 shown]
	s_and_b32 vcc_lo, exec_lo, s23
	ds_store_b16 v35, v33
	s_cbranch_vccz .LBB691_72
; %bb.69:
	s_waitcnt vmcnt(0) lgkmcnt(2)
	v_cndmask_b32_e64 v17, 0, 1, s11
	v_cndmask_b32_e64 v12, 0, 1, s9
	;; [unrolled: 1-line block ×5, first 2 shown]
	v_lshlrev_b16 v17, 8, v17
	v_cndmask_b32_e64 v39, 0, 1, s4
	v_cndmask_b32_e64 v32, 0, 1, s10
	;; [unrolled: 1-line block ×4, first 2 shown]
	v_lshlrev_b16 v18, 8, v18
	v_lshlrev_b16 v45, 8, v12
	v_or_b32_e32 v17, v30, v17
	v_lshlrev_b16 v30, 8, v31
	v_lshlrev_b16 v31, 8, v39
	v_or_b32_e32 v18, v19, v18
	v_or_b32_e32 v19, v32, v45
	v_and_b32_e32 v17, 0xffff, v17
	v_or_b32_e32 v30, v34, v30
	v_or_b32_e32 v31, 1, v31
	v_lshlrev_b32_e32 v18, 16, v18
	v_and_b32_e32 v19, 0xffff, v19
	v_cndmask_b32_e64 v34, 0, 1, s0
	v_lshlrev_b32_e32 v30, 16, v30
	v_and_b32_e32 v39, 0xffff, v31
	v_or_b32_e32 v31, v17, v18
	s_waitcnt lgkmcnt(0)
	v_lshl_or_b32 v19, v34, 16, v19
	s_barrier
	v_or_b32_e32 v30, v39, v30
	buffer_gl0_inv
                                        ; implicit-def: $sgpr0
	s_and_saveexec_b32 s1, s3
	s_delay_alu instid0(SALU_CYCLE_1)
	s_xor_b32 s1, exec_lo, s1
	s_cbranch_execz .LBB691_71
; %bb.70:
	v_add_nc_u32_e32 v17, -2, v35
	s_or_b32 s28, s28, exec_lo
	ds_load_u16 v17, v17
	s_waitcnt lgkmcnt(0)
	v_cmp_ne_u16_e32 vcc_lo, v17, v13
                                        ; implicit-def: $vgpr17_vgpr18_vgpr19
	s_and_b32 s0, vcc_lo, exec_lo
.LBB691_71:
	s_or_b32 exec_lo, exec_lo, s1
	s_branch .LBB691_75
.LBB691_72:
                                        ; implicit-def: $sgpr0
                                        ; implicit-def: $vgpr34
                                        ; implicit-def: $vgpr12
                                        ; implicit-def: $vgpr32
                                        ; implicit-def: $vgpr31
                                        ; implicit-def: $vgpr17_vgpr18_vgpr19
	s_cbranch_execz .LBB691_75
; %bb.73:
	v_cmp_gt_u32_e32 vcc_lo, s25, v10
	v_cmp_ne_u16_e64 s0, v38, v37
	v_cmp_gt_u32_e64 s5, s25, v11
	v_cmp_ne_u16_e64 s6, v40, v38
	v_cmp_gt_u32_e64 s1, s25, v9
	v_cmp_ne_u16_e64 s4, v37, v33
	s_and_b32 s0, vcc_lo, s0
	v_cmp_gt_u32_e32 vcc_lo, s25, v2
	v_cndmask_b32_e64 v12, 0, 1, s0
	v_cmp_ne_u16_e64 s0, v16, v40
	s_and_b32 s5, s5, s6
	v_cmp_ne_u16_e64 s6, v41, v16
	v_cndmask_b32_e64 v32, 0, 1, s5
	v_cmp_gt_u32_e64 s5, s25, v4
	s_and_b32 s0, vcc_lo, s0
	v_cmp_gt_u32_e32 vcc_lo, s25, v7
	s_waitcnt vmcnt(0) lgkmcnt(2)
	v_cndmask_b32_e64 v17, 0, 1, s0
	v_cmp_ne_u16_e64 s0, v15, v41
	s_and_b32 s5, s5, s6
	v_cmp_ne_u16_e64 s6, v42, v15
	v_cndmask_b32_e64 v18, 0, 1, s5
	v_cmp_gt_u32_e64 s5, s25, v8
	s_and_b32 s0, vcc_lo, s0
	v_cmp_gt_u32_e32 vcc_lo, s25, v3
	v_cndmask_b32_e64 v19, 0, 1, s0
	v_cmp_ne_u16_e64 s0, v14, v42
	s_and_b32 s5, s5, s6
	v_cmp_ne_u16_e64 s6, v43, v14
	v_cndmask_b32_e64 v30, 0, 1, s5
	v_cmp_gt_u32_e64 s5, s25, v6
	s_and_b32 s0, vcc_lo, s0
	v_cmp_gt_u32_e32 vcc_lo, s25, v5
	v_cndmask_b32_e64 v31, 0, 1, s0
	v_cmp_ne_u16_e64 s0, v13, v43
	v_lshlrev_b16 v19, 8, v19
	v_lshlrev_b16 v17, 8, v17
	s_and_b32 s5, s5, s6
	v_lshlrev_b16 v45, 8, v12
	s_and_b32 s0, vcc_lo, s0
	v_cndmask_b32_e64 v34, 0, 1, s5
	v_cndmask_b32_e64 v39, 0, 1, s0
	v_or_b32_e32 v19, v30, v19
	v_or_b32_e32 v17, v18, v17
	v_lshlrev_b16 v18, 8, v31
	v_or_b32_e32 v31, v32, v45
	v_lshlrev_b16 v30, 8, v39
	s_and_b32 s0, s1, s4
	v_and_b32_e32 v19, 0xffff, v19
	v_or_b32_e32 v18, v34, v18
	v_lshlrev_b32_e32 v17, 16, v17
	v_or_b32_e32 v30, 1, v30
	v_and_b32_e32 v39, 0xffff, v31
	v_cndmask_b32_e64 v34, 0, 1, s0
	v_lshlrev_b32_e32 v18, 16, v18
	v_or_b32_e32 v31, v19, v17
	v_and_b32_e32 v30, 0xffff, v30
	s_waitcnt lgkmcnt(0)
	v_lshl_or_b32 v19, v34, 16, v39
	s_barrier
	buffer_gl0_inv
	v_or_b32_e32 v30, v30, v18
                                        ; implicit-def: $sgpr0
	s_and_saveexec_b32 s1, s3
	s_cbranch_execz .LBB691_254
; %bb.74:
	v_add_nc_u32_e32 v17, -2, v35
	v_cmp_gt_u32_e32 vcc_lo, s25, v1
	s_or_b32 s28, s28, exec_lo
	ds_load_u16 v17, v17
	s_waitcnt lgkmcnt(0)
	v_cmp_ne_u16_e64 s0, v17, v13
                                        ; implicit-def: $vgpr17_vgpr18_vgpr19
	s_delay_alu instid0(VALU_DEP_1) | instskip(NEXT) | instid1(SALU_CYCLE_1)
	s_and_b32 s0, vcc_lo, s0
	s_and_b32 s0, s0, exec_lo
	s_or_b32 exec_lo, exec_lo, s1
.LBB691_75:
	s_and_saveexec_b32 s1, s28
	s_cbranch_execz .LBB691_77
.LBB691_76:
	v_lshrrev_b32_e32 v18, 24, v30
	v_lshrrev_b32_e32 v19, 16, v30
	;; [unrolled: 1-line block ×3, first 2 shown]
	s_waitcnt vmcnt(0) lgkmcnt(1)
	v_cndmask_b32_e64 v17, 0, 1, s0
	v_lshlrev_b16 v12, 8, v12
	v_and_b32_e32 v32, 0xff, v32
	v_lshlrev_b16 v18, 8, v18
	v_and_b32_e32 v19, 0xff, v19
	;; [unrolled: 2-line block ×3, first 2 shown]
	v_or_b32_e32 v12, v32, v12
	s_delay_alu instid0(VALU_DEP_4) | instskip(NEXT) | instid1(VALU_DEP_4)
	v_or_b32_e32 v18, v19, v18
	v_or_b32_e32 v17, v17, v30
	s_delay_alu instid0(VALU_DEP_4) | instskip(NEXT) | instid1(VALU_DEP_4)
	v_lshlrev_b32_e32 v19, 16, v34
	v_and_b32_e32 v12, 0xffff, v12
	s_delay_alu instid0(VALU_DEP_4) | instskip(NEXT) | instid1(VALU_DEP_4)
	v_lshlrev_b32_e32 v18, 16, v18
	v_and_b32_e32 v17, 0xffff, v17
	s_delay_alu instid0(VALU_DEP_3) | instskip(NEXT) | instid1(VALU_DEP_2)
	v_or_b32_e32 v19, v12, v19
	v_or_b32_e32 v30, v17, v18
.LBB691_77:
	s_or_b32 exec_lo, exec_lo, s1
	s_delay_alu instid0(SALU_CYCLE_1)
	s_and_not1_b32 vcc_lo, exec_lo, s26
	s_cbranch_vccnz .LBB691_79
; %bb.78:
	v_cmp_gt_u32_e32 vcc_lo, s25, v1
	v_cmp_gt_u32_e64 s0, s25, v5
	v_cmp_gt_u32_e64 s3, s25, v6
	v_and_b32_e32 v5, 0xffffff00, v31
	v_cmp_gt_u32_e64 s1, s25, v10
	v_dual_cndmask_b32 v1, 0, v30 :: v_dual_and_b32 v12, 0xff000000, v19
	v_cmp_gt_u32_e32 vcc_lo, s25, v11
	v_cmp_gt_u32_e64 s5, s25, v3
	v_cmp_gt_u32_e64 s4, s25, v9
	s_delay_alu instid0(VALU_DEP_4) | instskip(SKIP_1) | instid1(VALU_DEP_2)
	v_and_b32_e32 v1, 0xff, v1
	v_cndmask_b32_e32 v11, v12, v19, vcc_lo
	v_cndmask_b32_e64 v1, v1, v30, s0
	v_cmp_gt_u32_e64 s0, s25, v8
	s_delay_alu instid0(VALU_DEP_3) | instskip(NEXT) | instid1(VALU_DEP_3)
	v_and_b32_e32 v11, 0xff0000ff, v11
	v_and_b32_e32 v1, 0xffff, v1
	s_delay_alu instid0(VALU_DEP_3) | instskip(NEXT) | instid1(VALU_DEP_3)
	v_cndmask_b32_e64 v5, v5, v31, s0
	v_cndmask_b32_e64 v8, v11, v19, s1
	s_or_b32 s1, s4, s1
	s_delay_alu instid0(VALU_DEP_3) | instskip(NEXT) | instid1(VALU_DEP_3)
	v_cndmask_b32_e64 v1, v1, v30, s3
	v_and_b32_e32 v5, 0xffff00ff, v5
	s_delay_alu instid0(VALU_DEP_3) | instskip(SKIP_1) | instid1(VALU_DEP_4)
	v_and_b32_e32 v6, 0xff00ffff, v8
	v_cmp_gt_u32_e64 s3, s25, v7
	v_and_b32_e32 v1, 0xffffff, v1
	s_delay_alu instid0(VALU_DEP_3) | instskip(NEXT) | instid1(VALU_DEP_3)
	v_cndmask_b32_e64 v6, v6, v19, s4
	v_cndmask_b32_e64 v5, v5, v31, s3
	s_delay_alu instid0(VALU_DEP_3) | instskip(NEXT) | instid1(VALU_DEP_2)
	v_cndmask_b32_e64 v1, v1, v30, s5
	v_and_b32_e32 v3, 0xff00ffff, v5
	s_delay_alu instid0(VALU_DEP_4) | instskip(NEXT) | instid1(VALU_DEP_3)
	v_lshrrev_b32_e32 v5, 8, v6
	v_cndmask_b32_e64 v1, v1, v30, s0
	v_cmp_gt_u32_e64 s0, s25, v4
	s_delay_alu instid0(VALU_DEP_3) | instskip(NEXT) | instid1(VALU_DEP_3)
	v_lshlrev_b16 v5, 8, v5
	v_cndmask_b32_e64 v1, v1, v30, s3
	v_cmp_gt_u32_e64 s3, s25, v2
	s_delay_alu instid0(VALU_DEP_4) | instskip(NEXT) | instid1(VALU_DEP_3)
	v_cndmask_b32_e64 v3, v3, v31, s0
	v_cndmask_b32_e64 v1, v1, v30, s0
	s_or_b32 s0, s1, vcc_lo
	s_delay_alu instid0(VALU_DEP_3) | instid1(SALU_CYCLE_1)
	s_or_b32 vcc_lo, s0, s3
	s_delay_alu instid0(VALU_DEP_1) | instskip(NEXT) | instid1(VALU_DEP_1)
	v_dual_cndmask_b32 v1, v1, v30 :: v_dual_and_b32 v2, 0xffffff, v3
	v_dual_cndmask_b32 v31, v2, v31 :: v_dual_and_b32 v4, 0xff, v6
	s_delay_alu instid0(VALU_DEP_2) | instskip(NEXT) | instid1(VALU_DEP_2)
	v_perm_b32 v30, v1, v1, 0x3020104
	v_or_b32_e32 v3, v4, v5
	s_delay_alu instid0(VALU_DEP_1) | instskip(NEXT) | instid1(VALU_DEP_1)
	v_and_b32_e32 v2, 0xffff, v3
	v_and_or_b32 v19, 0xff0000, v6, v2
.LBB691_79:
	s_delay_alu instid0(VALU_DEP_1)
	v_and_b32_e32 v45, 0xff, v30
	v_bfe_u32 v46, v30, 8, 8
	v_alignbit_b32 v1, v31, v30, 24
	v_bfe_u32 v47, v30, 16, 8
	v_and_b32_e32 v48, 0xff, v31
	v_bfe_u32 v50, v31, 8, 8
	v_bfe_u32 v51, v31, 16, 8
	v_and_b32_e32 v49, 0xff, v1
	v_add3_u32 v1, v46, v45, v47
	v_lshrrev_b32_e32 v39, 24, v31
	v_mbcnt_lo_u32_b32 v54, -1, 0
	v_and_b32_e32 v52, 0xff, v19
	v_bfe_u32 v53, v19, 8, 8
	v_add3_u32 v1, v1, v49, v48
	v_bfe_u32 v3, v19, 16, 8
	v_and_b32_e32 v2, 15, v54
	v_or_b32_e32 v4, 31, v0
	v_and_b32_e32 v5, 16, v54
	v_add3_u32 v1, v1, v50, v51
	v_lshrrev_b32_e32 v55, 5, v0
	v_cmp_eq_u32_e64 s6, 0, v2
	v_cmp_lt_u32_e64 s5, 1, v2
	v_cmp_lt_u32_e64 s4, 3, v2
	v_add3_u32 v1, v1, v39, v52
	v_cmp_lt_u32_e64 s3, 7, v2
	v_cmp_eq_u32_e64 s1, 0, v5
	v_cmp_eq_u32_e64 s0, v4, v0
	s_and_b32 vcc_lo, exec_lo, s27
	v_add3_u32 v56, v1, v53, v3
	s_mov_b32 s7, -1
	s_waitcnt vmcnt(0) lgkmcnt(0)
	s_barrier
	buffer_gl0_inv
	s_cbranch_vccz .LBB691_105
; %bb.80:
	v_mov_b32_dpp v1, v56 row_shr:1 row_mask:0xf bank_mask:0xf
	s_delay_alu instid0(VALU_DEP_1) | instskip(NEXT) | instid1(VALU_DEP_1)
	v_cndmask_b32_e64 v1, v1, 0, s6
	v_add_nc_u32_e32 v1, v1, v56
	s_delay_alu instid0(VALU_DEP_1) | instskip(NEXT) | instid1(VALU_DEP_1)
	v_mov_b32_dpp v2, v1 row_shr:2 row_mask:0xf bank_mask:0xf
	v_cndmask_b32_e64 v2, 0, v2, s5
	s_delay_alu instid0(VALU_DEP_1) | instskip(NEXT) | instid1(VALU_DEP_1)
	v_add_nc_u32_e32 v1, v1, v2
	v_mov_b32_dpp v2, v1 row_shr:4 row_mask:0xf bank_mask:0xf
	s_delay_alu instid0(VALU_DEP_1) | instskip(NEXT) | instid1(VALU_DEP_1)
	v_cndmask_b32_e64 v2, 0, v2, s4
	v_add_nc_u32_e32 v1, v1, v2
	s_delay_alu instid0(VALU_DEP_1) | instskip(NEXT) | instid1(VALU_DEP_1)
	v_mov_b32_dpp v2, v1 row_shr:8 row_mask:0xf bank_mask:0xf
	v_cndmask_b32_e64 v2, 0, v2, s3
	s_delay_alu instid0(VALU_DEP_1) | instskip(SKIP_3) | instid1(VALU_DEP_1)
	v_add_nc_u32_e32 v1, v1, v2
	ds_swizzle_b32 v2, v1 offset:swizzle(BROADCAST,32,15)
	s_waitcnt lgkmcnt(0)
	v_cndmask_b32_e64 v2, v2, 0, s1
	v_add_nc_u32_e32 v1, v1, v2
	s_and_saveexec_b32 s7, s0
	s_cbranch_execz .LBB691_82
; %bb.81:
	v_lshlrev_b32_e32 v2, 2, v55
	ds_store_b32 v2, v1
.LBB691_82:
	s_or_b32 exec_lo, exec_lo, s7
	s_delay_alu instid0(SALU_CYCLE_1)
	s_mov_b32 s7, exec_lo
	s_waitcnt lgkmcnt(0)
	s_barrier
	buffer_gl0_inv
	v_cmpx_gt_u32_e32 4, v0
	s_cbranch_execz .LBB691_84
; %bb.83:
	v_and_b32_e32 v4, 3, v54
	s_delay_alu instid0(VALU_DEP_1) | instskip(SKIP_4) | instid1(VALU_DEP_1)
	v_cmp_ne_u32_e32 vcc_lo, 0, v4
	v_lshlrev_b32_e32 v2, 2, v0
	ds_load_b32 v3, v2
	s_waitcnt lgkmcnt(0)
	v_mov_b32_dpp v5, v3 row_shr:1 row_mask:0xf bank_mask:0xf
	v_cndmask_b32_e32 v5, 0, v5, vcc_lo
	v_cmp_lt_u32_e32 vcc_lo, 1, v4
	s_delay_alu instid0(VALU_DEP_2) | instskip(NEXT) | instid1(VALU_DEP_1)
	v_add_nc_u32_e32 v3, v5, v3
	v_mov_b32_dpp v5, v3 row_shr:2 row_mask:0xf bank_mask:0xf
	s_delay_alu instid0(VALU_DEP_1) | instskip(NEXT) | instid1(VALU_DEP_1)
	v_cndmask_b32_e32 v4, 0, v5, vcc_lo
	v_add_nc_u32_e32 v3, v3, v4
	ds_store_b32 v2, v3
.LBB691_84:
	s_or_b32 exec_lo, exec_lo, s7
	v_cmp_gt_u32_e32 vcc_lo, 32, v0
	s_mov_b32 s8, exec_lo
	s_waitcnt lgkmcnt(0)
	s_barrier
	buffer_gl0_inv
                                        ; implicit-def: $vgpr9
	v_cmpx_lt_u32_e32 31, v0
	s_cbranch_execz .LBB691_86
; %bb.85:
	v_lshl_add_u32 v2, v55, 2, -4
	ds_load_b32 v9, v2
	s_waitcnt lgkmcnt(0)
	v_add_nc_u32_e32 v1, v9, v1
.LBB691_86:
	s_or_b32 exec_lo, exec_lo, s8
	v_add_nc_u32_e32 v2, -1, v54
	s_delay_alu instid0(VALU_DEP_1) | instskip(NEXT) | instid1(VALU_DEP_1)
	v_cmp_gt_i32_e64 s7, 0, v2
	v_cndmask_b32_e64 v2, v2, v54, s7
	v_cmp_eq_u32_e64 s7, 0, v54
	s_delay_alu instid0(VALU_DEP_2)
	v_lshlrev_b32_e32 v2, 2, v2
	ds_bpermute_b32 v10, v2, v1
	s_and_saveexec_b32 s8, vcc_lo
	s_cbranch_execz .LBB691_104
; %bb.87:
	v_mov_b32_e32 v5, 0
	ds_load_b32 v1, v5 offset:12
	s_and_saveexec_b32 s9, s7
	s_cbranch_execz .LBB691_89
; %bb.88:
	s_add_i32 s10, s24, 32
	s_mov_b32 s11, 0
	v_mov_b32_e32 v2, 1
	s_lshl_b64 s[10:11], s[10:11], 3
	s_delay_alu instid0(SALU_CYCLE_1)
	s_add_u32 s10, s20, s10
	s_addc_u32 s11, s21, s11
	s_waitcnt lgkmcnt(0)
	global_store_b64 v5, v[1:2], s[10:11]
.LBB691_89:
	s_or_b32 exec_lo, exec_lo, s9
	v_xad_u32 v3, v54, -1, s24
	s_mov_b32 s10, 0
	s_mov_b32 s9, exec_lo
	s_delay_alu instid0(VALU_DEP_1) | instskip(NEXT) | instid1(VALU_DEP_1)
	v_add_nc_u32_e32 v4, 32, v3
	v_lshlrev_b64 v[4:5], 3, v[4:5]
	s_delay_alu instid0(VALU_DEP_1) | instskip(NEXT) | instid1(VALU_DEP_2)
	v_add_co_u32 v7, vcc_lo, s20, v4
	v_add_co_ci_u32_e32 v8, vcc_lo, s21, v5, vcc_lo
	global_load_b64 v[5:6], v[7:8], off glc
	s_waitcnt vmcnt(0)
	v_and_b32_e32 v2, 0xff, v6
	s_delay_alu instid0(VALU_DEP_1)
	v_cmpx_eq_u16_e32 0, v2
	s_cbranch_execz .LBB691_92
.LBB691_90:                             ; =>This Inner Loop Header: Depth=1
	global_load_b64 v[5:6], v[7:8], off glc
	s_waitcnt vmcnt(0)
	v_and_b32_e32 v2, 0xff, v6
	s_delay_alu instid0(VALU_DEP_1) | instskip(SKIP_1) | instid1(SALU_CYCLE_1)
	v_cmp_ne_u16_e32 vcc_lo, 0, v2
	s_or_b32 s10, vcc_lo, s10
	s_and_not1_b32 exec_lo, exec_lo, s10
	s_cbranch_execnz .LBB691_90
; %bb.91:
	s_or_b32 exec_lo, exec_lo, s10
.LBB691_92:
	s_delay_alu instid0(SALU_CYCLE_1)
	s_or_b32 exec_lo, exec_lo, s9
	v_cmp_ne_u32_e32 vcc_lo, 31, v54
	v_lshlrev_b32_e64 v12, v54, -1
	v_add_nc_u32_e32 v18, 2, v54
	v_add_nc_u32_e32 v34, 4, v54
	;; [unrolled: 1-line block ×3, first 2 shown]
	v_add_co_ci_u32_e32 v2, vcc_lo, 0, v54, vcc_lo
	v_add_nc_u32_e32 v59, 16, v54
	s_delay_alu instid0(VALU_DEP_2)
	v_lshlrev_b32_e32 v11, 2, v2
	v_and_b32_e32 v2, 0xff, v6
	ds_bpermute_b32 v4, v11, v5
	v_cmp_eq_u16_e32 vcc_lo, 2, v2
	v_and_or_b32 v2, vcc_lo, v12, 0x80000000
	v_cmp_gt_u32_e32 vcc_lo, 30, v54
	s_delay_alu instid0(VALU_DEP_2) | instskip(SKIP_1) | instid1(VALU_DEP_2)
	v_ctz_i32_b32_e32 v2, v2
	v_cndmask_b32_e64 v7, 0, 1, vcc_lo
	v_cmp_lt_u32_e32 vcc_lo, v54, v2
	s_waitcnt lgkmcnt(0)
	s_delay_alu instid0(VALU_DEP_2) | instskip(NEXT) | instid1(VALU_DEP_1)
	v_dual_cndmask_b32 v4, 0, v4 :: v_dual_lshlrev_b32 v7, 1, v7
	v_add_lshl_u32 v17, v7, v54, 2
	v_cmp_gt_u32_e32 vcc_lo, 28, v54
	s_delay_alu instid0(VALU_DEP_3) | instskip(SKIP_4) | instid1(VALU_DEP_1)
	v_add_nc_u32_e32 v4, v4, v5
	v_cndmask_b32_e64 v7, 0, 1, vcc_lo
	v_cmp_le_u32_e32 vcc_lo, v18, v2
	ds_bpermute_b32 v5, v17, v4
	v_lshlrev_b32_e32 v7, 2, v7
	v_add_lshl_u32 v32, v7, v54, 2
	s_waitcnt lgkmcnt(0)
	v_cndmask_b32_e32 v5, 0, v5, vcc_lo
	v_cmp_gt_u32_e32 vcc_lo, 24, v54
	s_delay_alu instid0(VALU_DEP_2) | instskip(SKIP_4) | instid1(VALU_DEP_1)
	v_add_nc_u32_e32 v4, v4, v5
	v_cndmask_b32_e64 v7, 0, 1, vcc_lo
	v_cmp_le_u32_e32 vcc_lo, v34, v2
	ds_bpermute_b32 v5, v32, v4
	v_lshlrev_b32_e32 v7, 3, v7
	v_add_lshl_u32 v35, v7, v54, 2
	s_waitcnt lgkmcnt(0)
	v_cndmask_b32_e32 v5, 0, v5, vcc_lo
	v_cmp_gt_u32_e32 vcc_lo, 16, v54
	s_delay_alu instid0(VALU_DEP_2) | instskip(SKIP_4) | instid1(VALU_DEP_1)
	v_add_nc_u32_e32 v4, v4, v5
	v_cndmask_b32_e64 v7, 0, 1, vcc_lo
	v_cmp_le_u32_e32 vcc_lo, v57, v2
	ds_bpermute_b32 v5, v35, v4
	v_lshlrev_b32_e32 v7, 4, v7
	v_add_lshl_u32 v58, v7, v54, 2
	s_waitcnt lgkmcnt(0)
	v_cndmask_b32_e32 v5, 0, v5, vcc_lo
	v_cmp_le_u32_e32 vcc_lo, v59, v2
	s_delay_alu instid0(VALU_DEP_2) | instskip(SKIP_3) | instid1(VALU_DEP_1)
	v_add_nc_u32_e32 v4, v4, v5
	ds_bpermute_b32 v5, v58, v4
	s_waitcnt lgkmcnt(0)
	v_cndmask_b32_e32 v2, 0, v5, vcc_lo
	v_dual_mov_b32 v4, 0 :: v_dual_add_nc_u32 v5, v4, v2
	s_branch .LBB691_94
.LBB691_93:                             ;   in Loop: Header=BB691_94 Depth=1
	s_or_b32 exec_lo, exec_lo, s9
	ds_bpermute_b32 v8, v11, v5
	v_and_b32_e32 v7, 0xff, v6
	v_subrev_nc_u32_e32 v3, 32, v3
	s_delay_alu instid0(VALU_DEP_2) | instskip(SKIP_1) | instid1(VALU_DEP_1)
	v_cmp_eq_u16_e32 vcc_lo, 2, v7
	v_and_or_b32 v7, vcc_lo, v12, 0x80000000
	v_ctz_i32_b32_e32 v7, v7
	s_delay_alu instid0(VALU_DEP_1) | instskip(SKIP_3) | instid1(VALU_DEP_2)
	v_cmp_lt_u32_e32 vcc_lo, v54, v7
	s_waitcnt lgkmcnt(0)
	v_cndmask_b32_e32 v8, 0, v8, vcc_lo
	v_cmp_le_u32_e32 vcc_lo, v18, v7
	v_add_nc_u32_e32 v5, v8, v5
	ds_bpermute_b32 v8, v17, v5
	s_waitcnt lgkmcnt(0)
	v_cndmask_b32_e32 v8, 0, v8, vcc_lo
	v_cmp_le_u32_e32 vcc_lo, v34, v7
	s_delay_alu instid0(VALU_DEP_2) | instskip(SKIP_4) | instid1(VALU_DEP_2)
	v_add_nc_u32_e32 v5, v5, v8
	ds_bpermute_b32 v8, v32, v5
	s_waitcnt lgkmcnt(0)
	v_cndmask_b32_e32 v8, 0, v8, vcc_lo
	v_cmp_le_u32_e32 vcc_lo, v57, v7
	v_add_nc_u32_e32 v5, v5, v8
	ds_bpermute_b32 v8, v35, v5
	s_waitcnt lgkmcnt(0)
	v_cndmask_b32_e32 v8, 0, v8, vcc_lo
	v_cmp_le_u32_e32 vcc_lo, v59, v7
	s_delay_alu instid0(VALU_DEP_2) | instskip(SKIP_3) | instid1(VALU_DEP_1)
	v_add_nc_u32_e32 v5, v5, v8
	ds_bpermute_b32 v8, v58, v5
	s_waitcnt lgkmcnt(0)
	v_cndmask_b32_e32 v7, 0, v8, vcc_lo
	v_add3_u32 v5, v7, v2, v5
.LBB691_94:                             ; =>This Loop Header: Depth=1
                                        ;     Child Loop BB691_97 Depth 2
	v_and_b32_e32 v2, 0xff, v6
	s_delay_alu instid0(VALU_DEP_1) | instskip(SKIP_2) | instid1(VALU_DEP_1)
	v_cmp_ne_u16_e32 vcc_lo, 2, v2
	v_cndmask_b32_e64 v2, 0, 1, vcc_lo
	;;#ASMSTART
	;;#ASMEND
	v_cmp_ne_u32_e32 vcc_lo, 0, v2
	v_mov_b32_e32 v2, v5
	s_cmp_lg_u32 vcc_lo, exec_lo
	s_cbranch_scc1 .LBB691_99
; %bb.95:                               ;   in Loop: Header=BB691_94 Depth=1
	v_lshlrev_b64 v[5:6], 3, v[3:4]
	s_mov_b32 s9, exec_lo
	s_delay_alu instid0(VALU_DEP_1) | instskip(NEXT) | instid1(VALU_DEP_2)
	v_add_co_u32 v7, vcc_lo, s20, v5
	v_add_co_ci_u32_e32 v8, vcc_lo, s21, v6, vcc_lo
	global_load_b64 v[5:6], v[7:8], off glc
	s_waitcnt vmcnt(0)
	v_and_b32_e32 v60, 0xff, v6
	s_delay_alu instid0(VALU_DEP_1)
	v_cmpx_eq_u16_e32 0, v60
	s_cbranch_execz .LBB691_93
; %bb.96:                               ;   in Loop: Header=BB691_94 Depth=1
	s_mov_b32 s10, 0
.LBB691_97:                             ;   Parent Loop BB691_94 Depth=1
                                        ; =>  This Inner Loop Header: Depth=2
	global_load_b64 v[5:6], v[7:8], off glc
	s_waitcnt vmcnt(0)
	v_and_b32_e32 v60, 0xff, v6
	s_delay_alu instid0(VALU_DEP_1) | instskip(SKIP_1) | instid1(SALU_CYCLE_1)
	v_cmp_ne_u16_e32 vcc_lo, 0, v60
	s_or_b32 s10, vcc_lo, s10
	s_and_not1_b32 exec_lo, exec_lo, s10
	s_cbranch_execnz .LBB691_97
; %bb.98:                               ;   in Loop: Header=BB691_94 Depth=1
	s_or_b32 exec_lo, exec_lo, s10
	s_branch .LBB691_93
.LBB691_99:                             ;   in Loop: Header=BB691_94 Depth=1
                                        ; implicit-def: $vgpr5
                                        ; implicit-def: $vgpr6
	s_cbranch_execz .LBB691_94
; %bb.100:
	s_and_saveexec_b32 s9, s7
	s_cbranch_execz .LBB691_102
; %bb.101:
	s_add_i32 s10, s24, 32
	s_mov_b32 s11, 0
	v_dual_mov_b32 v4, 2 :: v_dual_add_nc_u32 v3, v2, v1
	s_lshl_b64 s[10:11], s[10:11], 3
	v_mov_b32_e32 v5, 0
	s_add_u32 s10, s20, s10
	s_addc_u32 s11, s21, s11
	global_store_b64 v5, v[3:4], s[10:11]
	ds_store_b64 v5, v[1:2] offset:5632
.LBB691_102:
	s_or_b32 exec_lo, exec_lo, s9
	s_delay_alu instid0(SALU_CYCLE_1)
	s_and_b32 exec_lo, exec_lo, s2
	s_cbranch_execz .LBB691_104
; %bb.103:
	v_mov_b32_e32 v1, 0
	ds_store_b32 v1, v2 offset:12
.LBB691_104:
	s_or_b32 exec_lo, exec_lo, s8
	s_waitcnt lgkmcnt(0)
	v_cndmask_b32_e64 v3, v10, v9, s7
	s_waitcnt_vscnt null, 0x0
	s_barrier
	buffer_gl0_inv
	v_cndmask_b32_e64 v3, v3, 0, s2
	v_mov_b32_e32 v1, 0
	ds_load_b32 v2, v1 offset:12
	s_waitcnt lgkmcnt(0)
	s_barrier
	buffer_gl0_inv
	v_add_nc_u32_e32 v2, v2, v3
	ds_load_b64 v[17:18], v1 offset:5632
	v_add_nc_u32_e32 v3, v2, v45
	s_delay_alu instid0(VALU_DEP_1) | instskip(SKIP_1) | instid1(VALU_DEP_1)
	v_add_nc_u32_e32 v4, v3, v46
	s_waitcnt lgkmcnt(0)
	v_dual_mov_b32 v32, v18 :: v_dual_add_nc_u32 v5, v4, v47
	s_delay_alu instid0(VALU_DEP_1) | instskip(NEXT) | instid1(VALU_DEP_1)
	v_add_nc_u32_e32 v6, v5, v49
	v_add_nc_u32_e32 v7, v6, v48
	s_delay_alu instid0(VALU_DEP_1) | instskip(NEXT) | instid1(VALU_DEP_1)
	v_add_nc_u32_e32 v8, v7, v50
	v_add_nc_u32_e32 v9, v8, v51
	;; [unrolled: 3-line block ×3, first 2 shown]
	s_delay_alu instid0(VALU_DEP_1)
	v_add_nc_u32_e32 v12, v11, v53
	v_lshrrev_b64 v[34:35], 24, v[30:31]
	s_branch .LBB691_115
.LBB691_105:
                                        ; implicit-def: $vgpr32
                                        ; implicit-def: $vgpr2_vgpr3_vgpr4_vgpr5_vgpr6_vgpr7_vgpr8_vgpr9_vgpr10_vgpr11_vgpr12
                                        ; implicit-def: $vgpr17
	v_lshrrev_b64 v[34:35], 24, v[30:31]
	s_and_b32 vcc_lo, exec_lo, s7
	s_cbranch_vccz .LBB691_115
; %bb.106:
	v_mov_b32_dpp v1, v56 row_shr:1 row_mask:0xf bank_mask:0xf
	s_delay_alu instid0(VALU_DEP_1) | instskip(NEXT) | instid1(VALU_DEP_1)
	v_cndmask_b32_e64 v1, v1, 0, s6
	v_add_nc_u32_e32 v1, v1, v56
	s_delay_alu instid0(VALU_DEP_1) | instskip(NEXT) | instid1(VALU_DEP_1)
	v_mov_b32_dpp v2, v1 row_shr:2 row_mask:0xf bank_mask:0xf
	v_cndmask_b32_e64 v2, 0, v2, s5
	s_delay_alu instid0(VALU_DEP_1) | instskip(NEXT) | instid1(VALU_DEP_1)
	v_add_nc_u32_e32 v1, v1, v2
	v_mov_b32_dpp v2, v1 row_shr:4 row_mask:0xf bank_mask:0xf
	s_delay_alu instid0(VALU_DEP_1) | instskip(NEXT) | instid1(VALU_DEP_1)
	v_cndmask_b32_e64 v2, 0, v2, s4
	v_add_nc_u32_e32 v1, v1, v2
	s_delay_alu instid0(VALU_DEP_1) | instskip(NEXT) | instid1(VALU_DEP_1)
	v_mov_b32_dpp v2, v1 row_shr:8 row_mask:0xf bank_mask:0xf
	v_cndmask_b32_e64 v2, 0, v2, s3
	s_delay_alu instid0(VALU_DEP_1) | instskip(SKIP_3) | instid1(VALU_DEP_1)
	v_add_nc_u32_e32 v1, v1, v2
	ds_swizzle_b32 v2, v1 offset:swizzle(BROADCAST,32,15)
	s_waitcnt lgkmcnt(0)
	v_cndmask_b32_e64 v2, v2, 0, s1
	v_add_nc_u32_e32 v1, v1, v2
	s_and_saveexec_b32 s1, s0
	s_cbranch_execz .LBB691_108
; %bb.107:
	v_lshlrev_b32_e32 v2, 2, v55
	ds_store_b32 v2, v1
.LBB691_108:
	s_or_b32 exec_lo, exec_lo, s1
	s_delay_alu instid0(SALU_CYCLE_1)
	s_mov_b32 s0, exec_lo
	s_waitcnt lgkmcnt(0)
	s_barrier
	buffer_gl0_inv
	v_cmpx_gt_u32_e32 4, v0
	s_cbranch_execz .LBB691_110
; %bb.109:
	v_mad_i32_i24 v2, 0xffffffd8, v0, v44
	ds_load_b32 v3, v2
	s_waitcnt lgkmcnt(0)
	v_mov_b32_dpp v5, v3 row_shr:1 row_mask:0xf bank_mask:0xf
	v_and_b32_e32 v4, 3, v54
	s_delay_alu instid0(VALU_DEP_1) | instskip(NEXT) | instid1(VALU_DEP_3)
	v_cmp_ne_u32_e32 vcc_lo, 0, v4
	v_cndmask_b32_e32 v5, 0, v5, vcc_lo
	v_cmp_lt_u32_e32 vcc_lo, 1, v4
	s_delay_alu instid0(VALU_DEP_2) | instskip(NEXT) | instid1(VALU_DEP_1)
	v_add_nc_u32_e32 v3, v5, v3
	v_mov_b32_dpp v5, v3 row_shr:2 row_mask:0xf bank_mask:0xf
	s_delay_alu instid0(VALU_DEP_1) | instskip(NEXT) | instid1(VALU_DEP_1)
	v_cndmask_b32_e32 v4, 0, v5, vcc_lo
	v_add_nc_u32_e32 v3, v3, v4
	ds_store_b32 v2, v3
.LBB691_110:
	s_or_b32 exec_lo, exec_lo, s0
	v_dual_mov_b32 v3, 0 :: v_dual_mov_b32 v2, 0
	s_mov_b32 s0, exec_lo
	s_waitcnt lgkmcnt(0)
	s_barrier
	buffer_gl0_inv
	v_cmpx_lt_u32_e32 31, v0
	s_cbranch_execz .LBB691_112
; %bb.111:
	v_lshl_add_u32 v2, v55, 2, -4
	ds_load_b32 v2, v2
.LBB691_112:
	s_or_b32 exec_lo, exec_lo, s0
	v_add_nc_u32_e32 v4, -1, v54
	ds_load_b32 v17, v3 offset:12
	s_waitcnt lgkmcnt(1)
	v_add_nc_u32_e32 v1, v2, v1
	v_cmp_gt_i32_e32 vcc_lo, 0, v4
	v_cndmask_b32_e32 v4, v4, v54, vcc_lo
	s_delay_alu instid0(VALU_DEP_1)
	v_lshlrev_b32_e32 v4, 2, v4
	ds_bpermute_b32 v1, v4, v1
	s_and_saveexec_b32 s0, s2
	s_cbranch_execz .LBB691_114
; %bb.113:
	v_dual_mov_b32 v3, 0 :: v_dual_mov_b32 v18, 2
	s_waitcnt lgkmcnt(1)
	global_store_b64 v3, v[17:18], s[20:21] offset:256
.LBB691_114:
	s_or_b32 exec_lo, exec_lo, s0
	v_cmp_eq_u32_e32 vcc_lo, 0, v54
	s_waitcnt lgkmcnt(0)
	s_waitcnt_vscnt null, 0x0
	s_barrier
	buffer_gl0_inv
	v_dual_mov_b32 v32, 0 :: v_dual_cndmask_b32 v1, v1, v2
	s_delay_alu instid0(VALU_DEP_1) | instskip(NEXT) | instid1(VALU_DEP_1)
	v_cndmask_b32_e64 v2, v1, 0, s2
	v_add_nc_u32_e32 v3, v2, v45
	s_delay_alu instid0(VALU_DEP_1) | instskip(NEXT) | instid1(VALU_DEP_1)
	v_add_nc_u32_e32 v4, v3, v46
	v_add_nc_u32_e32 v5, v4, v47
	s_delay_alu instid0(VALU_DEP_1) | instskip(NEXT) | instid1(VALU_DEP_1)
	v_add_nc_u32_e32 v6, v5, v49
	;; [unrolled: 3-line block ×4, first 2 shown]
	v_add_nc_u32_e32 v11, v10, v52
	s_delay_alu instid0(VALU_DEP_1)
	v_add_nc_u32_e32 v12, v11, v53
.LBB691_115:
	v_add_nc_u32_e32 v48, v32, v17
	v_cmp_gt_u32_e64 s0, 0x81, v17
	v_lshrrev_b32_e32 v18, 16, v19
	v_lshrrev_b32_e32 v46, 16, v30
	;; [unrolled: 1-line block ×6, first 2 shown]
	v_cmp_lt_u32_e64 s1, v2, v48
	s_and_b32 vcc_lo, exec_lo, s0
	s_mov_b32 s3, -1
	s_cbranch_vccz .LBB691_150
; %bb.116:
	s_lshl_b64 s[4:5], s[14:15], 1
	s_delay_alu instid0(SALU_CYCLE_1) | instskip(SKIP_2) | instid1(SALU_CYCLE_1)
	s_add_u32 s3, s16, s4
	s_addc_u32 s4, s17, s5
	s_or_b32 s5, s23, s1
	s_and_saveexec_b32 s1, s5
	s_cbranch_execz .LBB691_119
; %bb.117:
	v_and_b32_e32 v1, 1, v30
	s_delay_alu instid0(VALU_DEP_1)
	v_cmp_eq_u32_e32 vcc_lo, 1, v1
	s_and_b32 exec_lo, exec_lo, vcc_lo
	s_cbranch_execz .LBB691_119
; %bb.118:
	v_dual_mov_b32 v50, 0 :: v_dual_mov_b32 v49, v2
	s_delay_alu instid0(VALU_DEP_1) | instskip(NEXT) | instid1(VALU_DEP_1)
	v_lshlrev_b64 v[49:50], 1, v[49:50]
	v_add_co_u32 v49, vcc_lo, s3, v49
	s_delay_alu instid0(VALU_DEP_2)
	v_add_co_ci_u32_e32 v50, vcc_lo, s4, v50, vcc_lo
	global_store_b16 v[49:50], v13, off
.LBB691_119:
	s_or_b32 exec_lo, exec_lo, s1
	v_cmp_lt_u32_e32 vcc_lo, v3, v48
	s_or_b32 s5, s23, vcc_lo
	s_delay_alu instid0(SALU_CYCLE_1)
	s_and_saveexec_b32 s1, s5
	s_cbranch_execz .LBB691_122
; %bb.120:
	v_and_b32_e32 v1, 1, v47
	s_delay_alu instid0(VALU_DEP_1)
	v_cmp_eq_u32_e32 vcc_lo, 1, v1
	s_and_b32 exec_lo, exec_lo, vcc_lo
	s_cbranch_execz .LBB691_122
; %bb.121:
	v_dual_mov_b32 v50, 0 :: v_dual_mov_b32 v49, v3
	s_delay_alu instid0(VALU_DEP_1) | instskip(NEXT) | instid1(VALU_DEP_1)
	v_lshlrev_b64 v[49:50], 1, v[49:50]
	v_add_co_u32 v49, vcc_lo, s3, v49
	s_delay_alu instid0(VALU_DEP_2)
	v_add_co_ci_u32_e32 v50, vcc_lo, s4, v50, vcc_lo
	global_store_b16 v[49:50], v43, off
.LBB691_122:
	s_or_b32 exec_lo, exec_lo, s1
	v_cmp_lt_u32_e32 vcc_lo, v4, v48
	s_or_b32 s5, s23, vcc_lo
	s_delay_alu instid0(SALU_CYCLE_1)
	;; [unrolled: 21-line block ×10, first 2 shown]
	s_and_saveexec_b32 s1, s5
	s_cbranch_execz .LBB691_149
; %bb.147:
	v_and_b32_e32 v1, 1, v18
	s_delay_alu instid0(VALU_DEP_1)
	v_cmp_eq_u32_e32 vcc_lo, 1, v1
	s_and_b32 exec_lo, exec_lo, vcc_lo
	s_cbranch_execz .LBB691_149
; %bb.148:
	v_dual_mov_b32 v50, 0 :: v_dual_mov_b32 v49, v12
	s_delay_alu instid0(VALU_DEP_1) | instskip(NEXT) | instid1(VALU_DEP_1)
	v_lshlrev_b64 v[49:50], 1, v[49:50]
	v_add_co_u32 v49, vcc_lo, s3, v49
	s_delay_alu instid0(VALU_DEP_2)
	v_add_co_ci_u32_e32 v50, vcc_lo, s4, v50, vcc_lo
	global_store_b16 v[49:50], v33, off
.LBB691_149:
	s_or_b32 exec_lo, exec_lo, s1
	s_mov_b32 s3, 0
.LBB691_150:
	v_and_b32_e32 v30, 1, v30
	s_and_b32 vcc_lo, exec_lo, s3
	s_delay_alu instid0(VALU_DEP_1)
	v_cmp_eq_u32_e64 s1, 1, v30
	s_cbranch_vccz .LBB691_189
; %bb.151:
	s_delay_alu instid0(VALU_DEP_1)
	s_and_saveexec_b32 s3, s1
	s_cbranch_execz .LBB691_153
; %bb.152:
	v_sub_nc_u32_e32 v1, v2, v32
	s_delay_alu instid0(VALU_DEP_1)
	v_lshlrev_b32_e32 v1, 1, v1
	ds_store_b16 v1, v13
.LBB691_153:
	s_or_b32 exec_lo, exec_lo, s3
	v_and_b32_e32 v1, 1, v47
	s_mov_b32 s1, exec_lo
	s_delay_alu instid0(VALU_DEP_1)
	v_cmpx_eq_u32_e32 1, v1
	s_cbranch_execz .LBB691_155
; %bb.154:
	v_sub_nc_u32_e32 v1, v3, v32
	s_delay_alu instid0(VALU_DEP_1)
	v_lshlrev_b32_e32 v1, 1, v1
	ds_store_b16 v1, v43
.LBB691_155:
	s_or_b32 exec_lo, exec_lo, s1
	v_and_b32_e32 v1, 1, v46
	s_mov_b32 s1, exec_lo
	s_delay_alu instid0(VALU_DEP_1)
	v_cmpx_eq_u32_e32 1, v1
	;; [unrolled: 12-line block ×10, first 2 shown]
	s_cbranch_execz .LBB691_173
; %bb.172:
	v_sub_nc_u32_e32 v1, v12, v32
	s_delay_alu instid0(VALU_DEP_1)
	v_lshlrev_b32_e32 v1, 1, v1
	ds_store_b16 v1, v33
.LBB691_173:
	s_or_b32 exec_lo, exec_lo, s1
	s_delay_alu instid0(SALU_CYCLE_1)
	s_mov_b32 s4, exec_lo
	s_waitcnt lgkmcnt(0)
	s_waitcnt_vscnt null, 0x0
	s_barrier
	buffer_gl0_inv
	v_cmpx_lt_u32_e64 v0, v17
	s_cbranch_execz .LBB691_188
; %bb.174:
	v_mov_b32_e32 v33, 0
	s_lshl_b64 s[6:7], s[14:15], 1
	v_xad_u32 v1, v0, -1, v17
	s_add_u32 s3, s16, s6
	s_addc_u32 s5, s17, s7
	v_lshlrev_b64 v[13:14], 1, v[32:33]
	s_delay_alu instid0(VALU_DEP_2) | instskip(NEXT) | instid1(VALU_DEP_2)
	v_cmp_gt_u32_e32 vcc_lo, 0xc80, v1
	v_add_co_u32 v33, s3, s3, v13
	s_delay_alu instid0(VALU_DEP_1)
	v_add_co_ci_u32_e64 v37, s3, s5, v14, s3
	v_mov_b32_e32 v13, v0
	s_mov_b32 s3, -1
	s_mov_b32 s5, exec_lo
	v_cmpx_lt_u32_e32 0xc7f, v1
	s_cbranch_execz .LBB691_185
; %bb.175:
	v_sub_nc_u32_e32 v13, v0, v17
	s_delay_alu instid0(VALU_DEP_1) | instskip(NEXT) | instid1(VALU_DEP_1)
	v_or_b32_e32 v13, 0x7f, v13
	v_cmp_ge_u32_e64 s1, v13, v0
	v_mov_b32_e32 v13, v0
	s_delay_alu instid0(VALU_DEP_2)
	s_and_saveexec_b32 s6, s1
	s_cbranch_execz .LBB691_184
; %bb.176:
	v_lshrrev_b32_e32 v38, 7, v1
	v_or_b32_e32 v1, 0x80, v0
	v_dual_mov_b32 v49, 0 :: v_dual_lshlrev_b32 v40, 1, v0
	s_delay_alu instid0(VALU_DEP_3) | instskip(NEXT) | instid1(VALU_DEP_1)
	v_add_nc_u32_e32 v13, -1, v38
	v_lshrrev_b32_e32 v14, 1, v13
	v_cmp_lt_u32_e64 s1, 13, v13
	s_delay_alu instid0(VALU_DEP_2) | instskip(SKIP_1) | instid1(VALU_DEP_3)
	v_dual_mov_b32 v14, v1 :: v_dual_add_nc_u32 v41, 1, v14
	v_mov_b32_e32 v13, v0
	s_and_saveexec_b32 s3, s1
	s_cbranch_execz .LBB691_180
; %bb.177:
	v_mov_b32_e32 v14, v1
	v_dual_mov_b32 v43, v40 :: v_dual_and_b32 v42, -8, v41
	v_dual_mov_b32 v16, 0 :: v_dual_mov_b32 v13, v0
	s_mov_b32 s7, 0
	s_mov_b32 s8, 0
.LBB691_178:                            ; =>This Inner Loop Header: Depth=1
	s_delay_alu instid0(VALU_DEP_1) | instskip(NEXT) | instid1(VALU_DEP_2)
	v_dual_mov_b32 v15, v13 :: v_dual_add_nc_u32 v50, 0x100, v14
	v_dual_mov_b32 v63, v16 :: v_dual_add_nc_u32 v42, -8, v42
	v_dual_mov_b32 v51, v16 :: v_dual_add_nc_u32 v52, 0x200, v14
	s_delay_alu instid0(VALU_DEP_3) | instskip(SKIP_1) | instid1(VALU_DEP_4)
	v_lshlrev_b64 v[64:65], 1, v[15:16]
	v_dual_mov_b32 v53, v16 :: v_dual_add_nc_u32 v54, 0x300, v14
	v_cmp_eq_u32_e64 s1, 0, v42
	s_delay_alu instid0(VALU_DEP_4)
	v_lshlrev_b64 v[50:51], 1, v[50:51]
	v_dual_mov_b32 v55, v16 :: v_dual_add_nc_u32 v56, 0x400, v14
	s_add_i32 s8, s8, 16
	v_lshlrev_b64 v[52:53], 1, v[52:53]
	s_or_b32 s7, s1, s7
	v_add_co_u32 v64, s1, v33, v64
	v_dual_mov_b32 v57, v16 :: v_dual_add_nc_u32 v58, 0x500, v14
	v_add_co_ci_u32_e64 v65, s1, v37, v65, s1
	v_lshlrev_b64 v[54:55], 1, v[54:55]
	v_add_co_u32 v50, s1, v33, v50
	v_dual_mov_b32 v59, v16 :: v_dual_add_nc_u32 v60, 0x600, v14
	v_add_co_ci_u32_e64 v51, s1, v37, v51, s1
	v_lshlrev_b64 v[56:57], 1, v[56:57]
	v_add_co_u32 v52, s1, v33, v52
	v_dual_mov_b32 v61, v16 :: v_dual_add_nc_u32 v62, 0x700, v14
	v_add_co_ci_u32_e64 v53, s1, v37, v53, s1
	v_lshlrev_b64 v[58:59], 1, v[58:59]
	v_add_co_u32 v54, s1, v33, v54
	v_mov_b32_e32 v15, v14
	v_add_co_ci_u32_e64 v55, s1, v37, v55, s1
	v_lshlrev_b64 v[60:61], 1, v[60:61]
	v_add_co_u32 v56, s1, v33, v56
	ds_load_u16 v1, v43
	ds_load_u16 v70, v43 offset:256
	ds_load_u16 v71, v43 offset:512
	;; [unrolled: 1-line block ×7, first 2 shown]
	v_add_co_ci_u32_e64 v57, s1, v37, v57, s1
	v_lshlrev_b64 v[62:63], 1, v[62:63]
	v_add_co_u32 v58, s1, v33, v58
	v_lshlrev_b64 v[66:67], 1, v[15:16]
	v_add_nc_u32_e32 v15, 0x100, v13
	v_add_co_ci_u32_e64 v59, s1, v37, v59, s1
	v_add_co_u32 v60, s1, v33, v60
	s_delay_alu instid0(VALU_DEP_1)
	v_add_co_ci_u32_e64 v61, s1, v37, v61, s1
	v_add_co_u32 v62, s1, v33, v62
	v_lshlrev_b64 v[68:69], 1, v[15:16]
	v_add_nc_u32_e32 v15, 0x200, v13
	v_add_co_ci_u32_e64 v63, s1, v37, v63, s1
	v_add_co_u32 v66, s1, v33, v66
	ds_load_u16 v77, v43 offset:2048
	ds_load_u16 v78, v43 offset:2304
	;; [unrolled: 1-line block ×8, first 2 shown]
	v_add_co_ci_u32_e64 v67, s1, v37, v67, s1
	s_waitcnt lgkmcnt(15)
	global_store_b16 v[64:65], v1, off
	v_lshlrev_b64 v[64:65], 1, v[15:16]
	v_add_nc_u32_e32 v15, 0x300, v13
	v_add_co_u32 v68, s1, v33, v68
	s_delay_alu instid0(VALU_DEP_1)
	v_add_co_ci_u32_e64 v69, s1, v37, v69, s1
	s_waitcnt lgkmcnt(14)
	global_store_b16 v[66:67], v70, off
	v_lshlrev_b64 v[66:67], 1, v[15:16]
	v_add_nc_u32_e32 v15, 0x400, v13
	s_waitcnt lgkmcnt(13)
	global_store_b16 v[68:69], v71, off
	s_waitcnt lgkmcnt(12)
	global_store_b16 v[50:51], v72, off
	v_add_co_u32 v50, s1, v33, v64
	s_delay_alu instid0(VALU_DEP_1) | instskip(SKIP_3) | instid1(VALU_DEP_1)
	v_add_co_ci_u32_e64 v51, s1, v37, v65, s1
	v_lshlrev_b64 v[64:65], 1, v[15:16]
	v_add_nc_u32_e32 v15, 0x500, v13
	v_add_co_u32 v66, s1, v33, v66
	v_add_co_ci_u32_e64 v67, s1, v37, v67, s1
	s_waitcnt lgkmcnt(11)
	global_store_b16 v[50:51], v73, off
	s_waitcnt lgkmcnt(10)
	global_store_b16 v[52:53], v74, off
	v_lshlrev_b64 v[50:51], 1, v[15:16]
	v_add_nc_u32_e32 v15, 0x600, v13
	v_add_co_u32 v52, s1, v33, v64
	s_waitcnt lgkmcnt(9)
	global_store_b16 v[66:67], v75, off
	s_waitcnt lgkmcnt(8)
	global_store_b16 v[54:55], v76, off
	v_add_co_ci_u32_e64 v53, s1, v37, v65, s1
	v_lshlrev_b64 v[54:55], 1, v[15:16]
	v_add_nc_u32_e32 v15, 0x700, v13
	v_add_co_u32 v50, s1, v33, v50
	s_delay_alu instid0(VALU_DEP_1)
	v_add_co_ci_u32_e64 v51, s1, v37, v51, s1
	s_waitcnt lgkmcnt(7)
	global_store_b16 v[52:53], v77, off
	s_waitcnt lgkmcnt(6)
	global_store_b16 v[56:57], v78, off
	v_lshlrev_b64 v[52:53], 1, v[15:16]
	v_add_nc_u32_e32 v43, 0x1000, v43
	s_waitcnt lgkmcnt(5)
	global_store_b16 v[50:51], v79, off
	v_add_co_u32 v50, s1, v33, v54
	v_dual_mov_b32 v49, s8 :: v_dual_add_nc_u32 v14, 0x800, v14
	v_add_nc_u32_e32 v13, 0x800, v13
	v_add_co_ci_u32_e64 v51, s1, v37, v55, s1
	v_add_co_u32 v52, s1, v33, v52
	s_delay_alu instid0(VALU_DEP_1)
	v_add_co_ci_u32_e64 v53, s1, v37, v53, s1
	s_waitcnt lgkmcnt(4)
	global_store_b16 v[58:59], v80, off
	s_waitcnt lgkmcnt(3)
	global_store_b16 v[50:51], v81, off
	;; [unrolled: 2-line block ×5, first 2 shown]
	s_and_not1_b32 exec_lo, exec_lo, s7
	s_cbranch_execnz .LBB691_178
; %bb.179:
	s_or_b32 exec_lo, exec_lo, s7
.LBB691_180:
	s_delay_alu instid0(SALU_CYCLE_1) | instskip(SKIP_3) | instid1(VALU_DEP_1)
	s_or_b32 exec_lo, exec_lo, s3
	v_and_b32_e32 v1, 7, v41
	s_mov_b32 s8, 0
	s_mov_b32 s7, exec_lo
	v_cmpx_ne_u32_e32 0, v1
	s_cbranch_execz .LBB691_183
; %bb.181:
	v_lshl_or_b32 v40, v49, 8, v40
	v_mov_b32_e32 v16, 0
	s_set_inst_prefetch_distance 0x1
	.p2align	6
.LBB691_182:                            ; =>This Inner Loop Header: Depth=1
	v_mov_b32_e32 v15, v13
	ds_load_u16 v43, v40
	ds_load_u16 v51, v40 offset:256
	v_add_nc_u32_e32 v40, 0x200, v40
	v_add_nc_u32_e32 v1, -1, v1
	v_add_nc_u32_e32 v13, 0x100, v13
	v_lshlrev_b64 v[41:42], 1, v[15:16]
	v_dual_mov_b32 v15, v14 :: v_dual_add_nc_u32 v14, 0x100, v14
	s_delay_alu instid0(VALU_DEP_4) | instskip(NEXT) | instid1(VALU_DEP_2)
	v_cmp_eq_u32_e64 s1, 0, v1
	v_lshlrev_b64 v[49:50], 1, v[15:16]
	s_delay_alu instid0(VALU_DEP_4) | instskip(NEXT) | instid1(VALU_DEP_1)
	v_add_co_u32 v41, s3, v33, v41
	v_add_co_ci_u32_e64 v42, s3, v37, v42, s3
	s_delay_alu instid0(VALU_DEP_4) | instskip(NEXT) | instid1(VALU_DEP_3)
	s_or_b32 s8, s1, s8
	v_add_co_u32 v49, s3, v33, v49
	s_delay_alu instid0(VALU_DEP_1)
	v_add_co_ci_u32_e64 v50, s3, v37, v50, s3
	s_waitcnt lgkmcnt(1)
	global_store_b16 v[41:42], v43, off
	s_waitcnt lgkmcnt(0)
	global_store_b16 v[49:50], v51, off
	s_and_not1_b32 exec_lo, exec_lo, s8
	s_cbranch_execnz .LBB691_182
.LBB691_183:
	s_set_inst_prefetch_distance 0x2
	s_or_b32 exec_lo, exec_lo, s7
	v_add_nc_u32_e32 v1, 1, v38
	s_delay_alu instid0(VALU_DEP_1) | instskip(NEXT) | instid1(VALU_DEP_1)
	v_and_b32_e32 v13, 0x3fffffe, v1
	v_cmp_ne_u32_e64 s1, v1, v13
	v_lshl_or_b32 v13, v13, 7, v0
	s_delay_alu instid0(VALU_DEP_2)
	s_or_not1_b32 s3, s1, exec_lo
.LBB691_184:
	s_or_b32 exec_lo, exec_lo, s6
	s_delay_alu instid0(SALU_CYCLE_1) | instskip(SKIP_1) | instid1(SALU_CYCLE_1)
	s_and_not1_b32 s1, vcc_lo, exec_lo
	s_and_b32 s3, s3, exec_lo
	s_or_b32 vcc_lo, s1, s3
.LBB691_185:
	s_or_b32 exec_lo, exec_lo, s5
	s_delay_alu instid0(SALU_CYCLE_1)
	s_and_b32 exec_lo, exec_lo, vcc_lo
	s_cbranch_execz .LBB691_188
; %bb.186:
	v_dual_mov_b32 v14, 0 :: v_dual_lshlrev_b32 v1, 1, v13
	s_mov_b32 s3, 0
	.p2align	6
.LBB691_187:                            ; =>This Inner Loop Header: Depth=1
	ds_load_u16 v38, v1
	v_lshlrev_b64 v[15:16], 1, v[13:14]
	v_add_nc_u32_e32 v13, 0x80, v13
	v_add_nc_u32_e32 v1, 0x100, v1
	s_delay_alu instid0(VALU_DEP_2) | instskip(NEXT) | instid1(VALU_DEP_4)
	v_cmp_ge_u32_e32 vcc_lo, v13, v17
	v_add_co_u32 v15, s1, v33, v15
	s_delay_alu instid0(VALU_DEP_1)
	v_add_co_ci_u32_e64 v16, s1, v37, v16, s1
	s_or_b32 s3, vcc_lo, s3
	s_waitcnt lgkmcnt(0)
	global_store_b16 v[15:16], v38, off
	s_and_not1_b32 exec_lo, exec_lo, s3
	s_cbranch_execnz .LBB691_187
.LBB691_188:
	s_or_b32 exec_lo, exec_lo, s4
.LBB691_189:
	s_delay_alu instid0(SALU_CYCLE_1)
	s_and_b32 vcc_lo, exec_lo, s0
	s_mov_b32 s0, -1
	s_waitcnt_vscnt null, 0x0
	s_barrier
	buffer_gl0_inv
	s_cbranch_vccnz .LBB691_193
; %bb.190:
	s_and_b32 vcc_lo, exec_lo, s0
	s_cbranch_vccnz .LBB691_227
.LBB691_191:
	s_and_b32 s0, s2, s22
	s_delay_alu instid0(SALU_CYCLE_1)
	s_and_saveexec_b32 s1, s0
	s_cbranch_execnz .LBB691_253
.LBB691_192:
	s_nop 0
	s_sendmsg sendmsg(MSG_DEALLOC_VGPRS)
	s_endpgm
.LBB691_193:
	v_cmp_lt_u32_e32 vcc_lo, v2, v48
	s_lshl_b64 s[0:1], s[14:15], 2
	s_delay_alu instid0(SALU_CYCLE_1) | instskip(SKIP_2) | instid1(SALU_CYCLE_1)
	s_add_u32 s0, s18, s0
	s_addc_u32 s1, s19, s1
	s_or_b32 s4, s23, vcc_lo
	s_and_saveexec_b32 s3, s4
	s_cbranch_execz .LBB691_196
; %bb.194:
	v_cmp_eq_u32_e32 vcc_lo, 1, v30
	s_and_b32 exec_lo, exec_lo, vcc_lo
	s_cbranch_execz .LBB691_196
; %bb.195:
	v_dual_mov_b32 v14, 0 :: v_dual_mov_b32 v13, v2
	s_delay_alu instid0(VALU_DEP_1) | instskip(NEXT) | instid1(VALU_DEP_1)
	v_lshlrev_b64 v[13:14], 2, v[13:14]
	v_add_co_u32 v13, vcc_lo, s0, v13
	s_delay_alu instid0(VALU_DEP_2)
	v_add_co_ci_u32_e32 v14, vcc_lo, s1, v14, vcc_lo
	global_store_b32 v[13:14], v28, off
.LBB691_196:
	s_or_b32 exec_lo, exec_lo, s3
	v_cmp_lt_u32_e32 vcc_lo, v3, v48
	s_or_b32 s4, s23, vcc_lo
	s_delay_alu instid0(SALU_CYCLE_1)
	s_and_saveexec_b32 s3, s4
	s_cbranch_execz .LBB691_199
; %bb.197:
	v_and_b32_e32 v1, 1, v47
	s_delay_alu instid0(VALU_DEP_1)
	v_cmp_eq_u32_e32 vcc_lo, 1, v1
	s_and_b32 exec_lo, exec_lo, vcc_lo
	s_cbranch_execz .LBB691_199
; %bb.198:
	v_dual_mov_b32 v14, 0 :: v_dual_mov_b32 v13, v3
	s_delay_alu instid0(VALU_DEP_1) | instskip(NEXT) | instid1(VALU_DEP_1)
	v_lshlrev_b64 v[13:14], 2, v[13:14]
	v_add_co_u32 v13, vcc_lo, s0, v13
	s_delay_alu instid0(VALU_DEP_2)
	v_add_co_ci_u32_e32 v14, vcc_lo, s1, v14, vcc_lo
	global_store_b32 v[13:14], v29, off
.LBB691_199:
	s_or_b32 exec_lo, exec_lo, s3
	v_cmp_lt_u32_e32 vcc_lo, v4, v48
	s_or_b32 s4, s23, vcc_lo
	s_delay_alu instid0(SALU_CYCLE_1)
	s_and_saveexec_b32 s3, s4
	s_cbranch_execz .LBB691_202
; %bb.200:
	v_and_b32_e32 v1, 1, v46
	s_delay_alu instid0(VALU_DEP_1)
	v_cmp_eq_u32_e32 vcc_lo, 1, v1
	s_and_b32 exec_lo, exec_lo, vcc_lo
	s_cbranch_execz .LBB691_202
; %bb.201:
	v_dual_mov_b32 v14, 0 :: v_dual_mov_b32 v13, v4
	s_delay_alu instid0(VALU_DEP_1) | instskip(NEXT) | instid1(VALU_DEP_1)
	v_lshlrev_b64 v[13:14], 2, v[13:14]
	v_add_co_u32 v13, vcc_lo, s0, v13
	s_delay_alu instid0(VALU_DEP_2)
	v_add_co_ci_u32_e32 v14, vcc_lo, s1, v14, vcc_lo
	global_store_b32 v[13:14], v26, off
.LBB691_202:
	;; [unrolled: 21-line block ×10, first 2 shown]
	s_or_b32 exec_lo, exec_lo, s3
	s_branch .LBB691_191
.LBB691_227:
	s_mov_b32 s0, exec_lo
	v_cmpx_eq_u32_e32 1, v30
	s_cbranch_execz .LBB691_229
; %bb.228:
	v_sub_nc_u32_e32 v1, v2, v32
	s_delay_alu instid0(VALU_DEP_1)
	v_lshlrev_b32_e32 v1, 2, v1
	ds_store_b32 v1, v28
.LBB691_229:
	s_or_b32 exec_lo, exec_lo, s0
	v_and_b32_e32 v1, 1, v47
	s_mov_b32 s0, exec_lo
	s_delay_alu instid0(VALU_DEP_1)
	v_cmpx_eq_u32_e32 1, v1
	s_cbranch_execz .LBB691_231
; %bb.230:
	v_sub_nc_u32_e32 v1, v3, v32
	s_delay_alu instid0(VALU_DEP_1)
	v_lshlrev_b32_e32 v1, 2, v1
	ds_store_b32 v1, v29
.LBB691_231:
	s_or_b32 exec_lo, exec_lo, s0
	v_and_b32_e32 v1, 1, v46
	s_mov_b32 s0, exec_lo
	s_delay_alu instid0(VALU_DEP_1)
	;; [unrolled: 12-line block ×10, first 2 shown]
	v_cmpx_eq_u32_e32 1, v1
	s_cbranch_execz .LBB691_249
; %bb.248:
	v_sub_nc_u32_e32 v1, v12, v32
	s_delay_alu instid0(VALU_DEP_1)
	v_lshlrev_b32_e32 v1, 2, v1
	ds_store_b32 v1, v36
.LBB691_249:
	s_or_b32 exec_lo, exec_lo, s0
	s_delay_alu instid0(SALU_CYCLE_1)
	s_mov_b32 s1, exec_lo
	s_waitcnt lgkmcnt(0)
	s_waitcnt_vscnt null, 0x0
	s_barrier
	buffer_gl0_inv
	v_cmpx_lt_u32_e64 v0, v17
	s_cbranch_execz .LBB691_252
; %bb.250:
	v_dual_mov_b32 v1, 0 :: v_dual_lshlrev_b32 v4, 2, v0
	s_lshl_b64 s[4:5], s[14:15], 2
	s_delay_alu instid0(SALU_CYCLE_1) | instskip(NEXT) | instid1(VALU_DEP_1)
	s_add_u32 s0, s18, s4
	v_mov_b32_e32 v33, v1
	s_addc_u32 s3, s19, s5
	s_delay_alu instid0(VALU_DEP_1) | instskip(NEXT) | instid1(VALU_DEP_1)
	v_lshlrev_b64 v[2:3], 2, v[32:33]
	v_add_co_u32 v2, vcc_lo, s0, v2
	s_delay_alu instid0(VALU_DEP_2)
	v_add_co_ci_u32_e32 v3, vcc_lo, s3, v3, vcc_lo
	s_mov_b32 s3, 0
	.p2align	6
.LBB691_251:                            ; =>This Inner Loop Header: Depth=1
	ds_load_b32 v7, v4
	v_lshlrev_b64 v[5:6], 2, v[0:1]
	v_add_nc_u32_e32 v0, 0x80, v0
	v_add_nc_u32_e32 v4, 0x200, v4
	s_delay_alu instid0(VALU_DEP_2) | instskip(NEXT) | instid1(VALU_DEP_4)
	v_cmp_ge_u32_e32 vcc_lo, v0, v17
	v_add_co_u32 v5, s0, v2, v5
	s_delay_alu instid0(VALU_DEP_1)
	v_add_co_ci_u32_e64 v6, s0, v3, v6, s0
	s_or_b32 s3, vcc_lo, s3
	s_waitcnt lgkmcnt(0)
	global_store_b32 v[5:6], v7, off
	s_and_not1_b32 exec_lo, exec_lo, s3
	s_cbranch_execnz .LBB691_251
.LBB691_252:
	s_or_b32 exec_lo, exec_lo, s1
	s_and_b32 s0, s2, s22
	s_delay_alu instid0(SALU_CYCLE_1)
	s_and_saveexec_b32 s1, s0
	s_cbranch_execz .LBB691_192
.LBB691_253:
	v_add_co_u32 v0, s0, s14, v17
	s_delay_alu instid0(VALU_DEP_1) | instskip(SKIP_1) | instid1(VALU_DEP_3)
	v_add_co_ci_u32_e64 v1, null, s15, 0, s0
	v_mov_b32_e32 v2, 0
	v_add_co_u32 v0, vcc_lo, v0, v32
	s_delay_alu instid0(VALU_DEP_3)
	v_add_co_ci_u32_e32 v1, vcc_lo, 0, v1, vcc_lo
	global_store_b64 v2, v[0:1], s[12:13]
	s_nop 0
	s_sendmsg sendmsg(MSG_DEALLOC_VGPRS)
	s_endpgm
.LBB691_254:
	s_or_b32 exec_lo, exec_lo, s1
	s_and_saveexec_b32 s1, s28
	s_cbranch_execnz .LBB691_76
	s_branch .LBB691_77
	.section	.rodata,"a",@progbits
	.p2align	6, 0x0
	.amdhsa_kernel _ZN7rocprim17ROCPRIM_400000_NS6detail17trampoline_kernelINS0_14default_configENS1_25partition_config_selectorILNS1_17partition_subalgoE9EsjbEEZZNS1_14partition_implILS5_9ELb0ES3_jN6thrust23THRUST_200600_302600_NS6detail15normal_iteratorINS9_10device_ptrIsEEEENSB_INSC_IjEEEEPNS0_10empty_typeENS0_5tupleIJSE_SH_EEENSJ_IJSG_SI_EEENS0_18inequality_wrapperINS9_8equal_toIsEEEEPmJSH_EEE10hipError_tPvRmT3_T4_T5_T6_T7_T9_mT8_P12ihipStream_tbDpT10_ENKUlT_T0_E_clISt17integral_constantIbLb0EES19_IbLb1EEEEDaS15_S16_EUlS15_E_NS1_11comp_targetILNS1_3genE9ELNS1_11target_archE1100ELNS1_3gpuE3ELNS1_3repE0EEENS1_30default_config_static_selectorELNS0_4arch9wavefront6targetE0EEEvT1_
		.amdhsa_group_segment_fixed_size 5640
		.amdhsa_private_segment_fixed_size 0
		.amdhsa_kernarg_size 128
		.amdhsa_user_sgpr_count 15
		.amdhsa_user_sgpr_dispatch_ptr 0
		.amdhsa_user_sgpr_queue_ptr 0
		.amdhsa_user_sgpr_kernarg_segment_ptr 1
		.amdhsa_user_sgpr_dispatch_id 0
		.amdhsa_user_sgpr_private_segment_size 0
		.amdhsa_wavefront_size32 1
		.amdhsa_uses_dynamic_stack 0
		.amdhsa_enable_private_segment 0
		.amdhsa_system_sgpr_workgroup_id_x 1
		.amdhsa_system_sgpr_workgroup_id_y 0
		.amdhsa_system_sgpr_workgroup_id_z 0
		.amdhsa_system_sgpr_workgroup_info 0
		.amdhsa_system_vgpr_workitem_id 0
		.amdhsa_next_free_vgpr 85
		.amdhsa_next_free_sgpr 30
		.amdhsa_reserve_vcc 1
		.amdhsa_float_round_mode_32 0
		.amdhsa_float_round_mode_16_64 0
		.amdhsa_float_denorm_mode_32 3
		.amdhsa_float_denorm_mode_16_64 3
		.amdhsa_dx10_clamp 1
		.amdhsa_ieee_mode 1
		.amdhsa_fp16_overflow 0
		.amdhsa_workgroup_processor_mode 1
		.amdhsa_memory_ordered 1
		.amdhsa_forward_progress 0
		.amdhsa_shared_vgpr_count 0
		.amdhsa_exception_fp_ieee_invalid_op 0
		.amdhsa_exception_fp_denorm_src 0
		.amdhsa_exception_fp_ieee_div_zero 0
		.amdhsa_exception_fp_ieee_overflow 0
		.amdhsa_exception_fp_ieee_underflow 0
		.amdhsa_exception_fp_ieee_inexact 0
		.amdhsa_exception_int_div_zero 0
	.end_amdhsa_kernel
	.section	.text._ZN7rocprim17ROCPRIM_400000_NS6detail17trampoline_kernelINS0_14default_configENS1_25partition_config_selectorILNS1_17partition_subalgoE9EsjbEEZZNS1_14partition_implILS5_9ELb0ES3_jN6thrust23THRUST_200600_302600_NS6detail15normal_iteratorINS9_10device_ptrIsEEEENSB_INSC_IjEEEEPNS0_10empty_typeENS0_5tupleIJSE_SH_EEENSJ_IJSG_SI_EEENS0_18inequality_wrapperINS9_8equal_toIsEEEEPmJSH_EEE10hipError_tPvRmT3_T4_T5_T6_T7_T9_mT8_P12ihipStream_tbDpT10_ENKUlT_T0_E_clISt17integral_constantIbLb0EES19_IbLb1EEEEDaS15_S16_EUlS15_E_NS1_11comp_targetILNS1_3genE9ELNS1_11target_archE1100ELNS1_3gpuE3ELNS1_3repE0EEENS1_30default_config_static_selectorELNS0_4arch9wavefront6targetE0EEEvT1_,"axG",@progbits,_ZN7rocprim17ROCPRIM_400000_NS6detail17trampoline_kernelINS0_14default_configENS1_25partition_config_selectorILNS1_17partition_subalgoE9EsjbEEZZNS1_14partition_implILS5_9ELb0ES3_jN6thrust23THRUST_200600_302600_NS6detail15normal_iteratorINS9_10device_ptrIsEEEENSB_INSC_IjEEEEPNS0_10empty_typeENS0_5tupleIJSE_SH_EEENSJ_IJSG_SI_EEENS0_18inequality_wrapperINS9_8equal_toIsEEEEPmJSH_EEE10hipError_tPvRmT3_T4_T5_T6_T7_T9_mT8_P12ihipStream_tbDpT10_ENKUlT_T0_E_clISt17integral_constantIbLb0EES19_IbLb1EEEEDaS15_S16_EUlS15_E_NS1_11comp_targetILNS1_3genE9ELNS1_11target_archE1100ELNS1_3gpuE3ELNS1_3repE0EEENS1_30default_config_static_selectorELNS0_4arch9wavefront6targetE0EEEvT1_,comdat
.Lfunc_end691:
	.size	_ZN7rocprim17ROCPRIM_400000_NS6detail17trampoline_kernelINS0_14default_configENS1_25partition_config_selectorILNS1_17partition_subalgoE9EsjbEEZZNS1_14partition_implILS5_9ELb0ES3_jN6thrust23THRUST_200600_302600_NS6detail15normal_iteratorINS9_10device_ptrIsEEEENSB_INSC_IjEEEEPNS0_10empty_typeENS0_5tupleIJSE_SH_EEENSJ_IJSG_SI_EEENS0_18inequality_wrapperINS9_8equal_toIsEEEEPmJSH_EEE10hipError_tPvRmT3_T4_T5_T6_T7_T9_mT8_P12ihipStream_tbDpT10_ENKUlT_T0_E_clISt17integral_constantIbLb0EES19_IbLb1EEEEDaS15_S16_EUlS15_E_NS1_11comp_targetILNS1_3genE9ELNS1_11target_archE1100ELNS1_3gpuE3ELNS1_3repE0EEENS1_30default_config_static_selectorELNS0_4arch9wavefront6targetE0EEEvT1_, .Lfunc_end691-_ZN7rocprim17ROCPRIM_400000_NS6detail17trampoline_kernelINS0_14default_configENS1_25partition_config_selectorILNS1_17partition_subalgoE9EsjbEEZZNS1_14partition_implILS5_9ELb0ES3_jN6thrust23THRUST_200600_302600_NS6detail15normal_iteratorINS9_10device_ptrIsEEEENSB_INSC_IjEEEEPNS0_10empty_typeENS0_5tupleIJSE_SH_EEENSJ_IJSG_SI_EEENS0_18inequality_wrapperINS9_8equal_toIsEEEEPmJSH_EEE10hipError_tPvRmT3_T4_T5_T6_T7_T9_mT8_P12ihipStream_tbDpT10_ENKUlT_T0_E_clISt17integral_constantIbLb0EES19_IbLb1EEEEDaS15_S16_EUlS15_E_NS1_11comp_targetILNS1_3genE9ELNS1_11target_archE1100ELNS1_3gpuE3ELNS1_3repE0EEENS1_30default_config_static_selectorELNS0_4arch9wavefront6targetE0EEEvT1_
                                        ; -- End function
	.section	.AMDGPU.csdata,"",@progbits
; Kernel info:
; codeLenInByte = 12000
; NumSgprs: 32
; NumVgprs: 85
; ScratchSize: 0
; MemoryBound: 0
; FloatMode: 240
; IeeeMode: 1
; LDSByteSize: 5640 bytes/workgroup (compile time only)
; SGPRBlocks: 3
; VGPRBlocks: 10
; NumSGPRsForWavesPerEU: 32
; NumVGPRsForWavesPerEU: 85
; Occupancy: 16
; WaveLimiterHint : 1
; COMPUTE_PGM_RSRC2:SCRATCH_EN: 0
; COMPUTE_PGM_RSRC2:USER_SGPR: 15
; COMPUTE_PGM_RSRC2:TRAP_HANDLER: 0
; COMPUTE_PGM_RSRC2:TGID_X_EN: 1
; COMPUTE_PGM_RSRC2:TGID_Y_EN: 0
; COMPUTE_PGM_RSRC2:TGID_Z_EN: 0
; COMPUTE_PGM_RSRC2:TIDIG_COMP_CNT: 0
	.section	.text._ZN7rocprim17ROCPRIM_400000_NS6detail17trampoline_kernelINS0_14default_configENS1_25partition_config_selectorILNS1_17partition_subalgoE9EsjbEEZZNS1_14partition_implILS5_9ELb0ES3_jN6thrust23THRUST_200600_302600_NS6detail15normal_iteratorINS9_10device_ptrIsEEEENSB_INSC_IjEEEEPNS0_10empty_typeENS0_5tupleIJSE_SH_EEENSJ_IJSG_SI_EEENS0_18inequality_wrapperINS9_8equal_toIsEEEEPmJSH_EEE10hipError_tPvRmT3_T4_T5_T6_T7_T9_mT8_P12ihipStream_tbDpT10_ENKUlT_T0_E_clISt17integral_constantIbLb0EES19_IbLb1EEEEDaS15_S16_EUlS15_E_NS1_11comp_targetILNS1_3genE8ELNS1_11target_archE1030ELNS1_3gpuE2ELNS1_3repE0EEENS1_30default_config_static_selectorELNS0_4arch9wavefront6targetE0EEEvT1_,"axG",@progbits,_ZN7rocprim17ROCPRIM_400000_NS6detail17trampoline_kernelINS0_14default_configENS1_25partition_config_selectorILNS1_17partition_subalgoE9EsjbEEZZNS1_14partition_implILS5_9ELb0ES3_jN6thrust23THRUST_200600_302600_NS6detail15normal_iteratorINS9_10device_ptrIsEEEENSB_INSC_IjEEEEPNS0_10empty_typeENS0_5tupleIJSE_SH_EEENSJ_IJSG_SI_EEENS0_18inequality_wrapperINS9_8equal_toIsEEEEPmJSH_EEE10hipError_tPvRmT3_T4_T5_T6_T7_T9_mT8_P12ihipStream_tbDpT10_ENKUlT_T0_E_clISt17integral_constantIbLb0EES19_IbLb1EEEEDaS15_S16_EUlS15_E_NS1_11comp_targetILNS1_3genE8ELNS1_11target_archE1030ELNS1_3gpuE2ELNS1_3repE0EEENS1_30default_config_static_selectorELNS0_4arch9wavefront6targetE0EEEvT1_,comdat
	.protected	_ZN7rocprim17ROCPRIM_400000_NS6detail17trampoline_kernelINS0_14default_configENS1_25partition_config_selectorILNS1_17partition_subalgoE9EsjbEEZZNS1_14partition_implILS5_9ELb0ES3_jN6thrust23THRUST_200600_302600_NS6detail15normal_iteratorINS9_10device_ptrIsEEEENSB_INSC_IjEEEEPNS0_10empty_typeENS0_5tupleIJSE_SH_EEENSJ_IJSG_SI_EEENS0_18inequality_wrapperINS9_8equal_toIsEEEEPmJSH_EEE10hipError_tPvRmT3_T4_T5_T6_T7_T9_mT8_P12ihipStream_tbDpT10_ENKUlT_T0_E_clISt17integral_constantIbLb0EES19_IbLb1EEEEDaS15_S16_EUlS15_E_NS1_11comp_targetILNS1_3genE8ELNS1_11target_archE1030ELNS1_3gpuE2ELNS1_3repE0EEENS1_30default_config_static_selectorELNS0_4arch9wavefront6targetE0EEEvT1_ ; -- Begin function _ZN7rocprim17ROCPRIM_400000_NS6detail17trampoline_kernelINS0_14default_configENS1_25partition_config_selectorILNS1_17partition_subalgoE9EsjbEEZZNS1_14partition_implILS5_9ELb0ES3_jN6thrust23THRUST_200600_302600_NS6detail15normal_iteratorINS9_10device_ptrIsEEEENSB_INSC_IjEEEEPNS0_10empty_typeENS0_5tupleIJSE_SH_EEENSJ_IJSG_SI_EEENS0_18inequality_wrapperINS9_8equal_toIsEEEEPmJSH_EEE10hipError_tPvRmT3_T4_T5_T6_T7_T9_mT8_P12ihipStream_tbDpT10_ENKUlT_T0_E_clISt17integral_constantIbLb0EES19_IbLb1EEEEDaS15_S16_EUlS15_E_NS1_11comp_targetILNS1_3genE8ELNS1_11target_archE1030ELNS1_3gpuE2ELNS1_3repE0EEENS1_30default_config_static_selectorELNS0_4arch9wavefront6targetE0EEEvT1_
	.globl	_ZN7rocprim17ROCPRIM_400000_NS6detail17trampoline_kernelINS0_14default_configENS1_25partition_config_selectorILNS1_17partition_subalgoE9EsjbEEZZNS1_14partition_implILS5_9ELb0ES3_jN6thrust23THRUST_200600_302600_NS6detail15normal_iteratorINS9_10device_ptrIsEEEENSB_INSC_IjEEEEPNS0_10empty_typeENS0_5tupleIJSE_SH_EEENSJ_IJSG_SI_EEENS0_18inequality_wrapperINS9_8equal_toIsEEEEPmJSH_EEE10hipError_tPvRmT3_T4_T5_T6_T7_T9_mT8_P12ihipStream_tbDpT10_ENKUlT_T0_E_clISt17integral_constantIbLb0EES19_IbLb1EEEEDaS15_S16_EUlS15_E_NS1_11comp_targetILNS1_3genE8ELNS1_11target_archE1030ELNS1_3gpuE2ELNS1_3repE0EEENS1_30default_config_static_selectorELNS0_4arch9wavefront6targetE0EEEvT1_
	.p2align	8
	.type	_ZN7rocprim17ROCPRIM_400000_NS6detail17trampoline_kernelINS0_14default_configENS1_25partition_config_selectorILNS1_17partition_subalgoE9EsjbEEZZNS1_14partition_implILS5_9ELb0ES3_jN6thrust23THRUST_200600_302600_NS6detail15normal_iteratorINS9_10device_ptrIsEEEENSB_INSC_IjEEEEPNS0_10empty_typeENS0_5tupleIJSE_SH_EEENSJ_IJSG_SI_EEENS0_18inequality_wrapperINS9_8equal_toIsEEEEPmJSH_EEE10hipError_tPvRmT3_T4_T5_T6_T7_T9_mT8_P12ihipStream_tbDpT10_ENKUlT_T0_E_clISt17integral_constantIbLb0EES19_IbLb1EEEEDaS15_S16_EUlS15_E_NS1_11comp_targetILNS1_3genE8ELNS1_11target_archE1030ELNS1_3gpuE2ELNS1_3repE0EEENS1_30default_config_static_selectorELNS0_4arch9wavefront6targetE0EEEvT1_,@function
_ZN7rocprim17ROCPRIM_400000_NS6detail17trampoline_kernelINS0_14default_configENS1_25partition_config_selectorILNS1_17partition_subalgoE9EsjbEEZZNS1_14partition_implILS5_9ELb0ES3_jN6thrust23THRUST_200600_302600_NS6detail15normal_iteratorINS9_10device_ptrIsEEEENSB_INSC_IjEEEEPNS0_10empty_typeENS0_5tupleIJSE_SH_EEENSJ_IJSG_SI_EEENS0_18inequality_wrapperINS9_8equal_toIsEEEEPmJSH_EEE10hipError_tPvRmT3_T4_T5_T6_T7_T9_mT8_P12ihipStream_tbDpT10_ENKUlT_T0_E_clISt17integral_constantIbLb0EES19_IbLb1EEEEDaS15_S16_EUlS15_E_NS1_11comp_targetILNS1_3genE8ELNS1_11target_archE1030ELNS1_3gpuE2ELNS1_3repE0EEENS1_30default_config_static_selectorELNS0_4arch9wavefront6targetE0EEEvT1_: ; @_ZN7rocprim17ROCPRIM_400000_NS6detail17trampoline_kernelINS0_14default_configENS1_25partition_config_selectorILNS1_17partition_subalgoE9EsjbEEZZNS1_14partition_implILS5_9ELb0ES3_jN6thrust23THRUST_200600_302600_NS6detail15normal_iteratorINS9_10device_ptrIsEEEENSB_INSC_IjEEEEPNS0_10empty_typeENS0_5tupleIJSE_SH_EEENSJ_IJSG_SI_EEENS0_18inequality_wrapperINS9_8equal_toIsEEEEPmJSH_EEE10hipError_tPvRmT3_T4_T5_T6_T7_T9_mT8_P12ihipStream_tbDpT10_ENKUlT_T0_E_clISt17integral_constantIbLb0EES19_IbLb1EEEEDaS15_S16_EUlS15_E_NS1_11comp_targetILNS1_3genE8ELNS1_11target_archE1030ELNS1_3gpuE2ELNS1_3repE0EEENS1_30default_config_static_selectorELNS0_4arch9wavefront6targetE0EEEvT1_
; %bb.0:
	.section	.rodata,"a",@progbits
	.p2align	6, 0x0
	.amdhsa_kernel _ZN7rocprim17ROCPRIM_400000_NS6detail17trampoline_kernelINS0_14default_configENS1_25partition_config_selectorILNS1_17partition_subalgoE9EsjbEEZZNS1_14partition_implILS5_9ELb0ES3_jN6thrust23THRUST_200600_302600_NS6detail15normal_iteratorINS9_10device_ptrIsEEEENSB_INSC_IjEEEEPNS0_10empty_typeENS0_5tupleIJSE_SH_EEENSJ_IJSG_SI_EEENS0_18inequality_wrapperINS9_8equal_toIsEEEEPmJSH_EEE10hipError_tPvRmT3_T4_T5_T6_T7_T9_mT8_P12ihipStream_tbDpT10_ENKUlT_T0_E_clISt17integral_constantIbLb0EES19_IbLb1EEEEDaS15_S16_EUlS15_E_NS1_11comp_targetILNS1_3genE8ELNS1_11target_archE1030ELNS1_3gpuE2ELNS1_3repE0EEENS1_30default_config_static_selectorELNS0_4arch9wavefront6targetE0EEEvT1_
		.amdhsa_group_segment_fixed_size 0
		.amdhsa_private_segment_fixed_size 0
		.amdhsa_kernarg_size 128
		.amdhsa_user_sgpr_count 15
		.amdhsa_user_sgpr_dispatch_ptr 0
		.amdhsa_user_sgpr_queue_ptr 0
		.amdhsa_user_sgpr_kernarg_segment_ptr 1
		.amdhsa_user_sgpr_dispatch_id 0
		.amdhsa_user_sgpr_private_segment_size 0
		.amdhsa_wavefront_size32 1
		.amdhsa_uses_dynamic_stack 0
		.amdhsa_enable_private_segment 0
		.amdhsa_system_sgpr_workgroup_id_x 1
		.amdhsa_system_sgpr_workgroup_id_y 0
		.amdhsa_system_sgpr_workgroup_id_z 0
		.amdhsa_system_sgpr_workgroup_info 0
		.amdhsa_system_vgpr_workitem_id 0
		.amdhsa_next_free_vgpr 1
		.amdhsa_next_free_sgpr 1
		.amdhsa_reserve_vcc 0
		.amdhsa_float_round_mode_32 0
		.amdhsa_float_round_mode_16_64 0
		.amdhsa_float_denorm_mode_32 3
		.amdhsa_float_denorm_mode_16_64 3
		.amdhsa_dx10_clamp 1
		.amdhsa_ieee_mode 1
		.amdhsa_fp16_overflow 0
		.amdhsa_workgroup_processor_mode 1
		.amdhsa_memory_ordered 1
		.amdhsa_forward_progress 0
		.amdhsa_shared_vgpr_count 0
		.amdhsa_exception_fp_ieee_invalid_op 0
		.amdhsa_exception_fp_denorm_src 0
		.amdhsa_exception_fp_ieee_div_zero 0
		.amdhsa_exception_fp_ieee_overflow 0
		.amdhsa_exception_fp_ieee_underflow 0
		.amdhsa_exception_fp_ieee_inexact 0
		.amdhsa_exception_int_div_zero 0
	.end_amdhsa_kernel
	.section	.text._ZN7rocprim17ROCPRIM_400000_NS6detail17trampoline_kernelINS0_14default_configENS1_25partition_config_selectorILNS1_17partition_subalgoE9EsjbEEZZNS1_14partition_implILS5_9ELb0ES3_jN6thrust23THRUST_200600_302600_NS6detail15normal_iteratorINS9_10device_ptrIsEEEENSB_INSC_IjEEEEPNS0_10empty_typeENS0_5tupleIJSE_SH_EEENSJ_IJSG_SI_EEENS0_18inequality_wrapperINS9_8equal_toIsEEEEPmJSH_EEE10hipError_tPvRmT3_T4_T5_T6_T7_T9_mT8_P12ihipStream_tbDpT10_ENKUlT_T0_E_clISt17integral_constantIbLb0EES19_IbLb1EEEEDaS15_S16_EUlS15_E_NS1_11comp_targetILNS1_3genE8ELNS1_11target_archE1030ELNS1_3gpuE2ELNS1_3repE0EEENS1_30default_config_static_selectorELNS0_4arch9wavefront6targetE0EEEvT1_,"axG",@progbits,_ZN7rocprim17ROCPRIM_400000_NS6detail17trampoline_kernelINS0_14default_configENS1_25partition_config_selectorILNS1_17partition_subalgoE9EsjbEEZZNS1_14partition_implILS5_9ELb0ES3_jN6thrust23THRUST_200600_302600_NS6detail15normal_iteratorINS9_10device_ptrIsEEEENSB_INSC_IjEEEEPNS0_10empty_typeENS0_5tupleIJSE_SH_EEENSJ_IJSG_SI_EEENS0_18inequality_wrapperINS9_8equal_toIsEEEEPmJSH_EEE10hipError_tPvRmT3_T4_T5_T6_T7_T9_mT8_P12ihipStream_tbDpT10_ENKUlT_T0_E_clISt17integral_constantIbLb0EES19_IbLb1EEEEDaS15_S16_EUlS15_E_NS1_11comp_targetILNS1_3genE8ELNS1_11target_archE1030ELNS1_3gpuE2ELNS1_3repE0EEENS1_30default_config_static_selectorELNS0_4arch9wavefront6targetE0EEEvT1_,comdat
.Lfunc_end692:
	.size	_ZN7rocprim17ROCPRIM_400000_NS6detail17trampoline_kernelINS0_14default_configENS1_25partition_config_selectorILNS1_17partition_subalgoE9EsjbEEZZNS1_14partition_implILS5_9ELb0ES3_jN6thrust23THRUST_200600_302600_NS6detail15normal_iteratorINS9_10device_ptrIsEEEENSB_INSC_IjEEEEPNS0_10empty_typeENS0_5tupleIJSE_SH_EEENSJ_IJSG_SI_EEENS0_18inequality_wrapperINS9_8equal_toIsEEEEPmJSH_EEE10hipError_tPvRmT3_T4_T5_T6_T7_T9_mT8_P12ihipStream_tbDpT10_ENKUlT_T0_E_clISt17integral_constantIbLb0EES19_IbLb1EEEEDaS15_S16_EUlS15_E_NS1_11comp_targetILNS1_3genE8ELNS1_11target_archE1030ELNS1_3gpuE2ELNS1_3repE0EEENS1_30default_config_static_selectorELNS0_4arch9wavefront6targetE0EEEvT1_, .Lfunc_end692-_ZN7rocprim17ROCPRIM_400000_NS6detail17trampoline_kernelINS0_14default_configENS1_25partition_config_selectorILNS1_17partition_subalgoE9EsjbEEZZNS1_14partition_implILS5_9ELb0ES3_jN6thrust23THRUST_200600_302600_NS6detail15normal_iteratorINS9_10device_ptrIsEEEENSB_INSC_IjEEEEPNS0_10empty_typeENS0_5tupleIJSE_SH_EEENSJ_IJSG_SI_EEENS0_18inequality_wrapperINS9_8equal_toIsEEEEPmJSH_EEE10hipError_tPvRmT3_T4_T5_T6_T7_T9_mT8_P12ihipStream_tbDpT10_ENKUlT_T0_E_clISt17integral_constantIbLb0EES19_IbLb1EEEEDaS15_S16_EUlS15_E_NS1_11comp_targetILNS1_3genE8ELNS1_11target_archE1030ELNS1_3gpuE2ELNS1_3repE0EEENS1_30default_config_static_selectorELNS0_4arch9wavefront6targetE0EEEvT1_
                                        ; -- End function
	.section	.AMDGPU.csdata,"",@progbits
; Kernel info:
; codeLenInByte = 0
; NumSgprs: 0
; NumVgprs: 0
; ScratchSize: 0
; MemoryBound: 0
; FloatMode: 240
; IeeeMode: 1
; LDSByteSize: 0 bytes/workgroup (compile time only)
; SGPRBlocks: 0
; VGPRBlocks: 0
; NumSGPRsForWavesPerEU: 1
; NumVGPRsForWavesPerEU: 1
; Occupancy: 16
; WaveLimiterHint : 0
; COMPUTE_PGM_RSRC2:SCRATCH_EN: 0
; COMPUTE_PGM_RSRC2:USER_SGPR: 15
; COMPUTE_PGM_RSRC2:TRAP_HANDLER: 0
; COMPUTE_PGM_RSRC2:TGID_X_EN: 1
; COMPUTE_PGM_RSRC2:TGID_Y_EN: 0
; COMPUTE_PGM_RSRC2:TGID_Z_EN: 0
; COMPUTE_PGM_RSRC2:TIDIG_COMP_CNT: 0
	.section	.text._ZN7rocprim17ROCPRIM_400000_NS6detail17trampoline_kernelINS0_14default_configENS1_25partition_config_selectorILNS1_17partition_subalgoE9EyjbEEZZNS1_14partition_implILS5_9ELb0ES3_jN6thrust23THRUST_200600_302600_NS6detail15normal_iteratorINS9_10device_ptrIyEEEENSB_INSC_IjEEEEPNS0_10empty_typeENS0_5tupleIJNS9_16discard_iteratorINS9_11use_defaultEEESH_EEENSJ_IJSM_SI_EEENS0_18inequality_wrapperINS9_8equal_toIyEEEEPmJSH_EEE10hipError_tPvRmT3_T4_T5_T6_T7_T9_mT8_P12ihipStream_tbDpT10_ENKUlT_T0_E_clISt17integral_constantIbLb0EES1D_EEDaS18_S19_EUlS18_E_NS1_11comp_targetILNS1_3genE0ELNS1_11target_archE4294967295ELNS1_3gpuE0ELNS1_3repE0EEENS1_30default_config_static_selectorELNS0_4arch9wavefront6targetE0EEEvT1_,"axG",@progbits,_ZN7rocprim17ROCPRIM_400000_NS6detail17trampoline_kernelINS0_14default_configENS1_25partition_config_selectorILNS1_17partition_subalgoE9EyjbEEZZNS1_14partition_implILS5_9ELb0ES3_jN6thrust23THRUST_200600_302600_NS6detail15normal_iteratorINS9_10device_ptrIyEEEENSB_INSC_IjEEEEPNS0_10empty_typeENS0_5tupleIJNS9_16discard_iteratorINS9_11use_defaultEEESH_EEENSJ_IJSM_SI_EEENS0_18inequality_wrapperINS9_8equal_toIyEEEEPmJSH_EEE10hipError_tPvRmT3_T4_T5_T6_T7_T9_mT8_P12ihipStream_tbDpT10_ENKUlT_T0_E_clISt17integral_constantIbLb0EES1D_EEDaS18_S19_EUlS18_E_NS1_11comp_targetILNS1_3genE0ELNS1_11target_archE4294967295ELNS1_3gpuE0ELNS1_3repE0EEENS1_30default_config_static_selectorELNS0_4arch9wavefront6targetE0EEEvT1_,comdat
	.protected	_ZN7rocprim17ROCPRIM_400000_NS6detail17trampoline_kernelINS0_14default_configENS1_25partition_config_selectorILNS1_17partition_subalgoE9EyjbEEZZNS1_14partition_implILS5_9ELb0ES3_jN6thrust23THRUST_200600_302600_NS6detail15normal_iteratorINS9_10device_ptrIyEEEENSB_INSC_IjEEEEPNS0_10empty_typeENS0_5tupleIJNS9_16discard_iteratorINS9_11use_defaultEEESH_EEENSJ_IJSM_SI_EEENS0_18inequality_wrapperINS9_8equal_toIyEEEEPmJSH_EEE10hipError_tPvRmT3_T4_T5_T6_T7_T9_mT8_P12ihipStream_tbDpT10_ENKUlT_T0_E_clISt17integral_constantIbLb0EES1D_EEDaS18_S19_EUlS18_E_NS1_11comp_targetILNS1_3genE0ELNS1_11target_archE4294967295ELNS1_3gpuE0ELNS1_3repE0EEENS1_30default_config_static_selectorELNS0_4arch9wavefront6targetE0EEEvT1_ ; -- Begin function _ZN7rocprim17ROCPRIM_400000_NS6detail17trampoline_kernelINS0_14default_configENS1_25partition_config_selectorILNS1_17partition_subalgoE9EyjbEEZZNS1_14partition_implILS5_9ELb0ES3_jN6thrust23THRUST_200600_302600_NS6detail15normal_iteratorINS9_10device_ptrIyEEEENSB_INSC_IjEEEEPNS0_10empty_typeENS0_5tupleIJNS9_16discard_iteratorINS9_11use_defaultEEESH_EEENSJ_IJSM_SI_EEENS0_18inequality_wrapperINS9_8equal_toIyEEEEPmJSH_EEE10hipError_tPvRmT3_T4_T5_T6_T7_T9_mT8_P12ihipStream_tbDpT10_ENKUlT_T0_E_clISt17integral_constantIbLb0EES1D_EEDaS18_S19_EUlS18_E_NS1_11comp_targetILNS1_3genE0ELNS1_11target_archE4294967295ELNS1_3gpuE0ELNS1_3repE0EEENS1_30default_config_static_selectorELNS0_4arch9wavefront6targetE0EEEvT1_
	.globl	_ZN7rocprim17ROCPRIM_400000_NS6detail17trampoline_kernelINS0_14default_configENS1_25partition_config_selectorILNS1_17partition_subalgoE9EyjbEEZZNS1_14partition_implILS5_9ELb0ES3_jN6thrust23THRUST_200600_302600_NS6detail15normal_iteratorINS9_10device_ptrIyEEEENSB_INSC_IjEEEEPNS0_10empty_typeENS0_5tupleIJNS9_16discard_iteratorINS9_11use_defaultEEESH_EEENSJ_IJSM_SI_EEENS0_18inequality_wrapperINS9_8equal_toIyEEEEPmJSH_EEE10hipError_tPvRmT3_T4_T5_T6_T7_T9_mT8_P12ihipStream_tbDpT10_ENKUlT_T0_E_clISt17integral_constantIbLb0EES1D_EEDaS18_S19_EUlS18_E_NS1_11comp_targetILNS1_3genE0ELNS1_11target_archE4294967295ELNS1_3gpuE0ELNS1_3repE0EEENS1_30default_config_static_selectorELNS0_4arch9wavefront6targetE0EEEvT1_
	.p2align	8
	.type	_ZN7rocprim17ROCPRIM_400000_NS6detail17trampoline_kernelINS0_14default_configENS1_25partition_config_selectorILNS1_17partition_subalgoE9EyjbEEZZNS1_14partition_implILS5_9ELb0ES3_jN6thrust23THRUST_200600_302600_NS6detail15normal_iteratorINS9_10device_ptrIyEEEENSB_INSC_IjEEEEPNS0_10empty_typeENS0_5tupleIJNS9_16discard_iteratorINS9_11use_defaultEEESH_EEENSJ_IJSM_SI_EEENS0_18inequality_wrapperINS9_8equal_toIyEEEEPmJSH_EEE10hipError_tPvRmT3_T4_T5_T6_T7_T9_mT8_P12ihipStream_tbDpT10_ENKUlT_T0_E_clISt17integral_constantIbLb0EES1D_EEDaS18_S19_EUlS18_E_NS1_11comp_targetILNS1_3genE0ELNS1_11target_archE4294967295ELNS1_3gpuE0ELNS1_3repE0EEENS1_30default_config_static_selectorELNS0_4arch9wavefront6targetE0EEEvT1_,@function
_ZN7rocprim17ROCPRIM_400000_NS6detail17trampoline_kernelINS0_14default_configENS1_25partition_config_selectorILNS1_17partition_subalgoE9EyjbEEZZNS1_14partition_implILS5_9ELb0ES3_jN6thrust23THRUST_200600_302600_NS6detail15normal_iteratorINS9_10device_ptrIyEEEENSB_INSC_IjEEEEPNS0_10empty_typeENS0_5tupleIJNS9_16discard_iteratorINS9_11use_defaultEEESH_EEENSJ_IJSM_SI_EEENS0_18inequality_wrapperINS9_8equal_toIyEEEEPmJSH_EEE10hipError_tPvRmT3_T4_T5_T6_T7_T9_mT8_P12ihipStream_tbDpT10_ENKUlT_T0_E_clISt17integral_constantIbLb0EES1D_EEDaS18_S19_EUlS18_E_NS1_11comp_targetILNS1_3genE0ELNS1_11target_archE4294967295ELNS1_3gpuE0ELNS1_3repE0EEENS1_30default_config_static_selectorELNS0_4arch9wavefront6targetE0EEEvT1_: ; @_ZN7rocprim17ROCPRIM_400000_NS6detail17trampoline_kernelINS0_14default_configENS1_25partition_config_selectorILNS1_17partition_subalgoE9EyjbEEZZNS1_14partition_implILS5_9ELb0ES3_jN6thrust23THRUST_200600_302600_NS6detail15normal_iteratorINS9_10device_ptrIyEEEENSB_INSC_IjEEEEPNS0_10empty_typeENS0_5tupleIJNS9_16discard_iteratorINS9_11use_defaultEEESH_EEENSJ_IJSM_SI_EEENS0_18inequality_wrapperINS9_8equal_toIyEEEEPmJSH_EEE10hipError_tPvRmT3_T4_T5_T6_T7_T9_mT8_P12ihipStream_tbDpT10_ENKUlT_T0_E_clISt17integral_constantIbLb0EES1D_EEDaS18_S19_EUlS18_E_NS1_11comp_targetILNS1_3genE0ELNS1_11target_archE4294967295ELNS1_3gpuE0ELNS1_3repE0EEENS1_30default_config_static_selectorELNS0_4arch9wavefront6targetE0EEEvT1_
; %bb.0:
	.section	.rodata,"a",@progbits
	.p2align	6, 0x0
	.amdhsa_kernel _ZN7rocprim17ROCPRIM_400000_NS6detail17trampoline_kernelINS0_14default_configENS1_25partition_config_selectorILNS1_17partition_subalgoE9EyjbEEZZNS1_14partition_implILS5_9ELb0ES3_jN6thrust23THRUST_200600_302600_NS6detail15normal_iteratorINS9_10device_ptrIyEEEENSB_INSC_IjEEEEPNS0_10empty_typeENS0_5tupleIJNS9_16discard_iteratorINS9_11use_defaultEEESH_EEENSJ_IJSM_SI_EEENS0_18inequality_wrapperINS9_8equal_toIyEEEEPmJSH_EEE10hipError_tPvRmT3_T4_T5_T6_T7_T9_mT8_P12ihipStream_tbDpT10_ENKUlT_T0_E_clISt17integral_constantIbLb0EES1D_EEDaS18_S19_EUlS18_E_NS1_11comp_targetILNS1_3genE0ELNS1_11target_archE4294967295ELNS1_3gpuE0ELNS1_3repE0EEENS1_30default_config_static_selectorELNS0_4arch9wavefront6targetE0EEEvT1_
		.amdhsa_group_segment_fixed_size 0
		.amdhsa_private_segment_fixed_size 0
		.amdhsa_kernarg_size 128
		.amdhsa_user_sgpr_count 15
		.amdhsa_user_sgpr_dispatch_ptr 0
		.amdhsa_user_sgpr_queue_ptr 0
		.amdhsa_user_sgpr_kernarg_segment_ptr 1
		.amdhsa_user_sgpr_dispatch_id 0
		.amdhsa_user_sgpr_private_segment_size 0
		.amdhsa_wavefront_size32 1
		.amdhsa_uses_dynamic_stack 0
		.amdhsa_enable_private_segment 0
		.amdhsa_system_sgpr_workgroup_id_x 1
		.amdhsa_system_sgpr_workgroup_id_y 0
		.amdhsa_system_sgpr_workgroup_id_z 0
		.amdhsa_system_sgpr_workgroup_info 0
		.amdhsa_system_vgpr_workitem_id 0
		.amdhsa_next_free_vgpr 1
		.amdhsa_next_free_sgpr 1
		.amdhsa_reserve_vcc 0
		.amdhsa_float_round_mode_32 0
		.amdhsa_float_round_mode_16_64 0
		.amdhsa_float_denorm_mode_32 3
		.amdhsa_float_denorm_mode_16_64 3
		.amdhsa_dx10_clamp 1
		.amdhsa_ieee_mode 1
		.amdhsa_fp16_overflow 0
		.amdhsa_workgroup_processor_mode 1
		.amdhsa_memory_ordered 1
		.amdhsa_forward_progress 0
		.amdhsa_shared_vgpr_count 0
		.amdhsa_exception_fp_ieee_invalid_op 0
		.amdhsa_exception_fp_denorm_src 0
		.amdhsa_exception_fp_ieee_div_zero 0
		.amdhsa_exception_fp_ieee_overflow 0
		.amdhsa_exception_fp_ieee_underflow 0
		.amdhsa_exception_fp_ieee_inexact 0
		.amdhsa_exception_int_div_zero 0
	.end_amdhsa_kernel
	.section	.text._ZN7rocprim17ROCPRIM_400000_NS6detail17trampoline_kernelINS0_14default_configENS1_25partition_config_selectorILNS1_17partition_subalgoE9EyjbEEZZNS1_14partition_implILS5_9ELb0ES3_jN6thrust23THRUST_200600_302600_NS6detail15normal_iteratorINS9_10device_ptrIyEEEENSB_INSC_IjEEEEPNS0_10empty_typeENS0_5tupleIJNS9_16discard_iteratorINS9_11use_defaultEEESH_EEENSJ_IJSM_SI_EEENS0_18inequality_wrapperINS9_8equal_toIyEEEEPmJSH_EEE10hipError_tPvRmT3_T4_T5_T6_T7_T9_mT8_P12ihipStream_tbDpT10_ENKUlT_T0_E_clISt17integral_constantIbLb0EES1D_EEDaS18_S19_EUlS18_E_NS1_11comp_targetILNS1_3genE0ELNS1_11target_archE4294967295ELNS1_3gpuE0ELNS1_3repE0EEENS1_30default_config_static_selectorELNS0_4arch9wavefront6targetE0EEEvT1_,"axG",@progbits,_ZN7rocprim17ROCPRIM_400000_NS6detail17trampoline_kernelINS0_14default_configENS1_25partition_config_selectorILNS1_17partition_subalgoE9EyjbEEZZNS1_14partition_implILS5_9ELb0ES3_jN6thrust23THRUST_200600_302600_NS6detail15normal_iteratorINS9_10device_ptrIyEEEENSB_INSC_IjEEEEPNS0_10empty_typeENS0_5tupleIJNS9_16discard_iteratorINS9_11use_defaultEEESH_EEENSJ_IJSM_SI_EEENS0_18inequality_wrapperINS9_8equal_toIyEEEEPmJSH_EEE10hipError_tPvRmT3_T4_T5_T6_T7_T9_mT8_P12ihipStream_tbDpT10_ENKUlT_T0_E_clISt17integral_constantIbLb0EES1D_EEDaS18_S19_EUlS18_E_NS1_11comp_targetILNS1_3genE0ELNS1_11target_archE4294967295ELNS1_3gpuE0ELNS1_3repE0EEENS1_30default_config_static_selectorELNS0_4arch9wavefront6targetE0EEEvT1_,comdat
.Lfunc_end693:
	.size	_ZN7rocprim17ROCPRIM_400000_NS6detail17trampoline_kernelINS0_14default_configENS1_25partition_config_selectorILNS1_17partition_subalgoE9EyjbEEZZNS1_14partition_implILS5_9ELb0ES3_jN6thrust23THRUST_200600_302600_NS6detail15normal_iteratorINS9_10device_ptrIyEEEENSB_INSC_IjEEEEPNS0_10empty_typeENS0_5tupleIJNS9_16discard_iteratorINS9_11use_defaultEEESH_EEENSJ_IJSM_SI_EEENS0_18inequality_wrapperINS9_8equal_toIyEEEEPmJSH_EEE10hipError_tPvRmT3_T4_T5_T6_T7_T9_mT8_P12ihipStream_tbDpT10_ENKUlT_T0_E_clISt17integral_constantIbLb0EES1D_EEDaS18_S19_EUlS18_E_NS1_11comp_targetILNS1_3genE0ELNS1_11target_archE4294967295ELNS1_3gpuE0ELNS1_3repE0EEENS1_30default_config_static_selectorELNS0_4arch9wavefront6targetE0EEEvT1_, .Lfunc_end693-_ZN7rocprim17ROCPRIM_400000_NS6detail17trampoline_kernelINS0_14default_configENS1_25partition_config_selectorILNS1_17partition_subalgoE9EyjbEEZZNS1_14partition_implILS5_9ELb0ES3_jN6thrust23THRUST_200600_302600_NS6detail15normal_iteratorINS9_10device_ptrIyEEEENSB_INSC_IjEEEEPNS0_10empty_typeENS0_5tupleIJNS9_16discard_iteratorINS9_11use_defaultEEESH_EEENSJ_IJSM_SI_EEENS0_18inequality_wrapperINS9_8equal_toIyEEEEPmJSH_EEE10hipError_tPvRmT3_T4_T5_T6_T7_T9_mT8_P12ihipStream_tbDpT10_ENKUlT_T0_E_clISt17integral_constantIbLb0EES1D_EEDaS18_S19_EUlS18_E_NS1_11comp_targetILNS1_3genE0ELNS1_11target_archE4294967295ELNS1_3gpuE0ELNS1_3repE0EEENS1_30default_config_static_selectorELNS0_4arch9wavefront6targetE0EEEvT1_
                                        ; -- End function
	.section	.AMDGPU.csdata,"",@progbits
; Kernel info:
; codeLenInByte = 0
; NumSgprs: 0
; NumVgprs: 0
; ScratchSize: 0
; MemoryBound: 0
; FloatMode: 240
; IeeeMode: 1
; LDSByteSize: 0 bytes/workgroup (compile time only)
; SGPRBlocks: 0
; VGPRBlocks: 0
; NumSGPRsForWavesPerEU: 1
; NumVGPRsForWavesPerEU: 1
; Occupancy: 16
; WaveLimiterHint : 0
; COMPUTE_PGM_RSRC2:SCRATCH_EN: 0
; COMPUTE_PGM_RSRC2:USER_SGPR: 15
; COMPUTE_PGM_RSRC2:TRAP_HANDLER: 0
; COMPUTE_PGM_RSRC2:TGID_X_EN: 1
; COMPUTE_PGM_RSRC2:TGID_Y_EN: 0
; COMPUTE_PGM_RSRC2:TGID_Z_EN: 0
; COMPUTE_PGM_RSRC2:TIDIG_COMP_CNT: 0
	.section	.text._ZN7rocprim17ROCPRIM_400000_NS6detail17trampoline_kernelINS0_14default_configENS1_25partition_config_selectorILNS1_17partition_subalgoE9EyjbEEZZNS1_14partition_implILS5_9ELb0ES3_jN6thrust23THRUST_200600_302600_NS6detail15normal_iteratorINS9_10device_ptrIyEEEENSB_INSC_IjEEEEPNS0_10empty_typeENS0_5tupleIJNS9_16discard_iteratorINS9_11use_defaultEEESH_EEENSJ_IJSM_SI_EEENS0_18inequality_wrapperINS9_8equal_toIyEEEEPmJSH_EEE10hipError_tPvRmT3_T4_T5_T6_T7_T9_mT8_P12ihipStream_tbDpT10_ENKUlT_T0_E_clISt17integral_constantIbLb0EES1D_EEDaS18_S19_EUlS18_E_NS1_11comp_targetILNS1_3genE5ELNS1_11target_archE942ELNS1_3gpuE9ELNS1_3repE0EEENS1_30default_config_static_selectorELNS0_4arch9wavefront6targetE0EEEvT1_,"axG",@progbits,_ZN7rocprim17ROCPRIM_400000_NS6detail17trampoline_kernelINS0_14default_configENS1_25partition_config_selectorILNS1_17partition_subalgoE9EyjbEEZZNS1_14partition_implILS5_9ELb0ES3_jN6thrust23THRUST_200600_302600_NS6detail15normal_iteratorINS9_10device_ptrIyEEEENSB_INSC_IjEEEEPNS0_10empty_typeENS0_5tupleIJNS9_16discard_iteratorINS9_11use_defaultEEESH_EEENSJ_IJSM_SI_EEENS0_18inequality_wrapperINS9_8equal_toIyEEEEPmJSH_EEE10hipError_tPvRmT3_T4_T5_T6_T7_T9_mT8_P12ihipStream_tbDpT10_ENKUlT_T0_E_clISt17integral_constantIbLb0EES1D_EEDaS18_S19_EUlS18_E_NS1_11comp_targetILNS1_3genE5ELNS1_11target_archE942ELNS1_3gpuE9ELNS1_3repE0EEENS1_30default_config_static_selectorELNS0_4arch9wavefront6targetE0EEEvT1_,comdat
	.protected	_ZN7rocprim17ROCPRIM_400000_NS6detail17trampoline_kernelINS0_14default_configENS1_25partition_config_selectorILNS1_17partition_subalgoE9EyjbEEZZNS1_14partition_implILS5_9ELb0ES3_jN6thrust23THRUST_200600_302600_NS6detail15normal_iteratorINS9_10device_ptrIyEEEENSB_INSC_IjEEEEPNS0_10empty_typeENS0_5tupleIJNS9_16discard_iteratorINS9_11use_defaultEEESH_EEENSJ_IJSM_SI_EEENS0_18inequality_wrapperINS9_8equal_toIyEEEEPmJSH_EEE10hipError_tPvRmT3_T4_T5_T6_T7_T9_mT8_P12ihipStream_tbDpT10_ENKUlT_T0_E_clISt17integral_constantIbLb0EES1D_EEDaS18_S19_EUlS18_E_NS1_11comp_targetILNS1_3genE5ELNS1_11target_archE942ELNS1_3gpuE9ELNS1_3repE0EEENS1_30default_config_static_selectorELNS0_4arch9wavefront6targetE0EEEvT1_ ; -- Begin function _ZN7rocprim17ROCPRIM_400000_NS6detail17trampoline_kernelINS0_14default_configENS1_25partition_config_selectorILNS1_17partition_subalgoE9EyjbEEZZNS1_14partition_implILS5_9ELb0ES3_jN6thrust23THRUST_200600_302600_NS6detail15normal_iteratorINS9_10device_ptrIyEEEENSB_INSC_IjEEEEPNS0_10empty_typeENS0_5tupleIJNS9_16discard_iteratorINS9_11use_defaultEEESH_EEENSJ_IJSM_SI_EEENS0_18inequality_wrapperINS9_8equal_toIyEEEEPmJSH_EEE10hipError_tPvRmT3_T4_T5_T6_T7_T9_mT8_P12ihipStream_tbDpT10_ENKUlT_T0_E_clISt17integral_constantIbLb0EES1D_EEDaS18_S19_EUlS18_E_NS1_11comp_targetILNS1_3genE5ELNS1_11target_archE942ELNS1_3gpuE9ELNS1_3repE0EEENS1_30default_config_static_selectorELNS0_4arch9wavefront6targetE0EEEvT1_
	.globl	_ZN7rocprim17ROCPRIM_400000_NS6detail17trampoline_kernelINS0_14default_configENS1_25partition_config_selectorILNS1_17partition_subalgoE9EyjbEEZZNS1_14partition_implILS5_9ELb0ES3_jN6thrust23THRUST_200600_302600_NS6detail15normal_iteratorINS9_10device_ptrIyEEEENSB_INSC_IjEEEEPNS0_10empty_typeENS0_5tupleIJNS9_16discard_iteratorINS9_11use_defaultEEESH_EEENSJ_IJSM_SI_EEENS0_18inequality_wrapperINS9_8equal_toIyEEEEPmJSH_EEE10hipError_tPvRmT3_T4_T5_T6_T7_T9_mT8_P12ihipStream_tbDpT10_ENKUlT_T0_E_clISt17integral_constantIbLb0EES1D_EEDaS18_S19_EUlS18_E_NS1_11comp_targetILNS1_3genE5ELNS1_11target_archE942ELNS1_3gpuE9ELNS1_3repE0EEENS1_30default_config_static_selectorELNS0_4arch9wavefront6targetE0EEEvT1_
	.p2align	8
	.type	_ZN7rocprim17ROCPRIM_400000_NS6detail17trampoline_kernelINS0_14default_configENS1_25partition_config_selectorILNS1_17partition_subalgoE9EyjbEEZZNS1_14partition_implILS5_9ELb0ES3_jN6thrust23THRUST_200600_302600_NS6detail15normal_iteratorINS9_10device_ptrIyEEEENSB_INSC_IjEEEEPNS0_10empty_typeENS0_5tupleIJNS9_16discard_iteratorINS9_11use_defaultEEESH_EEENSJ_IJSM_SI_EEENS0_18inequality_wrapperINS9_8equal_toIyEEEEPmJSH_EEE10hipError_tPvRmT3_T4_T5_T6_T7_T9_mT8_P12ihipStream_tbDpT10_ENKUlT_T0_E_clISt17integral_constantIbLb0EES1D_EEDaS18_S19_EUlS18_E_NS1_11comp_targetILNS1_3genE5ELNS1_11target_archE942ELNS1_3gpuE9ELNS1_3repE0EEENS1_30default_config_static_selectorELNS0_4arch9wavefront6targetE0EEEvT1_,@function
_ZN7rocprim17ROCPRIM_400000_NS6detail17trampoline_kernelINS0_14default_configENS1_25partition_config_selectorILNS1_17partition_subalgoE9EyjbEEZZNS1_14partition_implILS5_9ELb0ES3_jN6thrust23THRUST_200600_302600_NS6detail15normal_iteratorINS9_10device_ptrIyEEEENSB_INSC_IjEEEEPNS0_10empty_typeENS0_5tupleIJNS9_16discard_iteratorINS9_11use_defaultEEESH_EEENSJ_IJSM_SI_EEENS0_18inequality_wrapperINS9_8equal_toIyEEEEPmJSH_EEE10hipError_tPvRmT3_T4_T5_T6_T7_T9_mT8_P12ihipStream_tbDpT10_ENKUlT_T0_E_clISt17integral_constantIbLb0EES1D_EEDaS18_S19_EUlS18_E_NS1_11comp_targetILNS1_3genE5ELNS1_11target_archE942ELNS1_3gpuE9ELNS1_3repE0EEENS1_30default_config_static_selectorELNS0_4arch9wavefront6targetE0EEEvT1_: ; @_ZN7rocprim17ROCPRIM_400000_NS6detail17trampoline_kernelINS0_14default_configENS1_25partition_config_selectorILNS1_17partition_subalgoE9EyjbEEZZNS1_14partition_implILS5_9ELb0ES3_jN6thrust23THRUST_200600_302600_NS6detail15normal_iteratorINS9_10device_ptrIyEEEENSB_INSC_IjEEEEPNS0_10empty_typeENS0_5tupleIJNS9_16discard_iteratorINS9_11use_defaultEEESH_EEENSJ_IJSM_SI_EEENS0_18inequality_wrapperINS9_8equal_toIyEEEEPmJSH_EEE10hipError_tPvRmT3_T4_T5_T6_T7_T9_mT8_P12ihipStream_tbDpT10_ENKUlT_T0_E_clISt17integral_constantIbLb0EES1D_EEDaS18_S19_EUlS18_E_NS1_11comp_targetILNS1_3genE5ELNS1_11target_archE942ELNS1_3gpuE9ELNS1_3repE0EEENS1_30default_config_static_selectorELNS0_4arch9wavefront6targetE0EEEvT1_
; %bb.0:
	.section	.rodata,"a",@progbits
	.p2align	6, 0x0
	.amdhsa_kernel _ZN7rocprim17ROCPRIM_400000_NS6detail17trampoline_kernelINS0_14default_configENS1_25partition_config_selectorILNS1_17partition_subalgoE9EyjbEEZZNS1_14partition_implILS5_9ELb0ES3_jN6thrust23THRUST_200600_302600_NS6detail15normal_iteratorINS9_10device_ptrIyEEEENSB_INSC_IjEEEEPNS0_10empty_typeENS0_5tupleIJNS9_16discard_iteratorINS9_11use_defaultEEESH_EEENSJ_IJSM_SI_EEENS0_18inequality_wrapperINS9_8equal_toIyEEEEPmJSH_EEE10hipError_tPvRmT3_T4_T5_T6_T7_T9_mT8_P12ihipStream_tbDpT10_ENKUlT_T0_E_clISt17integral_constantIbLb0EES1D_EEDaS18_S19_EUlS18_E_NS1_11comp_targetILNS1_3genE5ELNS1_11target_archE942ELNS1_3gpuE9ELNS1_3repE0EEENS1_30default_config_static_selectorELNS0_4arch9wavefront6targetE0EEEvT1_
		.amdhsa_group_segment_fixed_size 0
		.amdhsa_private_segment_fixed_size 0
		.amdhsa_kernarg_size 128
		.amdhsa_user_sgpr_count 15
		.amdhsa_user_sgpr_dispatch_ptr 0
		.amdhsa_user_sgpr_queue_ptr 0
		.amdhsa_user_sgpr_kernarg_segment_ptr 1
		.amdhsa_user_sgpr_dispatch_id 0
		.amdhsa_user_sgpr_private_segment_size 0
		.amdhsa_wavefront_size32 1
		.amdhsa_uses_dynamic_stack 0
		.amdhsa_enable_private_segment 0
		.amdhsa_system_sgpr_workgroup_id_x 1
		.amdhsa_system_sgpr_workgroup_id_y 0
		.amdhsa_system_sgpr_workgroup_id_z 0
		.amdhsa_system_sgpr_workgroup_info 0
		.amdhsa_system_vgpr_workitem_id 0
		.amdhsa_next_free_vgpr 1
		.amdhsa_next_free_sgpr 1
		.amdhsa_reserve_vcc 0
		.amdhsa_float_round_mode_32 0
		.amdhsa_float_round_mode_16_64 0
		.amdhsa_float_denorm_mode_32 3
		.amdhsa_float_denorm_mode_16_64 3
		.amdhsa_dx10_clamp 1
		.amdhsa_ieee_mode 1
		.amdhsa_fp16_overflow 0
		.amdhsa_workgroup_processor_mode 1
		.amdhsa_memory_ordered 1
		.amdhsa_forward_progress 0
		.amdhsa_shared_vgpr_count 0
		.amdhsa_exception_fp_ieee_invalid_op 0
		.amdhsa_exception_fp_denorm_src 0
		.amdhsa_exception_fp_ieee_div_zero 0
		.amdhsa_exception_fp_ieee_overflow 0
		.amdhsa_exception_fp_ieee_underflow 0
		.amdhsa_exception_fp_ieee_inexact 0
		.amdhsa_exception_int_div_zero 0
	.end_amdhsa_kernel
	.section	.text._ZN7rocprim17ROCPRIM_400000_NS6detail17trampoline_kernelINS0_14default_configENS1_25partition_config_selectorILNS1_17partition_subalgoE9EyjbEEZZNS1_14partition_implILS5_9ELb0ES3_jN6thrust23THRUST_200600_302600_NS6detail15normal_iteratorINS9_10device_ptrIyEEEENSB_INSC_IjEEEEPNS0_10empty_typeENS0_5tupleIJNS9_16discard_iteratorINS9_11use_defaultEEESH_EEENSJ_IJSM_SI_EEENS0_18inequality_wrapperINS9_8equal_toIyEEEEPmJSH_EEE10hipError_tPvRmT3_T4_T5_T6_T7_T9_mT8_P12ihipStream_tbDpT10_ENKUlT_T0_E_clISt17integral_constantIbLb0EES1D_EEDaS18_S19_EUlS18_E_NS1_11comp_targetILNS1_3genE5ELNS1_11target_archE942ELNS1_3gpuE9ELNS1_3repE0EEENS1_30default_config_static_selectorELNS0_4arch9wavefront6targetE0EEEvT1_,"axG",@progbits,_ZN7rocprim17ROCPRIM_400000_NS6detail17trampoline_kernelINS0_14default_configENS1_25partition_config_selectorILNS1_17partition_subalgoE9EyjbEEZZNS1_14partition_implILS5_9ELb0ES3_jN6thrust23THRUST_200600_302600_NS6detail15normal_iteratorINS9_10device_ptrIyEEEENSB_INSC_IjEEEEPNS0_10empty_typeENS0_5tupleIJNS9_16discard_iteratorINS9_11use_defaultEEESH_EEENSJ_IJSM_SI_EEENS0_18inequality_wrapperINS9_8equal_toIyEEEEPmJSH_EEE10hipError_tPvRmT3_T4_T5_T6_T7_T9_mT8_P12ihipStream_tbDpT10_ENKUlT_T0_E_clISt17integral_constantIbLb0EES1D_EEDaS18_S19_EUlS18_E_NS1_11comp_targetILNS1_3genE5ELNS1_11target_archE942ELNS1_3gpuE9ELNS1_3repE0EEENS1_30default_config_static_selectorELNS0_4arch9wavefront6targetE0EEEvT1_,comdat
.Lfunc_end694:
	.size	_ZN7rocprim17ROCPRIM_400000_NS6detail17trampoline_kernelINS0_14default_configENS1_25partition_config_selectorILNS1_17partition_subalgoE9EyjbEEZZNS1_14partition_implILS5_9ELb0ES3_jN6thrust23THRUST_200600_302600_NS6detail15normal_iteratorINS9_10device_ptrIyEEEENSB_INSC_IjEEEEPNS0_10empty_typeENS0_5tupleIJNS9_16discard_iteratorINS9_11use_defaultEEESH_EEENSJ_IJSM_SI_EEENS0_18inequality_wrapperINS9_8equal_toIyEEEEPmJSH_EEE10hipError_tPvRmT3_T4_T5_T6_T7_T9_mT8_P12ihipStream_tbDpT10_ENKUlT_T0_E_clISt17integral_constantIbLb0EES1D_EEDaS18_S19_EUlS18_E_NS1_11comp_targetILNS1_3genE5ELNS1_11target_archE942ELNS1_3gpuE9ELNS1_3repE0EEENS1_30default_config_static_selectorELNS0_4arch9wavefront6targetE0EEEvT1_, .Lfunc_end694-_ZN7rocprim17ROCPRIM_400000_NS6detail17trampoline_kernelINS0_14default_configENS1_25partition_config_selectorILNS1_17partition_subalgoE9EyjbEEZZNS1_14partition_implILS5_9ELb0ES3_jN6thrust23THRUST_200600_302600_NS6detail15normal_iteratorINS9_10device_ptrIyEEEENSB_INSC_IjEEEEPNS0_10empty_typeENS0_5tupleIJNS9_16discard_iteratorINS9_11use_defaultEEESH_EEENSJ_IJSM_SI_EEENS0_18inequality_wrapperINS9_8equal_toIyEEEEPmJSH_EEE10hipError_tPvRmT3_T4_T5_T6_T7_T9_mT8_P12ihipStream_tbDpT10_ENKUlT_T0_E_clISt17integral_constantIbLb0EES1D_EEDaS18_S19_EUlS18_E_NS1_11comp_targetILNS1_3genE5ELNS1_11target_archE942ELNS1_3gpuE9ELNS1_3repE0EEENS1_30default_config_static_selectorELNS0_4arch9wavefront6targetE0EEEvT1_
                                        ; -- End function
	.section	.AMDGPU.csdata,"",@progbits
; Kernel info:
; codeLenInByte = 0
; NumSgprs: 0
; NumVgprs: 0
; ScratchSize: 0
; MemoryBound: 0
; FloatMode: 240
; IeeeMode: 1
; LDSByteSize: 0 bytes/workgroup (compile time only)
; SGPRBlocks: 0
; VGPRBlocks: 0
; NumSGPRsForWavesPerEU: 1
; NumVGPRsForWavesPerEU: 1
; Occupancy: 16
; WaveLimiterHint : 0
; COMPUTE_PGM_RSRC2:SCRATCH_EN: 0
; COMPUTE_PGM_RSRC2:USER_SGPR: 15
; COMPUTE_PGM_RSRC2:TRAP_HANDLER: 0
; COMPUTE_PGM_RSRC2:TGID_X_EN: 1
; COMPUTE_PGM_RSRC2:TGID_Y_EN: 0
; COMPUTE_PGM_RSRC2:TGID_Z_EN: 0
; COMPUTE_PGM_RSRC2:TIDIG_COMP_CNT: 0
	.section	.text._ZN7rocprim17ROCPRIM_400000_NS6detail17trampoline_kernelINS0_14default_configENS1_25partition_config_selectorILNS1_17partition_subalgoE9EyjbEEZZNS1_14partition_implILS5_9ELb0ES3_jN6thrust23THRUST_200600_302600_NS6detail15normal_iteratorINS9_10device_ptrIyEEEENSB_INSC_IjEEEEPNS0_10empty_typeENS0_5tupleIJNS9_16discard_iteratorINS9_11use_defaultEEESH_EEENSJ_IJSM_SI_EEENS0_18inequality_wrapperINS9_8equal_toIyEEEEPmJSH_EEE10hipError_tPvRmT3_T4_T5_T6_T7_T9_mT8_P12ihipStream_tbDpT10_ENKUlT_T0_E_clISt17integral_constantIbLb0EES1D_EEDaS18_S19_EUlS18_E_NS1_11comp_targetILNS1_3genE4ELNS1_11target_archE910ELNS1_3gpuE8ELNS1_3repE0EEENS1_30default_config_static_selectorELNS0_4arch9wavefront6targetE0EEEvT1_,"axG",@progbits,_ZN7rocprim17ROCPRIM_400000_NS6detail17trampoline_kernelINS0_14default_configENS1_25partition_config_selectorILNS1_17partition_subalgoE9EyjbEEZZNS1_14partition_implILS5_9ELb0ES3_jN6thrust23THRUST_200600_302600_NS6detail15normal_iteratorINS9_10device_ptrIyEEEENSB_INSC_IjEEEEPNS0_10empty_typeENS0_5tupleIJNS9_16discard_iteratorINS9_11use_defaultEEESH_EEENSJ_IJSM_SI_EEENS0_18inequality_wrapperINS9_8equal_toIyEEEEPmJSH_EEE10hipError_tPvRmT3_T4_T5_T6_T7_T9_mT8_P12ihipStream_tbDpT10_ENKUlT_T0_E_clISt17integral_constantIbLb0EES1D_EEDaS18_S19_EUlS18_E_NS1_11comp_targetILNS1_3genE4ELNS1_11target_archE910ELNS1_3gpuE8ELNS1_3repE0EEENS1_30default_config_static_selectorELNS0_4arch9wavefront6targetE0EEEvT1_,comdat
	.protected	_ZN7rocprim17ROCPRIM_400000_NS6detail17trampoline_kernelINS0_14default_configENS1_25partition_config_selectorILNS1_17partition_subalgoE9EyjbEEZZNS1_14partition_implILS5_9ELb0ES3_jN6thrust23THRUST_200600_302600_NS6detail15normal_iteratorINS9_10device_ptrIyEEEENSB_INSC_IjEEEEPNS0_10empty_typeENS0_5tupleIJNS9_16discard_iteratorINS9_11use_defaultEEESH_EEENSJ_IJSM_SI_EEENS0_18inequality_wrapperINS9_8equal_toIyEEEEPmJSH_EEE10hipError_tPvRmT3_T4_T5_T6_T7_T9_mT8_P12ihipStream_tbDpT10_ENKUlT_T0_E_clISt17integral_constantIbLb0EES1D_EEDaS18_S19_EUlS18_E_NS1_11comp_targetILNS1_3genE4ELNS1_11target_archE910ELNS1_3gpuE8ELNS1_3repE0EEENS1_30default_config_static_selectorELNS0_4arch9wavefront6targetE0EEEvT1_ ; -- Begin function _ZN7rocprim17ROCPRIM_400000_NS6detail17trampoline_kernelINS0_14default_configENS1_25partition_config_selectorILNS1_17partition_subalgoE9EyjbEEZZNS1_14partition_implILS5_9ELb0ES3_jN6thrust23THRUST_200600_302600_NS6detail15normal_iteratorINS9_10device_ptrIyEEEENSB_INSC_IjEEEEPNS0_10empty_typeENS0_5tupleIJNS9_16discard_iteratorINS9_11use_defaultEEESH_EEENSJ_IJSM_SI_EEENS0_18inequality_wrapperINS9_8equal_toIyEEEEPmJSH_EEE10hipError_tPvRmT3_T4_T5_T6_T7_T9_mT8_P12ihipStream_tbDpT10_ENKUlT_T0_E_clISt17integral_constantIbLb0EES1D_EEDaS18_S19_EUlS18_E_NS1_11comp_targetILNS1_3genE4ELNS1_11target_archE910ELNS1_3gpuE8ELNS1_3repE0EEENS1_30default_config_static_selectorELNS0_4arch9wavefront6targetE0EEEvT1_
	.globl	_ZN7rocprim17ROCPRIM_400000_NS6detail17trampoline_kernelINS0_14default_configENS1_25partition_config_selectorILNS1_17partition_subalgoE9EyjbEEZZNS1_14partition_implILS5_9ELb0ES3_jN6thrust23THRUST_200600_302600_NS6detail15normal_iteratorINS9_10device_ptrIyEEEENSB_INSC_IjEEEEPNS0_10empty_typeENS0_5tupleIJNS9_16discard_iteratorINS9_11use_defaultEEESH_EEENSJ_IJSM_SI_EEENS0_18inequality_wrapperINS9_8equal_toIyEEEEPmJSH_EEE10hipError_tPvRmT3_T4_T5_T6_T7_T9_mT8_P12ihipStream_tbDpT10_ENKUlT_T0_E_clISt17integral_constantIbLb0EES1D_EEDaS18_S19_EUlS18_E_NS1_11comp_targetILNS1_3genE4ELNS1_11target_archE910ELNS1_3gpuE8ELNS1_3repE0EEENS1_30default_config_static_selectorELNS0_4arch9wavefront6targetE0EEEvT1_
	.p2align	8
	.type	_ZN7rocprim17ROCPRIM_400000_NS6detail17trampoline_kernelINS0_14default_configENS1_25partition_config_selectorILNS1_17partition_subalgoE9EyjbEEZZNS1_14partition_implILS5_9ELb0ES3_jN6thrust23THRUST_200600_302600_NS6detail15normal_iteratorINS9_10device_ptrIyEEEENSB_INSC_IjEEEEPNS0_10empty_typeENS0_5tupleIJNS9_16discard_iteratorINS9_11use_defaultEEESH_EEENSJ_IJSM_SI_EEENS0_18inequality_wrapperINS9_8equal_toIyEEEEPmJSH_EEE10hipError_tPvRmT3_T4_T5_T6_T7_T9_mT8_P12ihipStream_tbDpT10_ENKUlT_T0_E_clISt17integral_constantIbLb0EES1D_EEDaS18_S19_EUlS18_E_NS1_11comp_targetILNS1_3genE4ELNS1_11target_archE910ELNS1_3gpuE8ELNS1_3repE0EEENS1_30default_config_static_selectorELNS0_4arch9wavefront6targetE0EEEvT1_,@function
_ZN7rocprim17ROCPRIM_400000_NS6detail17trampoline_kernelINS0_14default_configENS1_25partition_config_selectorILNS1_17partition_subalgoE9EyjbEEZZNS1_14partition_implILS5_9ELb0ES3_jN6thrust23THRUST_200600_302600_NS6detail15normal_iteratorINS9_10device_ptrIyEEEENSB_INSC_IjEEEEPNS0_10empty_typeENS0_5tupleIJNS9_16discard_iteratorINS9_11use_defaultEEESH_EEENSJ_IJSM_SI_EEENS0_18inequality_wrapperINS9_8equal_toIyEEEEPmJSH_EEE10hipError_tPvRmT3_T4_T5_T6_T7_T9_mT8_P12ihipStream_tbDpT10_ENKUlT_T0_E_clISt17integral_constantIbLb0EES1D_EEDaS18_S19_EUlS18_E_NS1_11comp_targetILNS1_3genE4ELNS1_11target_archE910ELNS1_3gpuE8ELNS1_3repE0EEENS1_30default_config_static_selectorELNS0_4arch9wavefront6targetE0EEEvT1_: ; @_ZN7rocprim17ROCPRIM_400000_NS6detail17trampoline_kernelINS0_14default_configENS1_25partition_config_selectorILNS1_17partition_subalgoE9EyjbEEZZNS1_14partition_implILS5_9ELb0ES3_jN6thrust23THRUST_200600_302600_NS6detail15normal_iteratorINS9_10device_ptrIyEEEENSB_INSC_IjEEEEPNS0_10empty_typeENS0_5tupleIJNS9_16discard_iteratorINS9_11use_defaultEEESH_EEENSJ_IJSM_SI_EEENS0_18inequality_wrapperINS9_8equal_toIyEEEEPmJSH_EEE10hipError_tPvRmT3_T4_T5_T6_T7_T9_mT8_P12ihipStream_tbDpT10_ENKUlT_T0_E_clISt17integral_constantIbLb0EES1D_EEDaS18_S19_EUlS18_E_NS1_11comp_targetILNS1_3genE4ELNS1_11target_archE910ELNS1_3gpuE8ELNS1_3repE0EEENS1_30default_config_static_selectorELNS0_4arch9wavefront6targetE0EEEvT1_
; %bb.0:
	.section	.rodata,"a",@progbits
	.p2align	6, 0x0
	.amdhsa_kernel _ZN7rocprim17ROCPRIM_400000_NS6detail17trampoline_kernelINS0_14default_configENS1_25partition_config_selectorILNS1_17partition_subalgoE9EyjbEEZZNS1_14partition_implILS5_9ELb0ES3_jN6thrust23THRUST_200600_302600_NS6detail15normal_iteratorINS9_10device_ptrIyEEEENSB_INSC_IjEEEEPNS0_10empty_typeENS0_5tupleIJNS9_16discard_iteratorINS9_11use_defaultEEESH_EEENSJ_IJSM_SI_EEENS0_18inequality_wrapperINS9_8equal_toIyEEEEPmJSH_EEE10hipError_tPvRmT3_T4_T5_T6_T7_T9_mT8_P12ihipStream_tbDpT10_ENKUlT_T0_E_clISt17integral_constantIbLb0EES1D_EEDaS18_S19_EUlS18_E_NS1_11comp_targetILNS1_3genE4ELNS1_11target_archE910ELNS1_3gpuE8ELNS1_3repE0EEENS1_30default_config_static_selectorELNS0_4arch9wavefront6targetE0EEEvT1_
		.amdhsa_group_segment_fixed_size 0
		.amdhsa_private_segment_fixed_size 0
		.amdhsa_kernarg_size 128
		.amdhsa_user_sgpr_count 15
		.amdhsa_user_sgpr_dispatch_ptr 0
		.amdhsa_user_sgpr_queue_ptr 0
		.amdhsa_user_sgpr_kernarg_segment_ptr 1
		.amdhsa_user_sgpr_dispatch_id 0
		.amdhsa_user_sgpr_private_segment_size 0
		.amdhsa_wavefront_size32 1
		.amdhsa_uses_dynamic_stack 0
		.amdhsa_enable_private_segment 0
		.amdhsa_system_sgpr_workgroup_id_x 1
		.amdhsa_system_sgpr_workgroup_id_y 0
		.amdhsa_system_sgpr_workgroup_id_z 0
		.amdhsa_system_sgpr_workgroup_info 0
		.amdhsa_system_vgpr_workitem_id 0
		.amdhsa_next_free_vgpr 1
		.amdhsa_next_free_sgpr 1
		.amdhsa_reserve_vcc 0
		.amdhsa_float_round_mode_32 0
		.amdhsa_float_round_mode_16_64 0
		.amdhsa_float_denorm_mode_32 3
		.amdhsa_float_denorm_mode_16_64 3
		.amdhsa_dx10_clamp 1
		.amdhsa_ieee_mode 1
		.amdhsa_fp16_overflow 0
		.amdhsa_workgroup_processor_mode 1
		.amdhsa_memory_ordered 1
		.amdhsa_forward_progress 0
		.amdhsa_shared_vgpr_count 0
		.amdhsa_exception_fp_ieee_invalid_op 0
		.amdhsa_exception_fp_denorm_src 0
		.amdhsa_exception_fp_ieee_div_zero 0
		.amdhsa_exception_fp_ieee_overflow 0
		.amdhsa_exception_fp_ieee_underflow 0
		.amdhsa_exception_fp_ieee_inexact 0
		.amdhsa_exception_int_div_zero 0
	.end_amdhsa_kernel
	.section	.text._ZN7rocprim17ROCPRIM_400000_NS6detail17trampoline_kernelINS0_14default_configENS1_25partition_config_selectorILNS1_17partition_subalgoE9EyjbEEZZNS1_14partition_implILS5_9ELb0ES3_jN6thrust23THRUST_200600_302600_NS6detail15normal_iteratorINS9_10device_ptrIyEEEENSB_INSC_IjEEEEPNS0_10empty_typeENS0_5tupleIJNS9_16discard_iteratorINS9_11use_defaultEEESH_EEENSJ_IJSM_SI_EEENS0_18inequality_wrapperINS9_8equal_toIyEEEEPmJSH_EEE10hipError_tPvRmT3_T4_T5_T6_T7_T9_mT8_P12ihipStream_tbDpT10_ENKUlT_T0_E_clISt17integral_constantIbLb0EES1D_EEDaS18_S19_EUlS18_E_NS1_11comp_targetILNS1_3genE4ELNS1_11target_archE910ELNS1_3gpuE8ELNS1_3repE0EEENS1_30default_config_static_selectorELNS0_4arch9wavefront6targetE0EEEvT1_,"axG",@progbits,_ZN7rocprim17ROCPRIM_400000_NS6detail17trampoline_kernelINS0_14default_configENS1_25partition_config_selectorILNS1_17partition_subalgoE9EyjbEEZZNS1_14partition_implILS5_9ELb0ES3_jN6thrust23THRUST_200600_302600_NS6detail15normal_iteratorINS9_10device_ptrIyEEEENSB_INSC_IjEEEEPNS0_10empty_typeENS0_5tupleIJNS9_16discard_iteratorINS9_11use_defaultEEESH_EEENSJ_IJSM_SI_EEENS0_18inequality_wrapperINS9_8equal_toIyEEEEPmJSH_EEE10hipError_tPvRmT3_T4_T5_T6_T7_T9_mT8_P12ihipStream_tbDpT10_ENKUlT_T0_E_clISt17integral_constantIbLb0EES1D_EEDaS18_S19_EUlS18_E_NS1_11comp_targetILNS1_3genE4ELNS1_11target_archE910ELNS1_3gpuE8ELNS1_3repE0EEENS1_30default_config_static_selectorELNS0_4arch9wavefront6targetE0EEEvT1_,comdat
.Lfunc_end695:
	.size	_ZN7rocprim17ROCPRIM_400000_NS6detail17trampoline_kernelINS0_14default_configENS1_25partition_config_selectorILNS1_17partition_subalgoE9EyjbEEZZNS1_14partition_implILS5_9ELb0ES3_jN6thrust23THRUST_200600_302600_NS6detail15normal_iteratorINS9_10device_ptrIyEEEENSB_INSC_IjEEEEPNS0_10empty_typeENS0_5tupleIJNS9_16discard_iteratorINS9_11use_defaultEEESH_EEENSJ_IJSM_SI_EEENS0_18inequality_wrapperINS9_8equal_toIyEEEEPmJSH_EEE10hipError_tPvRmT3_T4_T5_T6_T7_T9_mT8_P12ihipStream_tbDpT10_ENKUlT_T0_E_clISt17integral_constantIbLb0EES1D_EEDaS18_S19_EUlS18_E_NS1_11comp_targetILNS1_3genE4ELNS1_11target_archE910ELNS1_3gpuE8ELNS1_3repE0EEENS1_30default_config_static_selectorELNS0_4arch9wavefront6targetE0EEEvT1_, .Lfunc_end695-_ZN7rocprim17ROCPRIM_400000_NS6detail17trampoline_kernelINS0_14default_configENS1_25partition_config_selectorILNS1_17partition_subalgoE9EyjbEEZZNS1_14partition_implILS5_9ELb0ES3_jN6thrust23THRUST_200600_302600_NS6detail15normal_iteratorINS9_10device_ptrIyEEEENSB_INSC_IjEEEEPNS0_10empty_typeENS0_5tupleIJNS9_16discard_iteratorINS9_11use_defaultEEESH_EEENSJ_IJSM_SI_EEENS0_18inequality_wrapperINS9_8equal_toIyEEEEPmJSH_EEE10hipError_tPvRmT3_T4_T5_T6_T7_T9_mT8_P12ihipStream_tbDpT10_ENKUlT_T0_E_clISt17integral_constantIbLb0EES1D_EEDaS18_S19_EUlS18_E_NS1_11comp_targetILNS1_3genE4ELNS1_11target_archE910ELNS1_3gpuE8ELNS1_3repE0EEENS1_30default_config_static_selectorELNS0_4arch9wavefront6targetE0EEEvT1_
                                        ; -- End function
	.section	.AMDGPU.csdata,"",@progbits
; Kernel info:
; codeLenInByte = 0
; NumSgprs: 0
; NumVgprs: 0
; ScratchSize: 0
; MemoryBound: 0
; FloatMode: 240
; IeeeMode: 1
; LDSByteSize: 0 bytes/workgroup (compile time only)
; SGPRBlocks: 0
; VGPRBlocks: 0
; NumSGPRsForWavesPerEU: 1
; NumVGPRsForWavesPerEU: 1
; Occupancy: 15
; WaveLimiterHint : 0
; COMPUTE_PGM_RSRC2:SCRATCH_EN: 0
; COMPUTE_PGM_RSRC2:USER_SGPR: 15
; COMPUTE_PGM_RSRC2:TRAP_HANDLER: 0
; COMPUTE_PGM_RSRC2:TGID_X_EN: 1
; COMPUTE_PGM_RSRC2:TGID_Y_EN: 0
; COMPUTE_PGM_RSRC2:TGID_Z_EN: 0
; COMPUTE_PGM_RSRC2:TIDIG_COMP_CNT: 0
	.section	.text._ZN7rocprim17ROCPRIM_400000_NS6detail17trampoline_kernelINS0_14default_configENS1_25partition_config_selectorILNS1_17partition_subalgoE9EyjbEEZZNS1_14partition_implILS5_9ELb0ES3_jN6thrust23THRUST_200600_302600_NS6detail15normal_iteratorINS9_10device_ptrIyEEEENSB_INSC_IjEEEEPNS0_10empty_typeENS0_5tupleIJNS9_16discard_iteratorINS9_11use_defaultEEESH_EEENSJ_IJSM_SI_EEENS0_18inequality_wrapperINS9_8equal_toIyEEEEPmJSH_EEE10hipError_tPvRmT3_T4_T5_T6_T7_T9_mT8_P12ihipStream_tbDpT10_ENKUlT_T0_E_clISt17integral_constantIbLb0EES1D_EEDaS18_S19_EUlS18_E_NS1_11comp_targetILNS1_3genE3ELNS1_11target_archE908ELNS1_3gpuE7ELNS1_3repE0EEENS1_30default_config_static_selectorELNS0_4arch9wavefront6targetE0EEEvT1_,"axG",@progbits,_ZN7rocprim17ROCPRIM_400000_NS6detail17trampoline_kernelINS0_14default_configENS1_25partition_config_selectorILNS1_17partition_subalgoE9EyjbEEZZNS1_14partition_implILS5_9ELb0ES3_jN6thrust23THRUST_200600_302600_NS6detail15normal_iteratorINS9_10device_ptrIyEEEENSB_INSC_IjEEEEPNS0_10empty_typeENS0_5tupleIJNS9_16discard_iteratorINS9_11use_defaultEEESH_EEENSJ_IJSM_SI_EEENS0_18inequality_wrapperINS9_8equal_toIyEEEEPmJSH_EEE10hipError_tPvRmT3_T4_T5_T6_T7_T9_mT8_P12ihipStream_tbDpT10_ENKUlT_T0_E_clISt17integral_constantIbLb0EES1D_EEDaS18_S19_EUlS18_E_NS1_11comp_targetILNS1_3genE3ELNS1_11target_archE908ELNS1_3gpuE7ELNS1_3repE0EEENS1_30default_config_static_selectorELNS0_4arch9wavefront6targetE0EEEvT1_,comdat
	.protected	_ZN7rocprim17ROCPRIM_400000_NS6detail17trampoline_kernelINS0_14default_configENS1_25partition_config_selectorILNS1_17partition_subalgoE9EyjbEEZZNS1_14partition_implILS5_9ELb0ES3_jN6thrust23THRUST_200600_302600_NS6detail15normal_iteratorINS9_10device_ptrIyEEEENSB_INSC_IjEEEEPNS0_10empty_typeENS0_5tupleIJNS9_16discard_iteratorINS9_11use_defaultEEESH_EEENSJ_IJSM_SI_EEENS0_18inequality_wrapperINS9_8equal_toIyEEEEPmJSH_EEE10hipError_tPvRmT3_T4_T5_T6_T7_T9_mT8_P12ihipStream_tbDpT10_ENKUlT_T0_E_clISt17integral_constantIbLb0EES1D_EEDaS18_S19_EUlS18_E_NS1_11comp_targetILNS1_3genE3ELNS1_11target_archE908ELNS1_3gpuE7ELNS1_3repE0EEENS1_30default_config_static_selectorELNS0_4arch9wavefront6targetE0EEEvT1_ ; -- Begin function _ZN7rocprim17ROCPRIM_400000_NS6detail17trampoline_kernelINS0_14default_configENS1_25partition_config_selectorILNS1_17partition_subalgoE9EyjbEEZZNS1_14partition_implILS5_9ELb0ES3_jN6thrust23THRUST_200600_302600_NS6detail15normal_iteratorINS9_10device_ptrIyEEEENSB_INSC_IjEEEEPNS0_10empty_typeENS0_5tupleIJNS9_16discard_iteratorINS9_11use_defaultEEESH_EEENSJ_IJSM_SI_EEENS0_18inequality_wrapperINS9_8equal_toIyEEEEPmJSH_EEE10hipError_tPvRmT3_T4_T5_T6_T7_T9_mT8_P12ihipStream_tbDpT10_ENKUlT_T0_E_clISt17integral_constantIbLb0EES1D_EEDaS18_S19_EUlS18_E_NS1_11comp_targetILNS1_3genE3ELNS1_11target_archE908ELNS1_3gpuE7ELNS1_3repE0EEENS1_30default_config_static_selectorELNS0_4arch9wavefront6targetE0EEEvT1_
	.globl	_ZN7rocprim17ROCPRIM_400000_NS6detail17trampoline_kernelINS0_14default_configENS1_25partition_config_selectorILNS1_17partition_subalgoE9EyjbEEZZNS1_14partition_implILS5_9ELb0ES3_jN6thrust23THRUST_200600_302600_NS6detail15normal_iteratorINS9_10device_ptrIyEEEENSB_INSC_IjEEEEPNS0_10empty_typeENS0_5tupleIJNS9_16discard_iteratorINS9_11use_defaultEEESH_EEENSJ_IJSM_SI_EEENS0_18inequality_wrapperINS9_8equal_toIyEEEEPmJSH_EEE10hipError_tPvRmT3_T4_T5_T6_T7_T9_mT8_P12ihipStream_tbDpT10_ENKUlT_T0_E_clISt17integral_constantIbLb0EES1D_EEDaS18_S19_EUlS18_E_NS1_11comp_targetILNS1_3genE3ELNS1_11target_archE908ELNS1_3gpuE7ELNS1_3repE0EEENS1_30default_config_static_selectorELNS0_4arch9wavefront6targetE0EEEvT1_
	.p2align	8
	.type	_ZN7rocprim17ROCPRIM_400000_NS6detail17trampoline_kernelINS0_14default_configENS1_25partition_config_selectorILNS1_17partition_subalgoE9EyjbEEZZNS1_14partition_implILS5_9ELb0ES3_jN6thrust23THRUST_200600_302600_NS6detail15normal_iteratorINS9_10device_ptrIyEEEENSB_INSC_IjEEEEPNS0_10empty_typeENS0_5tupleIJNS9_16discard_iteratorINS9_11use_defaultEEESH_EEENSJ_IJSM_SI_EEENS0_18inequality_wrapperINS9_8equal_toIyEEEEPmJSH_EEE10hipError_tPvRmT3_T4_T5_T6_T7_T9_mT8_P12ihipStream_tbDpT10_ENKUlT_T0_E_clISt17integral_constantIbLb0EES1D_EEDaS18_S19_EUlS18_E_NS1_11comp_targetILNS1_3genE3ELNS1_11target_archE908ELNS1_3gpuE7ELNS1_3repE0EEENS1_30default_config_static_selectorELNS0_4arch9wavefront6targetE0EEEvT1_,@function
_ZN7rocprim17ROCPRIM_400000_NS6detail17trampoline_kernelINS0_14default_configENS1_25partition_config_selectorILNS1_17partition_subalgoE9EyjbEEZZNS1_14partition_implILS5_9ELb0ES3_jN6thrust23THRUST_200600_302600_NS6detail15normal_iteratorINS9_10device_ptrIyEEEENSB_INSC_IjEEEEPNS0_10empty_typeENS0_5tupleIJNS9_16discard_iteratorINS9_11use_defaultEEESH_EEENSJ_IJSM_SI_EEENS0_18inequality_wrapperINS9_8equal_toIyEEEEPmJSH_EEE10hipError_tPvRmT3_T4_T5_T6_T7_T9_mT8_P12ihipStream_tbDpT10_ENKUlT_T0_E_clISt17integral_constantIbLb0EES1D_EEDaS18_S19_EUlS18_E_NS1_11comp_targetILNS1_3genE3ELNS1_11target_archE908ELNS1_3gpuE7ELNS1_3repE0EEENS1_30default_config_static_selectorELNS0_4arch9wavefront6targetE0EEEvT1_: ; @_ZN7rocprim17ROCPRIM_400000_NS6detail17trampoline_kernelINS0_14default_configENS1_25partition_config_selectorILNS1_17partition_subalgoE9EyjbEEZZNS1_14partition_implILS5_9ELb0ES3_jN6thrust23THRUST_200600_302600_NS6detail15normal_iteratorINS9_10device_ptrIyEEEENSB_INSC_IjEEEEPNS0_10empty_typeENS0_5tupleIJNS9_16discard_iteratorINS9_11use_defaultEEESH_EEENSJ_IJSM_SI_EEENS0_18inequality_wrapperINS9_8equal_toIyEEEEPmJSH_EEE10hipError_tPvRmT3_T4_T5_T6_T7_T9_mT8_P12ihipStream_tbDpT10_ENKUlT_T0_E_clISt17integral_constantIbLb0EES1D_EEDaS18_S19_EUlS18_E_NS1_11comp_targetILNS1_3genE3ELNS1_11target_archE908ELNS1_3gpuE7ELNS1_3repE0EEENS1_30default_config_static_selectorELNS0_4arch9wavefront6targetE0EEEvT1_
; %bb.0:
	.section	.rodata,"a",@progbits
	.p2align	6, 0x0
	.amdhsa_kernel _ZN7rocprim17ROCPRIM_400000_NS6detail17trampoline_kernelINS0_14default_configENS1_25partition_config_selectorILNS1_17partition_subalgoE9EyjbEEZZNS1_14partition_implILS5_9ELb0ES3_jN6thrust23THRUST_200600_302600_NS6detail15normal_iteratorINS9_10device_ptrIyEEEENSB_INSC_IjEEEEPNS0_10empty_typeENS0_5tupleIJNS9_16discard_iteratorINS9_11use_defaultEEESH_EEENSJ_IJSM_SI_EEENS0_18inequality_wrapperINS9_8equal_toIyEEEEPmJSH_EEE10hipError_tPvRmT3_T4_T5_T6_T7_T9_mT8_P12ihipStream_tbDpT10_ENKUlT_T0_E_clISt17integral_constantIbLb0EES1D_EEDaS18_S19_EUlS18_E_NS1_11comp_targetILNS1_3genE3ELNS1_11target_archE908ELNS1_3gpuE7ELNS1_3repE0EEENS1_30default_config_static_selectorELNS0_4arch9wavefront6targetE0EEEvT1_
		.amdhsa_group_segment_fixed_size 0
		.amdhsa_private_segment_fixed_size 0
		.amdhsa_kernarg_size 128
		.amdhsa_user_sgpr_count 15
		.amdhsa_user_sgpr_dispatch_ptr 0
		.amdhsa_user_sgpr_queue_ptr 0
		.amdhsa_user_sgpr_kernarg_segment_ptr 1
		.amdhsa_user_sgpr_dispatch_id 0
		.amdhsa_user_sgpr_private_segment_size 0
		.amdhsa_wavefront_size32 1
		.amdhsa_uses_dynamic_stack 0
		.amdhsa_enable_private_segment 0
		.amdhsa_system_sgpr_workgroup_id_x 1
		.amdhsa_system_sgpr_workgroup_id_y 0
		.amdhsa_system_sgpr_workgroup_id_z 0
		.amdhsa_system_sgpr_workgroup_info 0
		.amdhsa_system_vgpr_workitem_id 0
		.amdhsa_next_free_vgpr 1
		.amdhsa_next_free_sgpr 1
		.amdhsa_reserve_vcc 0
		.amdhsa_float_round_mode_32 0
		.amdhsa_float_round_mode_16_64 0
		.amdhsa_float_denorm_mode_32 3
		.amdhsa_float_denorm_mode_16_64 3
		.amdhsa_dx10_clamp 1
		.amdhsa_ieee_mode 1
		.amdhsa_fp16_overflow 0
		.amdhsa_workgroup_processor_mode 1
		.amdhsa_memory_ordered 1
		.amdhsa_forward_progress 0
		.amdhsa_shared_vgpr_count 0
		.amdhsa_exception_fp_ieee_invalid_op 0
		.amdhsa_exception_fp_denorm_src 0
		.amdhsa_exception_fp_ieee_div_zero 0
		.amdhsa_exception_fp_ieee_overflow 0
		.amdhsa_exception_fp_ieee_underflow 0
		.amdhsa_exception_fp_ieee_inexact 0
		.amdhsa_exception_int_div_zero 0
	.end_amdhsa_kernel
	.section	.text._ZN7rocprim17ROCPRIM_400000_NS6detail17trampoline_kernelINS0_14default_configENS1_25partition_config_selectorILNS1_17partition_subalgoE9EyjbEEZZNS1_14partition_implILS5_9ELb0ES3_jN6thrust23THRUST_200600_302600_NS6detail15normal_iteratorINS9_10device_ptrIyEEEENSB_INSC_IjEEEEPNS0_10empty_typeENS0_5tupleIJNS9_16discard_iteratorINS9_11use_defaultEEESH_EEENSJ_IJSM_SI_EEENS0_18inequality_wrapperINS9_8equal_toIyEEEEPmJSH_EEE10hipError_tPvRmT3_T4_T5_T6_T7_T9_mT8_P12ihipStream_tbDpT10_ENKUlT_T0_E_clISt17integral_constantIbLb0EES1D_EEDaS18_S19_EUlS18_E_NS1_11comp_targetILNS1_3genE3ELNS1_11target_archE908ELNS1_3gpuE7ELNS1_3repE0EEENS1_30default_config_static_selectorELNS0_4arch9wavefront6targetE0EEEvT1_,"axG",@progbits,_ZN7rocprim17ROCPRIM_400000_NS6detail17trampoline_kernelINS0_14default_configENS1_25partition_config_selectorILNS1_17partition_subalgoE9EyjbEEZZNS1_14partition_implILS5_9ELb0ES3_jN6thrust23THRUST_200600_302600_NS6detail15normal_iteratorINS9_10device_ptrIyEEEENSB_INSC_IjEEEEPNS0_10empty_typeENS0_5tupleIJNS9_16discard_iteratorINS9_11use_defaultEEESH_EEENSJ_IJSM_SI_EEENS0_18inequality_wrapperINS9_8equal_toIyEEEEPmJSH_EEE10hipError_tPvRmT3_T4_T5_T6_T7_T9_mT8_P12ihipStream_tbDpT10_ENKUlT_T0_E_clISt17integral_constantIbLb0EES1D_EEDaS18_S19_EUlS18_E_NS1_11comp_targetILNS1_3genE3ELNS1_11target_archE908ELNS1_3gpuE7ELNS1_3repE0EEENS1_30default_config_static_selectorELNS0_4arch9wavefront6targetE0EEEvT1_,comdat
.Lfunc_end696:
	.size	_ZN7rocprim17ROCPRIM_400000_NS6detail17trampoline_kernelINS0_14default_configENS1_25partition_config_selectorILNS1_17partition_subalgoE9EyjbEEZZNS1_14partition_implILS5_9ELb0ES3_jN6thrust23THRUST_200600_302600_NS6detail15normal_iteratorINS9_10device_ptrIyEEEENSB_INSC_IjEEEEPNS0_10empty_typeENS0_5tupleIJNS9_16discard_iteratorINS9_11use_defaultEEESH_EEENSJ_IJSM_SI_EEENS0_18inequality_wrapperINS9_8equal_toIyEEEEPmJSH_EEE10hipError_tPvRmT3_T4_T5_T6_T7_T9_mT8_P12ihipStream_tbDpT10_ENKUlT_T0_E_clISt17integral_constantIbLb0EES1D_EEDaS18_S19_EUlS18_E_NS1_11comp_targetILNS1_3genE3ELNS1_11target_archE908ELNS1_3gpuE7ELNS1_3repE0EEENS1_30default_config_static_selectorELNS0_4arch9wavefront6targetE0EEEvT1_, .Lfunc_end696-_ZN7rocprim17ROCPRIM_400000_NS6detail17trampoline_kernelINS0_14default_configENS1_25partition_config_selectorILNS1_17partition_subalgoE9EyjbEEZZNS1_14partition_implILS5_9ELb0ES3_jN6thrust23THRUST_200600_302600_NS6detail15normal_iteratorINS9_10device_ptrIyEEEENSB_INSC_IjEEEEPNS0_10empty_typeENS0_5tupleIJNS9_16discard_iteratorINS9_11use_defaultEEESH_EEENSJ_IJSM_SI_EEENS0_18inequality_wrapperINS9_8equal_toIyEEEEPmJSH_EEE10hipError_tPvRmT3_T4_T5_T6_T7_T9_mT8_P12ihipStream_tbDpT10_ENKUlT_T0_E_clISt17integral_constantIbLb0EES1D_EEDaS18_S19_EUlS18_E_NS1_11comp_targetILNS1_3genE3ELNS1_11target_archE908ELNS1_3gpuE7ELNS1_3repE0EEENS1_30default_config_static_selectorELNS0_4arch9wavefront6targetE0EEEvT1_
                                        ; -- End function
	.section	.AMDGPU.csdata,"",@progbits
; Kernel info:
; codeLenInByte = 0
; NumSgprs: 0
; NumVgprs: 0
; ScratchSize: 0
; MemoryBound: 0
; FloatMode: 240
; IeeeMode: 1
; LDSByteSize: 0 bytes/workgroup (compile time only)
; SGPRBlocks: 0
; VGPRBlocks: 0
; NumSGPRsForWavesPerEU: 1
; NumVGPRsForWavesPerEU: 1
; Occupancy: 16
; WaveLimiterHint : 0
; COMPUTE_PGM_RSRC2:SCRATCH_EN: 0
; COMPUTE_PGM_RSRC2:USER_SGPR: 15
; COMPUTE_PGM_RSRC2:TRAP_HANDLER: 0
; COMPUTE_PGM_RSRC2:TGID_X_EN: 1
; COMPUTE_PGM_RSRC2:TGID_Y_EN: 0
; COMPUTE_PGM_RSRC2:TGID_Z_EN: 0
; COMPUTE_PGM_RSRC2:TIDIG_COMP_CNT: 0
	.section	.text._ZN7rocprim17ROCPRIM_400000_NS6detail17trampoline_kernelINS0_14default_configENS1_25partition_config_selectorILNS1_17partition_subalgoE9EyjbEEZZNS1_14partition_implILS5_9ELb0ES3_jN6thrust23THRUST_200600_302600_NS6detail15normal_iteratorINS9_10device_ptrIyEEEENSB_INSC_IjEEEEPNS0_10empty_typeENS0_5tupleIJNS9_16discard_iteratorINS9_11use_defaultEEESH_EEENSJ_IJSM_SI_EEENS0_18inequality_wrapperINS9_8equal_toIyEEEEPmJSH_EEE10hipError_tPvRmT3_T4_T5_T6_T7_T9_mT8_P12ihipStream_tbDpT10_ENKUlT_T0_E_clISt17integral_constantIbLb0EES1D_EEDaS18_S19_EUlS18_E_NS1_11comp_targetILNS1_3genE2ELNS1_11target_archE906ELNS1_3gpuE6ELNS1_3repE0EEENS1_30default_config_static_selectorELNS0_4arch9wavefront6targetE0EEEvT1_,"axG",@progbits,_ZN7rocprim17ROCPRIM_400000_NS6detail17trampoline_kernelINS0_14default_configENS1_25partition_config_selectorILNS1_17partition_subalgoE9EyjbEEZZNS1_14partition_implILS5_9ELb0ES3_jN6thrust23THRUST_200600_302600_NS6detail15normal_iteratorINS9_10device_ptrIyEEEENSB_INSC_IjEEEEPNS0_10empty_typeENS0_5tupleIJNS9_16discard_iteratorINS9_11use_defaultEEESH_EEENSJ_IJSM_SI_EEENS0_18inequality_wrapperINS9_8equal_toIyEEEEPmJSH_EEE10hipError_tPvRmT3_T4_T5_T6_T7_T9_mT8_P12ihipStream_tbDpT10_ENKUlT_T0_E_clISt17integral_constantIbLb0EES1D_EEDaS18_S19_EUlS18_E_NS1_11comp_targetILNS1_3genE2ELNS1_11target_archE906ELNS1_3gpuE6ELNS1_3repE0EEENS1_30default_config_static_selectorELNS0_4arch9wavefront6targetE0EEEvT1_,comdat
	.protected	_ZN7rocprim17ROCPRIM_400000_NS6detail17trampoline_kernelINS0_14default_configENS1_25partition_config_selectorILNS1_17partition_subalgoE9EyjbEEZZNS1_14partition_implILS5_9ELb0ES3_jN6thrust23THRUST_200600_302600_NS6detail15normal_iteratorINS9_10device_ptrIyEEEENSB_INSC_IjEEEEPNS0_10empty_typeENS0_5tupleIJNS9_16discard_iteratorINS9_11use_defaultEEESH_EEENSJ_IJSM_SI_EEENS0_18inequality_wrapperINS9_8equal_toIyEEEEPmJSH_EEE10hipError_tPvRmT3_T4_T5_T6_T7_T9_mT8_P12ihipStream_tbDpT10_ENKUlT_T0_E_clISt17integral_constantIbLb0EES1D_EEDaS18_S19_EUlS18_E_NS1_11comp_targetILNS1_3genE2ELNS1_11target_archE906ELNS1_3gpuE6ELNS1_3repE0EEENS1_30default_config_static_selectorELNS0_4arch9wavefront6targetE0EEEvT1_ ; -- Begin function _ZN7rocprim17ROCPRIM_400000_NS6detail17trampoline_kernelINS0_14default_configENS1_25partition_config_selectorILNS1_17partition_subalgoE9EyjbEEZZNS1_14partition_implILS5_9ELb0ES3_jN6thrust23THRUST_200600_302600_NS6detail15normal_iteratorINS9_10device_ptrIyEEEENSB_INSC_IjEEEEPNS0_10empty_typeENS0_5tupleIJNS9_16discard_iteratorINS9_11use_defaultEEESH_EEENSJ_IJSM_SI_EEENS0_18inequality_wrapperINS9_8equal_toIyEEEEPmJSH_EEE10hipError_tPvRmT3_T4_T5_T6_T7_T9_mT8_P12ihipStream_tbDpT10_ENKUlT_T0_E_clISt17integral_constantIbLb0EES1D_EEDaS18_S19_EUlS18_E_NS1_11comp_targetILNS1_3genE2ELNS1_11target_archE906ELNS1_3gpuE6ELNS1_3repE0EEENS1_30default_config_static_selectorELNS0_4arch9wavefront6targetE0EEEvT1_
	.globl	_ZN7rocprim17ROCPRIM_400000_NS6detail17trampoline_kernelINS0_14default_configENS1_25partition_config_selectorILNS1_17partition_subalgoE9EyjbEEZZNS1_14partition_implILS5_9ELb0ES3_jN6thrust23THRUST_200600_302600_NS6detail15normal_iteratorINS9_10device_ptrIyEEEENSB_INSC_IjEEEEPNS0_10empty_typeENS0_5tupleIJNS9_16discard_iteratorINS9_11use_defaultEEESH_EEENSJ_IJSM_SI_EEENS0_18inequality_wrapperINS9_8equal_toIyEEEEPmJSH_EEE10hipError_tPvRmT3_T4_T5_T6_T7_T9_mT8_P12ihipStream_tbDpT10_ENKUlT_T0_E_clISt17integral_constantIbLb0EES1D_EEDaS18_S19_EUlS18_E_NS1_11comp_targetILNS1_3genE2ELNS1_11target_archE906ELNS1_3gpuE6ELNS1_3repE0EEENS1_30default_config_static_selectorELNS0_4arch9wavefront6targetE0EEEvT1_
	.p2align	8
	.type	_ZN7rocprim17ROCPRIM_400000_NS6detail17trampoline_kernelINS0_14default_configENS1_25partition_config_selectorILNS1_17partition_subalgoE9EyjbEEZZNS1_14partition_implILS5_9ELb0ES3_jN6thrust23THRUST_200600_302600_NS6detail15normal_iteratorINS9_10device_ptrIyEEEENSB_INSC_IjEEEEPNS0_10empty_typeENS0_5tupleIJNS9_16discard_iteratorINS9_11use_defaultEEESH_EEENSJ_IJSM_SI_EEENS0_18inequality_wrapperINS9_8equal_toIyEEEEPmJSH_EEE10hipError_tPvRmT3_T4_T5_T6_T7_T9_mT8_P12ihipStream_tbDpT10_ENKUlT_T0_E_clISt17integral_constantIbLb0EES1D_EEDaS18_S19_EUlS18_E_NS1_11comp_targetILNS1_3genE2ELNS1_11target_archE906ELNS1_3gpuE6ELNS1_3repE0EEENS1_30default_config_static_selectorELNS0_4arch9wavefront6targetE0EEEvT1_,@function
_ZN7rocprim17ROCPRIM_400000_NS6detail17trampoline_kernelINS0_14default_configENS1_25partition_config_selectorILNS1_17partition_subalgoE9EyjbEEZZNS1_14partition_implILS5_9ELb0ES3_jN6thrust23THRUST_200600_302600_NS6detail15normal_iteratorINS9_10device_ptrIyEEEENSB_INSC_IjEEEEPNS0_10empty_typeENS0_5tupleIJNS9_16discard_iteratorINS9_11use_defaultEEESH_EEENSJ_IJSM_SI_EEENS0_18inequality_wrapperINS9_8equal_toIyEEEEPmJSH_EEE10hipError_tPvRmT3_T4_T5_T6_T7_T9_mT8_P12ihipStream_tbDpT10_ENKUlT_T0_E_clISt17integral_constantIbLb0EES1D_EEDaS18_S19_EUlS18_E_NS1_11comp_targetILNS1_3genE2ELNS1_11target_archE906ELNS1_3gpuE6ELNS1_3repE0EEENS1_30default_config_static_selectorELNS0_4arch9wavefront6targetE0EEEvT1_: ; @_ZN7rocprim17ROCPRIM_400000_NS6detail17trampoline_kernelINS0_14default_configENS1_25partition_config_selectorILNS1_17partition_subalgoE9EyjbEEZZNS1_14partition_implILS5_9ELb0ES3_jN6thrust23THRUST_200600_302600_NS6detail15normal_iteratorINS9_10device_ptrIyEEEENSB_INSC_IjEEEEPNS0_10empty_typeENS0_5tupleIJNS9_16discard_iteratorINS9_11use_defaultEEESH_EEENSJ_IJSM_SI_EEENS0_18inequality_wrapperINS9_8equal_toIyEEEEPmJSH_EEE10hipError_tPvRmT3_T4_T5_T6_T7_T9_mT8_P12ihipStream_tbDpT10_ENKUlT_T0_E_clISt17integral_constantIbLb0EES1D_EEDaS18_S19_EUlS18_E_NS1_11comp_targetILNS1_3genE2ELNS1_11target_archE906ELNS1_3gpuE6ELNS1_3repE0EEENS1_30default_config_static_selectorELNS0_4arch9wavefront6targetE0EEEvT1_
; %bb.0:
	.section	.rodata,"a",@progbits
	.p2align	6, 0x0
	.amdhsa_kernel _ZN7rocprim17ROCPRIM_400000_NS6detail17trampoline_kernelINS0_14default_configENS1_25partition_config_selectorILNS1_17partition_subalgoE9EyjbEEZZNS1_14partition_implILS5_9ELb0ES3_jN6thrust23THRUST_200600_302600_NS6detail15normal_iteratorINS9_10device_ptrIyEEEENSB_INSC_IjEEEEPNS0_10empty_typeENS0_5tupleIJNS9_16discard_iteratorINS9_11use_defaultEEESH_EEENSJ_IJSM_SI_EEENS0_18inequality_wrapperINS9_8equal_toIyEEEEPmJSH_EEE10hipError_tPvRmT3_T4_T5_T6_T7_T9_mT8_P12ihipStream_tbDpT10_ENKUlT_T0_E_clISt17integral_constantIbLb0EES1D_EEDaS18_S19_EUlS18_E_NS1_11comp_targetILNS1_3genE2ELNS1_11target_archE906ELNS1_3gpuE6ELNS1_3repE0EEENS1_30default_config_static_selectorELNS0_4arch9wavefront6targetE0EEEvT1_
		.amdhsa_group_segment_fixed_size 0
		.amdhsa_private_segment_fixed_size 0
		.amdhsa_kernarg_size 128
		.amdhsa_user_sgpr_count 15
		.amdhsa_user_sgpr_dispatch_ptr 0
		.amdhsa_user_sgpr_queue_ptr 0
		.amdhsa_user_sgpr_kernarg_segment_ptr 1
		.amdhsa_user_sgpr_dispatch_id 0
		.amdhsa_user_sgpr_private_segment_size 0
		.amdhsa_wavefront_size32 1
		.amdhsa_uses_dynamic_stack 0
		.amdhsa_enable_private_segment 0
		.amdhsa_system_sgpr_workgroup_id_x 1
		.amdhsa_system_sgpr_workgroup_id_y 0
		.amdhsa_system_sgpr_workgroup_id_z 0
		.amdhsa_system_sgpr_workgroup_info 0
		.amdhsa_system_vgpr_workitem_id 0
		.amdhsa_next_free_vgpr 1
		.amdhsa_next_free_sgpr 1
		.amdhsa_reserve_vcc 0
		.amdhsa_float_round_mode_32 0
		.amdhsa_float_round_mode_16_64 0
		.amdhsa_float_denorm_mode_32 3
		.amdhsa_float_denorm_mode_16_64 3
		.amdhsa_dx10_clamp 1
		.amdhsa_ieee_mode 1
		.amdhsa_fp16_overflow 0
		.amdhsa_workgroup_processor_mode 1
		.amdhsa_memory_ordered 1
		.amdhsa_forward_progress 0
		.amdhsa_shared_vgpr_count 0
		.amdhsa_exception_fp_ieee_invalid_op 0
		.amdhsa_exception_fp_denorm_src 0
		.amdhsa_exception_fp_ieee_div_zero 0
		.amdhsa_exception_fp_ieee_overflow 0
		.amdhsa_exception_fp_ieee_underflow 0
		.amdhsa_exception_fp_ieee_inexact 0
		.amdhsa_exception_int_div_zero 0
	.end_amdhsa_kernel
	.section	.text._ZN7rocprim17ROCPRIM_400000_NS6detail17trampoline_kernelINS0_14default_configENS1_25partition_config_selectorILNS1_17partition_subalgoE9EyjbEEZZNS1_14partition_implILS5_9ELb0ES3_jN6thrust23THRUST_200600_302600_NS6detail15normal_iteratorINS9_10device_ptrIyEEEENSB_INSC_IjEEEEPNS0_10empty_typeENS0_5tupleIJNS9_16discard_iteratorINS9_11use_defaultEEESH_EEENSJ_IJSM_SI_EEENS0_18inequality_wrapperINS9_8equal_toIyEEEEPmJSH_EEE10hipError_tPvRmT3_T4_T5_T6_T7_T9_mT8_P12ihipStream_tbDpT10_ENKUlT_T0_E_clISt17integral_constantIbLb0EES1D_EEDaS18_S19_EUlS18_E_NS1_11comp_targetILNS1_3genE2ELNS1_11target_archE906ELNS1_3gpuE6ELNS1_3repE0EEENS1_30default_config_static_selectorELNS0_4arch9wavefront6targetE0EEEvT1_,"axG",@progbits,_ZN7rocprim17ROCPRIM_400000_NS6detail17trampoline_kernelINS0_14default_configENS1_25partition_config_selectorILNS1_17partition_subalgoE9EyjbEEZZNS1_14partition_implILS5_9ELb0ES3_jN6thrust23THRUST_200600_302600_NS6detail15normal_iteratorINS9_10device_ptrIyEEEENSB_INSC_IjEEEEPNS0_10empty_typeENS0_5tupleIJNS9_16discard_iteratorINS9_11use_defaultEEESH_EEENSJ_IJSM_SI_EEENS0_18inequality_wrapperINS9_8equal_toIyEEEEPmJSH_EEE10hipError_tPvRmT3_T4_T5_T6_T7_T9_mT8_P12ihipStream_tbDpT10_ENKUlT_T0_E_clISt17integral_constantIbLb0EES1D_EEDaS18_S19_EUlS18_E_NS1_11comp_targetILNS1_3genE2ELNS1_11target_archE906ELNS1_3gpuE6ELNS1_3repE0EEENS1_30default_config_static_selectorELNS0_4arch9wavefront6targetE0EEEvT1_,comdat
.Lfunc_end697:
	.size	_ZN7rocprim17ROCPRIM_400000_NS6detail17trampoline_kernelINS0_14default_configENS1_25partition_config_selectorILNS1_17partition_subalgoE9EyjbEEZZNS1_14partition_implILS5_9ELb0ES3_jN6thrust23THRUST_200600_302600_NS6detail15normal_iteratorINS9_10device_ptrIyEEEENSB_INSC_IjEEEEPNS0_10empty_typeENS0_5tupleIJNS9_16discard_iteratorINS9_11use_defaultEEESH_EEENSJ_IJSM_SI_EEENS0_18inequality_wrapperINS9_8equal_toIyEEEEPmJSH_EEE10hipError_tPvRmT3_T4_T5_T6_T7_T9_mT8_P12ihipStream_tbDpT10_ENKUlT_T0_E_clISt17integral_constantIbLb0EES1D_EEDaS18_S19_EUlS18_E_NS1_11comp_targetILNS1_3genE2ELNS1_11target_archE906ELNS1_3gpuE6ELNS1_3repE0EEENS1_30default_config_static_selectorELNS0_4arch9wavefront6targetE0EEEvT1_, .Lfunc_end697-_ZN7rocprim17ROCPRIM_400000_NS6detail17trampoline_kernelINS0_14default_configENS1_25partition_config_selectorILNS1_17partition_subalgoE9EyjbEEZZNS1_14partition_implILS5_9ELb0ES3_jN6thrust23THRUST_200600_302600_NS6detail15normal_iteratorINS9_10device_ptrIyEEEENSB_INSC_IjEEEEPNS0_10empty_typeENS0_5tupleIJNS9_16discard_iteratorINS9_11use_defaultEEESH_EEENSJ_IJSM_SI_EEENS0_18inequality_wrapperINS9_8equal_toIyEEEEPmJSH_EEE10hipError_tPvRmT3_T4_T5_T6_T7_T9_mT8_P12ihipStream_tbDpT10_ENKUlT_T0_E_clISt17integral_constantIbLb0EES1D_EEDaS18_S19_EUlS18_E_NS1_11comp_targetILNS1_3genE2ELNS1_11target_archE906ELNS1_3gpuE6ELNS1_3repE0EEENS1_30default_config_static_selectorELNS0_4arch9wavefront6targetE0EEEvT1_
                                        ; -- End function
	.section	.AMDGPU.csdata,"",@progbits
; Kernel info:
; codeLenInByte = 0
; NumSgprs: 0
; NumVgprs: 0
; ScratchSize: 0
; MemoryBound: 0
; FloatMode: 240
; IeeeMode: 1
; LDSByteSize: 0 bytes/workgroup (compile time only)
; SGPRBlocks: 0
; VGPRBlocks: 0
; NumSGPRsForWavesPerEU: 1
; NumVGPRsForWavesPerEU: 1
; Occupancy: 16
; WaveLimiterHint : 0
; COMPUTE_PGM_RSRC2:SCRATCH_EN: 0
; COMPUTE_PGM_RSRC2:USER_SGPR: 15
; COMPUTE_PGM_RSRC2:TRAP_HANDLER: 0
; COMPUTE_PGM_RSRC2:TGID_X_EN: 1
; COMPUTE_PGM_RSRC2:TGID_Y_EN: 0
; COMPUTE_PGM_RSRC2:TGID_Z_EN: 0
; COMPUTE_PGM_RSRC2:TIDIG_COMP_CNT: 0
	.section	.text._ZN7rocprim17ROCPRIM_400000_NS6detail17trampoline_kernelINS0_14default_configENS1_25partition_config_selectorILNS1_17partition_subalgoE9EyjbEEZZNS1_14partition_implILS5_9ELb0ES3_jN6thrust23THRUST_200600_302600_NS6detail15normal_iteratorINS9_10device_ptrIyEEEENSB_INSC_IjEEEEPNS0_10empty_typeENS0_5tupleIJNS9_16discard_iteratorINS9_11use_defaultEEESH_EEENSJ_IJSM_SI_EEENS0_18inequality_wrapperINS9_8equal_toIyEEEEPmJSH_EEE10hipError_tPvRmT3_T4_T5_T6_T7_T9_mT8_P12ihipStream_tbDpT10_ENKUlT_T0_E_clISt17integral_constantIbLb0EES1D_EEDaS18_S19_EUlS18_E_NS1_11comp_targetILNS1_3genE10ELNS1_11target_archE1200ELNS1_3gpuE4ELNS1_3repE0EEENS1_30default_config_static_selectorELNS0_4arch9wavefront6targetE0EEEvT1_,"axG",@progbits,_ZN7rocprim17ROCPRIM_400000_NS6detail17trampoline_kernelINS0_14default_configENS1_25partition_config_selectorILNS1_17partition_subalgoE9EyjbEEZZNS1_14partition_implILS5_9ELb0ES3_jN6thrust23THRUST_200600_302600_NS6detail15normal_iteratorINS9_10device_ptrIyEEEENSB_INSC_IjEEEEPNS0_10empty_typeENS0_5tupleIJNS9_16discard_iteratorINS9_11use_defaultEEESH_EEENSJ_IJSM_SI_EEENS0_18inequality_wrapperINS9_8equal_toIyEEEEPmJSH_EEE10hipError_tPvRmT3_T4_T5_T6_T7_T9_mT8_P12ihipStream_tbDpT10_ENKUlT_T0_E_clISt17integral_constantIbLb0EES1D_EEDaS18_S19_EUlS18_E_NS1_11comp_targetILNS1_3genE10ELNS1_11target_archE1200ELNS1_3gpuE4ELNS1_3repE0EEENS1_30default_config_static_selectorELNS0_4arch9wavefront6targetE0EEEvT1_,comdat
	.protected	_ZN7rocprim17ROCPRIM_400000_NS6detail17trampoline_kernelINS0_14default_configENS1_25partition_config_selectorILNS1_17partition_subalgoE9EyjbEEZZNS1_14partition_implILS5_9ELb0ES3_jN6thrust23THRUST_200600_302600_NS6detail15normal_iteratorINS9_10device_ptrIyEEEENSB_INSC_IjEEEEPNS0_10empty_typeENS0_5tupleIJNS9_16discard_iteratorINS9_11use_defaultEEESH_EEENSJ_IJSM_SI_EEENS0_18inequality_wrapperINS9_8equal_toIyEEEEPmJSH_EEE10hipError_tPvRmT3_T4_T5_T6_T7_T9_mT8_P12ihipStream_tbDpT10_ENKUlT_T0_E_clISt17integral_constantIbLb0EES1D_EEDaS18_S19_EUlS18_E_NS1_11comp_targetILNS1_3genE10ELNS1_11target_archE1200ELNS1_3gpuE4ELNS1_3repE0EEENS1_30default_config_static_selectorELNS0_4arch9wavefront6targetE0EEEvT1_ ; -- Begin function _ZN7rocprim17ROCPRIM_400000_NS6detail17trampoline_kernelINS0_14default_configENS1_25partition_config_selectorILNS1_17partition_subalgoE9EyjbEEZZNS1_14partition_implILS5_9ELb0ES3_jN6thrust23THRUST_200600_302600_NS6detail15normal_iteratorINS9_10device_ptrIyEEEENSB_INSC_IjEEEEPNS0_10empty_typeENS0_5tupleIJNS9_16discard_iteratorINS9_11use_defaultEEESH_EEENSJ_IJSM_SI_EEENS0_18inequality_wrapperINS9_8equal_toIyEEEEPmJSH_EEE10hipError_tPvRmT3_T4_T5_T6_T7_T9_mT8_P12ihipStream_tbDpT10_ENKUlT_T0_E_clISt17integral_constantIbLb0EES1D_EEDaS18_S19_EUlS18_E_NS1_11comp_targetILNS1_3genE10ELNS1_11target_archE1200ELNS1_3gpuE4ELNS1_3repE0EEENS1_30default_config_static_selectorELNS0_4arch9wavefront6targetE0EEEvT1_
	.globl	_ZN7rocprim17ROCPRIM_400000_NS6detail17trampoline_kernelINS0_14default_configENS1_25partition_config_selectorILNS1_17partition_subalgoE9EyjbEEZZNS1_14partition_implILS5_9ELb0ES3_jN6thrust23THRUST_200600_302600_NS6detail15normal_iteratorINS9_10device_ptrIyEEEENSB_INSC_IjEEEEPNS0_10empty_typeENS0_5tupleIJNS9_16discard_iteratorINS9_11use_defaultEEESH_EEENSJ_IJSM_SI_EEENS0_18inequality_wrapperINS9_8equal_toIyEEEEPmJSH_EEE10hipError_tPvRmT3_T4_T5_T6_T7_T9_mT8_P12ihipStream_tbDpT10_ENKUlT_T0_E_clISt17integral_constantIbLb0EES1D_EEDaS18_S19_EUlS18_E_NS1_11comp_targetILNS1_3genE10ELNS1_11target_archE1200ELNS1_3gpuE4ELNS1_3repE0EEENS1_30default_config_static_selectorELNS0_4arch9wavefront6targetE0EEEvT1_
	.p2align	8
	.type	_ZN7rocprim17ROCPRIM_400000_NS6detail17trampoline_kernelINS0_14default_configENS1_25partition_config_selectorILNS1_17partition_subalgoE9EyjbEEZZNS1_14partition_implILS5_9ELb0ES3_jN6thrust23THRUST_200600_302600_NS6detail15normal_iteratorINS9_10device_ptrIyEEEENSB_INSC_IjEEEEPNS0_10empty_typeENS0_5tupleIJNS9_16discard_iteratorINS9_11use_defaultEEESH_EEENSJ_IJSM_SI_EEENS0_18inequality_wrapperINS9_8equal_toIyEEEEPmJSH_EEE10hipError_tPvRmT3_T4_T5_T6_T7_T9_mT8_P12ihipStream_tbDpT10_ENKUlT_T0_E_clISt17integral_constantIbLb0EES1D_EEDaS18_S19_EUlS18_E_NS1_11comp_targetILNS1_3genE10ELNS1_11target_archE1200ELNS1_3gpuE4ELNS1_3repE0EEENS1_30default_config_static_selectorELNS0_4arch9wavefront6targetE0EEEvT1_,@function
_ZN7rocprim17ROCPRIM_400000_NS6detail17trampoline_kernelINS0_14default_configENS1_25partition_config_selectorILNS1_17partition_subalgoE9EyjbEEZZNS1_14partition_implILS5_9ELb0ES3_jN6thrust23THRUST_200600_302600_NS6detail15normal_iteratorINS9_10device_ptrIyEEEENSB_INSC_IjEEEEPNS0_10empty_typeENS0_5tupleIJNS9_16discard_iteratorINS9_11use_defaultEEESH_EEENSJ_IJSM_SI_EEENS0_18inequality_wrapperINS9_8equal_toIyEEEEPmJSH_EEE10hipError_tPvRmT3_T4_T5_T6_T7_T9_mT8_P12ihipStream_tbDpT10_ENKUlT_T0_E_clISt17integral_constantIbLb0EES1D_EEDaS18_S19_EUlS18_E_NS1_11comp_targetILNS1_3genE10ELNS1_11target_archE1200ELNS1_3gpuE4ELNS1_3repE0EEENS1_30default_config_static_selectorELNS0_4arch9wavefront6targetE0EEEvT1_: ; @_ZN7rocprim17ROCPRIM_400000_NS6detail17trampoline_kernelINS0_14default_configENS1_25partition_config_selectorILNS1_17partition_subalgoE9EyjbEEZZNS1_14partition_implILS5_9ELb0ES3_jN6thrust23THRUST_200600_302600_NS6detail15normal_iteratorINS9_10device_ptrIyEEEENSB_INSC_IjEEEEPNS0_10empty_typeENS0_5tupleIJNS9_16discard_iteratorINS9_11use_defaultEEESH_EEENSJ_IJSM_SI_EEENS0_18inequality_wrapperINS9_8equal_toIyEEEEPmJSH_EEE10hipError_tPvRmT3_T4_T5_T6_T7_T9_mT8_P12ihipStream_tbDpT10_ENKUlT_T0_E_clISt17integral_constantIbLb0EES1D_EEDaS18_S19_EUlS18_E_NS1_11comp_targetILNS1_3genE10ELNS1_11target_archE1200ELNS1_3gpuE4ELNS1_3repE0EEENS1_30default_config_static_selectorELNS0_4arch9wavefront6targetE0EEEvT1_
; %bb.0:
	.section	.rodata,"a",@progbits
	.p2align	6, 0x0
	.amdhsa_kernel _ZN7rocprim17ROCPRIM_400000_NS6detail17trampoline_kernelINS0_14default_configENS1_25partition_config_selectorILNS1_17partition_subalgoE9EyjbEEZZNS1_14partition_implILS5_9ELb0ES3_jN6thrust23THRUST_200600_302600_NS6detail15normal_iteratorINS9_10device_ptrIyEEEENSB_INSC_IjEEEEPNS0_10empty_typeENS0_5tupleIJNS9_16discard_iteratorINS9_11use_defaultEEESH_EEENSJ_IJSM_SI_EEENS0_18inequality_wrapperINS9_8equal_toIyEEEEPmJSH_EEE10hipError_tPvRmT3_T4_T5_T6_T7_T9_mT8_P12ihipStream_tbDpT10_ENKUlT_T0_E_clISt17integral_constantIbLb0EES1D_EEDaS18_S19_EUlS18_E_NS1_11comp_targetILNS1_3genE10ELNS1_11target_archE1200ELNS1_3gpuE4ELNS1_3repE0EEENS1_30default_config_static_selectorELNS0_4arch9wavefront6targetE0EEEvT1_
		.amdhsa_group_segment_fixed_size 0
		.amdhsa_private_segment_fixed_size 0
		.amdhsa_kernarg_size 128
		.amdhsa_user_sgpr_count 15
		.amdhsa_user_sgpr_dispatch_ptr 0
		.amdhsa_user_sgpr_queue_ptr 0
		.amdhsa_user_sgpr_kernarg_segment_ptr 1
		.amdhsa_user_sgpr_dispatch_id 0
		.amdhsa_user_sgpr_private_segment_size 0
		.amdhsa_wavefront_size32 1
		.amdhsa_uses_dynamic_stack 0
		.amdhsa_enable_private_segment 0
		.amdhsa_system_sgpr_workgroup_id_x 1
		.amdhsa_system_sgpr_workgroup_id_y 0
		.amdhsa_system_sgpr_workgroup_id_z 0
		.amdhsa_system_sgpr_workgroup_info 0
		.amdhsa_system_vgpr_workitem_id 0
		.amdhsa_next_free_vgpr 1
		.amdhsa_next_free_sgpr 1
		.amdhsa_reserve_vcc 0
		.amdhsa_float_round_mode_32 0
		.amdhsa_float_round_mode_16_64 0
		.amdhsa_float_denorm_mode_32 3
		.amdhsa_float_denorm_mode_16_64 3
		.amdhsa_dx10_clamp 1
		.amdhsa_ieee_mode 1
		.amdhsa_fp16_overflow 0
		.amdhsa_workgroup_processor_mode 1
		.amdhsa_memory_ordered 1
		.amdhsa_forward_progress 0
		.amdhsa_shared_vgpr_count 0
		.amdhsa_exception_fp_ieee_invalid_op 0
		.amdhsa_exception_fp_denorm_src 0
		.amdhsa_exception_fp_ieee_div_zero 0
		.amdhsa_exception_fp_ieee_overflow 0
		.amdhsa_exception_fp_ieee_underflow 0
		.amdhsa_exception_fp_ieee_inexact 0
		.amdhsa_exception_int_div_zero 0
	.end_amdhsa_kernel
	.section	.text._ZN7rocprim17ROCPRIM_400000_NS6detail17trampoline_kernelINS0_14default_configENS1_25partition_config_selectorILNS1_17partition_subalgoE9EyjbEEZZNS1_14partition_implILS5_9ELb0ES3_jN6thrust23THRUST_200600_302600_NS6detail15normal_iteratorINS9_10device_ptrIyEEEENSB_INSC_IjEEEEPNS0_10empty_typeENS0_5tupleIJNS9_16discard_iteratorINS9_11use_defaultEEESH_EEENSJ_IJSM_SI_EEENS0_18inequality_wrapperINS9_8equal_toIyEEEEPmJSH_EEE10hipError_tPvRmT3_T4_T5_T6_T7_T9_mT8_P12ihipStream_tbDpT10_ENKUlT_T0_E_clISt17integral_constantIbLb0EES1D_EEDaS18_S19_EUlS18_E_NS1_11comp_targetILNS1_3genE10ELNS1_11target_archE1200ELNS1_3gpuE4ELNS1_3repE0EEENS1_30default_config_static_selectorELNS0_4arch9wavefront6targetE0EEEvT1_,"axG",@progbits,_ZN7rocprim17ROCPRIM_400000_NS6detail17trampoline_kernelINS0_14default_configENS1_25partition_config_selectorILNS1_17partition_subalgoE9EyjbEEZZNS1_14partition_implILS5_9ELb0ES3_jN6thrust23THRUST_200600_302600_NS6detail15normal_iteratorINS9_10device_ptrIyEEEENSB_INSC_IjEEEEPNS0_10empty_typeENS0_5tupleIJNS9_16discard_iteratorINS9_11use_defaultEEESH_EEENSJ_IJSM_SI_EEENS0_18inequality_wrapperINS9_8equal_toIyEEEEPmJSH_EEE10hipError_tPvRmT3_T4_T5_T6_T7_T9_mT8_P12ihipStream_tbDpT10_ENKUlT_T0_E_clISt17integral_constantIbLb0EES1D_EEDaS18_S19_EUlS18_E_NS1_11comp_targetILNS1_3genE10ELNS1_11target_archE1200ELNS1_3gpuE4ELNS1_3repE0EEENS1_30default_config_static_selectorELNS0_4arch9wavefront6targetE0EEEvT1_,comdat
.Lfunc_end698:
	.size	_ZN7rocprim17ROCPRIM_400000_NS6detail17trampoline_kernelINS0_14default_configENS1_25partition_config_selectorILNS1_17partition_subalgoE9EyjbEEZZNS1_14partition_implILS5_9ELb0ES3_jN6thrust23THRUST_200600_302600_NS6detail15normal_iteratorINS9_10device_ptrIyEEEENSB_INSC_IjEEEEPNS0_10empty_typeENS0_5tupleIJNS9_16discard_iteratorINS9_11use_defaultEEESH_EEENSJ_IJSM_SI_EEENS0_18inequality_wrapperINS9_8equal_toIyEEEEPmJSH_EEE10hipError_tPvRmT3_T4_T5_T6_T7_T9_mT8_P12ihipStream_tbDpT10_ENKUlT_T0_E_clISt17integral_constantIbLb0EES1D_EEDaS18_S19_EUlS18_E_NS1_11comp_targetILNS1_3genE10ELNS1_11target_archE1200ELNS1_3gpuE4ELNS1_3repE0EEENS1_30default_config_static_selectorELNS0_4arch9wavefront6targetE0EEEvT1_, .Lfunc_end698-_ZN7rocprim17ROCPRIM_400000_NS6detail17trampoline_kernelINS0_14default_configENS1_25partition_config_selectorILNS1_17partition_subalgoE9EyjbEEZZNS1_14partition_implILS5_9ELb0ES3_jN6thrust23THRUST_200600_302600_NS6detail15normal_iteratorINS9_10device_ptrIyEEEENSB_INSC_IjEEEEPNS0_10empty_typeENS0_5tupleIJNS9_16discard_iteratorINS9_11use_defaultEEESH_EEENSJ_IJSM_SI_EEENS0_18inequality_wrapperINS9_8equal_toIyEEEEPmJSH_EEE10hipError_tPvRmT3_T4_T5_T6_T7_T9_mT8_P12ihipStream_tbDpT10_ENKUlT_T0_E_clISt17integral_constantIbLb0EES1D_EEDaS18_S19_EUlS18_E_NS1_11comp_targetILNS1_3genE10ELNS1_11target_archE1200ELNS1_3gpuE4ELNS1_3repE0EEENS1_30default_config_static_selectorELNS0_4arch9wavefront6targetE0EEEvT1_
                                        ; -- End function
	.section	.AMDGPU.csdata,"",@progbits
; Kernel info:
; codeLenInByte = 0
; NumSgprs: 0
; NumVgprs: 0
; ScratchSize: 0
; MemoryBound: 0
; FloatMode: 240
; IeeeMode: 1
; LDSByteSize: 0 bytes/workgroup (compile time only)
; SGPRBlocks: 0
; VGPRBlocks: 0
; NumSGPRsForWavesPerEU: 1
; NumVGPRsForWavesPerEU: 1
; Occupancy: 15
; WaveLimiterHint : 0
; COMPUTE_PGM_RSRC2:SCRATCH_EN: 0
; COMPUTE_PGM_RSRC2:USER_SGPR: 15
; COMPUTE_PGM_RSRC2:TRAP_HANDLER: 0
; COMPUTE_PGM_RSRC2:TGID_X_EN: 1
; COMPUTE_PGM_RSRC2:TGID_Y_EN: 0
; COMPUTE_PGM_RSRC2:TGID_Z_EN: 0
; COMPUTE_PGM_RSRC2:TIDIG_COMP_CNT: 0
	.section	.text._ZN7rocprim17ROCPRIM_400000_NS6detail17trampoline_kernelINS0_14default_configENS1_25partition_config_selectorILNS1_17partition_subalgoE9EyjbEEZZNS1_14partition_implILS5_9ELb0ES3_jN6thrust23THRUST_200600_302600_NS6detail15normal_iteratorINS9_10device_ptrIyEEEENSB_INSC_IjEEEEPNS0_10empty_typeENS0_5tupleIJNS9_16discard_iteratorINS9_11use_defaultEEESH_EEENSJ_IJSM_SI_EEENS0_18inequality_wrapperINS9_8equal_toIyEEEEPmJSH_EEE10hipError_tPvRmT3_T4_T5_T6_T7_T9_mT8_P12ihipStream_tbDpT10_ENKUlT_T0_E_clISt17integral_constantIbLb0EES1D_EEDaS18_S19_EUlS18_E_NS1_11comp_targetILNS1_3genE9ELNS1_11target_archE1100ELNS1_3gpuE3ELNS1_3repE0EEENS1_30default_config_static_selectorELNS0_4arch9wavefront6targetE0EEEvT1_,"axG",@progbits,_ZN7rocprim17ROCPRIM_400000_NS6detail17trampoline_kernelINS0_14default_configENS1_25partition_config_selectorILNS1_17partition_subalgoE9EyjbEEZZNS1_14partition_implILS5_9ELb0ES3_jN6thrust23THRUST_200600_302600_NS6detail15normal_iteratorINS9_10device_ptrIyEEEENSB_INSC_IjEEEEPNS0_10empty_typeENS0_5tupleIJNS9_16discard_iteratorINS9_11use_defaultEEESH_EEENSJ_IJSM_SI_EEENS0_18inequality_wrapperINS9_8equal_toIyEEEEPmJSH_EEE10hipError_tPvRmT3_T4_T5_T6_T7_T9_mT8_P12ihipStream_tbDpT10_ENKUlT_T0_E_clISt17integral_constantIbLb0EES1D_EEDaS18_S19_EUlS18_E_NS1_11comp_targetILNS1_3genE9ELNS1_11target_archE1100ELNS1_3gpuE3ELNS1_3repE0EEENS1_30default_config_static_selectorELNS0_4arch9wavefront6targetE0EEEvT1_,comdat
	.protected	_ZN7rocprim17ROCPRIM_400000_NS6detail17trampoline_kernelINS0_14default_configENS1_25partition_config_selectorILNS1_17partition_subalgoE9EyjbEEZZNS1_14partition_implILS5_9ELb0ES3_jN6thrust23THRUST_200600_302600_NS6detail15normal_iteratorINS9_10device_ptrIyEEEENSB_INSC_IjEEEEPNS0_10empty_typeENS0_5tupleIJNS9_16discard_iteratorINS9_11use_defaultEEESH_EEENSJ_IJSM_SI_EEENS0_18inequality_wrapperINS9_8equal_toIyEEEEPmJSH_EEE10hipError_tPvRmT3_T4_T5_T6_T7_T9_mT8_P12ihipStream_tbDpT10_ENKUlT_T0_E_clISt17integral_constantIbLb0EES1D_EEDaS18_S19_EUlS18_E_NS1_11comp_targetILNS1_3genE9ELNS1_11target_archE1100ELNS1_3gpuE3ELNS1_3repE0EEENS1_30default_config_static_selectorELNS0_4arch9wavefront6targetE0EEEvT1_ ; -- Begin function _ZN7rocprim17ROCPRIM_400000_NS6detail17trampoline_kernelINS0_14default_configENS1_25partition_config_selectorILNS1_17partition_subalgoE9EyjbEEZZNS1_14partition_implILS5_9ELb0ES3_jN6thrust23THRUST_200600_302600_NS6detail15normal_iteratorINS9_10device_ptrIyEEEENSB_INSC_IjEEEEPNS0_10empty_typeENS0_5tupleIJNS9_16discard_iteratorINS9_11use_defaultEEESH_EEENSJ_IJSM_SI_EEENS0_18inequality_wrapperINS9_8equal_toIyEEEEPmJSH_EEE10hipError_tPvRmT3_T4_T5_T6_T7_T9_mT8_P12ihipStream_tbDpT10_ENKUlT_T0_E_clISt17integral_constantIbLb0EES1D_EEDaS18_S19_EUlS18_E_NS1_11comp_targetILNS1_3genE9ELNS1_11target_archE1100ELNS1_3gpuE3ELNS1_3repE0EEENS1_30default_config_static_selectorELNS0_4arch9wavefront6targetE0EEEvT1_
	.globl	_ZN7rocprim17ROCPRIM_400000_NS6detail17trampoline_kernelINS0_14default_configENS1_25partition_config_selectorILNS1_17partition_subalgoE9EyjbEEZZNS1_14partition_implILS5_9ELb0ES3_jN6thrust23THRUST_200600_302600_NS6detail15normal_iteratorINS9_10device_ptrIyEEEENSB_INSC_IjEEEEPNS0_10empty_typeENS0_5tupleIJNS9_16discard_iteratorINS9_11use_defaultEEESH_EEENSJ_IJSM_SI_EEENS0_18inequality_wrapperINS9_8equal_toIyEEEEPmJSH_EEE10hipError_tPvRmT3_T4_T5_T6_T7_T9_mT8_P12ihipStream_tbDpT10_ENKUlT_T0_E_clISt17integral_constantIbLb0EES1D_EEDaS18_S19_EUlS18_E_NS1_11comp_targetILNS1_3genE9ELNS1_11target_archE1100ELNS1_3gpuE3ELNS1_3repE0EEENS1_30default_config_static_selectorELNS0_4arch9wavefront6targetE0EEEvT1_
	.p2align	8
	.type	_ZN7rocprim17ROCPRIM_400000_NS6detail17trampoline_kernelINS0_14default_configENS1_25partition_config_selectorILNS1_17partition_subalgoE9EyjbEEZZNS1_14partition_implILS5_9ELb0ES3_jN6thrust23THRUST_200600_302600_NS6detail15normal_iteratorINS9_10device_ptrIyEEEENSB_INSC_IjEEEEPNS0_10empty_typeENS0_5tupleIJNS9_16discard_iteratorINS9_11use_defaultEEESH_EEENSJ_IJSM_SI_EEENS0_18inequality_wrapperINS9_8equal_toIyEEEEPmJSH_EEE10hipError_tPvRmT3_T4_T5_T6_T7_T9_mT8_P12ihipStream_tbDpT10_ENKUlT_T0_E_clISt17integral_constantIbLb0EES1D_EEDaS18_S19_EUlS18_E_NS1_11comp_targetILNS1_3genE9ELNS1_11target_archE1100ELNS1_3gpuE3ELNS1_3repE0EEENS1_30default_config_static_selectorELNS0_4arch9wavefront6targetE0EEEvT1_,@function
_ZN7rocprim17ROCPRIM_400000_NS6detail17trampoline_kernelINS0_14default_configENS1_25partition_config_selectorILNS1_17partition_subalgoE9EyjbEEZZNS1_14partition_implILS5_9ELb0ES3_jN6thrust23THRUST_200600_302600_NS6detail15normal_iteratorINS9_10device_ptrIyEEEENSB_INSC_IjEEEEPNS0_10empty_typeENS0_5tupleIJNS9_16discard_iteratorINS9_11use_defaultEEESH_EEENSJ_IJSM_SI_EEENS0_18inequality_wrapperINS9_8equal_toIyEEEEPmJSH_EEE10hipError_tPvRmT3_T4_T5_T6_T7_T9_mT8_P12ihipStream_tbDpT10_ENKUlT_T0_E_clISt17integral_constantIbLb0EES1D_EEDaS18_S19_EUlS18_E_NS1_11comp_targetILNS1_3genE9ELNS1_11target_archE1100ELNS1_3gpuE3ELNS1_3repE0EEENS1_30default_config_static_selectorELNS0_4arch9wavefront6targetE0EEEvT1_: ; @_ZN7rocprim17ROCPRIM_400000_NS6detail17trampoline_kernelINS0_14default_configENS1_25partition_config_selectorILNS1_17partition_subalgoE9EyjbEEZZNS1_14partition_implILS5_9ELb0ES3_jN6thrust23THRUST_200600_302600_NS6detail15normal_iteratorINS9_10device_ptrIyEEEENSB_INSC_IjEEEEPNS0_10empty_typeENS0_5tupleIJNS9_16discard_iteratorINS9_11use_defaultEEESH_EEENSJ_IJSM_SI_EEENS0_18inequality_wrapperINS9_8equal_toIyEEEEPmJSH_EEE10hipError_tPvRmT3_T4_T5_T6_T7_T9_mT8_P12ihipStream_tbDpT10_ENKUlT_T0_E_clISt17integral_constantIbLb0EES1D_EEDaS18_S19_EUlS18_E_NS1_11comp_targetILNS1_3genE9ELNS1_11target_archE1100ELNS1_3gpuE3ELNS1_3repE0EEENS1_30default_config_static_selectorELNS0_4arch9wavefront6targetE0EEEvT1_
; %bb.0:
	s_clause 0x4
	s_load_b128 s[4:7], s[0:1], 0x8
	s_load_b32 s14, s[0:1], 0x78
	s_load_b128 s[16:19], s[0:1], 0x50
	s_load_b64 s[2:3], s[0:1], 0x60
	s_load_b64 s[12:13], s[0:1], 0x18
	s_mov_b32 s9, 0
	v_lshlrev_b32_e32 v29, 3, v0
	v_lshrrev_b32_e32 v24, 2, v0
	v_or_b32_e32 v21, 0x200, v0
	v_or_b32_e32 v20, 0x400, v0
	;; [unrolled: 1-line block ×7, first 2 shown]
	s_waitcnt lgkmcnt(0)
	s_lshl_b64 s[10:11], s[6:7], 3
	s_delay_alu instid0(SALU_CYCLE_1)
	s_add_u32 s21, s4, s10
	s_addc_u32 s22, s5, s11
	s_add_i32 s20, s14, -1
	s_load_b64 s[10:11], s[18:19], 0x0
	s_lshl_b32 s4, s20, 12
	s_lshl_b32 s5, s14, 12
	s_add_i32 s4, s6, s4
	s_lshl_b32 s8, s15, 12
	s_sub_i32 s18, s2, s4
	s_add_u32 s4, s6, s5
	s_addc_u32 s5, s7, 0
	s_cmp_eq_u32 s15, s20
	v_cmp_ge_u64_e64 s2, s[4:5], s[2:3]
	s_cselect_b32 s14, -1, 0
	s_mov_b32 s5, -1
	s_delay_alu instid0(VALU_DEP_1)
	s_and_b32 s19, s14, s2
	s_lshl_b64 s[2:3], s[8:9], 3
	s_xor_b32 s20, s19, -1
	s_add_u32 s4, s21, s2
	s_addc_u32 s3, s22, s3
	s_and_b32 vcc_lo, exec_lo, s20
	s_cbranch_vccz .LBB699_2
; %bb.1:
	v_add_co_u32 v1, s2, s4, v29
	s_delay_alu instid0(VALU_DEP_1) | instskip(SKIP_1) | instid1(VALU_DEP_3)
	v_add_co_ci_u32_e64 v2, null, s3, 0, s2
	v_lshrrev_b32_e32 v26, 2, v21
	v_add_co_u32 v3, vcc_lo, 0x1000, v1
	s_delay_alu instid0(VALU_DEP_3)
	v_add_co_ci_u32_e32 v4, vcc_lo, 0, v2, vcc_lo
	v_add_co_u32 v5, vcc_lo, 0x2000, v1
	v_add_co_ci_u32_e32 v6, vcc_lo, 0, v2, vcc_lo
	v_add_co_u32 v7, vcc_lo, 0x3000, v1
	;; [unrolled: 2-line block ×6, first 2 shown]
	v_add_co_ci_u32_e32 v16, vcc_lo, 0, v2, vcc_lo
	s_clause 0x7
	flat_load_b64 v[1:2], v[1:2]
	flat_load_b64 v[3:4], v[3:4]
	;; [unrolled: 1-line block ×8, first 2 shown]
	v_lshrrev_b32_e32 v27, 2, v20
	v_lshrrev_b32_e32 v28, 2, v23
	;; [unrolled: 1-line block ×3, first 2 shown]
	v_and_b32_e32 v25, 0x78, v24
	v_lshrrev_b32_e32 v31, 2, v18
	v_lshrrev_b32_e32 v32, 2, v17
	;; [unrolled: 1-line block ×3, first 2 shown]
	v_and_b32_e32 v26, 0xf8, v26
	v_and_b32_e32 v27, 0x178, v27
	v_and_b32_e32 v28, 0x1f8, v28
	v_and_b32_e32 v30, 0x278, v30
	v_add_nc_u32_e32 v25, v25, v29
	v_and_b32_e32 v31, 0x2f8, v31
	v_and_b32_e32 v32, 0x378, v32
	;; [unrolled: 1-line block ×3, first 2 shown]
	v_add_nc_u32_e32 v26, v26, v29
	v_add_nc_u32_e32 v27, v27, v29
	;; [unrolled: 1-line block ×4, first 2 shown]
	s_mov_b32 s5, s9
	v_add_nc_u32_e32 v31, v31, v29
	v_add_nc_u32_e32 v32, v32, v29
	;; [unrolled: 1-line block ×3, first 2 shown]
	s_waitcnt vmcnt(7) lgkmcnt(0)
	ds_store_b64 v25, v[1:2]
	s_waitcnt vmcnt(6)
	ds_store_b64 v26, v[3:4] offset:4096
	s_waitcnt vmcnt(5)
	ds_store_b64 v27, v[5:6] offset:8192
	;; [unrolled: 2-line block ×7, first 2 shown]
	s_waitcnt lgkmcnt(0)
	s_barrier
.LBB699_2:
	v_cmp_gt_u32_e64 s2, s18, v0
	s_and_not1_b32 vcc_lo, exec_lo, s5
	s_cbranch_vccnz .LBB699_20
; %bb.3:
                                        ; implicit-def: $vgpr1_vgpr2_vgpr3_vgpr4_vgpr5_vgpr6_vgpr7_vgpr8_vgpr9_vgpr10_vgpr11_vgpr12_vgpr13_vgpr14_vgpr15_vgpr16
	s_delay_alu instid0(VALU_DEP_1)
	s_and_saveexec_b32 s5, s2
	s_cbranch_execz .LBB699_11
; %bb.4:
	v_add_co_u32 v1, s2, s4, v29
	s_delay_alu instid0(VALU_DEP_1) | instskip(SKIP_2) | instid1(SALU_CYCLE_1)
	v_add_co_ci_u32_e64 v2, null, s3, 0, s2
	flat_load_b64 v[1:2], v[1:2]
	s_or_b32 exec_lo, exec_lo, s5
	s_mov_b32 s2, exec_lo
	v_cmpx_gt_u32_e64 s18, v21
	s_cbranch_execnz .LBB699_12
.LBB699_5:
	s_or_b32 exec_lo, exec_lo, s2
	s_delay_alu instid0(SALU_CYCLE_1)
	s_mov_b32 s2, exec_lo
	v_cmpx_gt_u32_e64 s18, v20
	s_cbranch_execz .LBB699_13
.LBB699_6:
	v_lshlrev_b32_e32 v5, 3, v20
	s_delay_alu instid0(VALU_DEP_1) | instskip(NEXT) | instid1(VALU_DEP_1)
	v_add_co_u32 v5, s5, s4, v5
	v_add_co_ci_u32_e64 v6, null, s3, 0, s5
	flat_load_b64 v[5:6], v[5:6]
	s_or_b32 exec_lo, exec_lo, s2
	s_delay_alu instid0(SALU_CYCLE_1)
	s_mov_b32 s2, exec_lo
	v_cmpx_gt_u32_e64 s18, v23
	s_cbranch_execnz .LBB699_14
.LBB699_7:
	s_or_b32 exec_lo, exec_lo, s2
	s_delay_alu instid0(SALU_CYCLE_1)
	s_mov_b32 s2, exec_lo
	v_cmpx_gt_u32_e64 s18, v22
	s_cbranch_execz .LBB699_15
.LBB699_8:
	v_lshlrev_b32_e32 v9, 3, v22
	s_delay_alu instid0(VALU_DEP_1) | instskip(NEXT) | instid1(VALU_DEP_1)
	v_add_co_u32 v9, s5, s4, v9
	v_add_co_ci_u32_e64 v10, null, s3, 0, s5
	flat_load_b64 v[9:10], v[9:10]
	s_or_b32 exec_lo, exec_lo, s2
	s_delay_alu instid0(SALU_CYCLE_1)
	s_mov_b32 s2, exec_lo
	v_cmpx_gt_u32_e64 s18, v18
	s_cbranch_execnz .LBB699_16
.LBB699_9:
	s_or_b32 exec_lo, exec_lo, s2
	s_delay_alu instid0(SALU_CYCLE_1)
	s_mov_b32 s2, exec_lo
	v_cmpx_gt_u32_e64 s18, v17
	s_cbranch_execz .LBB699_17
.LBB699_10:
	v_lshlrev_b32_e32 v13, 3, v17
	s_delay_alu instid0(VALU_DEP_1) | instskip(NEXT) | instid1(VALU_DEP_1)
	v_add_co_u32 v13, s5, s4, v13
	v_add_co_ci_u32_e64 v14, null, s3, 0, s5
	flat_load_b64 v[13:14], v[13:14]
	s_or_b32 exec_lo, exec_lo, s2
	s_delay_alu instid0(SALU_CYCLE_1)
	s_mov_b32 s2, exec_lo
	v_cmpx_gt_u32_e64 s18, v19
	s_cbranch_execnz .LBB699_18
	s_branch .LBB699_19
.LBB699_11:
	s_or_b32 exec_lo, exec_lo, s5
	s_delay_alu instid0(SALU_CYCLE_1)
	s_mov_b32 s2, exec_lo
	v_cmpx_gt_u32_e64 s18, v21
	s_cbranch_execz .LBB699_5
.LBB699_12:
	v_lshlrev_b32_e32 v3, 3, v21
	s_delay_alu instid0(VALU_DEP_1) | instskip(NEXT) | instid1(VALU_DEP_1)
	v_add_co_u32 v3, s5, s4, v3
	v_add_co_ci_u32_e64 v4, null, s3, 0, s5
	flat_load_b64 v[3:4], v[3:4]
	s_or_b32 exec_lo, exec_lo, s2
	s_delay_alu instid0(SALU_CYCLE_1)
	s_mov_b32 s2, exec_lo
	v_cmpx_gt_u32_e64 s18, v20
	s_cbranch_execnz .LBB699_6
.LBB699_13:
	s_or_b32 exec_lo, exec_lo, s2
	s_delay_alu instid0(SALU_CYCLE_1)
	s_mov_b32 s2, exec_lo
	v_cmpx_gt_u32_e64 s18, v23
	s_cbranch_execz .LBB699_7
.LBB699_14:
	v_lshlrev_b32_e32 v7, 3, v23
	s_delay_alu instid0(VALU_DEP_1) | instskip(NEXT) | instid1(VALU_DEP_1)
	v_add_co_u32 v7, s5, s4, v7
	v_add_co_ci_u32_e64 v8, null, s3, 0, s5
	flat_load_b64 v[7:8], v[7:8]
	s_or_b32 exec_lo, exec_lo, s2
	s_delay_alu instid0(SALU_CYCLE_1)
	s_mov_b32 s2, exec_lo
	v_cmpx_gt_u32_e64 s18, v22
	s_cbranch_execnz .LBB699_8
.LBB699_15:
	s_or_b32 exec_lo, exec_lo, s2
	s_delay_alu instid0(SALU_CYCLE_1)
	s_mov_b32 s2, exec_lo
	v_cmpx_gt_u32_e64 s18, v18
	s_cbranch_execz .LBB699_9
.LBB699_16:
	v_lshlrev_b32_e32 v11, 3, v18
	s_delay_alu instid0(VALU_DEP_1) | instskip(NEXT) | instid1(VALU_DEP_1)
	v_add_co_u32 v11, s5, s4, v11
	v_add_co_ci_u32_e64 v12, null, s3, 0, s5
	flat_load_b64 v[11:12], v[11:12]
	s_or_b32 exec_lo, exec_lo, s2
	s_delay_alu instid0(SALU_CYCLE_1)
	s_mov_b32 s2, exec_lo
	v_cmpx_gt_u32_e64 s18, v17
	s_cbranch_execnz .LBB699_10
.LBB699_17:
	s_or_b32 exec_lo, exec_lo, s2
	s_delay_alu instid0(SALU_CYCLE_1)
	s_mov_b32 s2, exec_lo
	v_cmpx_gt_u32_e64 s18, v19
	s_cbranch_execz .LBB699_19
.LBB699_18:
	v_lshlrev_b32_e32 v15, 3, v19
	s_delay_alu instid0(VALU_DEP_1) | instskip(NEXT) | instid1(VALU_DEP_1)
	v_add_co_u32 v15, s5, s4, v15
	v_add_co_ci_u32_e64 v16, null, s3, 0, s5
	flat_load_b64 v[15:16], v[15:16]
.LBB699_19:
	s_or_b32 exec_lo, exec_lo, s2
	v_lshrrev_b32_e32 v25, 2, v21
	v_lshrrev_b32_e32 v26, 2, v20
	;; [unrolled: 1-line block ×4, first 2 shown]
	v_and_b32_e32 v27, 0x78, v24
	v_lshrrev_b32_e32 v31, 2, v18
	v_lshrrev_b32_e32 v32, 2, v17
	;; [unrolled: 1-line block ×3, first 2 shown]
	v_and_b32_e32 v25, 0xf8, v25
	v_and_b32_e32 v26, 0x1f8, v26
	;; [unrolled: 1-line block ×4, first 2 shown]
	v_add_nc_u32_e32 v27, v27, v29
	v_and_b32_e32 v31, 0x3f8, v31
	v_and_b32_e32 v32, 0x3f8, v32
	;; [unrolled: 1-line block ×3, first 2 shown]
	v_add_nc_u32_e32 v25, v25, v29
	v_add_nc_u32_e32 v26, v26, v29
	;; [unrolled: 1-line block ×7, first 2 shown]
	s_waitcnt vmcnt(0) lgkmcnt(0)
	ds_store_b64 v27, v[1:2]
	ds_store_b64 v25, v[3:4] offset:4096
	ds_store_b64 v26, v[5:6] offset:8192
	;; [unrolled: 1-line block ×7, first 2 shown]
	s_waitcnt lgkmcnt(0)
	s_barrier
.LBB699_20:
	v_add_nc_u32_e32 v24, v24, v29
	s_waitcnt lgkmcnt(0)
	buffer_gl0_inv
	s_lshl_b64 s[22:23], s[6:7], 2
	v_lshrrev_b32_e32 v26, 3, v0
	s_add_u32 s2, s12, s22
	v_lshlrev_b32_e32 v25, 3, v24
	s_addc_u32 s5, s13, s23
	s_lshl_b64 s[8:9], s[8:9], 2
	ds_load_2addr_b64 v[13:16], v25 offset1:1
	ds_load_2addr_b64 v[9:12], v25 offset0:2 offset1:3
	ds_load_2addr_b64 v[5:8], v25 offset0:4 offset1:5
	;; [unrolled: 1-line block ×3, first 2 shown]
	s_add_u32 s2, s2, s8
	s_addc_u32 s5, s5, s9
	s_and_b32 vcc_lo, exec_lo, s20
	s_mov_b32 s8, -1
	s_waitcnt lgkmcnt(0)
	s_barrier
	buffer_gl0_inv
	s_cbranch_vccz .LBB699_22
; %bb.21:
	v_lshlrev_b32_e32 v36, 2, v0
	v_lshrrev_b32_e32 v38, 3, v21
	v_lshrrev_b32_e32 v39, 3, v20
	;; [unrolled: 1-line block ×4, first 2 shown]
	v_add_co_u32 v27, s8, s2, v36
	s_delay_alu instid0(VALU_DEP_1) | instskip(SKIP_1) | instid1(VALU_DEP_3)
	v_add_co_ci_u32_e64 v28, null, s5, 0, s8
	v_lshrrev_b32_e32 v42, 3, v18
	v_add_co_u32 v30, vcc_lo, 0x1000, v27
	s_delay_alu instid0(VALU_DEP_3)
	v_add_co_ci_u32_e32 v31, vcc_lo, 0, v28, vcc_lo
	v_add_co_u32 v32, vcc_lo, 0x2000, v27
	v_add_co_ci_u32_e32 v33, vcc_lo, 0, v28, vcc_lo
	v_add_co_u32 v34, vcc_lo, 0x3000, v27
	v_add_co_ci_u32_e32 v35, vcc_lo, 0, v28, vcc_lo
	s_clause 0x7
	flat_load_b32 v37, v[27:28]
	flat_load_b32 v27, v[27:28] offset:2048
	flat_load_b32 v28, v[30:31]
	flat_load_b32 v30, v[30:31] offset:2048
	;; [unrolled: 2-line block ×4, first 2 shown]
	v_and_b32_e32 v35, 60, v26
	v_lshrrev_b32_e32 v43, 3, v17
	v_lshrrev_b32_e32 v44, 3, v19
	v_and_b32_e32 v38, 0x7c, v38
	v_and_b32_e32 v39, 0xbc, v39
	;; [unrolled: 1-line block ×4, first 2 shown]
	v_add_nc_u32_e32 v35, v35, v36
	v_and_b32_e32 v42, 0x17c, v42
	v_and_b32_e32 v43, 0x1bc, v43
	;; [unrolled: 1-line block ×3, first 2 shown]
	v_add_nc_u32_e32 v38, v38, v36
	v_add_nc_u32_e32 v39, v39, v36
	v_add_nc_u32_e32 v40, v40, v36
	v_add_nc_u32_e32 v41, v41, v36
	s_mov_b32 s8, 0
	v_add_nc_u32_e32 v42, v42, v36
	v_add_nc_u32_e32 v43, v43, v36
	v_add_nc_u32_e32 v36, v44, v36
	s_waitcnt vmcnt(7) lgkmcnt(7)
	ds_store_b32 v35, v37
	s_waitcnt vmcnt(6) lgkmcnt(7)
	ds_store_b32 v38, v27 offset:2048
	s_waitcnt vmcnt(5) lgkmcnt(7)
	ds_store_b32 v39, v28 offset:4096
	;; [unrolled: 2-line block ×7, first 2 shown]
	s_waitcnt lgkmcnt(0)
	s_barrier
.LBB699_22:
	s_and_not1_b32 vcc_lo, exec_lo, s8
	s_cbranch_vccnz .LBB699_40
; %bb.23:
	s_mov_b32 s8, exec_lo
                                        ; implicit-def: $vgpr27
	v_cmpx_gt_u32_e64 s18, v0
	s_cbranch_execz .LBB699_25
; %bb.24:
	v_lshlrev_b32_e32 v27, 2, v0
	s_delay_alu instid0(VALU_DEP_1) | instskip(NEXT) | instid1(VALU_DEP_1)
	v_add_co_u32 v27, s9, s2, v27
	v_add_co_ci_u32_e64 v28, null, s5, 0, s9
	flat_load_b32 v27, v[27:28]
.LBB699_25:
	s_or_b32 exec_lo, exec_lo, s8
	s_delay_alu instid0(SALU_CYCLE_1)
	s_mov_b32 s8, exec_lo
                                        ; implicit-def: $vgpr28
	v_cmpx_gt_u32_e64 s18, v21
	s_cbranch_execz .LBB699_27
; %bb.26:
	v_lshlrev_b32_e32 v28, 2, v0
	s_delay_alu instid0(VALU_DEP_1) | instskip(NEXT) | instid1(VALU_DEP_1)
	v_add_co_u32 v30, s9, s2, v28
	v_add_co_ci_u32_e64 v31, null, s5, 0, s9
	flat_load_b32 v28, v[30:31] offset:2048
.LBB699_27:
	s_or_b32 exec_lo, exec_lo, s8
	s_delay_alu instid0(SALU_CYCLE_1)
	s_mov_b32 s8, exec_lo
                                        ; implicit-def: $vgpr30
	v_cmpx_gt_u32_e64 s18, v20
	s_cbranch_execz .LBB699_29
; %bb.28:
	v_lshlrev_b32_e32 v30, 2, v20
	s_delay_alu instid0(VALU_DEP_1) | instskip(NEXT) | instid1(VALU_DEP_1)
	v_add_co_u32 v30, s9, s2, v30
	v_add_co_ci_u32_e64 v31, null, s5, 0, s9
	flat_load_b32 v30, v[30:31]
.LBB699_29:
	s_or_b32 exec_lo, exec_lo, s8
	s_delay_alu instid0(SALU_CYCLE_1)
	s_mov_b32 s8, exec_lo
                                        ; implicit-def: $vgpr31
	v_cmpx_gt_u32_e64 s18, v23
	s_cbranch_execz .LBB699_31
; %bb.30:
	v_lshlrev_b32_e32 v31, 2, v23
	s_delay_alu instid0(VALU_DEP_1) | instskip(NEXT) | instid1(VALU_DEP_1)
	v_add_co_u32 v31, s9, s2, v31
	v_add_co_ci_u32_e64 v32, null, s5, 0, s9
	flat_load_b32 v31, v[31:32]
.LBB699_31:
	s_or_b32 exec_lo, exec_lo, s8
	s_delay_alu instid0(SALU_CYCLE_1)
	s_mov_b32 s8, exec_lo
                                        ; implicit-def: $vgpr32
	v_cmpx_gt_u32_e64 s18, v22
	s_cbranch_execz .LBB699_33
; %bb.32:
	v_lshlrev_b32_e32 v32, 2, v22
	s_delay_alu instid0(VALU_DEP_1) | instskip(NEXT) | instid1(VALU_DEP_1)
	v_add_co_u32 v32, s9, s2, v32
	v_add_co_ci_u32_e64 v33, null, s5, 0, s9
	flat_load_b32 v32, v[32:33]
.LBB699_33:
	s_or_b32 exec_lo, exec_lo, s8
	s_delay_alu instid0(SALU_CYCLE_1)
	s_mov_b32 s8, exec_lo
                                        ; implicit-def: $vgpr33
	v_cmpx_gt_u32_e64 s18, v18
	s_cbranch_execz .LBB699_35
; %bb.34:
	v_lshlrev_b32_e32 v33, 2, v18
	s_delay_alu instid0(VALU_DEP_1) | instskip(NEXT) | instid1(VALU_DEP_1)
	v_add_co_u32 v33, s9, s2, v33
	v_add_co_ci_u32_e64 v34, null, s5, 0, s9
	flat_load_b32 v33, v[33:34]
.LBB699_35:
	s_or_b32 exec_lo, exec_lo, s8
	s_delay_alu instid0(SALU_CYCLE_1)
	s_mov_b32 s8, exec_lo
                                        ; implicit-def: $vgpr34
	v_cmpx_gt_u32_e64 s18, v17
	s_cbranch_execz .LBB699_37
; %bb.36:
	v_lshlrev_b32_e32 v34, 2, v17
	s_delay_alu instid0(VALU_DEP_1) | instskip(NEXT) | instid1(VALU_DEP_1)
	v_add_co_u32 v34, s9, s2, v34
	v_add_co_ci_u32_e64 v35, null, s5, 0, s9
	flat_load_b32 v34, v[34:35]
.LBB699_37:
	s_or_b32 exec_lo, exec_lo, s8
	s_delay_alu instid0(SALU_CYCLE_1)
	s_mov_b32 s8, exec_lo
                                        ; implicit-def: $vgpr35
	v_cmpx_gt_u32_e64 s18, v19
	s_cbranch_execz .LBB699_39
; %bb.38:
	v_lshlrev_b32_e32 v35, 2, v19
	s_delay_alu instid0(VALU_DEP_1) | instskip(NEXT) | instid1(VALU_DEP_1)
	v_add_co_u32 v35, s2, s2, v35
	v_add_co_ci_u32_e64 v36, null, s5, 0, s2
	flat_load_b32 v35, v[35:36]
.LBB699_39:
	s_or_b32 exec_lo, exec_lo, s8
	v_lshrrev_b32_e32 v21, 3, v21
	v_lshrrev_b32_e32 v20, 3, v20
	;; [unrolled: 1-line block ×4, first 2 shown]
	v_and_b32_e32 v26, 60, v26
	v_lshlrev_b32_e32 v36, 2, v0
	v_lshrrev_b32_e32 v18, 3, v18
	v_lshrrev_b32_e32 v17, 3, v17
	;; [unrolled: 1-line block ×3, first 2 shown]
	v_and_b32_e32 v21, 0x7c, v21
	v_and_b32_e32 v20, 0xfc, v20
	;; [unrolled: 1-line block ×4, first 2 shown]
	v_add_nc_u32_e32 v26, v26, v36
	v_and_b32_e32 v18, 0x1fc, v18
	v_and_b32_e32 v17, 0x1fc, v17
	;; [unrolled: 1-line block ×3, first 2 shown]
	v_add_nc_u32_e32 v21, v21, v36
	v_add_nc_u32_e32 v20, v20, v36
	v_add_nc_u32_e32 v23, v23, v36
	v_add_nc_u32_e32 v22, v22, v36
	v_add_nc_u32_e32 v18, v18, v36
	v_add_nc_u32_e32 v17, v17, v36
	v_add_nc_u32_e32 v19, v19, v36
	s_waitcnt vmcnt(0) lgkmcnt(0)
	ds_store_b32 v26, v27
	ds_store_b32 v21, v28 offset:2048
	ds_store_b32 v20, v30 offset:4096
	ds_store_b32 v23, v31 offset:6144
	ds_store_b32 v22, v32 offset:8192
	ds_store_b32 v18, v33 offset:10240
	ds_store_b32 v17, v34 offset:12288
	ds_store_b32 v19, v35 offset:14336
	s_waitcnt lgkmcnt(0)
	s_barrier
.LBB699_40:
	v_lshlrev_b32_e32 v17, 2, v24
	buffer_gl0_inv
	s_cmp_lg_u32 s15, 0
	s_mov_b32 s9, 0
	s_cselect_b32 s12, -1, 0
	v_sub_nc_u32_e32 v17, v25, v17
	s_cmp_lg_u64 s[6:7], 0
	ds_load_2addr_b32 v[23:24], v17 offset1:1
	ds_load_2addr_b32 v[21:22], v17 offset0:2 offset1:3
	ds_load_2addr_b32 v[19:20], v17 offset0:4 offset1:5
	;; [unrolled: 1-line block ×3, first 2 shown]
	s_cselect_b32 s2, -1, 0
	s_waitcnt lgkmcnt(0)
	s_or_b32 s2, s12, s2
	s_barrier
	s_and_b32 vcc_lo, exec_lo, s2
	buffer_gl0_inv
	s_cbranch_vccz .LBB699_45
; %bb.41:
	v_add_co_u32 v25, s2, -8, s4
	s_delay_alu instid0(VALU_DEP_1)
	v_add_co_ci_u32_e64 v26, null, -1, s3, s2
	s_mov_b32 s3, -1
	s_and_b32 vcc_lo, exec_lo, s20
	flat_load_b64 v[27:28], v[25:26]
	ds_store_b64 v29, v[3:4]
	s_cbranch_vccz .LBB699_46
; %bb.42:
	s_waitcnt vmcnt(0) lgkmcnt(1)
	v_dual_mov_b32 v25, v27 :: v_dual_mov_b32 v26, v28
	s_mov_b32 s3, 0
	s_mov_b32 s2, exec_lo
	s_waitcnt lgkmcnt(0)
	s_barrier
	buffer_gl0_inv
	v_cmpx_ne_u32_e32 0, v0
	s_cbranch_execz .LBB699_44
; %bb.43:
	v_add_nc_u32_e32 v25, -8, v29
	ds_load_b64 v[25:26], v25
.LBB699_44:
	s_or_b32 exec_lo, exec_lo, s2
	v_cmp_ne_u64_e32 vcc_lo, v[1:2], v[3:4]
	s_waitcnt lgkmcnt(0)
	v_cmp_ne_u64_e64 s2, v[25:26], v[13:14]
	v_cndmask_b32_e64 v30, 0, 1, vcc_lo
	v_cmp_ne_u64_e32 vcc_lo, v[7:8], v[1:2]
	s_delay_alu instid0(VALU_DEP_2) | instskip(SKIP_2) | instid1(VALU_DEP_2)
	v_lshlrev_b16 v30, 8, v30
	v_cndmask_b32_e64 v31, 0, 1, vcc_lo
	v_cmp_ne_u64_e32 vcc_lo, v[5:6], v[7:8]
	v_or_b32_e32 v30, v31, v30
	v_cndmask_b32_e64 v32, 0, 1, vcc_lo
	v_cmp_ne_u64_e32 vcc_lo, v[9:10], v[11:12]
	s_delay_alu instid0(VALU_DEP_3) | instskip(NEXT) | instid1(VALU_DEP_3)
	v_lshlrev_b32_e32 v30, 16, v30
	v_lshlrev_b16 v32, 8, v32
	v_cndmask_b32_e64 v33, 0, 1, vcc_lo
	v_cmp_ne_u64_e32 vcc_lo, v[11:12], v[5:6]
	s_delay_alu instid0(VALU_DEP_2) | instskip(SKIP_2) | instid1(VALU_DEP_2)
	v_lshlrev_b16 v33, 8, v33
	v_cndmask_b32_e64 v34, 0, 1, vcc_lo
	v_cmp_ne_u64_e32 vcc_lo, v[15:16], v[9:10]
	v_or_b32_e32 v32, v34, v32
	v_cndmask_b32_e64 v35, 0, 1, vcc_lo
	v_cmp_ne_u64_e32 vcc_lo, v[13:14], v[15:16]
	s_delay_alu instid0(VALU_DEP_3) | instskip(NEXT) | instid1(VALU_DEP_3)
	v_and_b32_e32 v32, 0xffff, v32
	v_or_b32_e32 v33, v35, v33
	v_cndmask_b32_e64 v36, 0, 1, vcc_lo
	s_delay_alu instid0(VALU_DEP_3) | instskip(NEXT) | instid1(VALU_DEP_3)
	v_or_b32_e32 v26, v32, v30
	v_lshlrev_b32_e32 v31, 16, v33
	s_delay_alu instid0(VALU_DEP_3) | instskip(NEXT) | instid1(VALU_DEP_1)
	v_lshlrev_b16 v35, 8, v36
	v_and_b32_e32 v33, 0xffff, v35
	s_delay_alu instid0(VALU_DEP_1)
	v_or_b32_e32 v25, v33, v31
	s_and_b32 vcc_lo, exec_lo, s3
	s_cbranch_vccnz .LBB699_47
	s_branch .LBB699_50
.LBB699_45:
                                        ; implicit-def: $sgpr2
                                        ; implicit-def: $vgpr26
	s_branch .LBB699_51
.LBB699_46:
                                        ; implicit-def: $sgpr2
                                        ; implicit-def: $vgpr26
	s_and_b32 vcc_lo, exec_lo, s3
	s_cbranch_vccz .LBB699_50
.LBB699_47:
	s_mov_b32 s2, exec_lo
	s_waitcnt vmcnt(0) lgkmcnt(0)
	s_barrier
	buffer_gl0_inv
	v_cmpx_ne_u32_e32 0, v0
	s_cbranch_execz .LBB699_49
; %bb.48:
	v_add_nc_u32_e32 v25, -8, v29
	ds_load_b64 v[27:28], v25
.LBB699_49:
	s_or_b32 exec_lo, exec_lo, s2
	v_or_b32_e32 v25, 7, v29
	v_or_b32_e32 v26, 6, v29
	v_cmp_ne_u64_e32 vcc_lo, v[1:2], v[3:4]
	v_or_b32_e32 v30, 5, v29
	v_cmp_ne_u64_e64 s3, v[7:8], v[1:2]
	v_cmp_gt_u32_e64 s2, s18, v25
	v_cmp_gt_u32_e64 s4, s18, v26
	v_cmp_ne_u64_e64 s5, v[5:6], v[7:8]
	v_cmp_gt_u32_e64 s6, s18, v30
	v_or_b32_e32 v30, 3, v29
	s_and_b32 s2, s2, vcc_lo
	v_or_b32_e32 v31, 4, v29
	v_cndmask_b32_e64 v25, 0, 1, s2
	s_and_b32 s2, s4, s3
	v_cmp_ne_u64_e32 vcc_lo, v[9:10], v[11:12]
	v_cndmask_b32_e64 v26, 0, 1, s2
	s_and_b32 s2, s6, s5
	v_cmp_gt_u32_e64 s3, s18, v31
	v_cndmask_b32_e64 v32, 0, 1, s2
	v_cmp_gt_u32_e64 s2, s18, v30
	v_or_b32_e32 v30, 2, v29
	v_or_b32_e32 v31, 1, v29
	v_cmp_ne_u64_e64 s4, v[11:12], v[5:6]
	v_cmp_ne_u64_e64 s6, v[13:14], v[15:16]
	s_and_b32 s2, s2, vcc_lo
	v_cmp_ne_u64_e32 vcc_lo, v[15:16], v[9:10]
	v_cndmask_b32_e64 v33, 0, 1, s2
	v_cmp_gt_u32_e64 s2, s18, v30
	v_cmp_gt_u32_e64 s5, s18, v31
	s_and_b32 s3, s3, s4
	v_lshlrev_b16 v32, 8, v32
	v_cndmask_b32_e64 v30, 0, 1, s3
	s_and_b32 s2, s2, vcc_lo
	v_lshlrev_b16 v33, 8, v33
	v_cndmask_b32_e64 v31, 0, 1, s2
	s_and_b32 s2, s5, s6
	v_lshlrev_b16 v25, 8, v25
	v_cndmask_b32_e64 v34, 0, 1, s2
	v_or_b32_e32 v30, v30, v32
	v_or_b32_e32 v31, v31, v33
	s_waitcnt lgkmcnt(0)
	v_cmp_ne_u64_e32 vcc_lo, v[27:28], v[13:14]
	v_or_b32_e32 v25, v26, v25
	v_lshlrev_b16 v33, 8, v34
	v_and_b32_e32 v30, 0xffff, v30
	v_lshlrev_b32_e32 v26, 16, v31
	v_cmp_gt_u32_e64 s2, s18, v29
	v_lshlrev_b32_e32 v32, 16, v25
	v_and_b32_e32 v31, 0xffff, v33
	s_delay_alu instid0(VALU_DEP_3) | instskip(NEXT) | instid1(VALU_DEP_1)
	s_and_b32 s2, s2, vcc_lo
	v_or_b32_e32 v25, v31, v26
	s_delay_alu instid0(VALU_DEP_3)
	v_or_b32_e32 v26, v30, v32
.LBB699_50:
	s_mov_b32 s9, -1
	s_cbranch_execnz .LBB699_59
.LBB699_51:
	v_cmp_ne_u64_e64 s3, v[1:2], v[3:4]
	v_cmp_ne_u64_e64 s4, v[7:8], v[1:2]
	;; [unrolled: 1-line block ×7, first 2 shown]
	s_and_b32 vcc_lo, exec_lo, s20
	ds_store_b64 v29, v[3:4]
	s_cbranch_vccz .LBB699_55
; %bb.52:
	v_cndmask_b32_e64 v25, 0, 1, s3
	s_waitcnt vmcnt(0) lgkmcnt(2)
	v_cndmask_b32_e64 v27, 0, 1, s5
	v_cndmask_b32_e64 v30, 0, 1, s7
	;; [unrolled: 1-line block ×6, first 2 shown]
	v_lshlrev_b16 v27, 8, v27
	v_lshlrev_b16 v25, 8, v25
	;; [unrolled: 1-line block ×4, first 2 shown]
	s_mov_b32 s3, 0
	v_or_b32_e32 v27, v28, v27
	v_or_b32_e32 v25, v26, v25
	v_or_b32_e32 v26, v32, v30
	v_or_b32_e32 v28, 1, v31
	s_mov_b32 s4, exec_lo
	v_and_b32_e32 v27, 0xffff, v27
	v_lshlrev_b32_e32 v25, 16, v25
	v_lshlrev_b32_e32 v30, 16, v26
	v_and_b32_e32 v28, 0xffff, v28
	s_waitcnt lgkmcnt(0)
	s_barrier
	v_or_b32_e32 v26, v27, v25
	buffer_gl0_inv
	v_or_b32_e32 v25, v28, v30
                                        ; implicit-def: $sgpr2
	v_cmpx_ne_u32_e32 0, v0
	s_xor_b32 s4, exec_lo, s4
	s_cbranch_execz .LBB699_54
; %bb.53:
	v_add_nc_u32_e32 v27, -8, v29
	s_or_b32 s9, s9, exec_lo
	ds_load_b64 v[27:28], v27
	s_waitcnt lgkmcnt(0)
	v_cmp_ne_u64_e32 vcc_lo, v[27:28], v[13:14]
	s_and_b32 s2, vcc_lo, exec_lo
.LBB699_54:
	s_or_b32 exec_lo, exec_lo, s4
	s_delay_alu instid0(SALU_CYCLE_1)
	s_and_b32 vcc_lo, exec_lo, s3
	s_cbranch_vccnz .LBB699_56
	s_branch .LBB699_59
.LBB699_55:
                                        ; implicit-def: $sgpr2
                                        ; implicit-def: $vgpr26
	s_cbranch_execz .LBB699_59
.LBB699_56:
	v_or_b32_e32 v25, 7, v29
	v_or_b32_e32 v26, 6, v29
	v_cmp_ne_u64_e32 vcc_lo, v[1:2], v[3:4]
	v_cmp_ne_u64_e64 s2, v[7:8], v[1:2]
	s_waitcnt vmcnt(0) lgkmcnt(2)
	v_or_b32_e32 v27, 4, v29
	v_cmp_gt_u32_e64 s3, s18, v25
	v_or_b32_e32 v25, 5, v29
	v_cmp_gt_u32_e64 s5, s18, v26
	v_cmp_ne_u64_e64 s4, v[5:6], v[7:8]
	v_cmp_ne_u64_e64 s6, v[11:12], v[5:6]
	s_and_b32 s3, s3, vcc_lo
	v_cmp_gt_u32_e32 vcc_lo, s18, v25
	v_cndmask_b32_e64 v26, 0, 1, s3
	v_cmp_gt_u32_e64 s3, s18, v27
	s_and_b32 s2, s5, s2
	v_or_b32_e32 v28, 3, v29
	v_cndmask_b32_e64 v25, 0, 1, s2
	s_and_b32 s2, vcc_lo, s4
	v_or_b32_e32 v31, 1, v29
	v_cndmask_b32_e64 v27, 0, 1, s2
	s_and_b32 s2, s3, s6
	v_cmp_ne_u64_e32 vcc_lo, v[9:10], v[11:12]
	v_cndmask_b32_e64 v30, 0, 1, s2
	v_cmp_gt_u32_e64 s2, s18, v28
	v_cmp_ne_u64_e64 s3, v[13:14], v[15:16]
	v_or_b32_e32 v32, 2, v29
	v_cmp_gt_u32_e64 s4, s18, v31
	v_cmp_ne_u64_e64 s5, v[15:16], v[9:10]
	s_and_b32 s2, s2, vcc_lo
	v_lshlrev_b16 v27, 8, v27
	v_cmp_gt_u32_e64 s6, s18, v32
	v_cndmask_b32_e64 v28, 0, 1, s2
	s_and_b32 s2, s4, s3
	v_lshlrev_b16 v26, 8, v26
	v_cndmask_b32_e64 v31, 0, 1, s2
	s_and_b32 s2, s6, s5
	v_lshlrev_b16 v28, 8, v28
	v_cndmask_b32_e64 v32, 0, 1, s2
	v_or_b32_e32 v27, v30, v27
	v_lshlrev_b16 v31, 8, v31
	v_or_b32_e32 v25, v25, v26
	s_mov_b32 s3, exec_lo
	v_or_b32_e32 v26, v32, v28
	v_and_b32_e32 v27, 0xffff, v27
	v_or_b32_e32 v28, 1, v31
	v_lshlrev_b32_e32 v25, 16, v25
	s_waitcnt lgkmcnt(0)
	v_lshlrev_b32_e32 v30, 16, v26
	s_barrier
	v_and_b32_e32 v28, 0xffff, v28
	v_or_b32_e32 v26, v27, v25
	buffer_gl0_inv
                                        ; implicit-def: $sgpr2
	v_or_b32_e32 v25, v28, v30
	v_cmpx_ne_u32_e32 0, v0
	s_cbranch_execz .LBB699_58
; %bb.57:
	v_add_nc_u32_e32 v27, -8, v29
	v_cmp_gt_u32_e64 s2, s18, v29
	s_or_b32 s9, s9, exec_lo
	ds_load_b64 v[27:28], v27
	s_waitcnt lgkmcnt(0)
	v_cmp_ne_u64_e32 vcc_lo, v[27:28], v[13:14]
	s_and_b32 s2, s2, vcc_lo
	s_delay_alu instid0(SALU_CYCLE_1)
	s_and_b32 s2, s2, exec_lo
.LBB699_58:
	s_or_b32 exec_lo, exec_lo, s3
.LBB699_59:
	s_and_saveexec_b32 s3, s9
	s_cbranch_execz .LBB699_61
; %bb.60:
	s_waitcnt vmcnt(0) lgkmcnt(1)
	v_and_b32_e32 v27, 0xffffff00, v25
	v_cndmask_b32_e64 v28, 0, 1, s2
	s_delay_alu instid0(VALU_DEP_1) | instskip(NEXT) | instid1(VALU_DEP_1)
	v_or_b32_e32 v27, v28, v27
	v_and_b32_e32 v27, 0xffff, v27
	s_delay_alu instid0(VALU_DEP_1)
	v_and_or_b32 v25, 0xffff0000, v25, v27
.LBB699_61:
	s_or_b32 exec_lo, exec_lo, s3
	s_load_b64 s[8:9], s[0:1], 0x70
	s_and_not1_b32 vcc_lo, exec_lo, s19
	s_cbranch_vccnz .LBB699_63
; %bb.62:
	v_cmp_gt_u32_e32 vcc_lo, s18, v29
	s_waitcnt vmcnt(0) lgkmcnt(0)
	v_or_b32_e32 v28, 1, v29
	v_or_b32_e32 v31, 2, v29
	v_dual_cndmask_b32 v27, 0, v25 :: v_dual_and_b32 v30, 0xffffff00, v26
	s_delay_alu instid0(VALU_DEP_3) | instskip(SKIP_1) | instid1(VALU_DEP_4)
	v_cmp_gt_u32_e32 vcc_lo, s18, v28
	v_or_b32_e32 v28, 4, v29
	v_cmp_gt_u32_e64 s0, s18, v31
	v_or_b32_e32 v31, 3, v29
	v_and_b32_e32 v27, 0xff, v27
	s_delay_alu instid0(VALU_DEP_2) | instskip(NEXT) | instid1(VALU_DEP_2)
	v_cmp_gt_u32_e64 s1, s18, v31
	v_cndmask_b32_e32 v27, v27, v25, vcc_lo
	v_cmp_gt_u32_e32 vcc_lo, s18, v28
	v_cndmask_b32_e32 v28, v30, v26, vcc_lo
	v_or_b32_e32 v30, 5, v29
	s_delay_alu instid0(VALU_DEP_2) | instskip(SKIP_1) | instid1(VALU_DEP_1)
	v_and_b32_e32 v28, 0xffff00ff, v28
	v_and_b32_e32 v27, 0xffff, v27
	v_cndmask_b32_e64 v27, v27, v25, s0
	s_delay_alu instid0(VALU_DEP_4) | instskip(SKIP_2) | instid1(VALU_DEP_4)
	v_cmp_gt_u32_e64 s0, s18, v30
	v_or_b32_e32 v30, 6, v29
	v_or_b32_e32 v29, 7, v29
	v_and_b32_e32 v27, 0xffffff, v27
	s_delay_alu instid0(VALU_DEP_4) | instskip(NEXT) | instid1(VALU_DEP_2)
	v_cndmask_b32_e64 v28, v28, v26, s0
	v_cndmask_b32_e64 v27, v27, v25, s1
	s_delay_alu instid0(VALU_DEP_1) | instskip(SKIP_1) | instid1(VALU_DEP_2)
	v_dual_cndmask_b32 v27, v27, v25 :: v_dual_and_b32 v28, 0xff00ffff, v28
	v_cmp_gt_u32_e32 vcc_lo, s18, v30
	v_cndmask_b32_e64 v27, v27, v25, s0
	s_delay_alu instid0(VALU_DEP_1) | instskip(NEXT) | instid1(VALU_DEP_1)
	v_dual_cndmask_b32 v28, v28, v26 :: v_dual_cndmask_b32 v27, v27, v25
	v_and_b32_e32 v28, 0xffffff, v28
	v_cmp_gt_u32_e32 vcc_lo, s18, v29
	s_delay_alu instid0(VALU_DEP_2)
	v_dual_cndmask_b32 v26, v28, v26 :: v_dual_cndmask_b32 v25, v27, v25
.LBB699_63:
	s_delay_alu instid0(VALU_DEP_1) | instskip(SKIP_1) | instid1(VALU_DEP_2)
	v_and_b32_e32 v36, 0xff, v25
	s_waitcnt vmcnt(0) lgkmcnt(0)
	v_alignbit_b32 v27, v26, v25, 24
	v_bfe_u32 v37, v25, 8, 8
	v_bfe_u32 v38, v25, 16, 8
	v_and_b32_e32 v40, 0xff, v26
	v_bfe_u32 v41, v26, 8, 8
	v_and_b32_e32 v39, 0xff, v27
	v_add_nc_u32_e32 v27, v37, v36
	v_mbcnt_lo_u32_b32 v43, -1, 0
	v_bfe_u32 v42, v26, 16, 8
	v_lshrrev_b32_e32 v35, 24, v26
	v_lshrrev_b32_e32 v44, 5, v0
	v_add3_u32 v27, v27, v38, v39
	v_and_b32_e32 v28, 15, v43
	v_and_b32_e32 v29, 16, v43
	s_and_b32 vcc_lo, exec_lo, s12
	s_mov_b32 s6, -1
	v_add3_u32 v27, v27, v40, v41
	v_cmp_eq_u32_e64 s2, 0, v28
	v_cmp_lt_u32_e64 s0, 1, v28
	v_cmp_lt_u32_e64 s3, 3, v28
	;; [unrolled: 1-line block ×3, first 2 shown]
	v_add3_u32 v45, v27, v42, v35
	v_or_b32_e32 v27, 31, v0
	v_cmp_eq_u32_e64 s5, 0, v29
	s_barrier
	buffer_gl0_inv
	v_cmp_eq_u32_e64 s4, v27, v0
	s_cbranch_vccz .LBB699_89
; %bb.64:
	v_mov_b32_dpp v27, v45 row_shr:1 row_mask:0xf bank_mask:0xf
	s_delay_alu instid0(VALU_DEP_1) | instskip(NEXT) | instid1(VALU_DEP_1)
	v_cndmask_b32_e64 v27, v27, 0, s2
	v_add_nc_u32_e32 v27, v27, v45
	s_delay_alu instid0(VALU_DEP_1) | instskip(NEXT) | instid1(VALU_DEP_1)
	v_mov_b32_dpp v28, v27 row_shr:2 row_mask:0xf bank_mask:0xf
	v_cndmask_b32_e64 v28, 0, v28, s0
	s_delay_alu instid0(VALU_DEP_1) | instskip(NEXT) | instid1(VALU_DEP_1)
	v_add_nc_u32_e32 v27, v27, v28
	v_mov_b32_dpp v28, v27 row_shr:4 row_mask:0xf bank_mask:0xf
	s_delay_alu instid0(VALU_DEP_1) | instskip(NEXT) | instid1(VALU_DEP_1)
	v_cndmask_b32_e64 v28, 0, v28, s3
	v_add_nc_u32_e32 v27, v27, v28
	s_delay_alu instid0(VALU_DEP_1) | instskip(NEXT) | instid1(VALU_DEP_1)
	v_mov_b32_dpp v28, v27 row_shr:8 row_mask:0xf bank_mask:0xf
	v_cndmask_b32_e64 v28, 0, v28, s1
	s_delay_alu instid0(VALU_DEP_1) | instskip(SKIP_3) | instid1(VALU_DEP_1)
	v_add_nc_u32_e32 v27, v27, v28
	ds_swizzle_b32 v28, v27 offset:swizzle(BROADCAST,32,15)
	s_waitcnt lgkmcnt(0)
	v_cndmask_b32_e64 v28, v28, 0, s5
	v_add_nc_u32_e32 v27, v27, v28
	s_and_saveexec_b32 s6, s4
	s_cbranch_execz .LBB699_66
; %bb.65:
	v_lshlrev_b32_e32 v28, 2, v44
	ds_store_b32 v28, v27
.LBB699_66:
	s_or_b32 exec_lo, exec_lo, s6
	s_delay_alu instid0(SALU_CYCLE_1)
	s_mov_b32 s6, exec_lo
	s_waitcnt lgkmcnt(0)
	s_barrier
	buffer_gl0_inv
	v_cmpx_gt_u32_e32 16, v0
	s_cbranch_execz .LBB699_68
; %bb.67:
	v_lshlrev_b32_e32 v28, 2, v0
	ds_load_b32 v29, v28
	s_waitcnt lgkmcnt(0)
	v_mov_b32_dpp v30, v29 row_shr:1 row_mask:0xf bank_mask:0xf
	s_delay_alu instid0(VALU_DEP_1) | instskip(NEXT) | instid1(VALU_DEP_1)
	v_cndmask_b32_e64 v30, v30, 0, s2
	v_add_nc_u32_e32 v29, v30, v29
	s_delay_alu instid0(VALU_DEP_1) | instskip(NEXT) | instid1(VALU_DEP_1)
	v_mov_b32_dpp v30, v29 row_shr:2 row_mask:0xf bank_mask:0xf
	v_cndmask_b32_e64 v30, 0, v30, s0
	s_delay_alu instid0(VALU_DEP_1) | instskip(NEXT) | instid1(VALU_DEP_1)
	v_add_nc_u32_e32 v29, v29, v30
	v_mov_b32_dpp v30, v29 row_shr:4 row_mask:0xf bank_mask:0xf
	s_delay_alu instid0(VALU_DEP_1) | instskip(NEXT) | instid1(VALU_DEP_1)
	v_cndmask_b32_e64 v30, 0, v30, s3
	v_add_nc_u32_e32 v29, v29, v30
	s_delay_alu instid0(VALU_DEP_1) | instskip(NEXT) | instid1(VALU_DEP_1)
	v_mov_b32_dpp v30, v29 row_shr:8 row_mask:0xf bank_mask:0xf
	v_cndmask_b32_e64 v30, 0, v30, s1
	s_delay_alu instid0(VALU_DEP_1)
	v_add_nc_u32_e32 v29, v29, v30
	ds_store_b32 v28, v29
.LBB699_68:
	s_or_b32 exec_lo, exec_lo, s6
	v_cmp_gt_u32_e32 vcc_lo, 32, v0
	s_mov_b32 s7, exec_lo
	s_waitcnt lgkmcnt(0)
	s_barrier
	buffer_gl0_inv
                                        ; implicit-def: $vgpr46
	v_cmpx_lt_u32_e32 31, v0
	s_cbranch_execz .LBB699_70
; %bb.69:
	v_lshl_add_u32 v28, v44, 2, -4
	ds_load_b32 v46, v28
	s_waitcnt lgkmcnt(0)
	v_add_nc_u32_e32 v27, v46, v27
.LBB699_70:
	s_or_b32 exec_lo, exec_lo, s7
	v_add_nc_u32_e32 v28, -1, v43
	s_delay_alu instid0(VALU_DEP_1) | instskip(NEXT) | instid1(VALU_DEP_1)
	v_cmp_gt_i32_e64 s6, 0, v28
	v_cndmask_b32_e64 v28, v28, v43, s6
	v_cmp_eq_u32_e64 s6, 0, v43
	s_delay_alu instid0(VALU_DEP_2)
	v_lshlrev_b32_e32 v28, 2, v28
	ds_bpermute_b32 v47, v28, v27
	s_and_saveexec_b32 s7, vcc_lo
	s_cbranch_execz .LBB699_88
; %bb.71:
	v_mov_b32_e32 v31, 0
	ds_load_b32 v27, v31 offset:60
	s_and_saveexec_b32 s12, s6
	s_cbranch_execz .LBB699_73
; %bb.72:
	s_add_i32 s18, s15, 32
	s_mov_b32 s19, 0
	v_mov_b32_e32 v28, 1
	s_lshl_b64 s[18:19], s[18:19], 3
	s_delay_alu instid0(SALU_CYCLE_1)
	s_add_u32 s18, s8, s18
	s_addc_u32 s19, s9, s19
	s_waitcnt lgkmcnt(0)
	global_store_b64 v31, v[27:28], s[18:19]
.LBB699_73:
	s_or_b32 exec_lo, exec_lo, s12
	v_xad_u32 v29, v43, -1, s15
	s_mov_b32 s13, 0
	s_mov_b32 s12, exec_lo
	s_delay_alu instid0(VALU_DEP_1) | instskip(NEXT) | instid1(VALU_DEP_1)
	v_add_nc_u32_e32 v30, 32, v29
	v_lshlrev_b64 v[30:31], 3, v[30:31]
	s_delay_alu instid0(VALU_DEP_1) | instskip(NEXT) | instid1(VALU_DEP_2)
	v_add_co_u32 v33, vcc_lo, s8, v30
	v_add_co_ci_u32_e32 v34, vcc_lo, s9, v31, vcc_lo
	global_load_b64 v[31:32], v[33:34], off glc
	s_waitcnt vmcnt(0)
	v_and_b32_e32 v28, 0xff, v32
	s_delay_alu instid0(VALU_DEP_1)
	v_cmpx_eq_u16_e32 0, v28
	s_cbranch_execz .LBB699_76
.LBB699_74:                             ; =>This Inner Loop Header: Depth=1
	global_load_b64 v[31:32], v[33:34], off glc
	s_waitcnt vmcnt(0)
	v_and_b32_e32 v28, 0xff, v32
	s_delay_alu instid0(VALU_DEP_1) | instskip(SKIP_1) | instid1(SALU_CYCLE_1)
	v_cmp_ne_u16_e32 vcc_lo, 0, v28
	s_or_b32 s13, vcc_lo, s13
	s_and_not1_b32 exec_lo, exec_lo, s13
	s_cbranch_execnz .LBB699_74
; %bb.75:
	s_or_b32 exec_lo, exec_lo, s13
.LBB699_76:
	s_delay_alu instid0(SALU_CYCLE_1)
	s_or_b32 exec_lo, exec_lo, s12
	v_cmp_ne_u32_e32 vcc_lo, 31, v43
	v_lshlrev_b32_e64 v49, v43, -1
	v_add_nc_u32_e32 v51, 2, v43
	v_add_nc_u32_e32 v53, 4, v43
	;; [unrolled: 1-line block ×3, first 2 shown]
	v_add_co_ci_u32_e32 v28, vcc_lo, 0, v43, vcc_lo
	v_add_nc_u32_e32 v57, 16, v43
	s_delay_alu instid0(VALU_DEP_2)
	v_lshlrev_b32_e32 v48, 2, v28
	v_and_b32_e32 v28, 0xff, v32
	ds_bpermute_b32 v30, v48, v31
	v_cmp_eq_u16_e32 vcc_lo, 2, v28
	v_and_or_b32 v28, vcc_lo, v49, 0x80000000
	v_cmp_gt_u32_e32 vcc_lo, 30, v43
	s_delay_alu instid0(VALU_DEP_2) | instskip(SKIP_1) | instid1(VALU_DEP_2)
	v_ctz_i32_b32_e32 v28, v28
	v_cndmask_b32_e64 v33, 0, 1, vcc_lo
	v_cmp_lt_u32_e32 vcc_lo, v43, v28
	s_waitcnt lgkmcnt(0)
	s_delay_alu instid0(VALU_DEP_2) | instskip(NEXT) | instid1(VALU_DEP_1)
	v_dual_cndmask_b32 v30, 0, v30 :: v_dual_lshlrev_b32 v33, 1, v33
	v_add_lshl_u32 v50, v33, v43, 2
	v_cmp_gt_u32_e32 vcc_lo, 28, v43
	s_delay_alu instid0(VALU_DEP_3) | instskip(SKIP_4) | instid1(VALU_DEP_1)
	v_add_nc_u32_e32 v30, v30, v31
	v_cndmask_b32_e64 v33, 0, 1, vcc_lo
	v_cmp_le_u32_e32 vcc_lo, v51, v28
	ds_bpermute_b32 v31, v50, v30
	v_lshlrev_b32_e32 v33, 2, v33
	v_add_lshl_u32 v52, v33, v43, 2
	s_waitcnt lgkmcnt(0)
	v_cndmask_b32_e32 v31, 0, v31, vcc_lo
	v_cmp_gt_u32_e32 vcc_lo, 24, v43
	s_delay_alu instid0(VALU_DEP_2) | instskip(SKIP_4) | instid1(VALU_DEP_1)
	v_add_nc_u32_e32 v30, v30, v31
	v_cndmask_b32_e64 v33, 0, 1, vcc_lo
	v_cmp_le_u32_e32 vcc_lo, v53, v28
	ds_bpermute_b32 v31, v52, v30
	v_lshlrev_b32_e32 v33, 3, v33
	v_add_lshl_u32 v54, v33, v43, 2
	s_waitcnt lgkmcnt(0)
	v_cndmask_b32_e32 v31, 0, v31, vcc_lo
	v_cmp_gt_u32_e32 vcc_lo, 16, v43
	s_delay_alu instid0(VALU_DEP_2) | instskip(SKIP_4) | instid1(VALU_DEP_1)
	v_add_nc_u32_e32 v30, v30, v31
	v_cndmask_b32_e64 v33, 0, 1, vcc_lo
	v_cmp_le_u32_e32 vcc_lo, v55, v28
	ds_bpermute_b32 v31, v54, v30
	v_lshlrev_b32_e32 v33, 4, v33
	v_add_lshl_u32 v56, v33, v43, 2
	s_waitcnt lgkmcnt(0)
	v_cndmask_b32_e32 v31, 0, v31, vcc_lo
	v_cmp_le_u32_e32 vcc_lo, v57, v28
	s_delay_alu instid0(VALU_DEP_2) | instskip(SKIP_3) | instid1(VALU_DEP_1)
	v_add_nc_u32_e32 v30, v30, v31
	ds_bpermute_b32 v31, v56, v30
	s_waitcnt lgkmcnt(0)
	v_cndmask_b32_e32 v28, 0, v31, vcc_lo
	v_dual_mov_b32 v30, 0 :: v_dual_add_nc_u32 v31, v30, v28
	s_branch .LBB699_78
.LBB699_77:                             ;   in Loop: Header=BB699_78 Depth=1
	s_or_b32 exec_lo, exec_lo, s12
	ds_bpermute_b32 v34, v48, v31
	v_and_b32_e32 v33, 0xff, v32
	v_subrev_nc_u32_e32 v29, 32, v29
	s_delay_alu instid0(VALU_DEP_2) | instskip(SKIP_1) | instid1(VALU_DEP_1)
	v_cmp_eq_u16_e32 vcc_lo, 2, v33
	v_and_or_b32 v33, vcc_lo, v49, 0x80000000
	v_ctz_i32_b32_e32 v33, v33
	s_delay_alu instid0(VALU_DEP_1) | instskip(SKIP_3) | instid1(VALU_DEP_2)
	v_cmp_lt_u32_e32 vcc_lo, v43, v33
	s_waitcnt lgkmcnt(0)
	v_cndmask_b32_e32 v34, 0, v34, vcc_lo
	v_cmp_le_u32_e32 vcc_lo, v51, v33
	v_add_nc_u32_e32 v31, v34, v31
	ds_bpermute_b32 v34, v50, v31
	s_waitcnt lgkmcnt(0)
	v_cndmask_b32_e32 v34, 0, v34, vcc_lo
	v_cmp_le_u32_e32 vcc_lo, v53, v33
	s_delay_alu instid0(VALU_DEP_2) | instskip(SKIP_4) | instid1(VALU_DEP_2)
	v_add_nc_u32_e32 v31, v31, v34
	ds_bpermute_b32 v34, v52, v31
	s_waitcnt lgkmcnt(0)
	v_cndmask_b32_e32 v34, 0, v34, vcc_lo
	v_cmp_le_u32_e32 vcc_lo, v55, v33
	v_add_nc_u32_e32 v31, v31, v34
	ds_bpermute_b32 v34, v54, v31
	s_waitcnt lgkmcnt(0)
	v_cndmask_b32_e32 v34, 0, v34, vcc_lo
	v_cmp_le_u32_e32 vcc_lo, v57, v33
	s_delay_alu instid0(VALU_DEP_2) | instskip(SKIP_3) | instid1(VALU_DEP_1)
	v_add_nc_u32_e32 v31, v31, v34
	ds_bpermute_b32 v34, v56, v31
	s_waitcnt lgkmcnt(0)
	v_cndmask_b32_e32 v33, 0, v34, vcc_lo
	v_add3_u32 v31, v33, v28, v31
.LBB699_78:                             ; =>This Loop Header: Depth=1
                                        ;     Child Loop BB699_81 Depth 2
	v_and_b32_e32 v28, 0xff, v32
	s_delay_alu instid0(VALU_DEP_1) | instskip(SKIP_2) | instid1(VALU_DEP_1)
	v_cmp_ne_u16_e32 vcc_lo, 2, v28
	v_cndmask_b32_e64 v28, 0, 1, vcc_lo
	;;#ASMSTART
	;;#ASMEND
	v_cmp_ne_u32_e32 vcc_lo, 0, v28
	v_mov_b32_e32 v28, v31
	s_cmp_lg_u32 vcc_lo, exec_lo
	s_cbranch_scc1 .LBB699_83
; %bb.79:                               ;   in Loop: Header=BB699_78 Depth=1
	v_lshlrev_b64 v[31:32], 3, v[29:30]
	s_mov_b32 s12, exec_lo
	s_delay_alu instid0(VALU_DEP_1) | instskip(NEXT) | instid1(VALU_DEP_2)
	v_add_co_u32 v33, vcc_lo, s8, v31
	v_add_co_ci_u32_e32 v34, vcc_lo, s9, v32, vcc_lo
	global_load_b64 v[31:32], v[33:34], off glc
	s_waitcnt vmcnt(0)
	v_and_b32_e32 v58, 0xff, v32
	s_delay_alu instid0(VALU_DEP_1)
	v_cmpx_eq_u16_e32 0, v58
	s_cbranch_execz .LBB699_77
; %bb.80:                               ;   in Loop: Header=BB699_78 Depth=1
	s_mov_b32 s13, 0
.LBB699_81:                             ;   Parent Loop BB699_78 Depth=1
                                        ; =>  This Inner Loop Header: Depth=2
	global_load_b64 v[31:32], v[33:34], off glc
	s_waitcnt vmcnt(0)
	v_and_b32_e32 v58, 0xff, v32
	s_delay_alu instid0(VALU_DEP_1) | instskip(SKIP_1) | instid1(SALU_CYCLE_1)
	v_cmp_ne_u16_e32 vcc_lo, 0, v58
	s_or_b32 s13, vcc_lo, s13
	s_and_not1_b32 exec_lo, exec_lo, s13
	s_cbranch_execnz .LBB699_81
; %bb.82:                               ;   in Loop: Header=BB699_78 Depth=1
	s_or_b32 exec_lo, exec_lo, s13
	s_branch .LBB699_77
.LBB699_83:                             ;   in Loop: Header=BB699_78 Depth=1
                                        ; implicit-def: $vgpr31
                                        ; implicit-def: $vgpr32
	s_cbranch_execz .LBB699_78
; %bb.84:
	s_and_saveexec_b32 s12, s6
	s_cbranch_execz .LBB699_86
; %bb.85:
	s_add_i32 s18, s15, 32
	s_mov_b32 s19, 0
	v_dual_mov_b32 v30, 2 :: v_dual_add_nc_u32 v29, v28, v27
	s_lshl_b64 s[18:19], s[18:19], 3
	v_mov_b32_e32 v31, 0
	s_add_u32 s18, s8, s18
	s_addc_u32 s19, s9, s19
	global_store_b64 v31, v[29:30], s[18:19]
	ds_store_b64 v31, v[27:28] offset:33792
.LBB699_86:
	s_or_b32 exec_lo, exec_lo, s12
	v_cmp_eq_u32_e32 vcc_lo, 0, v0
	s_and_b32 exec_lo, exec_lo, vcc_lo
	s_cbranch_execz .LBB699_88
; %bb.87:
	v_mov_b32_e32 v27, 0
	ds_store_b32 v27, v28 offset:60
.LBB699_88:
	s_or_b32 exec_lo, exec_lo, s7
	v_mov_b32_e32 v27, 0
	s_waitcnt lgkmcnt(0)
	s_waitcnt_vscnt null, 0x0
	s_barrier
	buffer_gl0_inv
	v_cndmask_b32_e64 v29, v47, v46, s6
	ds_load_b32 v28, v27 offset:60
	v_cmp_ne_u32_e32 vcc_lo, 0, v0
	s_waitcnt lgkmcnt(0)
	s_barrier
	buffer_gl0_inv
	v_cndmask_b32_e32 v29, 0, v29, vcc_lo
	s_delay_alu instid0(VALU_DEP_1) | instskip(NEXT) | instid1(VALU_DEP_1)
	v_add_nc_u32_e32 v49, v28, v29
	v_add_nc_u32_e32 v48, v49, v36
	ds_load_b64 v[27:28], v27 offset:33792
	v_add_nc_u32_e32 v47, v48, v37
	s_delay_alu instid0(VALU_DEP_1) | instskip(NEXT) | instid1(VALU_DEP_1)
	v_add_nc_u32_e32 v46, v47, v38
	v_add_nc_u32_e32 v34, v46, v39
	s_delay_alu instid0(VALU_DEP_1) | instskip(NEXT) | instid1(VALU_DEP_1)
	v_add_nc_u32_e32 v33, v34, v40
	v_add_nc_u32_e32 v32, v33, v41
	s_delay_alu instid0(VALU_DEP_1)
	v_add_nc_u32_e32 v31, v32, v42
	v_lshrrev_b64 v[29:30], 24, v[25:26]
	s_branch .LBB699_99
.LBB699_89:
                                        ; implicit-def: $vgpr31
                                        ; implicit-def: $vgpr32
                                        ; implicit-def: $vgpr33
                                        ; implicit-def: $vgpr34
                                        ; implicit-def: $vgpr46
                                        ; implicit-def: $vgpr47
                                        ; implicit-def: $vgpr48
                                        ; implicit-def: $vgpr49
                                        ; implicit-def: $vgpr28
	v_lshrrev_b64 v[29:30], 24, v[25:26]
	s_and_b32 vcc_lo, exec_lo, s6
	s_cbranch_vccz .LBB699_99
; %bb.90:
	s_waitcnt lgkmcnt(0)
	v_mov_b32_dpp v27, v45 row_shr:1 row_mask:0xf bank_mask:0xf
	s_delay_alu instid0(VALU_DEP_1) | instskip(NEXT) | instid1(VALU_DEP_1)
	v_cndmask_b32_e64 v27, v27, 0, s2
	v_add_nc_u32_e32 v27, v27, v45
	s_delay_alu instid0(VALU_DEP_1) | instskip(NEXT) | instid1(VALU_DEP_1)
	v_mov_b32_dpp v28, v27 row_shr:2 row_mask:0xf bank_mask:0xf
	v_cndmask_b32_e64 v28, 0, v28, s0
	s_delay_alu instid0(VALU_DEP_1) | instskip(NEXT) | instid1(VALU_DEP_1)
	v_add_nc_u32_e32 v27, v27, v28
	v_mov_b32_dpp v28, v27 row_shr:4 row_mask:0xf bank_mask:0xf
	s_delay_alu instid0(VALU_DEP_1) | instskip(NEXT) | instid1(VALU_DEP_1)
	v_cndmask_b32_e64 v28, 0, v28, s3
	v_add_nc_u32_e32 v27, v27, v28
	s_delay_alu instid0(VALU_DEP_1) | instskip(NEXT) | instid1(VALU_DEP_1)
	v_mov_b32_dpp v28, v27 row_shr:8 row_mask:0xf bank_mask:0xf
	v_cndmask_b32_e64 v28, 0, v28, s1
	s_delay_alu instid0(VALU_DEP_1) | instskip(SKIP_3) | instid1(VALU_DEP_1)
	v_add_nc_u32_e32 v27, v27, v28
	ds_swizzle_b32 v28, v27 offset:swizzle(BROADCAST,32,15)
	s_waitcnt lgkmcnt(0)
	v_cndmask_b32_e64 v28, v28, 0, s5
	v_add_nc_u32_e32 v27, v27, v28
	s_and_saveexec_b32 s5, s4
	s_cbranch_execz .LBB699_92
; %bb.91:
	v_lshlrev_b32_e32 v28, 2, v44
	ds_store_b32 v28, v27
.LBB699_92:
	s_or_b32 exec_lo, exec_lo, s5
	s_delay_alu instid0(SALU_CYCLE_1)
	s_mov_b32 s4, exec_lo
	s_waitcnt lgkmcnt(0)
	s_barrier
	buffer_gl0_inv
	v_cmpx_gt_u32_e32 16, v0
	s_cbranch_execz .LBB699_94
; %bb.93:
	v_lshlrev_b32_e32 v28, 2, v0
	ds_load_b32 v30, v28
	s_waitcnt lgkmcnt(0)
	v_mov_b32_dpp v31, v30 row_shr:1 row_mask:0xf bank_mask:0xf
	s_delay_alu instid0(VALU_DEP_1) | instskip(NEXT) | instid1(VALU_DEP_1)
	v_cndmask_b32_e64 v31, v31, 0, s2
	v_add_nc_u32_e32 v30, v31, v30
	s_delay_alu instid0(VALU_DEP_1) | instskip(NEXT) | instid1(VALU_DEP_1)
	v_mov_b32_dpp v31, v30 row_shr:2 row_mask:0xf bank_mask:0xf
	v_cndmask_b32_e64 v31, 0, v31, s0
	s_delay_alu instid0(VALU_DEP_1) | instskip(NEXT) | instid1(VALU_DEP_1)
	v_add_nc_u32_e32 v30, v30, v31
	v_mov_b32_dpp v31, v30 row_shr:4 row_mask:0xf bank_mask:0xf
	s_delay_alu instid0(VALU_DEP_1) | instskip(NEXT) | instid1(VALU_DEP_1)
	v_cndmask_b32_e64 v31, 0, v31, s3
	v_add_nc_u32_e32 v30, v30, v31
	s_delay_alu instid0(VALU_DEP_1) | instskip(NEXT) | instid1(VALU_DEP_1)
	v_mov_b32_dpp v31, v30 row_shr:8 row_mask:0xf bank_mask:0xf
	v_cndmask_b32_e64 v31, 0, v31, s1
	s_delay_alu instid0(VALU_DEP_1)
	v_add_nc_u32_e32 v30, v30, v31
	ds_store_b32 v28, v30
.LBB699_94:
	s_or_b32 exec_lo, exec_lo, s4
	v_mov_b32_e32 v28, 0
	v_mov_b32_e32 v30, 0
	s_mov_b32 s0, exec_lo
	s_waitcnt lgkmcnt(0)
	s_barrier
	buffer_gl0_inv
	v_cmpx_lt_u32_e32 31, v0
	s_cbranch_execz .LBB699_96
; %bb.95:
	v_lshl_add_u32 v30, v44, 2, -4
	ds_load_b32 v30, v30
.LBB699_96:
	s_or_b32 exec_lo, exec_lo, s0
	v_add_nc_u32_e32 v31, -1, v43
	s_waitcnt lgkmcnt(0)
	v_add_nc_u32_e32 v27, v30, v27
	s_delay_alu instid0(VALU_DEP_2) | instskip(SKIP_2) | instid1(VALU_DEP_2)
	v_cmp_gt_i32_e32 vcc_lo, 0, v31
	v_cndmask_b32_e32 v31, v31, v43, vcc_lo
	v_cmp_eq_u32_e32 vcc_lo, 0, v0
	v_lshlrev_b32_e32 v31, 2, v31
	ds_bpermute_b32 v31, v31, v27
	ds_load_b32 v27, v28 offset:60
	s_and_saveexec_b32 s0, vcc_lo
	s_cbranch_execz .LBB699_98
; %bb.97:
	v_mov_b32_e32 v32, 0
	v_mov_b32_e32 v28, 2
	s_waitcnt lgkmcnt(0)
	global_store_b64 v32, v[27:28], s[8:9] offset:256
.LBB699_98:
	s_or_b32 exec_lo, exec_lo, s0
	v_cmp_eq_u32_e64 s0, 0, v43
	s_waitcnt lgkmcnt(0)
	s_waitcnt_vscnt null, 0x0
	s_barrier
	buffer_gl0_inv
	v_cndmask_b32_e64 v28, v31, v30, s0
	s_delay_alu instid0(VALU_DEP_1) | instskip(SKIP_1) | instid1(VALU_DEP_2)
	v_cndmask_b32_e64 v49, v28, 0, vcc_lo
	v_mov_b32_e32 v28, 0
	v_add_nc_u32_e32 v48, v49, v36
	s_delay_alu instid0(VALU_DEP_1) | instskip(NEXT) | instid1(VALU_DEP_1)
	v_add_nc_u32_e32 v47, v48, v37
	v_add_nc_u32_e32 v46, v47, v38
	s_delay_alu instid0(VALU_DEP_1) | instskip(NEXT) | instid1(VALU_DEP_1)
	v_add_nc_u32_e32 v34, v46, v39
	;; [unrolled: 3-line block ×3, first 2 shown]
	v_add_nc_u32_e32 v31, v32, v42
.LBB699_99:
	v_lshrrev_b32_e32 v38, 8, v25
	v_lshrrev_b32_e32 v37, 16, v25
	v_and_b32_e32 v25, 1, v25
	s_waitcnt lgkmcnt(0)
	v_cmp_gt_u32_e32 vcc_lo, 0x201, v27
	v_lshrrev_b32_e32 v36, 8, v26
	v_lshrrev_b32_e32 v30, 16, v26
	v_cmp_lt_u32_e64 s0, 0x200, v27
	v_cmp_eq_u32_e64 s1, 1, v25
	s_cbranch_vccnz .LBB699_117
; %bb.100:
	s_delay_alu instid0(VALU_DEP_1)
	s_and_saveexec_b32 s2, s1
	s_cbranch_execz .LBB699_102
; %bb.101:
	v_sub_nc_u32_e32 v39, v49, v28
	s_delay_alu instid0(VALU_DEP_1)
	v_lshlrev_b32_e32 v39, 3, v39
	ds_store_b64 v39, v[13:14]
.LBB699_102:
	s_or_b32 exec_lo, exec_lo, s2
	v_and_b32_e32 v13, 1, v38
	s_mov_b32 s1, exec_lo
	s_delay_alu instid0(VALU_DEP_1)
	v_cmpx_eq_u32_e32 1, v13
	s_cbranch_execz .LBB699_104
; %bb.103:
	v_sub_nc_u32_e32 v13, v48, v28
	s_delay_alu instid0(VALU_DEP_1)
	v_lshlrev_b32_e32 v13, 3, v13
	ds_store_b64 v13, v[15:16]
.LBB699_104:
	s_or_b32 exec_lo, exec_lo, s1
	v_and_b32_e32 v13, 1, v37
	s_mov_b32 s1, exec_lo
	s_delay_alu instid0(VALU_DEP_1)
	v_cmpx_eq_u32_e32 1, v13
	;; [unrolled: 12-line block ×7, first 2 shown]
	s_cbranch_execz .LBB699_116
; %bb.115:
	v_sub_nc_u32_e32 v1, v31, v28
	s_delay_alu instid0(VALU_DEP_1)
	v_lshlrev_b32_e32 v1, 3, v1
	ds_store_b64 v1, v[3:4]
.LBB699_116:
	s_or_b32 exec_lo, exec_lo, s1
	s_waitcnt lgkmcnt(0)
	s_barrier
	buffer_gl0_inv
.LBB699_117:
	s_delay_alu instid0(VALU_DEP_2)
	s_and_not1_b32 vcc_lo, exec_lo, s0
	s_barrier
	buffer_gl0_inv
	s_cbranch_vccnz .LBB699_136
; %bb.118:
	s_mov_b32 s0, exec_lo
	v_cmpx_eq_u32_e32 1, v25
	s_cbranch_execz .LBB699_120
; %bb.119:
	v_sub_nc_u32_e32 v1, v49, v28
	s_delay_alu instid0(VALU_DEP_1)
	v_lshlrev_b32_e32 v1, 2, v1
	ds_store_b32 v1, v23
.LBB699_120:
	s_or_b32 exec_lo, exec_lo, s0
	v_and_b32_e32 v1, 1, v38
	s_mov_b32 s0, exec_lo
	s_delay_alu instid0(VALU_DEP_1)
	v_cmpx_eq_u32_e32 1, v1
	s_cbranch_execz .LBB699_122
; %bb.121:
	v_sub_nc_u32_e32 v1, v48, v28
	s_delay_alu instid0(VALU_DEP_1)
	v_lshlrev_b32_e32 v1, 2, v1
	ds_store_b32 v1, v24
.LBB699_122:
	s_or_b32 exec_lo, exec_lo, s0
	v_and_b32_e32 v1, 1, v37
	s_mov_b32 s0, exec_lo
	s_delay_alu instid0(VALU_DEP_1)
	;; [unrolled: 12-line block ×7, first 2 shown]
	v_cmpx_eq_u32_e32 1, v1
	s_cbranch_execz .LBB699_134
; %bb.133:
	v_sub_nc_u32_e32 v1, v31, v28
	s_delay_alu instid0(VALU_DEP_1)
	v_lshlrev_b32_e32 v1, 2, v1
	ds_store_b32 v1, v18
.LBB699_134:
	s_or_b32 exec_lo, exec_lo, s0
	s_waitcnt lgkmcnt(0)
	s_barrier
	buffer_gl0_inv
	v_cmp_eq_u32_e32 vcc_lo, 0, v0
	s_and_b32 s0, vcc_lo, s14
	s_delay_alu instid0(SALU_CYCLE_1)
	s_and_saveexec_b32 s1, s0
	s_cbranch_execnz .LBB699_137
.LBB699_135:
	s_endpgm
.LBB699_136:
	v_cmp_eq_u32_e32 vcc_lo, 0, v0
	s_and_b32 s0, vcc_lo, s14
	s_delay_alu instid0(SALU_CYCLE_1)
	s_and_saveexec_b32 s1, s0
	s_cbranch_execz .LBB699_135
.LBB699_137:
	v_add_co_u32 v0, s0, s10, v27
	s_delay_alu instid0(VALU_DEP_1) | instskip(SKIP_1) | instid1(VALU_DEP_3)
	v_add_co_ci_u32_e64 v1, null, s11, 0, s0
	v_mov_b32_e32 v2, 0
	v_add_co_u32 v0, vcc_lo, v0, v28
	s_delay_alu instid0(VALU_DEP_3)
	v_add_co_ci_u32_e32 v1, vcc_lo, 0, v1, vcc_lo
	global_store_b64 v2, v[0:1], s[16:17]
	s_nop 0
	s_sendmsg sendmsg(MSG_DEALLOC_VGPRS)
	s_endpgm
	.section	.rodata,"a",@progbits
	.p2align	6, 0x0
	.amdhsa_kernel _ZN7rocprim17ROCPRIM_400000_NS6detail17trampoline_kernelINS0_14default_configENS1_25partition_config_selectorILNS1_17partition_subalgoE9EyjbEEZZNS1_14partition_implILS5_9ELb0ES3_jN6thrust23THRUST_200600_302600_NS6detail15normal_iteratorINS9_10device_ptrIyEEEENSB_INSC_IjEEEEPNS0_10empty_typeENS0_5tupleIJNS9_16discard_iteratorINS9_11use_defaultEEESH_EEENSJ_IJSM_SI_EEENS0_18inequality_wrapperINS9_8equal_toIyEEEEPmJSH_EEE10hipError_tPvRmT3_T4_T5_T6_T7_T9_mT8_P12ihipStream_tbDpT10_ENKUlT_T0_E_clISt17integral_constantIbLb0EES1D_EEDaS18_S19_EUlS18_E_NS1_11comp_targetILNS1_3genE9ELNS1_11target_archE1100ELNS1_3gpuE3ELNS1_3repE0EEENS1_30default_config_static_selectorELNS0_4arch9wavefront6targetE0EEEvT1_
		.amdhsa_group_segment_fixed_size 33800
		.amdhsa_private_segment_fixed_size 0
		.amdhsa_kernarg_size 128
		.amdhsa_user_sgpr_count 15
		.amdhsa_user_sgpr_dispatch_ptr 0
		.amdhsa_user_sgpr_queue_ptr 0
		.amdhsa_user_sgpr_kernarg_segment_ptr 1
		.amdhsa_user_sgpr_dispatch_id 0
		.amdhsa_user_sgpr_private_segment_size 0
		.amdhsa_wavefront_size32 1
		.amdhsa_uses_dynamic_stack 0
		.amdhsa_enable_private_segment 0
		.amdhsa_system_sgpr_workgroup_id_x 1
		.amdhsa_system_sgpr_workgroup_id_y 0
		.amdhsa_system_sgpr_workgroup_id_z 0
		.amdhsa_system_sgpr_workgroup_info 0
		.amdhsa_system_vgpr_workitem_id 0
		.amdhsa_next_free_vgpr 59
		.amdhsa_next_free_sgpr 24
		.amdhsa_reserve_vcc 1
		.amdhsa_float_round_mode_32 0
		.amdhsa_float_round_mode_16_64 0
		.amdhsa_float_denorm_mode_32 3
		.amdhsa_float_denorm_mode_16_64 3
		.amdhsa_dx10_clamp 1
		.amdhsa_ieee_mode 1
		.amdhsa_fp16_overflow 0
		.amdhsa_workgroup_processor_mode 1
		.amdhsa_memory_ordered 1
		.amdhsa_forward_progress 0
		.amdhsa_shared_vgpr_count 0
		.amdhsa_exception_fp_ieee_invalid_op 0
		.amdhsa_exception_fp_denorm_src 0
		.amdhsa_exception_fp_ieee_div_zero 0
		.amdhsa_exception_fp_ieee_overflow 0
		.amdhsa_exception_fp_ieee_underflow 0
		.amdhsa_exception_fp_ieee_inexact 0
		.amdhsa_exception_int_div_zero 0
	.end_amdhsa_kernel
	.section	.text._ZN7rocprim17ROCPRIM_400000_NS6detail17trampoline_kernelINS0_14default_configENS1_25partition_config_selectorILNS1_17partition_subalgoE9EyjbEEZZNS1_14partition_implILS5_9ELb0ES3_jN6thrust23THRUST_200600_302600_NS6detail15normal_iteratorINS9_10device_ptrIyEEEENSB_INSC_IjEEEEPNS0_10empty_typeENS0_5tupleIJNS9_16discard_iteratorINS9_11use_defaultEEESH_EEENSJ_IJSM_SI_EEENS0_18inequality_wrapperINS9_8equal_toIyEEEEPmJSH_EEE10hipError_tPvRmT3_T4_T5_T6_T7_T9_mT8_P12ihipStream_tbDpT10_ENKUlT_T0_E_clISt17integral_constantIbLb0EES1D_EEDaS18_S19_EUlS18_E_NS1_11comp_targetILNS1_3genE9ELNS1_11target_archE1100ELNS1_3gpuE3ELNS1_3repE0EEENS1_30default_config_static_selectorELNS0_4arch9wavefront6targetE0EEEvT1_,"axG",@progbits,_ZN7rocprim17ROCPRIM_400000_NS6detail17trampoline_kernelINS0_14default_configENS1_25partition_config_selectorILNS1_17partition_subalgoE9EyjbEEZZNS1_14partition_implILS5_9ELb0ES3_jN6thrust23THRUST_200600_302600_NS6detail15normal_iteratorINS9_10device_ptrIyEEEENSB_INSC_IjEEEEPNS0_10empty_typeENS0_5tupleIJNS9_16discard_iteratorINS9_11use_defaultEEESH_EEENSJ_IJSM_SI_EEENS0_18inequality_wrapperINS9_8equal_toIyEEEEPmJSH_EEE10hipError_tPvRmT3_T4_T5_T6_T7_T9_mT8_P12ihipStream_tbDpT10_ENKUlT_T0_E_clISt17integral_constantIbLb0EES1D_EEDaS18_S19_EUlS18_E_NS1_11comp_targetILNS1_3genE9ELNS1_11target_archE1100ELNS1_3gpuE3ELNS1_3repE0EEENS1_30default_config_static_selectorELNS0_4arch9wavefront6targetE0EEEvT1_,comdat
.Lfunc_end699:
	.size	_ZN7rocprim17ROCPRIM_400000_NS6detail17trampoline_kernelINS0_14default_configENS1_25partition_config_selectorILNS1_17partition_subalgoE9EyjbEEZZNS1_14partition_implILS5_9ELb0ES3_jN6thrust23THRUST_200600_302600_NS6detail15normal_iteratorINS9_10device_ptrIyEEEENSB_INSC_IjEEEEPNS0_10empty_typeENS0_5tupleIJNS9_16discard_iteratorINS9_11use_defaultEEESH_EEENSJ_IJSM_SI_EEENS0_18inequality_wrapperINS9_8equal_toIyEEEEPmJSH_EEE10hipError_tPvRmT3_T4_T5_T6_T7_T9_mT8_P12ihipStream_tbDpT10_ENKUlT_T0_E_clISt17integral_constantIbLb0EES1D_EEDaS18_S19_EUlS18_E_NS1_11comp_targetILNS1_3genE9ELNS1_11target_archE1100ELNS1_3gpuE3ELNS1_3repE0EEENS1_30default_config_static_selectorELNS0_4arch9wavefront6targetE0EEEvT1_, .Lfunc_end699-_ZN7rocprim17ROCPRIM_400000_NS6detail17trampoline_kernelINS0_14default_configENS1_25partition_config_selectorILNS1_17partition_subalgoE9EyjbEEZZNS1_14partition_implILS5_9ELb0ES3_jN6thrust23THRUST_200600_302600_NS6detail15normal_iteratorINS9_10device_ptrIyEEEENSB_INSC_IjEEEEPNS0_10empty_typeENS0_5tupleIJNS9_16discard_iteratorINS9_11use_defaultEEESH_EEENSJ_IJSM_SI_EEENS0_18inequality_wrapperINS9_8equal_toIyEEEEPmJSH_EEE10hipError_tPvRmT3_T4_T5_T6_T7_T9_mT8_P12ihipStream_tbDpT10_ENKUlT_T0_E_clISt17integral_constantIbLb0EES1D_EEDaS18_S19_EUlS18_E_NS1_11comp_targetILNS1_3genE9ELNS1_11target_archE1100ELNS1_3gpuE3ELNS1_3repE0EEENS1_30default_config_static_selectorELNS0_4arch9wavefront6targetE0EEEvT1_
                                        ; -- End function
	.section	.AMDGPU.csdata,"",@progbits
; Kernel info:
; codeLenInByte = 7552
; NumSgprs: 26
; NumVgprs: 59
; ScratchSize: 0
; MemoryBound: 0
; FloatMode: 240
; IeeeMode: 1
; LDSByteSize: 33800 bytes/workgroup (compile time only)
; SGPRBlocks: 3
; VGPRBlocks: 7
; NumSGPRsForWavesPerEU: 26
; NumVGPRsForWavesPerEU: 59
; Occupancy: 12
; WaveLimiterHint : 1
; COMPUTE_PGM_RSRC2:SCRATCH_EN: 0
; COMPUTE_PGM_RSRC2:USER_SGPR: 15
; COMPUTE_PGM_RSRC2:TRAP_HANDLER: 0
; COMPUTE_PGM_RSRC2:TGID_X_EN: 1
; COMPUTE_PGM_RSRC2:TGID_Y_EN: 0
; COMPUTE_PGM_RSRC2:TGID_Z_EN: 0
; COMPUTE_PGM_RSRC2:TIDIG_COMP_CNT: 0
	.section	.text._ZN7rocprim17ROCPRIM_400000_NS6detail17trampoline_kernelINS0_14default_configENS1_25partition_config_selectorILNS1_17partition_subalgoE9EyjbEEZZNS1_14partition_implILS5_9ELb0ES3_jN6thrust23THRUST_200600_302600_NS6detail15normal_iteratorINS9_10device_ptrIyEEEENSB_INSC_IjEEEEPNS0_10empty_typeENS0_5tupleIJNS9_16discard_iteratorINS9_11use_defaultEEESH_EEENSJ_IJSM_SI_EEENS0_18inequality_wrapperINS9_8equal_toIyEEEEPmJSH_EEE10hipError_tPvRmT3_T4_T5_T6_T7_T9_mT8_P12ihipStream_tbDpT10_ENKUlT_T0_E_clISt17integral_constantIbLb0EES1D_EEDaS18_S19_EUlS18_E_NS1_11comp_targetILNS1_3genE8ELNS1_11target_archE1030ELNS1_3gpuE2ELNS1_3repE0EEENS1_30default_config_static_selectorELNS0_4arch9wavefront6targetE0EEEvT1_,"axG",@progbits,_ZN7rocprim17ROCPRIM_400000_NS6detail17trampoline_kernelINS0_14default_configENS1_25partition_config_selectorILNS1_17partition_subalgoE9EyjbEEZZNS1_14partition_implILS5_9ELb0ES3_jN6thrust23THRUST_200600_302600_NS6detail15normal_iteratorINS9_10device_ptrIyEEEENSB_INSC_IjEEEEPNS0_10empty_typeENS0_5tupleIJNS9_16discard_iteratorINS9_11use_defaultEEESH_EEENSJ_IJSM_SI_EEENS0_18inequality_wrapperINS9_8equal_toIyEEEEPmJSH_EEE10hipError_tPvRmT3_T4_T5_T6_T7_T9_mT8_P12ihipStream_tbDpT10_ENKUlT_T0_E_clISt17integral_constantIbLb0EES1D_EEDaS18_S19_EUlS18_E_NS1_11comp_targetILNS1_3genE8ELNS1_11target_archE1030ELNS1_3gpuE2ELNS1_3repE0EEENS1_30default_config_static_selectorELNS0_4arch9wavefront6targetE0EEEvT1_,comdat
	.protected	_ZN7rocprim17ROCPRIM_400000_NS6detail17trampoline_kernelINS0_14default_configENS1_25partition_config_selectorILNS1_17partition_subalgoE9EyjbEEZZNS1_14partition_implILS5_9ELb0ES3_jN6thrust23THRUST_200600_302600_NS6detail15normal_iteratorINS9_10device_ptrIyEEEENSB_INSC_IjEEEEPNS0_10empty_typeENS0_5tupleIJNS9_16discard_iteratorINS9_11use_defaultEEESH_EEENSJ_IJSM_SI_EEENS0_18inequality_wrapperINS9_8equal_toIyEEEEPmJSH_EEE10hipError_tPvRmT3_T4_T5_T6_T7_T9_mT8_P12ihipStream_tbDpT10_ENKUlT_T0_E_clISt17integral_constantIbLb0EES1D_EEDaS18_S19_EUlS18_E_NS1_11comp_targetILNS1_3genE8ELNS1_11target_archE1030ELNS1_3gpuE2ELNS1_3repE0EEENS1_30default_config_static_selectorELNS0_4arch9wavefront6targetE0EEEvT1_ ; -- Begin function _ZN7rocprim17ROCPRIM_400000_NS6detail17trampoline_kernelINS0_14default_configENS1_25partition_config_selectorILNS1_17partition_subalgoE9EyjbEEZZNS1_14partition_implILS5_9ELb0ES3_jN6thrust23THRUST_200600_302600_NS6detail15normal_iteratorINS9_10device_ptrIyEEEENSB_INSC_IjEEEEPNS0_10empty_typeENS0_5tupleIJNS9_16discard_iteratorINS9_11use_defaultEEESH_EEENSJ_IJSM_SI_EEENS0_18inequality_wrapperINS9_8equal_toIyEEEEPmJSH_EEE10hipError_tPvRmT3_T4_T5_T6_T7_T9_mT8_P12ihipStream_tbDpT10_ENKUlT_T0_E_clISt17integral_constantIbLb0EES1D_EEDaS18_S19_EUlS18_E_NS1_11comp_targetILNS1_3genE8ELNS1_11target_archE1030ELNS1_3gpuE2ELNS1_3repE0EEENS1_30default_config_static_selectorELNS0_4arch9wavefront6targetE0EEEvT1_
	.globl	_ZN7rocprim17ROCPRIM_400000_NS6detail17trampoline_kernelINS0_14default_configENS1_25partition_config_selectorILNS1_17partition_subalgoE9EyjbEEZZNS1_14partition_implILS5_9ELb0ES3_jN6thrust23THRUST_200600_302600_NS6detail15normal_iteratorINS9_10device_ptrIyEEEENSB_INSC_IjEEEEPNS0_10empty_typeENS0_5tupleIJNS9_16discard_iteratorINS9_11use_defaultEEESH_EEENSJ_IJSM_SI_EEENS0_18inequality_wrapperINS9_8equal_toIyEEEEPmJSH_EEE10hipError_tPvRmT3_T4_T5_T6_T7_T9_mT8_P12ihipStream_tbDpT10_ENKUlT_T0_E_clISt17integral_constantIbLb0EES1D_EEDaS18_S19_EUlS18_E_NS1_11comp_targetILNS1_3genE8ELNS1_11target_archE1030ELNS1_3gpuE2ELNS1_3repE0EEENS1_30default_config_static_selectorELNS0_4arch9wavefront6targetE0EEEvT1_
	.p2align	8
	.type	_ZN7rocprim17ROCPRIM_400000_NS6detail17trampoline_kernelINS0_14default_configENS1_25partition_config_selectorILNS1_17partition_subalgoE9EyjbEEZZNS1_14partition_implILS5_9ELb0ES3_jN6thrust23THRUST_200600_302600_NS6detail15normal_iteratorINS9_10device_ptrIyEEEENSB_INSC_IjEEEEPNS0_10empty_typeENS0_5tupleIJNS9_16discard_iteratorINS9_11use_defaultEEESH_EEENSJ_IJSM_SI_EEENS0_18inequality_wrapperINS9_8equal_toIyEEEEPmJSH_EEE10hipError_tPvRmT3_T4_T5_T6_T7_T9_mT8_P12ihipStream_tbDpT10_ENKUlT_T0_E_clISt17integral_constantIbLb0EES1D_EEDaS18_S19_EUlS18_E_NS1_11comp_targetILNS1_3genE8ELNS1_11target_archE1030ELNS1_3gpuE2ELNS1_3repE0EEENS1_30default_config_static_selectorELNS0_4arch9wavefront6targetE0EEEvT1_,@function
_ZN7rocprim17ROCPRIM_400000_NS6detail17trampoline_kernelINS0_14default_configENS1_25partition_config_selectorILNS1_17partition_subalgoE9EyjbEEZZNS1_14partition_implILS5_9ELb0ES3_jN6thrust23THRUST_200600_302600_NS6detail15normal_iteratorINS9_10device_ptrIyEEEENSB_INSC_IjEEEEPNS0_10empty_typeENS0_5tupleIJNS9_16discard_iteratorINS9_11use_defaultEEESH_EEENSJ_IJSM_SI_EEENS0_18inequality_wrapperINS9_8equal_toIyEEEEPmJSH_EEE10hipError_tPvRmT3_T4_T5_T6_T7_T9_mT8_P12ihipStream_tbDpT10_ENKUlT_T0_E_clISt17integral_constantIbLb0EES1D_EEDaS18_S19_EUlS18_E_NS1_11comp_targetILNS1_3genE8ELNS1_11target_archE1030ELNS1_3gpuE2ELNS1_3repE0EEENS1_30default_config_static_selectorELNS0_4arch9wavefront6targetE0EEEvT1_: ; @_ZN7rocprim17ROCPRIM_400000_NS6detail17trampoline_kernelINS0_14default_configENS1_25partition_config_selectorILNS1_17partition_subalgoE9EyjbEEZZNS1_14partition_implILS5_9ELb0ES3_jN6thrust23THRUST_200600_302600_NS6detail15normal_iteratorINS9_10device_ptrIyEEEENSB_INSC_IjEEEEPNS0_10empty_typeENS0_5tupleIJNS9_16discard_iteratorINS9_11use_defaultEEESH_EEENSJ_IJSM_SI_EEENS0_18inequality_wrapperINS9_8equal_toIyEEEEPmJSH_EEE10hipError_tPvRmT3_T4_T5_T6_T7_T9_mT8_P12ihipStream_tbDpT10_ENKUlT_T0_E_clISt17integral_constantIbLb0EES1D_EEDaS18_S19_EUlS18_E_NS1_11comp_targetILNS1_3genE8ELNS1_11target_archE1030ELNS1_3gpuE2ELNS1_3repE0EEENS1_30default_config_static_selectorELNS0_4arch9wavefront6targetE0EEEvT1_
; %bb.0:
	.section	.rodata,"a",@progbits
	.p2align	6, 0x0
	.amdhsa_kernel _ZN7rocprim17ROCPRIM_400000_NS6detail17trampoline_kernelINS0_14default_configENS1_25partition_config_selectorILNS1_17partition_subalgoE9EyjbEEZZNS1_14partition_implILS5_9ELb0ES3_jN6thrust23THRUST_200600_302600_NS6detail15normal_iteratorINS9_10device_ptrIyEEEENSB_INSC_IjEEEEPNS0_10empty_typeENS0_5tupleIJNS9_16discard_iteratorINS9_11use_defaultEEESH_EEENSJ_IJSM_SI_EEENS0_18inequality_wrapperINS9_8equal_toIyEEEEPmJSH_EEE10hipError_tPvRmT3_T4_T5_T6_T7_T9_mT8_P12ihipStream_tbDpT10_ENKUlT_T0_E_clISt17integral_constantIbLb0EES1D_EEDaS18_S19_EUlS18_E_NS1_11comp_targetILNS1_3genE8ELNS1_11target_archE1030ELNS1_3gpuE2ELNS1_3repE0EEENS1_30default_config_static_selectorELNS0_4arch9wavefront6targetE0EEEvT1_
		.amdhsa_group_segment_fixed_size 0
		.amdhsa_private_segment_fixed_size 0
		.amdhsa_kernarg_size 128
		.amdhsa_user_sgpr_count 15
		.amdhsa_user_sgpr_dispatch_ptr 0
		.amdhsa_user_sgpr_queue_ptr 0
		.amdhsa_user_sgpr_kernarg_segment_ptr 1
		.amdhsa_user_sgpr_dispatch_id 0
		.amdhsa_user_sgpr_private_segment_size 0
		.amdhsa_wavefront_size32 1
		.amdhsa_uses_dynamic_stack 0
		.amdhsa_enable_private_segment 0
		.amdhsa_system_sgpr_workgroup_id_x 1
		.amdhsa_system_sgpr_workgroup_id_y 0
		.amdhsa_system_sgpr_workgroup_id_z 0
		.amdhsa_system_sgpr_workgroup_info 0
		.amdhsa_system_vgpr_workitem_id 0
		.amdhsa_next_free_vgpr 1
		.amdhsa_next_free_sgpr 1
		.amdhsa_reserve_vcc 0
		.amdhsa_float_round_mode_32 0
		.amdhsa_float_round_mode_16_64 0
		.amdhsa_float_denorm_mode_32 3
		.amdhsa_float_denorm_mode_16_64 3
		.amdhsa_dx10_clamp 1
		.amdhsa_ieee_mode 1
		.amdhsa_fp16_overflow 0
		.amdhsa_workgroup_processor_mode 1
		.amdhsa_memory_ordered 1
		.amdhsa_forward_progress 0
		.amdhsa_shared_vgpr_count 0
		.amdhsa_exception_fp_ieee_invalid_op 0
		.amdhsa_exception_fp_denorm_src 0
		.amdhsa_exception_fp_ieee_div_zero 0
		.amdhsa_exception_fp_ieee_overflow 0
		.amdhsa_exception_fp_ieee_underflow 0
		.amdhsa_exception_fp_ieee_inexact 0
		.amdhsa_exception_int_div_zero 0
	.end_amdhsa_kernel
	.section	.text._ZN7rocprim17ROCPRIM_400000_NS6detail17trampoline_kernelINS0_14default_configENS1_25partition_config_selectorILNS1_17partition_subalgoE9EyjbEEZZNS1_14partition_implILS5_9ELb0ES3_jN6thrust23THRUST_200600_302600_NS6detail15normal_iteratorINS9_10device_ptrIyEEEENSB_INSC_IjEEEEPNS0_10empty_typeENS0_5tupleIJNS9_16discard_iteratorINS9_11use_defaultEEESH_EEENSJ_IJSM_SI_EEENS0_18inequality_wrapperINS9_8equal_toIyEEEEPmJSH_EEE10hipError_tPvRmT3_T4_T5_T6_T7_T9_mT8_P12ihipStream_tbDpT10_ENKUlT_T0_E_clISt17integral_constantIbLb0EES1D_EEDaS18_S19_EUlS18_E_NS1_11comp_targetILNS1_3genE8ELNS1_11target_archE1030ELNS1_3gpuE2ELNS1_3repE0EEENS1_30default_config_static_selectorELNS0_4arch9wavefront6targetE0EEEvT1_,"axG",@progbits,_ZN7rocprim17ROCPRIM_400000_NS6detail17trampoline_kernelINS0_14default_configENS1_25partition_config_selectorILNS1_17partition_subalgoE9EyjbEEZZNS1_14partition_implILS5_9ELb0ES3_jN6thrust23THRUST_200600_302600_NS6detail15normal_iteratorINS9_10device_ptrIyEEEENSB_INSC_IjEEEEPNS0_10empty_typeENS0_5tupleIJNS9_16discard_iteratorINS9_11use_defaultEEESH_EEENSJ_IJSM_SI_EEENS0_18inequality_wrapperINS9_8equal_toIyEEEEPmJSH_EEE10hipError_tPvRmT3_T4_T5_T6_T7_T9_mT8_P12ihipStream_tbDpT10_ENKUlT_T0_E_clISt17integral_constantIbLb0EES1D_EEDaS18_S19_EUlS18_E_NS1_11comp_targetILNS1_3genE8ELNS1_11target_archE1030ELNS1_3gpuE2ELNS1_3repE0EEENS1_30default_config_static_selectorELNS0_4arch9wavefront6targetE0EEEvT1_,comdat
.Lfunc_end700:
	.size	_ZN7rocprim17ROCPRIM_400000_NS6detail17trampoline_kernelINS0_14default_configENS1_25partition_config_selectorILNS1_17partition_subalgoE9EyjbEEZZNS1_14partition_implILS5_9ELb0ES3_jN6thrust23THRUST_200600_302600_NS6detail15normal_iteratorINS9_10device_ptrIyEEEENSB_INSC_IjEEEEPNS0_10empty_typeENS0_5tupleIJNS9_16discard_iteratorINS9_11use_defaultEEESH_EEENSJ_IJSM_SI_EEENS0_18inequality_wrapperINS9_8equal_toIyEEEEPmJSH_EEE10hipError_tPvRmT3_T4_T5_T6_T7_T9_mT8_P12ihipStream_tbDpT10_ENKUlT_T0_E_clISt17integral_constantIbLb0EES1D_EEDaS18_S19_EUlS18_E_NS1_11comp_targetILNS1_3genE8ELNS1_11target_archE1030ELNS1_3gpuE2ELNS1_3repE0EEENS1_30default_config_static_selectorELNS0_4arch9wavefront6targetE0EEEvT1_, .Lfunc_end700-_ZN7rocprim17ROCPRIM_400000_NS6detail17trampoline_kernelINS0_14default_configENS1_25partition_config_selectorILNS1_17partition_subalgoE9EyjbEEZZNS1_14partition_implILS5_9ELb0ES3_jN6thrust23THRUST_200600_302600_NS6detail15normal_iteratorINS9_10device_ptrIyEEEENSB_INSC_IjEEEEPNS0_10empty_typeENS0_5tupleIJNS9_16discard_iteratorINS9_11use_defaultEEESH_EEENSJ_IJSM_SI_EEENS0_18inequality_wrapperINS9_8equal_toIyEEEEPmJSH_EEE10hipError_tPvRmT3_T4_T5_T6_T7_T9_mT8_P12ihipStream_tbDpT10_ENKUlT_T0_E_clISt17integral_constantIbLb0EES1D_EEDaS18_S19_EUlS18_E_NS1_11comp_targetILNS1_3genE8ELNS1_11target_archE1030ELNS1_3gpuE2ELNS1_3repE0EEENS1_30default_config_static_selectorELNS0_4arch9wavefront6targetE0EEEvT1_
                                        ; -- End function
	.section	.AMDGPU.csdata,"",@progbits
; Kernel info:
; codeLenInByte = 0
; NumSgprs: 0
; NumVgprs: 0
; ScratchSize: 0
; MemoryBound: 0
; FloatMode: 240
; IeeeMode: 1
; LDSByteSize: 0 bytes/workgroup (compile time only)
; SGPRBlocks: 0
; VGPRBlocks: 0
; NumSGPRsForWavesPerEU: 1
; NumVGPRsForWavesPerEU: 1
; Occupancy: 16
; WaveLimiterHint : 0
; COMPUTE_PGM_RSRC2:SCRATCH_EN: 0
; COMPUTE_PGM_RSRC2:USER_SGPR: 15
; COMPUTE_PGM_RSRC2:TRAP_HANDLER: 0
; COMPUTE_PGM_RSRC2:TGID_X_EN: 1
; COMPUTE_PGM_RSRC2:TGID_Y_EN: 0
; COMPUTE_PGM_RSRC2:TGID_Z_EN: 0
; COMPUTE_PGM_RSRC2:TIDIG_COMP_CNT: 0
	.section	.text._ZN7rocprim17ROCPRIM_400000_NS6detail17trampoline_kernelINS0_14default_configENS1_25partition_config_selectorILNS1_17partition_subalgoE9EyjbEEZZNS1_14partition_implILS5_9ELb0ES3_jN6thrust23THRUST_200600_302600_NS6detail15normal_iteratorINS9_10device_ptrIyEEEENSB_INSC_IjEEEEPNS0_10empty_typeENS0_5tupleIJNS9_16discard_iteratorINS9_11use_defaultEEESH_EEENSJ_IJSM_SI_EEENS0_18inequality_wrapperINS9_8equal_toIyEEEEPmJSH_EEE10hipError_tPvRmT3_T4_T5_T6_T7_T9_mT8_P12ihipStream_tbDpT10_ENKUlT_T0_E_clISt17integral_constantIbLb1EES1D_EEDaS18_S19_EUlS18_E_NS1_11comp_targetILNS1_3genE0ELNS1_11target_archE4294967295ELNS1_3gpuE0ELNS1_3repE0EEENS1_30default_config_static_selectorELNS0_4arch9wavefront6targetE0EEEvT1_,"axG",@progbits,_ZN7rocprim17ROCPRIM_400000_NS6detail17trampoline_kernelINS0_14default_configENS1_25partition_config_selectorILNS1_17partition_subalgoE9EyjbEEZZNS1_14partition_implILS5_9ELb0ES3_jN6thrust23THRUST_200600_302600_NS6detail15normal_iteratorINS9_10device_ptrIyEEEENSB_INSC_IjEEEEPNS0_10empty_typeENS0_5tupleIJNS9_16discard_iteratorINS9_11use_defaultEEESH_EEENSJ_IJSM_SI_EEENS0_18inequality_wrapperINS9_8equal_toIyEEEEPmJSH_EEE10hipError_tPvRmT3_T4_T5_T6_T7_T9_mT8_P12ihipStream_tbDpT10_ENKUlT_T0_E_clISt17integral_constantIbLb1EES1D_EEDaS18_S19_EUlS18_E_NS1_11comp_targetILNS1_3genE0ELNS1_11target_archE4294967295ELNS1_3gpuE0ELNS1_3repE0EEENS1_30default_config_static_selectorELNS0_4arch9wavefront6targetE0EEEvT1_,comdat
	.protected	_ZN7rocprim17ROCPRIM_400000_NS6detail17trampoline_kernelINS0_14default_configENS1_25partition_config_selectorILNS1_17partition_subalgoE9EyjbEEZZNS1_14partition_implILS5_9ELb0ES3_jN6thrust23THRUST_200600_302600_NS6detail15normal_iteratorINS9_10device_ptrIyEEEENSB_INSC_IjEEEEPNS0_10empty_typeENS0_5tupleIJNS9_16discard_iteratorINS9_11use_defaultEEESH_EEENSJ_IJSM_SI_EEENS0_18inequality_wrapperINS9_8equal_toIyEEEEPmJSH_EEE10hipError_tPvRmT3_T4_T5_T6_T7_T9_mT8_P12ihipStream_tbDpT10_ENKUlT_T0_E_clISt17integral_constantIbLb1EES1D_EEDaS18_S19_EUlS18_E_NS1_11comp_targetILNS1_3genE0ELNS1_11target_archE4294967295ELNS1_3gpuE0ELNS1_3repE0EEENS1_30default_config_static_selectorELNS0_4arch9wavefront6targetE0EEEvT1_ ; -- Begin function _ZN7rocprim17ROCPRIM_400000_NS6detail17trampoline_kernelINS0_14default_configENS1_25partition_config_selectorILNS1_17partition_subalgoE9EyjbEEZZNS1_14partition_implILS5_9ELb0ES3_jN6thrust23THRUST_200600_302600_NS6detail15normal_iteratorINS9_10device_ptrIyEEEENSB_INSC_IjEEEEPNS0_10empty_typeENS0_5tupleIJNS9_16discard_iteratorINS9_11use_defaultEEESH_EEENSJ_IJSM_SI_EEENS0_18inequality_wrapperINS9_8equal_toIyEEEEPmJSH_EEE10hipError_tPvRmT3_T4_T5_T6_T7_T9_mT8_P12ihipStream_tbDpT10_ENKUlT_T0_E_clISt17integral_constantIbLb1EES1D_EEDaS18_S19_EUlS18_E_NS1_11comp_targetILNS1_3genE0ELNS1_11target_archE4294967295ELNS1_3gpuE0ELNS1_3repE0EEENS1_30default_config_static_selectorELNS0_4arch9wavefront6targetE0EEEvT1_
	.globl	_ZN7rocprim17ROCPRIM_400000_NS6detail17trampoline_kernelINS0_14default_configENS1_25partition_config_selectorILNS1_17partition_subalgoE9EyjbEEZZNS1_14partition_implILS5_9ELb0ES3_jN6thrust23THRUST_200600_302600_NS6detail15normal_iteratorINS9_10device_ptrIyEEEENSB_INSC_IjEEEEPNS0_10empty_typeENS0_5tupleIJNS9_16discard_iteratorINS9_11use_defaultEEESH_EEENSJ_IJSM_SI_EEENS0_18inequality_wrapperINS9_8equal_toIyEEEEPmJSH_EEE10hipError_tPvRmT3_T4_T5_T6_T7_T9_mT8_P12ihipStream_tbDpT10_ENKUlT_T0_E_clISt17integral_constantIbLb1EES1D_EEDaS18_S19_EUlS18_E_NS1_11comp_targetILNS1_3genE0ELNS1_11target_archE4294967295ELNS1_3gpuE0ELNS1_3repE0EEENS1_30default_config_static_selectorELNS0_4arch9wavefront6targetE0EEEvT1_
	.p2align	8
	.type	_ZN7rocprim17ROCPRIM_400000_NS6detail17trampoline_kernelINS0_14default_configENS1_25partition_config_selectorILNS1_17partition_subalgoE9EyjbEEZZNS1_14partition_implILS5_9ELb0ES3_jN6thrust23THRUST_200600_302600_NS6detail15normal_iteratorINS9_10device_ptrIyEEEENSB_INSC_IjEEEEPNS0_10empty_typeENS0_5tupleIJNS9_16discard_iteratorINS9_11use_defaultEEESH_EEENSJ_IJSM_SI_EEENS0_18inequality_wrapperINS9_8equal_toIyEEEEPmJSH_EEE10hipError_tPvRmT3_T4_T5_T6_T7_T9_mT8_P12ihipStream_tbDpT10_ENKUlT_T0_E_clISt17integral_constantIbLb1EES1D_EEDaS18_S19_EUlS18_E_NS1_11comp_targetILNS1_3genE0ELNS1_11target_archE4294967295ELNS1_3gpuE0ELNS1_3repE0EEENS1_30default_config_static_selectorELNS0_4arch9wavefront6targetE0EEEvT1_,@function
_ZN7rocprim17ROCPRIM_400000_NS6detail17trampoline_kernelINS0_14default_configENS1_25partition_config_selectorILNS1_17partition_subalgoE9EyjbEEZZNS1_14partition_implILS5_9ELb0ES3_jN6thrust23THRUST_200600_302600_NS6detail15normal_iteratorINS9_10device_ptrIyEEEENSB_INSC_IjEEEEPNS0_10empty_typeENS0_5tupleIJNS9_16discard_iteratorINS9_11use_defaultEEESH_EEENSJ_IJSM_SI_EEENS0_18inequality_wrapperINS9_8equal_toIyEEEEPmJSH_EEE10hipError_tPvRmT3_T4_T5_T6_T7_T9_mT8_P12ihipStream_tbDpT10_ENKUlT_T0_E_clISt17integral_constantIbLb1EES1D_EEDaS18_S19_EUlS18_E_NS1_11comp_targetILNS1_3genE0ELNS1_11target_archE4294967295ELNS1_3gpuE0ELNS1_3repE0EEENS1_30default_config_static_selectorELNS0_4arch9wavefront6targetE0EEEvT1_: ; @_ZN7rocprim17ROCPRIM_400000_NS6detail17trampoline_kernelINS0_14default_configENS1_25partition_config_selectorILNS1_17partition_subalgoE9EyjbEEZZNS1_14partition_implILS5_9ELb0ES3_jN6thrust23THRUST_200600_302600_NS6detail15normal_iteratorINS9_10device_ptrIyEEEENSB_INSC_IjEEEEPNS0_10empty_typeENS0_5tupleIJNS9_16discard_iteratorINS9_11use_defaultEEESH_EEENSJ_IJSM_SI_EEENS0_18inequality_wrapperINS9_8equal_toIyEEEEPmJSH_EEE10hipError_tPvRmT3_T4_T5_T6_T7_T9_mT8_P12ihipStream_tbDpT10_ENKUlT_T0_E_clISt17integral_constantIbLb1EES1D_EEDaS18_S19_EUlS18_E_NS1_11comp_targetILNS1_3genE0ELNS1_11target_archE4294967295ELNS1_3gpuE0ELNS1_3repE0EEENS1_30default_config_static_selectorELNS0_4arch9wavefront6targetE0EEEvT1_
; %bb.0:
	.section	.rodata,"a",@progbits
	.p2align	6, 0x0
	.amdhsa_kernel _ZN7rocprim17ROCPRIM_400000_NS6detail17trampoline_kernelINS0_14default_configENS1_25partition_config_selectorILNS1_17partition_subalgoE9EyjbEEZZNS1_14partition_implILS5_9ELb0ES3_jN6thrust23THRUST_200600_302600_NS6detail15normal_iteratorINS9_10device_ptrIyEEEENSB_INSC_IjEEEEPNS0_10empty_typeENS0_5tupleIJNS9_16discard_iteratorINS9_11use_defaultEEESH_EEENSJ_IJSM_SI_EEENS0_18inequality_wrapperINS9_8equal_toIyEEEEPmJSH_EEE10hipError_tPvRmT3_T4_T5_T6_T7_T9_mT8_P12ihipStream_tbDpT10_ENKUlT_T0_E_clISt17integral_constantIbLb1EES1D_EEDaS18_S19_EUlS18_E_NS1_11comp_targetILNS1_3genE0ELNS1_11target_archE4294967295ELNS1_3gpuE0ELNS1_3repE0EEENS1_30default_config_static_selectorELNS0_4arch9wavefront6targetE0EEEvT1_
		.amdhsa_group_segment_fixed_size 0
		.amdhsa_private_segment_fixed_size 0
		.amdhsa_kernarg_size 144
		.amdhsa_user_sgpr_count 15
		.amdhsa_user_sgpr_dispatch_ptr 0
		.amdhsa_user_sgpr_queue_ptr 0
		.amdhsa_user_sgpr_kernarg_segment_ptr 1
		.amdhsa_user_sgpr_dispatch_id 0
		.amdhsa_user_sgpr_private_segment_size 0
		.amdhsa_wavefront_size32 1
		.amdhsa_uses_dynamic_stack 0
		.amdhsa_enable_private_segment 0
		.amdhsa_system_sgpr_workgroup_id_x 1
		.amdhsa_system_sgpr_workgroup_id_y 0
		.amdhsa_system_sgpr_workgroup_id_z 0
		.amdhsa_system_sgpr_workgroup_info 0
		.amdhsa_system_vgpr_workitem_id 0
		.amdhsa_next_free_vgpr 1
		.amdhsa_next_free_sgpr 1
		.amdhsa_reserve_vcc 0
		.amdhsa_float_round_mode_32 0
		.amdhsa_float_round_mode_16_64 0
		.amdhsa_float_denorm_mode_32 3
		.amdhsa_float_denorm_mode_16_64 3
		.amdhsa_dx10_clamp 1
		.amdhsa_ieee_mode 1
		.amdhsa_fp16_overflow 0
		.amdhsa_workgroup_processor_mode 1
		.amdhsa_memory_ordered 1
		.amdhsa_forward_progress 0
		.amdhsa_shared_vgpr_count 0
		.amdhsa_exception_fp_ieee_invalid_op 0
		.amdhsa_exception_fp_denorm_src 0
		.amdhsa_exception_fp_ieee_div_zero 0
		.amdhsa_exception_fp_ieee_overflow 0
		.amdhsa_exception_fp_ieee_underflow 0
		.amdhsa_exception_fp_ieee_inexact 0
		.amdhsa_exception_int_div_zero 0
	.end_amdhsa_kernel
	.section	.text._ZN7rocprim17ROCPRIM_400000_NS6detail17trampoline_kernelINS0_14default_configENS1_25partition_config_selectorILNS1_17partition_subalgoE9EyjbEEZZNS1_14partition_implILS5_9ELb0ES3_jN6thrust23THRUST_200600_302600_NS6detail15normal_iteratorINS9_10device_ptrIyEEEENSB_INSC_IjEEEEPNS0_10empty_typeENS0_5tupleIJNS9_16discard_iteratorINS9_11use_defaultEEESH_EEENSJ_IJSM_SI_EEENS0_18inequality_wrapperINS9_8equal_toIyEEEEPmJSH_EEE10hipError_tPvRmT3_T4_T5_T6_T7_T9_mT8_P12ihipStream_tbDpT10_ENKUlT_T0_E_clISt17integral_constantIbLb1EES1D_EEDaS18_S19_EUlS18_E_NS1_11comp_targetILNS1_3genE0ELNS1_11target_archE4294967295ELNS1_3gpuE0ELNS1_3repE0EEENS1_30default_config_static_selectorELNS0_4arch9wavefront6targetE0EEEvT1_,"axG",@progbits,_ZN7rocprim17ROCPRIM_400000_NS6detail17trampoline_kernelINS0_14default_configENS1_25partition_config_selectorILNS1_17partition_subalgoE9EyjbEEZZNS1_14partition_implILS5_9ELb0ES3_jN6thrust23THRUST_200600_302600_NS6detail15normal_iteratorINS9_10device_ptrIyEEEENSB_INSC_IjEEEEPNS0_10empty_typeENS0_5tupleIJNS9_16discard_iteratorINS9_11use_defaultEEESH_EEENSJ_IJSM_SI_EEENS0_18inequality_wrapperINS9_8equal_toIyEEEEPmJSH_EEE10hipError_tPvRmT3_T4_T5_T6_T7_T9_mT8_P12ihipStream_tbDpT10_ENKUlT_T0_E_clISt17integral_constantIbLb1EES1D_EEDaS18_S19_EUlS18_E_NS1_11comp_targetILNS1_3genE0ELNS1_11target_archE4294967295ELNS1_3gpuE0ELNS1_3repE0EEENS1_30default_config_static_selectorELNS0_4arch9wavefront6targetE0EEEvT1_,comdat
.Lfunc_end701:
	.size	_ZN7rocprim17ROCPRIM_400000_NS6detail17trampoline_kernelINS0_14default_configENS1_25partition_config_selectorILNS1_17partition_subalgoE9EyjbEEZZNS1_14partition_implILS5_9ELb0ES3_jN6thrust23THRUST_200600_302600_NS6detail15normal_iteratorINS9_10device_ptrIyEEEENSB_INSC_IjEEEEPNS0_10empty_typeENS0_5tupleIJNS9_16discard_iteratorINS9_11use_defaultEEESH_EEENSJ_IJSM_SI_EEENS0_18inequality_wrapperINS9_8equal_toIyEEEEPmJSH_EEE10hipError_tPvRmT3_T4_T5_T6_T7_T9_mT8_P12ihipStream_tbDpT10_ENKUlT_T0_E_clISt17integral_constantIbLb1EES1D_EEDaS18_S19_EUlS18_E_NS1_11comp_targetILNS1_3genE0ELNS1_11target_archE4294967295ELNS1_3gpuE0ELNS1_3repE0EEENS1_30default_config_static_selectorELNS0_4arch9wavefront6targetE0EEEvT1_, .Lfunc_end701-_ZN7rocprim17ROCPRIM_400000_NS6detail17trampoline_kernelINS0_14default_configENS1_25partition_config_selectorILNS1_17partition_subalgoE9EyjbEEZZNS1_14partition_implILS5_9ELb0ES3_jN6thrust23THRUST_200600_302600_NS6detail15normal_iteratorINS9_10device_ptrIyEEEENSB_INSC_IjEEEEPNS0_10empty_typeENS0_5tupleIJNS9_16discard_iteratorINS9_11use_defaultEEESH_EEENSJ_IJSM_SI_EEENS0_18inequality_wrapperINS9_8equal_toIyEEEEPmJSH_EEE10hipError_tPvRmT3_T4_T5_T6_T7_T9_mT8_P12ihipStream_tbDpT10_ENKUlT_T0_E_clISt17integral_constantIbLb1EES1D_EEDaS18_S19_EUlS18_E_NS1_11comp_targetILNS1_3genE0ELNS1_11target_archE4294967295ELNS1_3gpuE0ELNS1_3repE0EEENS1_30default_config_static_selectorELNS0_4arch9wavefront6targetE0EEEvT1_
                                        ; -- End function
	.section	.AMDGPU.csdata,"",@progbits
; Kernel info:
; codeLenInByte = 0
; NumSgprs: 0
; NumVgprs: 0
; ScratchSize: 0
; MemoryBound: 0
; FloatMode: 240
; IeeeMode: 1
; LDSByteSize: 0 bytes/workgroup (compile time only)
; SGPRBlocks: 0
; VGPRBlocks: 0
; NumSGPRsForWavesPerEU: 1
; NumVGPRsForWavesPerEU: 1
; Occupancy: 16
; WaveLimiterHint : 0
; COMPUTE_PGM_RSRC2:SCRATCH_EN: 0
; COMPUTE_PGM_RSRC2:USER_SGPR: 15
; COMPUTE_PGM_RSRC2:TRAP_HANDLER: 0
; COMPUTE_PGM_RSRC2:TGID_X_EN: 1
; COMPUTE_PGM_RSRC2:TGID_Y_EN: 0
; COMPUTE_PGM_RSRC2:TGID_Z_EN: 0
; COMPUTE_PGM_RSRC2:TIDIG_COMP_CNT: 0
	.section	.text._ZN7rocprim17ROCPRIM_400000_NS6detail17trampoline_kernelINS0_14default_configENS1_25partition_config_selectorILNS1_17partition_subalgoE9EyjbEEZZNS1_14partition_implILS5_9ELb0ES3_jN6thrust23THRUST_200600_302600_NS6detail15normal_iteratorINS9_10device_ptrIyEEEENSB_INSC_IjEEEEPNS0_10empty_typeENS0_5tupleIJNS9_16discard_iteratorINS9_11use_defaultEEESH_EEENSJ_IJSM_SI_EEENS0_18inequality_wrapperINS9_8equal_toIyEEEEPmJSH_EEE10hipError_tPvRmT3_T4_T5_T6_T7_T9_mT8_P12ihipStream_tbDpT10_ENKUlT_T0_E_clISt17integral_constantIbLb1EES1D_EEDaS18_S19_EUlS18_E_NS1_11comp_targetILNS1_3genE5ELNS1_11target_archE942ELNS1_3gpuE9ELNS1_3repE0EEENS1_30default_config_static_selectorELNS0_4arch9wavefront6targetE0EEEvT1_,"axG",@progbits,_ZN7rocprim17ROCPRIM_400000_NS6detail17trampoline_kernelINS0_14default_configENS1_25partition_config_selectorILNS1_17partition_subalgoE9EyjbEEZZNS1_14partition_implILS5_9ELb0ES3_jN6thrust23THRUST_200600_302600_NS6detail15normal_iteratorINS9_10device_ptrIyEEEENSB_INSC_IjEEEEPNS0_10empty_typeENS0_5tupleIJNS9_16discard_iteratorINS9_11use_defaultEEESH_EEENSJ_IJSM_SI_EEENS0_18inequality_wrapperINS9_8equal_toIyEEEEPmJSH_EEE10hipError_tPvRmT3_T4_T5_T6_T7_T9_mT8_P12ihipStream_tbDpT10_ENKUlT_T0_E_clISt17integral_constantIbLb1EES1D_EEDaS18_S19_EUlS18_E_NS1_11comp_targetILNS1_3genE5ELNS1_11target_archE942ELNS1_3gpuE9ELNS1_3repE0EEENS1_30default_config_static_selectorELNS0_4arch9wavefront6targetE0EEEvT1_,comdat
	.protected	_ZN7rocprim17ROCPRIM_400000_NS6detail17trampoline_kernelINS0_14default_configENS1_25partition_config_selectorILNS1_17partition_subalgoE9EyjbEEZZNS1_14partition_implILS5_9ELb0ES3_jN6thrust23THRUST_200600_302600_NS6detail15normal_iteratorINS9_10device_ptrIyEEEENSB_INSC_IjEEEEPNS0_10empty_typeENS0_5tupleIJNS9_16discard_iteratorINS9_11use_defaultEEESH_EEENSJ_IJSM_SI_EEENS0_18inequality_wrapperINS9_8equal_toIyEEEEPmJSH_EEE10hipError_tPvRmT3_T4_T5_T6_T7_T9_mT8_P12ihipStream_tbDpT10_ENKUlT_T0_E_clISt17integral_constantIbLb1EES1D_EEDaS18_S19_EUlS18_E_NS1_11comp_targetILNS1_3genE5ELNS1_11target_archE942ELNS1_3gpuE9ELNS1_3repE0EEENS1_30default_config_static_selectorELNS0_4arch9wavefront6targetE0EEEvT1_ ; -- Begin function _ZN7rocprim17ROCPRIM_400000_NS6detail17trampoline_kernelINS0_14default_configENS1_25partition_config_selectorILNS1_17partition_subalgoE9EyjbEEZZNS1_14partition_implILS5_9ELb0ES3_jN6thrust23THRUST_200600_302600_NS6detail15normal_iteratorINS9_10device_ptrIyEEEENSB_INSC_IjEEEEPNS0_10empty_typeENS0_5tupleIJNS9_16discard_iteratorINS9_11use_defaultEEESH_EEENSJ_IJSM_SI_EEENS0_18inequality_wrapperINS9_8equal_toIyEEEEPmJSH_EEE10hipError_tPvRmT3_T4_T5_T6_T7_T9_mT8_P12ihipStream_tbDpT10_ENKUlT_T0_E_clISt17integral_constantIbLb1EES1D_EEDaS18_S19_EUlS18_E_NS1_11comp_targetILNS1_3genE5ELNS1_11target_archE942ELNS1_3gpuE9ELNS1_3repE0EEENS1_30default_config_static_selectorELNS0_4arch9wavefront6targetE0EEEvT1_
	.globl	_ZN7rocprim17ROCPRIM_400000_NS6detail17trampoline_kernelINS0_14default_configENS1_25partition_config_selectorILNS1_17partition_subalgoE9EyjbEEZZNS1_14partition_implILS5_9ELb0ES3_jN6thrust23THRUST_200600_302600_NS6detail15normal_iteratorINS9_10device_ptrIyEEEENSB_INSC_IjEEEEPNS0_10empty_typeENS0_5tupleIJNS9_16discard_iteratorINS9_11use_defaultEEESH_EEENSJ_IJSM_SI_EEENS0_18inequality_wrapperINS9_8equal_toIyEEEEPmJSH_EEE10hipError_tPvRmT3_T4_T5_T6_T7_T9_mT8_P12ihipStream_tbDpT10_ENKUlT_T0_E_clISt17integral_constantIbLb1EES1D_EEDaS18_S19_EUlS18_E_NS1_11comp_targetILNS1_3genE5ELNS1_11target_archE942ELNS1_3gpuE9ELNS1_3repE0EEENS1_30default_config_static_selectorELNS0_4arch9wavefront6targetE0EEEvT1_
	.p2align	8
	.type	_ZN7rocprim17ROCPRIM_400000_NS6detail17trampoline_kernelINS0_14default_configENS1_25partition_config_selectorILNS1_17partition_subalgoE9EyjbEEZZNS1_14partition_implILS5_9ELb0ES3_jN6thrust23THRUST_200600_302600_NS6detail15normal_iteratorINS9_10device_ptrIyEEEENSB_INSC_IjEEEEPNS0_10empty_typeENS0_5tupleIJNS9_16discard_iteratorINS9_11use_defaultEEESH_EEENSJ_IJSM_SI_EEENS0_18inequality_wrapperINS9_8equal_toIyEEEEPmJSH_EEE10hipError_tPvRmT3_T4_T5_T6_T7_T9_mT8_P12ihipStream_tbDpT10_ENKUlT_T0_E_clISt17integral_constantIbLb1EES1D_EEDaS18_S19_EUlS18_E_NS1_11comp_targetILNS1_3genE5ELNS1_11target_archE942ELNS1_3gpuE9ELNS1_3repE0EEENS1_30default_config_static_selectorELNS0_4arch9wavefront6targetE0EEEvT1_,@function
_ZN7rocprim17ROCPRIM_400000_NS6detail17trampoline_kernelINS0_14default_configENS1_25partition_config_selectorILNS1_17partition_subalgoE9EyjbEEZZNS1_14partition_implILS5_9ELb0ES3_jN6thrust23THRUST_200600_302600_NS6detail15normal_iteratorINS9_10device_ptrIyEEEENSB_INSC_IjEEEEPNS0_10empty_typeENS0_5tupleIJNS9_16discard_iteratorINS9_11use_defaultEEESH_EEENSJ_IJSM_SI_EEENS0_18inequality_wrapperINS9_8equal_toIyEEEEPmJSH_EEE10hipError_tPvRmT3_T4_T5_T6_T7_T9_mT8_P12ihipStream_tbDpT10_ENKUlT_T0_E_clISt17integral_constantIbLb1EES1D_EEDaS18_S19_EUlS18_E_NS1_11comp_targetILNS1_3genE5ELNS1_11target_archE942ELNS1_3gpuE9ELNS1_3repE0EEENS1_30default_config_static_selectorELNS0_4arch9wavefront6targetE0EEEvT1_: ; @_ZN7rocprim17ROCPRIM_400000_NS6detail17trampoline_kernelINS0_14default_configENS1_25partition_config_selectorILNS1_17partition_subalgoE9EyjbEEZZNS1_14partition_implILS5_9ELb0ES3_jN6thrust23THRUST_200600_302600_NS6detail15normal_iteratorINS9_10device_ptrIyEEEENSB_INSC_IjEEEEPNS0_10empty_typeENS0_5tupleIJNS9_16discard_iteratorINS9_11use_defaultEEESH_EEENSJ_IJSM_SI_EEENS0_18inequality_wrapperINS9_8equal_toIyEEEEPmJSH_EEE10hipError_tPvRmT3_T4_T5_T6_T7_T9_mT8_P12ihipStream_tbDpT10_ENKUlT_T0_E_clISt17integral_constantIbLb1EES1D_EEDaS18_S19_EUlS18_E_NS1_11comp_targetILNS1_3genE5ELNS1_11target_archE942ELNS1_3gpuE9ELNS1_3repE0EEENS1_30default_config_static_selectorELNS0_4arch9wavefront6targetE0EEEvT1_
; %bb.0:
	.section	.rodata,"a",@progbits
	.p2align	6, 0x0
	.amdhsa_kernel _ZN7rocprim17ROCPRIM_400000_NS6detail17trampoline_kernelINS0_14default_configENS1_25partition_config_selectorILNS1_17partition_subalgoE9EyjbEEZZNS1_14partition_implILS5_9ELb0ES3_jN6thrust23THRUST_200600_302600_NS6detail15normal_iteratorINS9_10device_ptrIyEEEENSB_INSC_IjEEEEPNS0_10empty_typeENS0_5tupleIJNS9_16discard_iteratorINS9_11use_defaultEEESH_EEENSJ_IJSM_SI_EEENS0_18inequality_wrapperINS9_8equal_toIyEEEEPmJSH_EEE10hipError_tPvRmT3_T4_T5_T6_T7_T9_mT8_P12ihipStream_tbDpT10_ENKUlT_T0_E_clISt17integral_constantIbLb1EES1D_EEDaS18_S19_EUlS18_E_NS1_11comp_targetILNS1_3genE5ELNS1_11target_archE942ELNS1_3gpuE9ELNS1_3repE0EEENS1_30default_config_static_selectorELNS0_4arch9wavefront6targetE0EEEvT1_
		.amdhsa_group_segment_fixed_size 0
		.amdhsa_private_segment_fixed_size 0
		.amdhsa_kernarg_size 144
		.amdhsa_user_sgpr_count 15
		.amdhsa_user_sgpr_dispatch_ptr 0
		.amdhsa_user_sgpr_queue_ptr 0
		.amdhsa_user_sgpr_kernarg_segment_ptr 1
		.amdhsa_user_sgpr_dispatch_id 0
		.amdhsa_user_sgpr_private_segment_size 0
		.amdhsa_wavefront_size32 1
		.amdhsa_uses_dynamic_stack 0
		.amdhsa_enable_private_segment 0
		.amdhsa_system_sgpr_workgroup_id_x 1
		.amdhsa_system_sgpr_workgroup_id_y 0
		.amdhsa_system_sgpr_workgroup_id_z 0
		.amdhsa_system_sgpr_workgroup_info 0
		.amdhsa_system_vgpr_workitem_id 0
		.amdhsa_next_free_vgpr 1
		.amdhsa_next_free_sgpr 1
		.amdhsa_reserve_vcc 0
		.amdhsa_float_round_mode_32 0
		.amdhsa_float_round_mode_16_64 0
		.amdhsa_float_denorm_mode_32 3
		.amdhsa_float_denorm_mode_16_64 3
		.amdhsa_dx10_clamp 1
		.amdhsa_ieee_mode 1
		.amdhsa_fp16_overflow 0
		.amdhsa_workgroup_processor_mode 1
		.amdhsa_memory_ordered 1
		.amdhsa_forward_progress 0
		.amdhsa_shared_vgpr_count 0
		.amdhsa_exception_fp_ieee_invalid_op 0
		.amdhsa_exception_fp_denorm_src 0
		.amdhsa_exception_fp_ieee_div_zero 0
		.amdhsa_exception_fp_ieee_overflow 0
		.amdhsa_exception_fp_ieee_underflow 0
		.amdhsa_exception_fp_ieee_inexact 0
		.amdhsa_exception_int_div_zero 0
	.end_amdhsa_kernel
	.section	.text._ZN7rocprim17ROCPRIM_400000_NS6detail17trampoline_kernelINS0_14default_configENS1_25partition_config_selectorILNS1_17partition_subalgoE9EyjbEEZZNS1_14partition_implILS5_9ELb0ES3_jN6thrust23THRUST_200600_302600_NS6detail15normal_iteratorINS9_10device_ptrIyEEEENSB_INSC_IjEEEEPNS0_10empty_typeENS0_5tupleIJNS9_16discard_iteratorINS9_11use_defaultEEESH_EEENSJ_IJSM_SI_EEENS0_18inequality_wrapperINS9_8equal_toIyEEEEPmJSH_EEE10hipError_tPvRmT3_T4_T5_T6_T7_T9_mT8_P12ihipStream_tbDpT10_ENKUlT_T0_E_clISt17integral_constantIbLb1EES1D_EEDaS18_S19_EUlS18_E_NS1_11comp_targetILNS1_3genE5ELNS1_11target_archE942ELNS1_3gpuE9ELNS1_3repE0EEENS1_30default_config_static_selectorELNS0_4arch9wavefront6targetE0EEEvT1_,"axG",@progbits,_ZN7rocprim17ROCPRIM_400000_NS6detail17trampoline_kernelINS0_14default_configENS1_25partition_config_selectorILNS1_17partition_subalgoE9EyjbEEZZNS1_14partition_implILS5_9ELb0ES3_jN6thrust23THRUST_200600_302600_NS6detail15normal_iteratorINS9_10device_ptrIyEEEENSB_INSC_IjEEEEPNS0_10empty_typeENS0_5tupleIJNS9_16discard_iteratorINS9_11use_defaultEEESH_EEENSJ_IJSM_SI_EEENS0_18inequality_wrapperINS9_8equal_toIyEEEEPmJSH_EEE10hipError_tPvRmT3_T4_T5_T6_T7_T9_mT8_P12ihipStream_tbDpT10_ENKUlT_T0_E_clISt17integral_constantIbLb1EES1D_EEDaS18_S19_EUlS18_E_NS1_11comp_targetILNS1_3genE5ELNS1_11target_archE942ELNS1_3gpuE9ELNS1_3repE0EEENS1_30default_config_static_selectorELNS0_4arch9wavefront6targetE0EEEvT1_,comdat
.Lfunc_end702:
	.size	_ZN7rocprim17ROCPRIM_400000_NS6detail17trampoline_kernelINS0_14default_configENS1_25partition_config_selectorILNS1_17partition_subalgoE9EyjbEEZZNS1_14partition_implILS5_9ELb0ES3_jN6thrust23THRUST_200600_302600_NS6detail15normal_iteratorINS9_10device_ptrIyEEEENSB_INSC_IjEEEEPNS0_10empty_typeENS0_5tupleIJNS9_16discard_iteratorINS9_11use_defaultEEESH_EEENSJ_IJSM_SI_EEENS0_18inequality_wrapperINS9_8equal_toIyEEEEPmJSH_EEE10hipError_tPvRmT3_T4_T5_T6_T7_T9_mT8_P12ihipStream_tbDpT10_ENKUlT_T0_E_clISt17integral_constantIbLb1EES1D_EEDaS18_S19_EUlS18_E_NS1_11comp_targetILNS1_3genE5ELNS1_11target_archE942ELNS1_3gpuE9ELNS1_3repE0EEENS1_30default_config_static_selectorELNS0_4arch9wavefront6targetE0EEEvT1_, .Lfunc_end702-_ZN7rocprim17ROCPRIM_400000_NS6detail17trampoline_kernelINS0_14default_configENS1_25partition_config_selectorILNS1_17partition_subalgoE9EyjbEEZZNS1_14partition_implILS5_9ELb0ES3_jN6thrust23THRUST_200600_302600_NS6detail15normal_iteratorINS9_10device_ptrIyEEEENSB_INSC_IjEEEEPNS0_10empty_typeENS0_5tupleIJNS9_16discard_iteratorINS9_11use_defaultEEESH_EEENSJ_IJSM_SI_EEENS0_18inequality_wrapperINS9_8equal_toIyEEEEPmJSH_EEE10hipError_tPvRmT3_T4_T5_T6_T7_T9_mT8_P12ihipStream_tbDpT10_ENKUlT_T0_E_clISt17integral_constantIbLb1EES1D_EEDaS18_S19_EUlS18_E_NS1_11comp_targetILNS1_3genE5ELNS1_11target_archE942ELNS1_3gpuE9ELNS1_3repE0EEENS1_30default_config_static_selectorELNS0_4arch9wavefront6targetE0EEEvT1_
                                        ; -- End function
	.section	.AMDGPU.csdata,"",@progbits
; Kernel info:
; codeLenInByte = 0
; NumSgprs: 0
; NumVgprs: 0
; ScratchSize: 0
; MemoryBound: 0
; FloatMode: 240
; IeeeMode: 1
; LDSByteSize: 0 bytes/workgroup (compile time only)
; SGPRBlocks: 0
; VGPRBlocks: 0
; NumSGPRsForWavesPerEU: 1
; NumVGPRsForWavesPerEU: 1
; Occupancy: 16
; WaveLimiterHint : 0
; COMPUTE_PGM_RSRC2:SCRATCH_EN: 0
; COMPUTE_PGM_RSRC2:USER_SGPR: 15
; COMPUTE_PGM_RSRC2:TRAP_HANDLER: 0
; COMPUTE_PGM_RSRC2:TGID_X_EN: 1
; COMPUTE_PGM_RSRC2:TGID_Y_EN: 0
; COMPUTE_PGM_RSRC2:TGID_Z_EN: 0
; COMPUTE_PGM_RSRC2:TIDIG_COMP_CNT: 0
	.section	.text._ZN7rocprim17ROCPRIM_400000_NS6detail17trampoline_kernelINS0_14default_configENS1_25partition_config_selectorILNS1_17partition_subalgoE9EyjbEEZZNS1_14partition_implILS5_9ELb0ES3_jN6thrust23THRUST_200600_302600_NS6detail15normal_iteratorINS9_10device_ptrIyEEEENSB_INSC_IjEEEEPNS0_10empty_typeENS0_5tupleIJNS9_16discard_iteratorINS9_11use_defaultEEESH_EEENSJ_IJSM_SI_EEENS0_18inequality_wrapperINS9_8equal_toIyEEEEPmJSH_EEE10hipError_tPvRmT3_T4_T5_T6_T7_T9_mT8_P12ihipStream_tbDpT10_ENKUlT_T0_E_clISt17integral_constantIbLb1EES1D_EEDaS18_S19_EUlS18_E_NS1_11comp_targetILNS1_3genE4ELNS1_11target_archE910ELNS1_3gpuE8ELNS1_3repE0EEENS1_30default_config_static_selectorELNS0_4arch9wavefront6targetE0EEEvT1_,"axG",@progbits,_ZN7rocprim17ROCPRIM_400000_NS6detail17trampoline_kernelINS0_14default_configENS1_25partition_config_selectorILNS1_17partition_subalgoE9EyjbEEZZNS1_14partition_implILS5_9ELb0ES3_jN6thrust23THRUST_200600_302600_NS6detail15normal_iteratorINS9_10device_ptrIyEEEENSB_INSC_IjEEEEPNS0_10empty_typeENS0_5tupleIJNS9_16discard_iteratorINS9_11use_defaultEEESH_EEENSJ_IJSM_SI_EEENS0_18inequality_wrapperINS9_8equal_toIyEEEEPmJSH_EEE10hipError_tPvRmT3_T4_T5_T6_T7_T9_mT8_P12ihipStream_tbDpT10_ENKUlT_T0_E_clISt17integral_constantIbLb1EES1D_EEDaS18_S19_EUlS18_E_NS1_11comp_targetILNS1_3genE4ELNS1_11target_archE910ELNS1_3gpuE8ELNS1_3repE0EEENS1_30default_config_static_selectorELNS0_4arch9wavefront6targetE0EEEvT1_,comdat
	.protected	_ZN7rocprim17ROCPRIM_400000_NS6detail17trampoline_kernelINS0_14default_configENS1_25partition_config_selectorILNS1_17partition_subalgoE9EyjbEEZZNS1_14partition_implILS5_9ELb0ES3_jN6thrust23THRUST_200600_302600_NS6detail15normal_iteratorINS9_10device_ptrIyEEEENSB_INSC_IjEEEEPNS0_10empty_typeENS0_5tupleIJNS9_16discard_iteratorINS9_11use_defaultEEESH_EEENSJ_IJSM_SI_EEENS0_18inequality_wrapperINS9_8equal_toIyEEEEPmJSH_EEE10hipError_tPvRmT3_T4_T5_T6_T7_T9_mT8_P12ihipStream_tbDpT10_ENKUlT_T0_E_clISt17integral_constantIbLb1EES1D_EEDaS18_S19_EUlS18_E_NS1_11comp_targetILNS1_3genE4ELNS1_11target_archE910ELNS1_3gpuE8ELNS1_3repE0EEENS1_30default_config_static_selectorELNS0_4arch9wavefront6targetE0EEEvT1_ ; -- Begin function _ZN7rocprim17ROCPRIM_400000_NS6detail17trampoline_kernelINS0_14default_configENS1_25partition_config_selectorILNS1_17partition_subalgoE9EyjbEEZZNS1_14partition_implILS5_9ELb0ES3_jN6thrust23THRUST_200600_302600_NS6detail15normal_iteratorINS9_10device_ptrIyEEEENSB_INSC_IjEEEEPNS0_10empty_typeENS0_5tupleIJNS9_16discard_iteratorINS9_11use_defaultEEESH_EEENSJ_IJSM_SI_EEENS0_18inequality_wrapperINS9_8equal_toIyEEEEPmJSH_EEE10hipError_tPvRmT3_T4_T5_T6_T7_T9_mT8_P12ihipStream_tbDpT10_ENKUlT_T0_E_clISt17integral_constantIbLb1EES1D_EEDaS18_S19_EUlS18_E_NS1_11comp_targetILNS1_3genE4ELNS1_11target_archE910ELNS1_3gpuE8ELNS1_3repE0EEENS1_30default_config_static_selectorELNS0_4arch9wavefront6targetE0EEEvT1_
	.globl	_ZN7rocprim17ROCPRIM_400000_NS6detail17trampoline_kernelINS0_14default_configENS1_25partition_config_selectorILNS1_17partition_subalgoE9EyjbEEZZNS1_14partition_implILS5_9ELb0ES3_jN6thrust23THRUST_200600_302600_NS6detail15normal_iteratorINS9_10device_ptrIyEEEENSB_INSC_IjEEEEPNS0_10empty_typeENS0_5tupleIJNS9_16discard_iteratorINS9_11use_defaultEEESH_EEENSJ_IJSM_SI_EEENS0_18inequality_wrapperINS9_8equal_toIyEEEEPmJSH_EEE10hipError_tPvRmT3_T4_T5_T6_T7_T9_mT8_P12ihipStream_tbDpT10_ENKUlT_T0_E_clISt17integral_constantIbLb1EES1D_EEDaS18_S19_EUlS18_E_NS1_11comp_targetILNS1_3genE4ELNS1_11target_archE910ELNS1_3gpuE8ELNS1_3repE0EEENS1_30default_config_static_selectorELNS0_4arch9wavefront6targetE0EEEvT1_
	.p2align	8
	.type	_ZN7rocprim17ROCPRIM_400000_NS6detail17trampoline_kernelINS0_14default_configENS1_25partition_config_selectorILNS1_17partition_subalgoE9EyjbEEZZNS1_14partition_implILS5_9ELb0ES3_jN6thrust23THRUST_200600_302600_NS6detail15normal_iteratorINS9_10device_ptrIyEEEENSB_INSC_IjEEEEPNS0_10empty_typeENS0_5tupleIJNS9_16discard_iteratorINS9_11use_defaultEEESH_EEENSJ_IJSM_SI_EEENS0_18inequality_wrapperINS9_8equal_toIyEEEEPmJSH_EEE10hipError_tPvRmT3_T4_T5_T6_T7_T9_mT8_P12ihipStream_tbDpT10_ENKUlT_T0_E_clISt17integral_constantIbLb1EES1D_EEDaS18_S19_EUlS18_E_NS1_11comp_targetILNS1_3genE4ELNS1_11target_archE910ELNS1_3gpuE8ELNS1_3repE0EEENS1_30default_config_static_selectorELNS0_4arch9wavefront6targetE0EEEvT1_,@function
_ZN7rocprim17ROCPRIM_400000_NS6detail17trampoline_kernelINS0_14default_configENS1_25partition_config_selectorILNS1_17partition_subalgoE9EyjbEEZZNS1_14partition_implILS5_9ELb0ES3_jN6thrust23THRUST_200600_302600_NS6detail15normal_iteratorINS9_10device_ptrIyEEEENSB_INSC_IjEEEEPNS0_10empty_typeENS0_5tupleIJNS9_16discard_iteratorINS9_11use_defaultEEESH_EEENSJ_IJSM_SI_EEENS0_18inequality_wrapperINS9_8equal_toIyEEEEPmJSH_EEE10hipError_tPvRmT3_T4_T5_T6_T7_T9_mT8_P12ihipStream_tbDpT10_ENKUlT_T0_E_clISt17integral_constantIbLb1EES1D_EEDaS18_S19_EUlS18_E_NS1_11comp_targetILNS1_3genE4ELNS1_11target_archE910ELNS1_3gpuE8ELNS1_3repE0EEENS1_30default_config_static_selectorELNS0_4arch9wavefront6targetE0EEEvT1_: ; @_ZN7rocprim17ROCPRIM_400000_NS6detail17trampoline_kernelINS0_14default_configENS1_25partition_config_selectorILNS1_17partition_subalgoE9EyjbEEZZNS1_14partition_implILS5_9ELb0ES3_jN6thrust23THRUST_200600_302600_NS6detail15normal_iteratorINS9_10device_ptrIyEEEENSB_INSC_IjEEEEPNS0_10empty_typeENS0_5tupleIJNS9_16discard_iteratorINS9_11use_defaultEEESH_EEENSJ_IJSM_SI_EEENS0_18inequality_wrapperINS9_8equal_toIyEEEEPmJSH_EEE10hipError_tPvRmT3_T4_T5_T6_T7_T9_mT8_P12ihipStream_tbDpT10_ENKUlT_T0_E_clISt17integral_constantIbLb1EES1D_EEDaS18_S19_EUlS18_E_NS1_11comp_targetILNS1_3genE4ELNS1_11target_archE910ELNS1_3gpuE8ELNS1_3repE0EEENS1_30default_config_static_selectorELNS0_4arch9wavefront6targetE0EEEvT1_
; %bb.0:
	.section	.rodata,"a",@progbits
	.p2align	6, 0x0
	.amdhsa_kernel _ZN7rocprim17ROCPRIM_400000_NS6detail17trampoline_kernelINS0_14default_configENS1_25partition_config_selectorILNS1_17partition_subalgoE9EyjbEEZZNS1_14partition_implILS5_9ELb0ES3_jN6thrust23THRUST_200600_302600_NS6detail15normal_iteratorINS9_10device_ptrIyEEEENSB_INSC_IjEEEEPNS0_10empty_typeENS0_5tupleIJNS9_16discard_iteratorINS9_11use_defaultEEESH_EEENSJ_IJSM_SI_EEENS0_18inequality_wrapperINS9_8equal_toIyEEEEPmJSH_EEE10hipError_tPvRmT3_T4_T5_T6_T7_T9_mT8_P12ihipStream_tbDpT10_ENKUlT_T0_E_clISt17integral_constantIbLb1EES1D_EEDaS18_S19_EUlS18_E_NS1_11comp_targetILNS1_3genE4ELNS1_11target_archE910ELNS1_3gpuE8ELNS1_3repE0EEENS1_30default_config_static_selectorELNS0_4arch9wavefront6targetE0EEEvT1_
		.amdhsa_group_segment_fixed_size 0
		.amdhsa_private_segment_fixed_size 0
		.amdhsa_kernarg_size 144
		.amdhsa_user_sgpr_count 15
		.amdhsa_user_sgpr_dispatch_ptr 0
		.amdhsa_user_sgpr_queue_ptr 0
		.amdhsa_user_sgpr_kernarg_segment_ptr 1
		.amdhsa_user_sgpr_dispatch_id 0
		.amdhsa_user_sgpr_private_segment_size 0
		.amdhsa_wavefront_size32 1
		.amdhsa_uses_dynamic_stack 0
		.amdhsa_enable_private_segment 0
		.amdhsa_system_sgpr_workgroup_id_x 1
		.amdhsa_system_sgpr_workgroup_id_y 0
		.amdhsa_system_sgpr_workgroup_id_z 0
		.amdhsa_system_sgpr_workgroup_info 0
		.amdhsa_system_vgpr_workitem_id 0
		.amdhsa_next_free_vgpr 1
		.amdhsa_next_free_sgpr 1
		.amdhsa_reserve_vcc 0
		.amdhsa_float_round_mode_32 0
		.amdhsa_float_round_mode_16_64 0
		.amdhsa_float_denorm_mode_32 3
		.amdhsa_float_denorm_mode_16_64 3
		.amdhsa_dx10_clamp 1
		.amdhsa_ieee_mode 1
		.amdhsa_fp16_overflow 0
		.amdhsa_workgroup_processor_mode 1
		.amdhsa_memory_ordered 1
		.amdhsa_forward_progress 0
		.amdhsa_shared_vgpr_count 0
		.amdhsa_exception_fp_ieee_invalid_op 0
		.amdhsa_exception_fp_denorm_src 0
		.amdhsa_exception_fp_ieee_div_zero 0
		.amdhsa_exception_fp_ieee_overflow 0
		.amdhsa_exception_fp_ieee_underflow 0
		.amdhsa_exception_fp_ieee_inexact 0
		.amdhsa_exception_int_div_zero 0
	.end_amdhsa_kernel
	.section	.text._ZN7rocprim17ROCPRIM_400000_NS6detail17trampoline_kernelINS0_14default_configENS1_25partition_config_selectorILNS1_17partition_subalgoE9EyjbEEZZNS1_14partition_implILS5_9ELb0ES3_jN6thrust23THRUST_200600_302600_NS6detail15normal_iteratorINS9_10device_ptrIyEEEENSB_INSC_IjEEEEPNS0_10empty_typeENS0_5tupleIJNS9_16discard_iteratorINS9_11use_defaultEEESH_EEENSJ_IJSM_SI_EEENS0_18inequality_wrapperINS9_8equal_toIyEEEEPmJSH_EEE10hipError_tPvRmT3_T4_T5_T6_T7_T9_mT8_P12ihipStream_tbDpT10_ENKUlT_T0_E_clISt17integral_constantIbLb1EES1D_EEDaS18_S19_EUlS18_E_NS1_11comp_targetILNS1_3genE4ELNS1_11target_archE910ELNS1_3gpuE8ELNS1_3repE0EEENS1_30default_config_static_selectorELNS0_4arch9wavefront6targetE0EEEvT1_,"axG",@progbits,_ZN7rocprim17ROCPRIM_400000_NS6detail17trampoline_kernelINS0_14default_configENS1_25partition_config_selectorILNS1_17partition_subalgoE9EyjbEEZZNS1_14partition_implILS5_9ELb0ES3_jN6thrust23THRUST_200600_302600_NS6detail15normal_iteratorINS9_10device_ptrIyEEEENSB_INSC_IjEEEEPNS0_10empty_typeENS0_5tupleIJNS9_16discard_iteratorINS9_11use_defaultEEESH_EEENSJ_IJSM_SI_EEENS0_18inequality_wrapperINS9_8equal_toIyEEEEPmJSH_EEE10hipError_tPvRmT3_T4_T5_T6_T7_T9_mT8_P12ihipStream_tbDpT10_ENKUlT_T0_E_clISt17integral_constantIbLb1EES1D_EEDaS18_S19_EUlS18_E_NS1_11comp_targetILNS1_3genE4ELNS1_11target_archE910ELNS1_3gpuE8ELNS1_3repE0EEENS1_30default_config_static_selectorELNS0_4arch9wavefront6targetE0EEEvT1_,comdat
.Lfunc_end703:
	.size	_ZN7rocprim17ROCPRIM_400000_NS6detail17trampoline_kernelINS0_14default_configENS1_25partition_config_selectorILNS1_17partition_subalgoE9EyjbEEZZNS1_14partition_implILS5_9ELb0ES3_jN6thrust23THRUST_200600_302600_NS6detail15normal_iteratorINS9_10device_ptrIyEEEENSB_INSC_IjEEEEPNS0_10empty_typeENS0_5tupleIJNS9_16discard_iteratorINS9_11use_defaultEEESH_EEENSJ_IJSM_SI_EEENS0_18inequality_wrapperINS9_8equal_toIyEEEEPmJSH_EEE10hipError_tPvRmT3_T4_T5_T6_T7_T9_mT8_P12ihipStream_tbDpT10_ENKUlT_T0_E_clISt17integral_constantIbLb1EES1D_EEDaS18_S19_EUlS18_E_NS1_11comp_targetILNS1_3genE4ELNS1_11target_archE910ELNS1_3gpuE8ELNS1_3repE0EEENS1_30default_config_static_selectorELNS0_4arch9wavefront6targetE0EEEvT1_, .Lfunc_end703-_ZN7rocprim17ROCPRIM_400000_NS6detail17trampoline_kernelINS0_14default_configENS1_25partition_config_selectorILNS1_17partition_subalgoE9EyjbEEZZNS1_14partition_implILS5_9ELb0ES3_jN6thrust23THRUST_200600_302600_NS6detail15normal_iteratorINS9_10device_ptrIyEEEENSB_INSC_IjEEEEPNS0_10empty_typeENS0_5tupleIJNS9_16discard_iteratorINS9_11use_defaultEEESH_EEENSJ_IJSM_SI_EEENS0_18inequality_wrapperINS9_8equal_toIyEEEEPmJSH_EEE10hipError_tPvRmT3_T4_T5_T6_T7_T9_mT8_P12ihipStream_tbDpT10_ENKUlT_T0_E_clISt17integral_constantIbLb1EES1D_EEDaS18_S19_EUlS18_E_NS1_11comp_targetILNS1_3genE4ELNS1_11target_archE910ELNS1_3gpuE8ELNS1_3repE0EEENS1_30default_config_static_selectorELNS0_4arch9wavefront6targetE0EEEvT1_
                                        ; -- End function
	.section	.AMDGPU.csdata,"",@progbits
; Kernel info:
; codeLenInByte = 0
; NumSgprs: 0
; NumVgprs: 0
; ScratchSize: 0
; MemoryBound: 0
; FloatMode: 240
; IeeeMode: 1
; LDSByteSize: 0 bytes/workgroup (compile time only)
; SGPRBlocks: 0
; VGPRBlocks: 0
; NumSGPRsForWavesPerEU: 1
; NumVGPRsForWavesPerEU: 1
; Occupancy: 15
; WaveLimiterHint : 0
; COMPUTE_PGM_RSRC2:SCRATCH_EN: 0
; COMPUTE_PGM_RSRC2:USER_SGPR: 15
; COMPUTE_PGM_RSRC2:TRAP_HANDLER: 0
; COMPUTE_PGM_RSRC2:TGID_X_EN: 1
; COMPUTE_PGM_RSRC2:TGID_Y_EN: 0
; COMPUTE_PGM_RSRC2:TGID_Z_EN: 0
; COMPUTE_PGM_RSRC2:TIDIG_COMP_CNT: 0
	.section	.text._ZN7rocprim17ROCPRIM_400000_NS6detail17trampoline_kernelINS0_14default_configENS1_25partition_config_selectorILNS1_17partition_subalgoE9EyjbEEZZNS1_14partition_implILS5_9ELb0ES3_jN6thrust23THRUST_200600_302600_NS6detail15normal_iteratorINS9_10device_ptrIyEEEENSB_INSC_IjEEEEPNS0_10empty_typeENS0_5tupleIJNS9_16discard_iteratorINS9_11use_defaultEEESH_EEENSJ_IJSM_SI_EEENS0_18inequality_wrapperINS9_8equal_toIyEEEEPmJSH_EEE10hipError_tPvRmT3_T4_T5_T6_T7_T9_mT8_P12ihipStream_tbDpT10_ENKUlT_T0_E_clISt17integral_constantIbLb1EES1D_EEDaS18_S19_EUlS18_E_NS1_11comp_targetILNS1_3genE3ELNS1_11target_archE908ELNS1_3gpuE7ELNS1_3repE0EEENS1_30default_config_static_selectorELNS0_4arch9wavefront6targetE0EEEvT1_,"axG",@progbits,_ZN7rocprim17ROCPRIM_400000_NS6detail17trampoline_kernelINS0_14default_configENS1_25partition_config_selectorILNS1_17partition_subalgoE9EyjbEEZZNS1_14partition_implILS5_9ELb0ES3_jN6thrust23THRUST_200600_302600_NS6detail15normal_iteratorINS9_10device_ptrIyEEEENSB_INSC_IjEEEEPNS0_10empty_typeENS0_5tupleIJNS9_16discard_iteratorINS9_11use_defaultEEESH_EEENSJ_IJSM_SI_EEENS0_18inequality_wrapperINS9_8equal_toIyEEEEPmJSH_EEE10hipError_tPvRmT3_T4_T5_T6_T7_T9_mT8_P12ihipStream_tbDpT10_ENKUlT_T0_E_clISt17integral_constantIbLb1EES1D_EEDaS18_S19_EUlS18_E_NS1_11comp_targetILNS1_3genE3ELNS1_11target_archE908ELNS1_3gpuE7ELNS1_3repE0EEENS1_30default_config_static_selectorELNS0_4arch9wavefront6targetE0EEEvT1_,comdat
	.protected	_ZN7rocprim17ROCPRIM_400000_NS6detail17trampoline_kernelINS0_14default_configENS1_25partition_config_selectorILNS1_17partition_subalgoE9EyjbEEZZNS1_14partition_implILS5_9ELb0ES3_jN6thrust23THRUST_200600_302600_NS6detail15normal_iteratorINS9_10device_ptrIyEEEENSB_INSC_IjEEEEPNS0_10empty_typeENS0_5tupleIJNS9_16discard_iteratorINS9_11use_defaultEEESH_EEENSJ_IJSM_SI_EEENS0_18inequality_wrapperINS9_8equal_toIyEEEEPmJSH_EEE10hipError_tPvRmT3_T4_T5_T6_T7_T9_mT8_P12ihipStream_tbDpT10_ENKUlT_T0_E_clISt17integral_constantIbLb1EES1D_EEDaS18_S19_EUlS18_E_NS1_11comp_targetILNS1_3genE3ELNS1_11target_archE908ELNS1_3gpuE7ELNS1_3repE0EEENS1_30default_config_static_selectorELNS0_4arch9wavefront6targetE0EEEvT1_ ; -- Begin function _ZN7rocprim17ROCPRIM_400000_NS6detail17trampoline_kernelINS0_14default_configENS1_25partition_config_selectorILNS1_17partition_subalgoE9EyjbEEZZNS1_14partition_implILS5_9ELb0ES3_jN6thrust23THRUST_200600_302600_NS6detail15normal_iteratorINS9_10device_ptrIyEEEENSB_INSC_IjEEEEPNS0_10empty_typeENS0_5tupleIJNS9_16discard_iteratorINS9_11use_defaultEEESH_EEENSJ_IJSM_SI_EEENS0_18inequality_wrapperINS9_8equal_toIyEEEEPmJSH_EEE10hipError_tPvRmT3_T4_T5_T6_T7_T9_mT8_P12ihipStream_tbDpT10_ENKUlT_T0_E_clISt17integral_constantIbLb1EES1D_EEDaS18_S19_EUlS18_E_NS1_11comp_targetILNS1_3genE3ELNS1_11target_archE908ELNS1_3gpuE7ELNS1_3repE0EEENS1_30default_config_static_selectorELNS0_4arch9wavefront6targetE0EEEvT1_
	.globl	_ZN7rocprim17ROCPRIM_400000_NS6detail17trampoline_kernelINS0_14default_configENS1_25partition_config_selectorILNS1_17partition_subalgoE9EyjbEEZZNS1_14partition_implILS5_9ELb0ES3_jN6thrust23THRUST_200600_302600_NS6detail15normal_iteratorINS9_10device_ptrIyEEEENSB_INSC_IjEEEEPNS0_10empty_typeENS0_5tupleIJNS9_16discard_iteratorINS9_11use_defaultEEESH_EEENSJ_IJSM_SI_EEENS0_18inequality_wrapperINS9_8equal_toIyEEEEPmJSH_EEE10hipError_tPvRmT3_T4_T5_T6_T7_T9_mT8_P12ihipStream_tbDpT10_ENKUlT_T0_E_clISt17integral_constantIbLb1EES1D_EEDaS18_S19_EUlS18_E_NS1_11comp_targetILNS1_3genE3ELNS1_11target_archE908ELNS1_3gpuE7ELNS1_3repE0EEENS1_30default_config_static_selectorELNS0_4arch9wavefront6targetE0EEEvT1_
	.p2align	8
	.type	_ZN7rocprim17ROCPRIM_400000_NS6detail17trampoline_kernelINS0_14default_configENS1_25partition_config_selectorILNS1_17partition_subalgoE9EyjbEEZZNS1_14partition_implILS5_9ELb0ES3_jN6thrust23THRUST_200600_302600_NS6detail15normal_iteratorINS9_10device_ptrIyEEEENSB_INSC_IjEEEEPNS0_10empty_typeENS0_5tupleIJNS9_16discard_iteratorINS9_11use_defaultEEESH_EEENSJ_IJSM_SI_EEENS0_18inequality_wrapperINS9_8equal_toIyEEEEPmJSH_EEE10hipError_tPvRmT3_T4_T5_T6_T7_T9_mT8_P12ihipStream_tbDpT10_ENKUlT_T0_E_clISt17integral_constantIbLb1EES1D_EEDaS18_S19_EUlS18_E_NS1_11comp_targetILNS1_3genE3ELNS1_11target_archE908ELNS1_3gpuE7ELNS1_3repE0EEENS1_30default_config_static_selectorELNS0_4arch9wavefront6targetE0EEEvT1_,@function
_ZN7rocprim17ROCPRIM_400000_NS6detail17trampoline_kernelINS0_14default_configENS1_25partition_config_selectorILNS1_17partition_subalgoE9EyjbEEZZNS1_14partition_implILS5_9ELb0ES3_jN6thrust23THRUST_200600_302600_NS6detail15normal_iteratorINS9_10device_ptrIyEEEENSB_INSC_IjEEEEPNS0_10empty_typeENS0_5tupleIJNS9_16discard_iteratorINS9_11use_defaultEEESH_EEENSJ_IJSM_SI_EEENS0_18inequality_wrapperINS9_8equal_toIyEEEEPmJSH_EEE10hipError_tPvRmT3_T4_T5_T6_T7_T9_mT8_P12ihipStream_tbDpT10_ENKUlT_T0_E_clISt17integral_constantIbLb1EES1D_EEDaS18_S19_EUlS18_E_NS1_11comp_targetILNS1_3genE3ELNS1_11target_archE908ELNS1_3gpuE7ELNS1_3repE0EEENS1_30default_config_static_selectorELNS0_4arch9wavefront6targetE0EEEvT1_: ; @_ZN7rocprim17ROCPRIM_400000_NS6detail17trampoline_kernelINS0_14default_configENS1_25partition_config_selectorILNS1_17partition_subalgoE9EyjbEEZZNS1_14partition_implILS5_9ELb0ES3_jN6thrust23THRUST_200600_302600_NS6detail15normal_iteratorINS9_10device_ptrIyEEEENSB_INSC_IjEEEEPNS0_10empty_typeENS0_5tupleIJNS9_16discard_iteratorINS9_11use_defaultEEESH_EEENSJ_IJSM_SI_EEENS0_18inequality_wrapperINS9_8equal_toIyEEEEPmJSH_EEE10hipError_tPvRmT3_T4_T5_T6_T7_T9_mT8_P12ihipStream_tbDpT10_ENKUlT_T0_E_clISt17integral_constantIbLb1EES1D_EEDaS18_S19_EUlS18_E_NS1_11comp_targetILNS1_3genE3ELNS1_11target_archE908ELNS1_3gpuE7ELNS1_3repE0EEENS1_30default_config_static_selectorELNS0_4arch9wavefront6targetE0EEEvT1_
; %bb.0:
	.section	.rodata,"a",@progbits
	.p2align	6, 0x0
	.amdhsa_kernel _ZN7rocprim17ROCPRIM_400000_NS6detail17trampoline_kernelINS0_14default_configENS1_25partition_config_selectorILNS1_17partition_subalgoE9EyjbEEZZNS1_14partition_implILS5_9ELb0ES3_jN6thrust23THRUST_200600_302600_NS6detail15normal_iteratorINS9_10device_ptrIyEEEENSB_INSC_IjEEEEPNS0_10empty_typeENS0_5tupleIJNS9_16discard_iteratorINS9_11use_defaultEEESH_EEENSJ_IJSM_SI_EEENS0_18inequality_wrapperINS9_8equal_toIyEEEEPmJSH_EEE10hipError_tPvRmT3_T4_T5_T6_T7_T9_mT8_P12ihipStream_tbDpT10_ENKUlT_T0_E_clISt17integral_constantIbLb1EES1D_EEDaS18_S19_EUlS18_E_NS1_11comp_targetILNS1_3genE3ELNS1_11target_archE908ELNS1_3gpuE7ELNS1_3repE0EEENS1_30default_config_static_selectorELNS0_4arch9wavefront6targetE0EEEvT1_
		.amdhsa_group_segment_fixed_size 0
		.amdhsa_private_segment_fixed_size 0
		.amdhsa_kernarg_size 144
		.amdhsa_user_sgpr_count 15
		.amdhsa_user_sgpr_dispatch_ptr 0
		.amdhsa_user_sgpr_queue_ptr 0
		.amdhsa_user_sgpr_kernarg_segment_ptr 1
		.amdhsa_user_sgpr_dispatch_id 0
		.amdhsa_user_sgpr_private_segment_size 0
		.amdhsa_wavefront_size32 1
		.amdhsa_uses_dynamic_stack 0
		.amdhsa_enable_private_segment 0
		.amdhsa_system_sgpr_workgroup_id_x 1
		.amdhsa_system_sgpr_workgroup_id_y 0
		.amdhsa_system_sgpr_workgroup_id_z 0
		.amdhsa_system_sgpr_workgroup_info 0
		.amdhsa_system_vgpr_workitem_id 0
		.amdhsa_next_free_vgpr 1
		.amdhsa_next_free_sgpr 1
		.amdhsa_reserve_vcc 0
		.amdhsa_float_round_mode_32 0
		.amdhsa_float_round_mode_16_64 0
		.amdhsa_float_denorm_mode_32 3
		.amdhsa_float_denorm_mode_16_64 3
		.amdhsa_dx10_clamp 1
		.amdhsa_ieee_mode 1
		.amdhsa_fp16_overflow 0
		.amdhsa_workgroup_processor_mode 1
		.amdhsa_memory_ordered 1
		.amdhsa_forward_progress 0
		.amdhsa_shared_vgpr_count 0
		.amdhsa_exception_fp_ieee_invalid_op 0
		.amdhsa_exception_fp_denorm_src 0
		.amdhsa_exception_fp_ieee_div_zero 0
		.amdhsa_exception_fp_ieee_overflow 0
		.amdhsa_exception_fp_ieee_underflow 0
		.amdhsa_exception_fp_ieee_inexact 0
		.amdhsa_exception_int_div_zero 0
	.end_amdhsa_kernel
	.section	.text._ZN7rocprim17ROCPRIM_400000_NS6detail17trampoline_kernelINS0_14default_configENS1_25partition_config_selectorILNS1_17partition_subalgoE9EyjbEEZZNS1_14partition_implILS5_9ELb0ES3_jN6thrust23THRUST_200600_302600_NS6detail15normal_iteratorINS9_10device_ptrIyEEEENSB_INSC_IjEEEEPNS0_10empty_typeENS0_5tupleIJNS9_16discard_iteratorINS9_11use_defaultEEESH_EEENSJ_IJSM_SI_EEENS0_18inequality_wrapperINS9_8equal_toIyEEEEPmJSH_EEE10hipError_tPvRmT3_T4_T5_T6_T7_T9_mT8_P12ihipStream_tbDpT10_ENKUlT_T0_E_clISt17integral_constantIbLb1EES1D_EEDaS18_S19_EUlS18_E_NS1_11comp_targetILNS1_3genE3ELNS1_11target_archE908ELNS1_3gpuE7ELNS1_3repE0EEENS1_30default_config_static_selectorELNS0_4arch9wavefront6targetE0EEEvT1_,"axG",@progbits,_ZN7rocprim17ROCPRIM_400000_NS6detail17trampoline_kernelINS0_14default_configENS1_25partition_config_selectorILNS1_17partition_subalgoE9EyjbEEZZNS1_14partition_implILS5_9ELb0ES3_jN6thrust23THRUST_200600_302600_NS6detail15normal_iteratorINS9_10device_ptrIyEEEENSB_INSC_IjEEEEPNS0_10empty_typeENS0_5tupleIJNS9_16discard_iteratorINS9_11use_defaultEEESH_EEENSJ_IJSM_SI_EEENS0_18inequality_wrapperINS9_8equal_toIyEEEEPmJSH_EEE10hipError_tPvRmT3_T4_T5_T6_T7_T9_mT8_P12ihipStream_tbDpT10_ENKUlT_T0_E_clISt17integral_constantIbLb1EES1D_EEDaS18_S19_EUlS18_E_NS1_11comp_targetILNS1_3genE3ELNS1_11target_archE908ELNS1_3gpuE7ELNS1_3repE0EEENS1_30default_config_static_selectorELNS0_4arch9wavefront6targetE0EEEvT1_,comdat
.Lfunc_end704:
	.size	_ZN7rocprim17ROCPRIM_400000_NS6detail17trampoline_kernelINS0_14default_configENS1_25partition_config_selectorILNS1_17partition_subalgoE9EyjbEEZZNS1_14partition_implILS5_9ELb0ES3_jN6thrust23THRUST_200600_302600_NS6detail15normal_iteratorINS9_10device_ptrIyEEEENSB_INSC_IjEEEEPNS0_10empty_typeENS0_5tupleIJNS9_16discard_iteratorINS9_11use_defaultEEESH_EEENSJ_IJSM_SI_EEENS0_18inequality_wrapperINS9_8equal_toIyEEEEPmJSH_EEE10hipError_tPvRmT3_T4_T5_T6_T7_T9_mT8_P12ihipStream_tbDpT10_ENKUlT_T0_E_clISt17integral_constantIbLb1EES1D_EEDaS18_S19_EUlS18_E_NS1_11comp_targetILNS1_3genE3ELNS1_11target_archE908ELNS1_3gpuE7ELNS1_3repE0EEENS1_30default_config_static_selectorELNS0_4arch9wavefront6targetE0EEEvT1_, .Lfunc_end704-_ZN7rocprim17ROCPRIM_400000_NS6detail17trampoline_kernelINS0_14default_configENS1_25partition_config_selectorILNS1_17partition_subalgoE9EyjbEEZZNS1_14partition_implILS5_9ELb0ES3_jN6thrust23THRUST_200600_302600_NS6detail15normal_iteratorINS9_10device_ptrIyEEEENSB_INSC_IjEEEEPNS0_10empty_typeENS0_5tupleIJNS9_16discard_iteratorINS9_11use_defaultEEESH_EEENSJ_IJSM_SI_EEENS0_18inequality_wrapperINS9_8equal_toIyEEEEPmJSH_EEE10hipError_tPvRmT3_T4_T5_T6_T7_T9_mT8_P12ihipStream_tbDpT10_ENKUlT_T0_E_clISt17integral_constantIbLb1EES1D_EEDaS18_S19_EUlS18_E_NS1_11comp_targetILNS1_3genE3ELNS1_11target_archE908ELNS1_3gpuE7ELNS1_3repE0EEENS1_30default_config_static_selectorELNS0_4arch9wavefront6targetE0EEEvT1_
                                        ; -- End function
	.section	.AMDGPU.csdata,"",@progbits
; Kernel info:
; codeLenInByte = 0
; NumSgprs: 0
; NumVgprs: 0
; ScratchSize: 0
; MemoryBound: 0
; FloatMode: 240
; IeeeMode: 1
; LDSByteSize: 0 bytes/workgroup (compile time only)
; SGPRBlocks: 0
; VGPRBlocks: 0
; NumSGPRsForWavesPerEU: 1
; NumVGPRsForWavesPerEU: 1
; Occupancy: 16
; WaveLimiterHint : 0
; COMPUTE_PGM_RSRC2:SCRATCH_EN: 0
; COMPUTE_PGM_RSRC2:USER_SGPR: 15
; COMPUTE_PGM_RSRC2:TRAP_HANDLER: 0
; COMPUTE_PGM_RSRC2:TGID_X_EN: 1
; COMPUTE_PGM_RSRC2:TGID_Y_EN: 0
; COMPUTE_PGM_RSRC2:TGID_Z_EN: 0
; COMPUTE_PGM_RSRC2:TIDIG_COMP_CNT: 0
	.section	.text._ZN7rocprim17ROCPRIM_400000_NS6detail17trampoline_kernelINS0_14default_configENS1_25partition_config_selectorILNS1_17partition_subalgoE9EyjbEEZZNS1_14partition_implILS5_9ELb0ES3_jN6thrust23THRUST_200600_302600_NS6detail15normal_iteratorINS9_10device_ptrIyEEEENSB_INSC_IjEEEEPNS0_10empty_typeENS0_5tupleIJNS9_16discard_iteratorINS9_11use_defaultEEESH_EEENSJ_IJSM_SI_EEENS0_18inequality_wrapperINS9_8equal_toIyEEEEPmJSH_EEE10hipError_tPvRmT3_T4_T5_T6_T7_T9_mT8_P12ihipStream_tbDpT10_ENKUlT_T0_E_clISt17integral_constantIbLb1EES1D_EEDaS18_S19_EUlS18_E_NS1_11comp_targetILNS1_3genE2ELNS1_11target_archE906ELNS1_3gpuE6ELNS1_3repE0EEENS1_30default_config_static_selectorELNS0_4arch9wavefront6targetE0EEEvT1_,"axG",@progbits,_ZN7rocprim17ROCPRIM_400000_NS6detail17trampoline_kernelINS0_14default_configENS1_25partition_config_selectorILNS1_17partition_subalgoE9EyjbEEZZNS1_14partition_implILS5_9ELb0ES3_jN6thrust23THRUST_200600_302600_NS6detail15normal_iteratorINS9_10device_ptrIyEEEENSB_INSC_IjEEEEPNS0_10empty_typeENS0_5tupleIJNS9_16discard_iteratorINS9_11use_defaultEEESH_EEENSJ_IJSM_SI_EEENS0_18inequality_wrapperINS9_8equal_toIyEEEEPmJSH_EEE10hipError_tPvRmT3_T4_T5_T6_T7_T9_mT8_P12ihipStream_tbDpT10_ENKUlT_T0_E_clISt17integral_constantIbLb1EES1D_EEDaS18_S19_EUlS18_E_NS1_11comp_targetILNS1_3genE2ELNS1_11target_archE906ELNS1_3gpuE6ELNS1_3repE0EEENS1_30default_config_static_selectorELNS0_4arch9wavefront6targetE0EEEvT1_,comdat
	.protected	_ZN7rocprim17ROCPRIM_400000_NS6detail17trampoline_kernelINS0_14default_configENS1_25partition_config_selectorILNS1_17partition_subalgoE9EyjbEEZZNS1_14partition_implILS5_9ELb0ES3_jN6thrust23THRUST_200600_302600_NS6detail15normal_iteratorINS9_10device_ptrIyEEEENSB_INSC_IjEEEEPNS0_10empty_typeENS0_5tupleIJNS9_16discard_iteratorINS9_11use_defaultEEESH_EEENSJ_IJSM_SI_EEENS0_18inequality_wrapperINS9_8equal_toIyEEEEPmJSH_EEE10hipError_tPvRmT3_T4_T5_T6_T7_T9_mT8_P12ihipStream_tbDpT10_ENKUlT_T0_E_clISt17integral_constantIbLb1EES1D_EEDaS18_S19_EUlS18_E_NS1_11comp_targetILNS1_3genE2ELNS1_11target_archE906ELNS1_3gpuE6ELNS1_3repE0EEENS1_30default_config_static_selectorELNS0_4arch9wavefront6targetE0EEEvT1_ ; -- Begin function _ZN7rocprim17ROCPRIM_400000_NS6detail17trampoline_kernelINS0_14default_configENS1_25partition_config_selectorILNS1_17partition_subalgoE9EyjbEEZZNS1_14partition_implILS5_9ELb0ES3_jN6thrust23THRUST_200600_302600_NS6detail15normal_iteratorINS9_10device_ptrIyEEEENSB_INSC_IjEEEEPNS0_10empty_typeENS0_5tupleIJNS9_16discard_iteratorINS9_11use_defaultEEESH_EEENSJ_IJSM_SI_EEENS0_18inequality_wrapperINS9_8equal_toIyEEEEPmJSH_EEE10hipError_tPvRmT3_T4_T5_T6_T7_T9_mT8_P12ihipStream_tbDpT10_ENKUlT_T0_E_clISt17integral_constantIbLb1EES1D_EEDaS18_S19_EUlS18_E_NS1_11comp_targetILNS1_3genE2ELNS1_11target_archE906ELNS1_3gpuE6ELNS1_3repE0EEENS1_30default_config_static_selectorELNS0_4arch9wavefront6targetE0EEEvT1_
	.globl	_ZN7rocprim17ROCPRIM_400000_NS6detail17trampoline_kernelINS0_14default_configENS1_25partition_config_selectorILNS1_17partition_subalgoE9EyjbEEZZNS1_14partition_implILS5_9ELb0ES3_jN6thrust23THRUST_200600_302600_NS6detail15normal_iteratorINS9_10device_ptrIyEEEENSB_INSC_IjEEEEPNS0_10empty_typeENS0_5tupleIJNS9_16discard_iteratorINS9_11use_defaultEEESH_EEENSJ_IJSM_SI_EEENS0_18inequality_wrapperINS9_8equal_toIyEEEEPmJSH_EEE10hipError_tPvRmT3_T4_T5_T6_T7_T9_mT8_P12ihipStream_tbDpT10_ENKUlT_T0_E_clISt17integral_constantIbLb1EES1D_EEDaS18_S19_EUlS18_E_NS1_11comp_targetILNS1_3genE2ELNS1_11target_archE906ELNS1_3gpuE6ELNS1_3repE0EEENS1_30default_config_static_selectorELNS0_4arch9wavefront6targetE0EEEvT1_
	.p2align	8
	.type	_ZN7rocprim17ROCPRIM_400000_NS6detail17trampoline_kernelINS0_14default_configENS1_25partition_config_selectorILNS1_17partition_subalgoE9EyjbEEZZNS1_14partition_implILS5_9ELb0ES3_jN6thrust23THRUST_200600_302600_NS6detail15normal_iteratorINS9_10device_ptrIyEEEENSB_INSC_IjEEEEPNS0_10empty_typeENS0_5tupleIJNS9_16discard_iteratorINS9_11use_defaultEEESH_EEENSJ_IJSM_SI_EEENS0_18inequality_wrapperINS9_8equal_toIyEEEEPmJSH_EEE10hipError_tPvRmT3_T4_T5_T6_T7_T9_mT8_P12ihipStream_tbDpT10_ENKUlT_T0_E_clISt17integral_constantIbLb1EES1D_EEDaS18_S19_EUlS18_E_NS1_11comp_targetILNS1_3genE2ELNS1_11target_archE906ELNS1_3gpuE6ELNS1_3repE0EEENS1_30default_config_static_selectorELNS0_4arch9wavefront6targetE0EEEvT1_,@function
_ZN7rocprim17ROCPRIM_400000_NS6detail17trampoline_kernelINS0_14default_configENS1_25partition_config_selectorILNS1_17partition_subalgoE9EyjbEEZZNS1_14partition_implILS5_9ELb0ES3_jN6thrust23THRUST_200600_302600_NS6detail15normal_iteratorINS9_10device_ptrIyEEEENSB_INSC_IjEEEEPNS0_10empty_typeENS0_5tupleIJNS9_16discard_iteratorINS9_11use_defaultEEESH_EEENSJ_IJSM_SI_EEENS0_18inequality_wrapperINS9_8equal_toIyEEEEPmJSH_EEE10hipError_tPvRmT3_T4_T5_T6_T7_T9_mT8_P12ihipStream_tbDpT10_ENKUlT_T0_E_clISt17integral_constantIbLb1EES1D_EEDaS18_S19_EUlS18_E_NS1_11comp_targetILNS1_3genE2ELNS1_11target_archE906ELNS1_3gpuE6ELNS1_3repE0EEENS1_30default_config_static_selectorELNS0_4arch9wavefront6targetE0EEEvT1_: ; @_ZN7rocprim17ROCPRIM_400000_NS6detail17trampoline_kernelINS0_14default_configENS1_25partition_config_selectorILNS1_17partition_subalgoE9EyjbEEZZNS1_14partition_implILS5_9ELb0ES3_jN6thrust23THRUST_200600_302600_NS6detail15normal_iteratorINS9_10device_ptrIyEEEENSB_INSC_IjEEEEPNS0_10empty_typeENS0_5tupleIJNS9_16discard_iteratorINS9_11use_defaultEEESH_EEENSJ_IJSM_SI_EEENS0_18inequality_wrapperINS9_8equal_toIyEEEEPmJSH_EEE10hipError_tPvRmT3_T4_T5_T6_T7_T9_mT8_P12ihipStream_tbDpT10_ENKUlT_T0_E_clISt17integral_constantIbLb1EES1D_EEDaS18_S19_EUlS18_E_NS1_11comp_targetILNS1_3genE2ELNS1_11target_archE906ELNS1_3gpuE6ELNS1_3repE0EEENS1_30default_config_static_selectorELNS0_4arch9wavefront6targetE0EEEvT1_
; %bb.0:
	.section	.rodata,"a",@progbits
	.p2align	6, 0x0
	.amdhsa_kernel _ZN7rocprim17ROCPRIM_400000_NS6detail17trampoline_kernelINS0_14default_configENS1_25partition_config_selectorILNS1_17partition_subalgoE9EyjbEEZZNS1_14partition_implILS5_9ELb0ES3_jN6thrust23THRUST_200600_302600_NS6detail15normal_iteratorINS9_10device_ptrIyEEEENSB_INSC_IjEEEEPNS0_10empty_typeENS0_5tupleIJNS9_16discard_iteratorINS9_11use_defaultEEESH_EEENSJ_IJSM_SI_EEENS0_18inequality_wrapperINS9_8equal_toIyEEEEPmJSH_EEE10hipError_tPvRmT3_T4_T5_T6_T7_T9_mT8_P12ihipStream_tbDpT10_ENKUlT_T0_E_clISt17integral_constantIbLb1EES1D_EEDaS18_S19_EUlS18_E_NS1_11comp_targetILNS1_3genE2ELNS1_11target_archE906ELNS1_3gpuE6ELNS1_3repE0EEENS1_30default_config_static_selectorELNS0_4arch9wavefront6targetE0EEEvT1_
		.amdhsa_group_segment_fixed_size 0
		.amdhsa_private_segment_fixed_size 0
		.amdhsa_kernarg_size 144
		.amdhsa_user_sgpr_count 15
		.amdhsa_user_sgpr_dispatch_ptr 0
		.amdhsa_user_sgpr_queue_ptr 0
		.amdhsa_user_sgpr_kernarg_segment_ptr 1
		.amdhsa_user_sgpr_dispatch_id 0
		.amdhsa_user_sgpr_private_segment_size 0
		.amdhsa_wavefront_size32 1
		.amdhsa_uses_dynamic_stack 0
		.amdhsa_enable_private_segment 0
		.amdhsa_system_sgpr_workgroup_id_x 1
		.amdhsa_system_sgpr_workgroup_id_y 0
		.amdhsa_system_sgpr_workgroup_id_z 0
		.amdhsa_system_sgpr_workgroup_info 0
		.amdhsa_system_vgpr_workitem_id 0
		.amdhsa_next_free_vgpr 1
		.amdhsa_next_free_sgpr 1
		.amdhsa_reserve_vcc 0
		.amdhsa_float_round_mode_32 0
		.amdhsa_float_round_mode_16_64 0
		.amdhsa_float_denorm_mode_32 3
		.amdhsa_float_denorm_mode_16_64 3
		.amdhsa_dx10_clamp 1
		.amdhsa_ieee_mode 1
		.amdhsa_fp16_overflow 0
		.amdhsa_workgroup_processor_mode 1
		.amdhsa_memory_ordered 1
		.amdhsa_forward_progress 0
		.amdhsa_shared_vgpr_count 0
		.amdhsa_exception_fp_ieee_invalid_op 0
		.amdhsa_exception_fp_denorm_src 0
		.amdhsa_exception_fp_ieee_div_zero 0
		.amdhsa_exception_fp_ieee_overflow 0
		.amdhsa_exception_fp_ieee_underflow 0
		.amdhsa_exception_fp_ieee_inexact 0
		.amdhsa_exception_int_div_zero 0
	.end_amdhsa_kernel
	.section	.text._ZN7rocprim17ROCPRIM_400000_NS6detail17trampoline_kernelINS0_14default_configENS1_25partition_config_selectorILNS1_17partition_subalgoE9EyjbEEZZNS1_14partition_implILS5_9ELb0ES3_jN6thrust23THRUST_200600_302600_NS6detail15normal_iteratorINS9_10device_ptrIyEEEENSB_INSC_IjEEEEPNS0_10empty_typeENS0_5tupleIJNS9_16discard_iteratorINS9_11use_defaultEEESH_EEENSJ_IJSM_SI_EEENS0_18inequality_wrapperINS9_8equal_toIyEEEEPmJSH_EEE10hipError_tPvRmT3_T4_T5_T6_T7_T9_mT8_P12ihipStream_tbDpT10_ENKUlT_T0_E_clISt17integral_constantIbLb1EES1D_EEDaS18_S19_EUlS18_E_NS1_11comp_targetILNS1_3genE2ELNS1_11target_archE906ELNS1_3gpuE6ELNS1_3repE0EEENS1_30default_config_static_selectorELNS0_4arch9wavefront6targetE0EEEvT1_,"axG",@progbits,_ZN7rocprim17ROCPRIM_400000_NS6detail17trampoline_kernelINS0_14default_configENS1_25partition_config_selectorILNS1_17partition_subalgoE9EyjbEEZZNS1_14partition_implILS5_9ELb0ES3_jN6thrust23THRUST_200600_302600_NS6detail15normal_iteratorINS9_10device_ptrIyEEEENSB_INSC_IjEEEEPNS0_10empty_typeENS0_5tupleIJNS9_16discard_iteratorINS9_11use_defaultEEESH_EEENSJ_IJSM_SI_EEENS0_18inequality_wrapperINS9_8equal_toIyEEEEPmJSH_EEE10hipError_tPvRmT3_T4_T5_T6_T7_T9_mT8_P12ihipStream_tbDpT10_ENKUlT_T0_E_clISt17integral_constantIbLb1EES1D_EEDaS18_S19_EUlS18_E_NS1_11comp_targetILNS1_3genE2ELNS1_11target_archE906ELNS1_3gpuE6ELNS1_3repE0EEENS1_30default_config_static_selectorELNS0_4arch9wavefront6targetE0EEEvT1_,comdat
.Lfunc_end705:
	.size	_ZN7rocprim17ROCPRIM_400000_NS6detail17trampoline_kernelINS0_14default_configENS1_25partition_config_selectorILNS1_17partition_subalgoE9EyjbEEZZNS1_14partition_implILS5_9ELb0ES3_jN6thrust23THRUST_200600_302600_NS6detail15normal_iteratorINS9_10device_ptrIyEEEENSB_INSC_IjEEEEPNS0_10empty_typeENS0_5tupleIJNS9_16discard_iteratorINS9_11use_defaultEEESH_EEENSJ_IJSM_SI_EEENS0_18inequality_wrapperINS9_8equal_toIyEEEEPmJSH_EEE10hipError_tPvRmT3_T4_T5_T6_T7_T9_mT8_P12ihipStream_tbDpT10_ENKUlT_T0_E_clISt17integral_constantIbLb1EES1D_EEDaS18_S19_EUlS18_E_NS1_11comp_targetILNS1_3genE2ELNS1_11target_archE906ELNS1_3gpuE6ELNS1_3repE0EEENS1_30default_config_static_selectorELNS0_4arch9wavefront6targetE0EEEvT1_, .Lfunc_end705-_ZN7rocprim17ROCPRIM_400000_NS6detail17trampoline_kernelINS0_14default_configENS1_25partition_config_selectorILNS1_17partition_subalgoE9EyjbEEZZNS1_14partition_implILS5_9ELb0ES3_jN6thrust23THRUST_200600_302600_NS6detail15normal_iteratorINS9_10device_ptrIyEEEENSB_INSC_IjEEEEPNS0_10empty_typeENS0_5tupleIJNS9_16discard_iteratorINS9_11use_defaultEEESH_EEENSJ_IJSM_SI_EEENS0_18inequality_wrapperINS9_8equal_toIyEEEEPmJSH_EEE10hipError_tPvRmT3_T4_T5_T6_T7_T9_mT8_P12ihipStream_tbDpT10_ENKUlT_T0_E_clISt17integral_constantIbLb1EES1D_EEDaS18_S19_EUlS18_E_NS1_11comp_targetILNS1_3genE2ELNS1_11target_archE906ELNS1_3gpuE6ELNS1_3repE0EEENS1_30default_config_static_selectorELNS0_4arch9wavefront6targetE0EEEvT1_
                                        ; -- End function
	.section	.AMDGPU.csdata,"",@progbits
; Kernel info:
; codeLenInByte = 0
; NumSgprs: 0
; NumVgprs: 0
; ScratchSize: 0
; MemoryBound: 0
; FloatMode: 240
; IeeeMode: 1
; LDSByteSize: 0 bytes/workgroup (compile time only)
; SGPRBlocks: 0
; VGPRBlocks: 0
; NumSGPRsForWavesPerEU: 1
; NumVGPRsForWavesPerEU: 1
; Occupancy: 16
; WaveLimiterHint : 0
; COMPUTE_PGM_RSRC2:SCRATCH_EN: 0
; COMPUTE_PGM_RSRC2:USER_SGPR: 15
; COMPUTE_PGM_RSRC2:TRAP_HANDLER: 0
; COMPUTE_PGM_RSRC2:TGID_X_EN: 1
; COMPUTE_PGM_RSRC2:TGID_Y_EN: 0
; COMPUTE_PGM_RSRC2:TGID_Z_EN: 0
; COMPUTE_PGM_RSRC2:TIDIG_COMP_CNT: 0
	.section	.text._ZN7rocprim17ROCPRIM_400000_NS6detail17trampoline_kernelINS0_14default_configENS1_25partition_config_selectorILNS1_17partition_subalgoE9EyjbEEZZNS1_14partition_implILS5_9ELb0ES3_jN6thrust23THRUST_200600_302600_NS6detail15normal_iteratorINS9_10device_ptrIyEEEENSB_INSC_IjEEEEPNS0_10empty_typeENS0_5tupleIJNS9_16discard_iteratorINS9_11use_defaultEEESH_EEENSJ_IJSM_SI_EEENS0_18inequality_wrapperINS9_8equal_toIyEEEEPmJSH_EEE10hipError_tPvRmT3_T4_T5_T6_T7_T9_mT8_P12ihipStream_tbDpT10_ENKUlT_T0_E_clISt17integral_constantIbLb1EES1D_EEDaS18_S19_EUlS18_E_NS1_11comp_targetILNS1_3genE10ELNS1_11target_archE1200ELNS1_3gpuE4ELNS1_3repE0EEENS1_30default_config_static_selectorELNS0_4arch9wavefront6targetE0EEEvT1_,"axG",@progbits,_ZN7rocprim17ROCPRIM_400000_NS6detail17trampoline_kernelINS0_14default_configENS1_25partition_config_selectorILNS1_17partition_subalgoE9EyjbEEZZNS1_14partition_implILS5_9ELb0ES3_jN6thrust23THRUST_200600_302600_NS6detail15normal_iteratorINS9_10device_ptrIyEEEENSB_INSC_IjEEEEPNS0_10empty_typeENS0_5tupleIJNS9_16discard_iteratorINS9_11use_defaultEEESH_EEENSJ_IJSM_SI_EEENS0_18inequality_wrapperINS9_8equal_toIyEEEEPmJSH_EEE10hipError_tPvRmT3_T4_T5_T6_T7_T9_mT8_P12ihipStream_tbDpT10_ENKUlT_T0_E_clISt17integral_constantIbLb1EES1D_EEDaS18_S19_EUlS18_E_NS1_11comp_targetILNS1_3genE10ELNS1_11target_archE1200ELNS1_3gpuE4ELNS1_3repE0EEENS1_30default_config_static_selectorELNS0_4arch9wavefront6targetE0EEEvT1_,comdat
	.protected	_ZN7rocprim17ROCPRIM_400000_NS6detail17trampoline_kernelINS0_14default_configENS1_25partition_config_selectorILNS1_17partition_subalgoE9EyjbEEZZNS1_14partition_implILS5_9ELb0ES3_jN6thrust23THRUST_200600_302600_NS6detail15normal_iteratorINS9_10device_ptrIyEEEENSB_INSC_IjEEEEPNS0_10empty_typeENS0_5tupleIJNS9_16discard_iteratorINS9_11use_defaultEEESH_EEENSJ_IJSM_SI_EEENS0_18inequality_wrapperINS9_8equal_toIyEEEEPmJSH_EEE10hipError_tPvRmT3_T4_T5_T6_T7_T9_mT8_P12ihipStream_tbDpT10_ENKUlT_T0_E_clISt17integral_constantIbLb1EES1D_EEDaS18_S19_EUlS18_E_NS1_11comp_targetILNS1_3genE10ELNS1_11target_archE1200ELNS1_3gpuE4ELNS1_3repE0EEENS1_30default_config_static_selectorELNS0_4arch9wavefront6targetE0EEEvT1_ ; -- Begin function _ZN7rocprim17ROCPRIM_400000_NS6detail17trampoline_kernelINS0_14default_configENS1_25partition_config_selectorILNS1_17partition_subalgoE9EyjbEEZZNS1_14partition_implILS5_9ELb0ES3_jN6thrust23THRUST_200600_302600_NS6detail15normal_iteratorINS9_10device_ptrIyEEEENSB_INSC_IjEEEEPNS0_10empty_typeENS0_5tupleIJNS9_16discard_iteratorINS9_11use_defaultEEESH_EEENSJ_IJSM_SI_EEENS0_18inequality_wrapperINS9_8equal_toIyEEEEPmJSH_EEE10hipError_tPvRmT3_T4_T5_T6_T7_T9_mT8_P12ihipStream_tbDpT10_ENKUlT_T0_E_clISt17integral_constantIbLb1EES1D_EEDaS18_S19_EUlS18_E_NS1_11comp_targetILNS1_3genE10ELNS1_11target_archE1200ELNS1_3gpuE4ELNS1_3repE0EEENS1_30default_config_static_selectorELNS0_4arch9wavefront6targetE0EEEvT1_
	.globl	_ZN7rocprim17ROCPRIM_400000_NS6detail17trampoline_kernelINS0_14default_configENS1_25partition_config_selectorILNS1_17partition_subalgoE9EyjbEEZZNS1_14partition_implILS5_9ELb0ES3_jN6thrust23THRUST_200600_302600_NS6detail15normal_iteratorINS9_10device_ptrIyEEEENSB_INSC_IjEEEEPNS0_10empty_typeENS0_5tupleIJNS9_16discard_iteratorINS9_11use_defaultEEESH_EEENSJ_IJSM_SI_EEENS0_18inequality_wrapperINS9_8equal_toIyEEEEPmJSH_EEE10hipError_tPvRmT3_T4_T5_T6_T7_T9_mT8_P12ihipStream_tbDpT10_ENKUlT_T0_E_clISt17integral_constantIbLb1EES1D_EEDaS18_S19_EUlS18_E_NS1_11comp_targetILNS1_3genE10ELNS1_11target_archE1200ELNS1_3gpuE4ELNS1_3repE0EEENS1_30default_config_static_selectorELNS0_4arch9wavefront6targetE0EEEvT1_
	.p2align	8
	.type	_ZN7rocprim17ROCPRIM_400000_NS6detail17trampoline_kernelINS0_14default_configENS1_25partition_config_selectorILNS1_17partition_subalgoE9EyjbEEZZNS1_14partition_implILS5_9ELb0ES3_jN6thrust23THRUST_200600_302600_NS6detail15normal_iteratorINS9_10device_ptrIyEEEENSB_INSC_IjEEEEPNS0_10empty_typeENS0_5tupleIJNS9_16discard_iteratorINS9_11use_defaultEEESH_EEENSJ_IJSM_SI_EEENS0_18inequality_wrapperINS9_8equal_toIyEEEEPmJSH_EEE10hipError_tPvRmT3_T4_T5_T6_T7_T9_mT8_P12ihipStream_tbDpT10_ENKUlT_T0_E_clISt17integral_constantIbLb1EES1D_EEDaS18_S19_EUlS18_E_NS1_11comp_targetILNS1_3genE10ELNS1_11target_archE1200ELNS1_3gpuE4ELNS1_3repE0EEENS1_30default_config_static_selectorELNS0_4arch9wavefront6targetE0EEEvT1_,@function
_ZN7rocprim17ROCPRIM_400000_NS6detail17trampoline_kernelINS0_14default_configENS1_25partition_config_selectorILNS1_17partition_subalgoE9EyjbEEZZNS1_14partition_implILS5_9ELb0ES3_jN6thrust23THRUST_200600_302600_NS6detail15normal_iteratorINS9_10device_ptrIyEEEENSB_INSC_IjEEEEPNS0_10empty_typeENS0_5tupleIJNS9_16discard_iteratorINS9_11use_defaultEEESH_EEENSJ_IJSM_SI_EEENS0_18inequality_wrapperINS9_8equal_toIyEEEEPmJSH_EEE10hipError_tPvRmT3_T4_T5_T6_T7_T9_mT8_P12ihipStream_tbDpT10_ENKUlT_T0_E_clISt17integral_constantIbLb1EES1D_EEDaS18_S19_EUlS18_E_NS1_11comp_targetILNS1_3genE10ELNS1_11target_archE1200ELNS1_3gpuE4ELNS1_3repE0EEENS1_30default_config_static_selectorELNS0_4arch9wavefront6targetE0EEEvT1_: ; @_ZN7rocprim17ROCPRIM_400000_NS6detail17trampoline_kernelINS0_14default_configENS1_25partition_config_selectorILNS1_17partition_subalgoE9EyjbEEZZNS1_14partition_implILS5_9ELb0ES3_jN6thrust23THRUST_200600_302600_NS6detail15normal_iteratorINS9_10device_ptrIyEEEENSB_INSC_IjEEEEPNS0_10empty_typeENS0_5tupleIJNS9_16discard_iteratorINS9_11use_defaultEEESH_EEENSJ_IJSM_SI_EEENS0_18inequality_wrapperINS9_8equal_toIyEEEEPmJSH_EEE10hipError_tPvRmT3_T4_T5_T6_T7_T9_mT8_P12ihipStream_tbDpT10_ENKUlT_T0_E_clISt17integral_constantIbLb1EES1D_EEDaS18_S19_EUlS18_E_NS1_11comp_targetILNS1_3genE10ELNS1_11target_archE1200ELNS1_3gpuE4ELNS1_3repE0EEENS1_30default_config_static_selectorELNS0_4arch9wavefront6targetE0EEEvT1_
; %bb.0:
	.section	.rodata,"a",@progbits
	.p2align	6, 0x0
	.amdhsa_kernel _ZN7rocprim17ROCPRIM_400000_NS6detail17trampoline_kernelINS0_14default_configENS1_25partition_config_selectorILNS1_17partition_subalgoE9EyjbEEZZNS1_14partition_implILS5_9ELb0ES3_jN6thrust23THRUST_200600_302600_NS6detail15normal_iteratorINS9_10device_ptrIyEEEENSB_INSC_IjEEEEPNS0_10empty_typeENS0_5tupleIJNS9_16discard_iteratorINS9_11use_defaultEEESH_EEENSJ_IJSM_SI_EEENS0_18inequality_wrapperINS9_8equal_toIyEEEEPmJSH_EEE10hipError_tPvRmT3_T4_T5_T6_T7_T9_mT8_P12ihipStream_tbDpT10_ENKUlT_T0_E_clISt17integral_constantIbLb1EES1D_EEDaS18_S19_EUlS18_E_NS1_11comp_targetILNS1_3genE10ELNS1_11target_archE1200ELNS1_3gpuE4ELNS1_3repE0EEENS1_30default_config_static_selectorELNS0_4arch9wavefront6targetE0EEEvT1_
		.amdhsa_group_segment_fixed_size 0
		.amdhsa_private_segment_fixed_size 0
		.amdhsa_kernarg_size 144
		.amdhsa_user_sgpr_count 15
		.amdhsa_user_sgpr_dispatch_ptr 0
		.amdhsa_user_sgpr_queue_ptr 0
		.amdhsa_user_sgpr_kernarg_segment_ptr 1
		.amdhsa_user_sgpr_dispatch_id 0
		.amdhsa_user_sgpr_private_segment_size 0
		.amdhsa_wavefront_size32 1
		.amdhsa_uses_dynamic_stack 0
		.amdhsa_enable_private_segment 0
		.amdhsa_system_sgpr_workgroup_id_x 1
		.amdhsa_system_sgpr_workgroup_id_y 0
		.amdhsa_system_sgpr_workgroup_id_z 0
		.amdhsa_system_sgpr_workgroup_info 0
		.amdhsa_system_vgpr_workitem_id 0
		.amdhsa_next_free_vgpr 1
		.amdhsa_next_free_sgpr 1
		.amdhsa_reserve_vcc 0
		.amdhsa_float_round_mode_32 0
		.amdhsa_float_round_mode_16_64 0
		.amdhsa_float_denorm_mode_32 3
		.amdhsa_float_denorm_mode_16_64 3
		.amdhsa_dx10_clamp 1
		.amdhsa_ieee_mode 1
		.amdhsa_fp16_overflow 0
		.amdhsa_workgroup_processor_mode 1
		.amdhsa_memory_ordered 1
		.amdhsa_forward_progress 0
		.amdhsa_shared_vgpr_count 0
		.amdhsa_exception_fp_ieee_invalid_op 0
		.amdhsa_exception_fp_denorm_src 0
		.amdhsa_exception_fp_ieee_div_zero 0
		.amdhsa_exception_fp_ieee_overflow 0
		.amdhsa_exception_fp_ieee_underflow 0
		.amdhsa_exception_fp_ieee_inexact 0
		.amdhsa_exception_int_div_zero 0
	.end_amdhsa_kernel
	.section	.text._ZN7rocprim17ROCPRIM_400000_NS6detail17trampoline_kernelINS0_14default_configENS1_25partition_config_selectorILNS1_17partition_subalgoE9EyjbEEZZNS1_14partition_implILS5_9ELb0ES3_jN6thrust23THRUST_200600_302600_NS6detail15normal_iteratorINS9_10device_ptrIyEEEENSB_INSC_IjEEEEPNS0_10empty_typeENS0_5tupleIJNS9_16discard_iteratorINS9_11use_defaultEEESH_EEENSJ_IJSM_SI_EEENS0_18inequality_wrapperINS9_8equal_toIyEEEEPmJSH_EEE10hipError_tPvRmT3_T4_T5_T6_T7_T9_mT8_P12ihipStream_tbDpT10_ENKUlT_T0_E_clISt17integral_constantIbLb1EES1D_EEDaS18_S19_EUlS18_E_NS1_11comp_targetILNS1_3genE10ELNS1_11target_archE1200ELNS1_3gpuE4ELNS1_3repE0EEENS1_30default_config_static_selectorELNS0_4arch9wavefront6targetE0EEEvT1_,"axG",@progbits,_ZN7rocprim17ROCPRIM_400000_NS6detail17trampoline_kernelINS0_14default_configENS1_25partition_config_selectorILNS1_17partition_subalgoE9EyjbEEZZNS1_14partition_implILS5_9ELb0ES3_jN6thrust23THRUST_200600_302600_NS6detail15normal_iteratorINS9_10device_ptrIyEEEENSB_INSC_IjEEEEPNS0_10empty_typeENS0_5tupleIJNS9_16discard_iteratorINS9_11use_defaultEEESH_EEENSJ_IJSM_SI_EEENS0_18inequality_wrapperINS9_8equal_toIyEEEEPmJSH_EEE10hipError_tPvRmT3_T4_T5_T6_T7_T9_mT8_P12ihipStream_tbDpT10_ENKUlT_T0_E_clISt17integral_constantIbLb1EES1D_EEDaS18_S19_EUlS18_E_NS1_11comp_targetILNS1_3genE10ELNS1_11target_archE1200ELNS1_3gpuE4ELNS1_3repE0EEENS1_30default_config_static_selectorELNS0_4arch9wavefront6targetE0EEEvT1_,comdat
.Lfunc_end706:
	.size	_ZN7rocprim17ROCPRIM_400000_NS6detail17trampoline_kernelINS0_14default_configENS1_25partition_config_selectorILNS1_17partition_subalgoE9EyjbEEZZNS1_14partition_implILS5_9ELb0ES3_jN6thrust23THRUST_200600_302600_NS6detail15normal_iteratorINS9_10device_ptrIyEEEENSB_INSC_IjEEEEPNS0_10empty_typeENS0_5tupleIJNS9_16discard_iteratorINS9_11use_defaultEEESH_EEENSJ_IJSM_SI_EEENS0_18inequality_wrapperINS9_8equal_toIyEEEEPmJSH_EEE10hipError_tPvRmT3_T4_T5_T6_T7_T9_mT8_P12ihipStream_tbDpT10_ENKUlT_T0_E_clISt17integral_constantIbLb1EES1D_EEDaS18_S19_EUlS18_E_NS1_11comp_targetILNS1_3genE10ELNS1_11target_archE1200ELNS1_3gpuE4ELNS1_3repE0EEENS1_30default_config_static_selectorELNS0_4arch9wavefront6targetE0EEEvT1_, .Lfunc_end706-_ZN7rocprim17ROCPRIM_400000_NS6detail17trampoline_kernelINS0_14default_configENS1_25partition_config_selectorILNS1_17partition_subalgoE9EyjbEEZZNS1_14partition_implILS5_9ELb0ES3_jN6thrust23THRUST_200600_302600_NS6detail15normal_iteratorINS9_10device_ptrIyEEEENSB_INSC_IjEEEEPNS0_10empty_typeENS0_5tupleIJNS9_16discard_iteratorINS9_11use_defaultEEESH_EEENSJ_IJSM_SI_EEENS0_18inequality_wrapperINS9_8equal_toIyEEEEPmJSH_EEE10hipError_tPvRmT3_T4_T5_T6_T7_T9_mT8_P12ihipStream_tbDpT10_ENKUlT_T0_E_clISt17integral_constantIbLb1EES1D_EEDaS18_S19_EUlS18_E_NS1_11comp_targetILNS1_3genE10ELNS1_11target_archE1200ELNS1_3gpuE4ELNS1_3repE0EEENS1_30default_config_static_selectorELNS0_4arch9wavefront6targetE0EEEvT1_
                                        ; -- End function
	.section	.AMDGPU.csdata,"",@progbits
; Kernel info:
; codeLenInByte = 0
; NumSgprs: 0
; NumVgprs: 0
; ScratchSize: 0
; MemoryBound: 0
; FloatMode: 240
; IeeeMode: 1
; LDSByteSize: 0 bytes/workgroup (compile time only)
; SGPRBlocks: 0
; VGPRBlocks: 0
; NumSGPRsForWavesPerEU: 1
; NumVGPRsForWavesPerEU: 1
; Occupancy: 15
; WaveLimiterHint : 0
; COMPUTE_PGM_RSRC2:SCRATCH_EN: 0
; COMPUTE_PGM_RSRC2:USER_SGPR: 15
; COMPUTE_PGM_RSRC2:TRAP_HANDLER: 0
; COMPUTE_PGM_RSRC2:TGID_X_EN: 1
; COMPUTE_PGM_RSRC2:TGID_Y_EN: 0
; COMPUTE_PGM_RSRC2:TGID_Z_EN: 0
; COMPUTE_PGM_RSRC2:TIDIG_COMP_CNT: 0
	.section	.text._ZN7rocprim17ROCPRIM_400000_NS6detail17trampoline_kernelINS0_14default_configENS1_25partition_config_selectorILNS1_17partition_subalgoE9EyjbEEZZNS1_14partition_implILS5_9ELb0ES3_jN6thrust23THRUST_200600_302600_NS6detail15normal_iteratorINS9_10device_ptrIyEEEENSB_INSC_IjEEEEPNS0_10empty_typeENS0_5tupleIJNS9_16discard_iteratorINS9_11use_defaultEEESH_EEENSJ_IJSM_SI_EEENS0_18inequality_wrapperINS9_8equal_toIyEEEEPmJSH_EEE10hipError_tPvRmT3_T4_T5_T6_T7_T9_mT8_P12ihipStream_tbDpT10_ENKUlT_T0_E_clISt17integral_constantIbLb1EES1D_EEDaS18_S19_EUlS18_E_NS1_11comp_targetILNS1_3genE9ELNS1_11target_archE1100ELNS1_3gpuE3ELNS1_3repE0EEENS1_30default_config_static_selectorELNS0_4arch9wavefront6targetE0EEEvT1_,"axG",@progbits,_ZN7rocprim17ROCPRIM_400000_NS6detail17trampoline_kernelINS0_14default_configENS1_25partition_config_selectorILNS1_17partition_subalgoE9EyjbEEZZNS1_14partition_implILS5_9ELb0ES3_jN6thrust23THRUST_200600_302600_NS6detail15normal_iteratorINS9_10device_ptrIyEEEENSB_INSC_IjEEEEPNS0_10empty_typeENS0_5tupleIJNS9_16discard_iteratorINS9_11use_defaultEEESH_EEENSJ_IJSM_SI_EEENS0_18inequality_wrapperINS9_8equal_toIyEEEEPmJSH_EEE10hipError_tPvRmT3_T4_T5_T6_T7_T9_mT8_P12ihipStream_tbDpT10_ENKUlT_T0_E_clISt17integral_constantIbLb1EES1D_EEDaS18_S19_EUlS18_E_NS1_11comp_targetILNS1_3genE9ELNS1_11target_archE1100ELNS1_3gpuE3ELNS1_3repE0EEENS1_30default_config_static_selectorELNS0_4arch9wavefront6targetE0EEEvT1_,comdat
	.protected	_ZN7rocprim17ROCPRIM_400000_NS6detail17trampoline_kernelINS0_14default_configENS1_25partition_config_selectorILNS1_17partition_subalgoE9EyjbEEZZNS1_14partition_implILS5_9ELb0ES3_jN6thrust23THRUST_200600_302600_NS6detail15normal_iteratorINS9_10device_ptrIyEEEENSB_INSC_IjEEEEPNS0_10empty_typeENS0_5tupleIJNS9_16discard_iteratorINS9_11use_defaultEEESH_EEENSJ_IJSM_SI_EEENS0_18inequality_wrapperINS9_8equal_toIyEEEEPmJSH_EEE10hipError_tPvRmT3_T4_T5_T6_T7_T9_mT8_P12ihipStream_tbDpT10_ENKUlT_T0_E_clISt17integral_constantIbLb1EES1D_EEDaS18_S19_EUlS18_E_NS1_11comp_targetILNS1_3genE9ELNS1_11target_archE1100ELNS1_3gpuE3ELNS1_3repE0EEENS1_30default_config_static_selectorELNS0_4arch9wavefront6targetE0EEEvT1_ ; -- Begin function _ZN7rocprim17ROCPRIM_400000_NS6detail17trampoline_kernelINS0_14default_configENS1_25partition_config_selectorILNS1_17partition_subalgoE9EyjbEEZZNS1_14partition_implILS5_9ELb0ES3_jN6thrust23THRUST_200600_302600_NS6detail15normal_iteratorINS9_10device_ptrIyEEEENSB_INSC_IjEEEEPNS0_10empty_typeENS0_5tupleIJNS9_16discard_iteratorINS9_11use_defaultEEESH_EEENSJ_IJSM_SI_EEENS0_18inequality_wrapperINS9_8equal_toIyEEEEPmJSH_EEE10hipError_tPvRmT3_T4_T5_T6_T7_T9_mT8_P12ihipStream_tbDpT10_ENKUlT_T0_E_clISt17integral_constantIbLb1EES1D_EEDaS18_S19_EUlS18_E_NS1_11comp_targetILNS1_3genE9ELNS1_11target_archE1100ELNS1_3gpuE3ELNS1_3repE0EEENS1_30default_config_static_selectorELNS0_4arch9wavefront6targetE0EEEvT1_
	.globl	_ZN7rocprim17ROCPRIM_400000_NS6detail17trampoline_kernelINS0_14default_configENS1_25partition_config_selectorILNS1_17partition_subalgoE9EyjbEEZZNS1_14partition_implILS5_9ELb0ES3_jN6thrust23THRUST_200600_302600_NS6detail15normal_iteratorINS9_10device_ptrIyEEEENSB_INSC_IjEEEEPNS0_10empty_typeENS0_5tupleIJNS9_16discard_iteratorINS9_11use_defaultEEESH_EEENSJ_IJSM_SI_EEENS0_18inequality_wrapperINS9_8equal_toIyEEEEPmJSH_EEE10hipError_tPvRmT3_T4_T5_T6_T7_T9_mT8_P12ihipStream_tbDpT10_ENKUlT_T0_E_clISt17integral_constantIbLb1EES1D_EEDaS18_S19_EUlS18_E_NS1_11comp_targetILNS1_3genE9ELNS1_11target_archE1100ELNS1_3gpuE3ELNS1_3repE0EEENS1_30default_config_static_selectorELNS0_4arch9wavefront6targetE0EEEvT1_
	.p2align	8
	.type	_ZN7rocprim17ROCPRIM_400000_NS6detail17trampoline_kernelINS0_14default_configENS1_25partition_config_selectorILNS1_17partition_subalgoE9EyjbEEZZNS1_14partition_implILS5_9ELb0ES3_jN6thrust23THRUST_200600_302600_NS6detail15normal_iteratorINS9_10device_ptrIyEEEENSB_INSC_IjEEEEPNS0_10empty_typeENS0_5tupleIJNS9_16discard_iteratorINS9_11use_defaultEEESH_EEENSJ_IJSM_SI_EEENS0_18inequality_wrapperINS9_8equal_toIyEEEEPmJSH_EEE10hipError_tPvRmT3_T4_T5_T6_T7_T9_mT8_P12ihipStream_tbDpT10_ENKUlT_T0_E_clISt17integral_constantIbLb1EES1D_EEDaS18_S19_EUlS18_E_NS1_11comp_targetILNS1_3genE9ELNS1_11target_archE1100ELNS1_3gpuE3ELNS1_3repE0EEENS1_30default_config_static_selectorELNS0_4arch9wavefront6targetE0EEEvT1_,@function
_ZN7rocprim17ROCPRIM_400000_NS6detail17trampoline_kernelINS0_14default_configENS1_25partition_config_selectorILNS1_17partition_subalgoE9EyjbEEZZNS1_14partition_implILS5_9ELb0ES3_jN6thrust23THRUST_200600_302600_NS6detail15normal_iteratorINS9_10device_ptrIyEEEENSB_INSC_IjEEEEPNS0_10empty_typeENS0_5tupleIJNS9_16discard_iteratorINS9_11use_defaultEEESH_EEENSJ_IJSM_SI_EEENS0_18inequality_wrapperINS9_8equal_toIyEEEEPmJSH_EEE10hipError_tPvRmT3_T4_T5_T6_T7_T9_mT8_P12ihipStream_tbDpT10_ENKUlT_T0_E_clISt17integral_constantIbLb1EES1D_EEDaS18_S19_EUlS18_E_NS1_11comp_targetILNS1_3genE9ELNS1_11target_archE1100ELNS1_3gpuE3ELNS1_3repE0EEENS1_30default_config_static_selectorELNS0_4arch9wavefront6targetE0EEEvT1_: ; @_ZN7rocprim17ROCPRIM_400000_NS6detail17trampoline_kernelINS0_14default_configENS1_25partition_config_selectorILNS1_17partition_subalgoE9EyjbEEZZNS1_14partition_implILS5_9ELb0ES3_jN6thrust23THRUST_200600_302600_NS6detail15normal_iteratorINS9_10device_ptrIyEEEENSB_INSC_IjEEEEPNS0_10empty_typeENS0_5tupleIJNS9_16discard_iteratorINS9_11use_defaultEEESH_EEENSJ_IJSM_SI_EEENS0_18inequality_wrapperINS9_8equal_toIyEEEEPmJSH_EEE10hipError_tPvRmT3_T4_T5_T6_T7_T9_mT8_P12ihipStream_tbDpT10_ENKUlT_T0_E_clISt17integral_constantIbLb1EES1D_EEDaS18_S19_EUlS18_E_NS1_11comp_targetILNS1_3genE9ELNS1_11target_archE1100ELNS1_3gpuE3ELNS1_3repE0EEENS1_30default_config_static_selectorELNS0_4arch9wavefront6targetE0EEEvT1_
; %bb.0:
	s_clause 0x4
	s_load_b128 s[4:7], s[0:1], 0x8
	s_load_b64 s[8:9], s[0:1], 0x18
	s_load_b64 s[16:17], s[0:1], 0x60
	s_load_b128 s[12:15], s[0:1], 0x50
	s_load_b64 s[10:11], s[0:1], 0x70
	v_cmp_ne_u32_e64 s3, 0, v0
	v_cmp_eq_u32_e64 s2, 0, v0
	s_delay_alu instid0(VALU_DEP_1)
	s_and_saveexec_b32 s18, s2
	s_cbranch_execz .LBB707_4
; %bb.1:
	s_mov_b32 s20, exec_lo
	s_mov_b32 s19, exec_lo
	v_mbcnt_lo_u32_b32 v1, s20, 0
                                        ; implicit-def: $vgpr2
	s_delay_alu instid0(VALU_DEP_1)
	v_cmpx_eq_u32_e32 0, v1
	s_cbranch_execz .LBB707_3
; %bb.2:
	s_load_b64 s[22:23], s[0:1], 0x80
	s_bcnt1_i32_b32 s20, s20
	s_delay_alu instid0(SALU_CYCLE_1)
	v_dual_mov_b32 v2, 0 :: v_dual_mov_b32 v3, s20
	s_waitcnt lgkmcnt(0)
	global_atomic_add_u32 v2, v2, v3, s[22:23] glc
.LBB707_3:
	s_or_b32 exec_lo, exec_lo, s19
	s_waitcnt vmcnt(0)
	v_readfirstlane_b32 s19, v2
	s_delay_alu instid0(VALU_DEP_1)
	v_dual_mov_b32 v2, 0 :: v_dual_add_nc_u32 v1, s19, v1
	ds_store_b32 v2, v1
.LBB707_4:
	s_or_b32 exec_lo, exec_lo, s18
	v_mov_b32_e32 v1, 0
	s_waitcnt lgkmcnt(0)
	s_barrier
	buffer_gl0_inv
	s_load_b32 s0, s[0:1], 0x78
	ds_load_b32 v2, v1
	s_waitcnt lgkmcnt(0)
	s_barrier
	buffer_gl0_inv
	global_load_b64 v[17:18], v1, s[14:15]
	s_lshl_b64 s[18:19], s[6:7], 3
	v_lshlrev_b32_e32 v31, 3, v0
	s_add_u32 s20, s4, s18
	s_addc_u32 s21, s5, s19
	v_lshrrev_b32_e32 v26, 2, v0
	v_or_b32_e32 v25, 0x200, v0
	v_or_b32_e32 v24, 0x400, v0
	;; [unrolled: 1-line block ×7, first 2 shown]
	s_add_i32 s5, s0, -1
	v_readfirstlane_b32 s15, v2
	s_lshl_b32 s1, s5, 12
	s_lshl_b32 s0, s0, 12
	s_add_i32 s1, s6, s1
	s_delay_alu instid0(SALU_CYCLE_1)
	s_sub_i32 s18, s16, s1
	s_lshl_b32 s4, s15, 12
	s_add_u32 s0, s6, s0
	s_addc_u32 s1, s7, 0
	s_cmp_eq_u32 s15, s5
	v_cmp_ge_u64_e64 s0, s[0:1], s[16:17]
	s_cselect_b32 s14, -1, 0
	s_mov_b32 s5, 0
	s_delay_alu instid0(VALU_DEP_1)
	s_and_b32 s16, s0, s14
	s_lshl_b64 s[0:1], s[4:5], 3
	s_xor_b32 s17, s16, -1
	s_add_u32 s19, s20, s0
	s_addc_u32 s1, s21, s1
	s_and_b32 vcc_lo, exec_lo, s17
	s_mov_b32 s20, -1
	s_cbranch_vccz .LBB707_6
; %bb.5:
	v_add_co_u32 v1, s0, s19, v31
	s_delay_alu instid0(VALU_DEP_1) | instskip(SKIP_1) | instid1(VALU_DEP_3)
	v_add_co_ci_u32_e64 v2, null, s1, 0, s0
	v_lshrrev_b32_e32 v28, 2, v25
	v_add_co_u32 v3, vcc_lo, 0x1000, v1
	s_delay_alu instid0(VALU_DEP_3)
	v_add_co_ci_u32_e32 v4, vcc_lo, 0, v2, vcc_lo
	v_add_co_u32 v5, vcc_lo, 0x2000, v1
	v_add_co_ci_u32_e32 v6, vcc_lo, 0, v2, vcc_lo
	v_add_co_u32 v7, vcc_lo, 0x3000, v1
	;; [unrolled: 2-line block ×6, first 2 shown]
	v_add_co_ci_u32_e32 v16, vcc_lo, 0, v2, vcc_lo
	s_clause 0x7
	flat_load_b64 v[1:2], v[1:2]
	flat_load_b64 v[3:4], v[3:4]
	;; [unrolled: 1-line block ×8, first 2 shown]
	v_lshrrev_b32_e32 v29, 2, v24
	v_lshrrev_b32_e32 v30, 2, v23
	;; [unrolled: 1-line block ×3, first 2 shown]
	v_and_b32_e32 v27, 0x78, v26
	v_lshrrev_b32_e32 v33, 2, v21
	v_lshrrev_b32_e32 v34, 2, v20
	;; [unrolled: 1-line block ×3, first 2 shown]
	v_and_b32_e32 v28, 0xf8, v28
	v_and_b32_e32 v29, 0x178, v29
	;; [unrolled: 1-line block ×4, first 2 shown]
	v_add_nc_u32_e32 v27, v27, v31
	v_and_b32_e32 v33, 0x2f8, v33
	v_and_b32_e32 v34, 0x378, v34
	;; [unrolled: 1-line block ×3, first 2 shown]
	v_add_nc_u32_e32 v28, v28, v31
	v_add_nc_u32_e32 v29, v29, v31
	;; [unrolled: 1-line block ×4, first 2 shown]
	s_mov_b32 s20, s5
	v_add_nc_u32_e32 v33, v33, v31
	v_add_nc_u32_e32 v34, v34, v31
	;; [unrolled: 1-line block ×3, first 2 shown]
	s_waitcnt vmcnt(7) lgkmcnt(7)
	ds_store_b64 v27, v[1:2]
	s_waitcnt vmcnt(6) lgkmcnt(7)
	ds_store_b64 v28, v[3:4] offset:4096
	s_waitcnt vmcnt(5) lgkmcnt(7)
	ds_store_b64 v29, v[5:6] offset:8192
	;; [unrolled: 2-line block ×7, first 2 shown]
	s_waitcnt lgkmcnt(0)
	s_barrier
.LBB707_6:
	v_cmp_gt_u32_e64 s0, s18, v0
	s_and_not1_b32 vcc_lo, exec_lo, s20
	s_cbranch_vccnz .LBB707_24
; %bb.7:
                                        ; implicit-def: $vgpr1_vgpr2_vgpr3_vgpr4_vgpr5_vgpr6_vgpr7_vgpr8_vgpr9_vgpr10_vgpr11_vgpr12_vgpr13_vgpr14_vgpr15_vgpr16
	s_delay_alu instid0(VALU_DEP_1)
	s_and_saveexec_b32 s20, s0
	s_cbranch_execz .LBB707_15
; %bb.8:
	v_add_co_u32 v1, s0, s19, v31
	s_delay_alu instid0(VALU_DEP_1) | instskip(SKIP_2) | instid1(SALU_CYCLE_1)
	v_add_co_ci_u32_e64 v2, null, s1, 0, s0
	flat_load_b64 v[1:2], v[1:2]
	s_or_b32 exec_lo, exec_lo, s20
	s_mov_b32 s0, exec_lo
	v_cmpx_gt_u32_e64 s18, v25
	s_cbranch_execnz .LBB707_16
.LBB707_9:
	s_or_b32 exec_lo, exec_lo, s0
	s_delay_alu instid0(SALU_CYCLE_1)
	s_mov_b32 s0, exec_lo
	v_cmpx_gt_u32_e64 s18, v24
	s_cbranch_execz .LBB707_17
.LBB707_10:
	v_lshlrev_b32_e32 v5, 3, v24
	s_delay_alu instid0(VALU_DEP_1) | instskip(NEXT) | instid1(VALU_DEP_1)
	v_add_co_u32 v5, s20, s19, v5
	v_add_co_ci_u32_e64 v6, null, s1, 0, s20
	flat_load_b64 v[5:6], v[5:6]
	s_or_b32 exec_lo, exec_lo, s0
	s_delay_alu instid0(SALU_CYCLE_1)
	s_mov_b32 s0, exec_lo
	v_cmpx_gt_u32_e64 s18, v23
	s_cbranch_execnz .LBB707_18
.LBB707_11:
	s_or_b32 exec_lo, exec_lo, s0
	s_delay_alu instid0(SALU_CYCLE_1)
	s_mov_b32 s0, exec_lo
	v_cmpx_gt_u32_e64 s18, v22
	s_cbranch_execz .LBB707_19
.LBB707_12:
	v_lshlrev_b32_e32 v9, 3, v22
	s_delay_alu instid0(VALU_DEP_1) | instskip(NEXT) | instid1(VALU_DEP_1)
	v_add_co_u32 v9, s20, s19, v9
	v_add_co_ci_u32_e64 v10, null, s1, 0, s20
	flat_load_b64 v[9:10], v[9:10]
	s_or_b32 exec_lo, exec_lo, s0
	s_delay_alu instid0(SALU_CYCLE_1)
	s_mov_b32 s0, exec_lo
	v_cmpx_gt_u32_e64 s18, v21
	s_cbranch_execnz .LBB707_20
.LBB707_13:
	s_or_b32 exec_lo, exec_lo, s0
	s_delay_alu instid0(SALU_CYCLE_1)
	s_mov_b32 s0, exec_lo
	v_cmpx_gt_u32_e64 s18, v20
	s_cbranch_execz .LBB707_21
.LBB707_14:
	v_lshlrev_b32_e32 v13, 3, v20
	s_delay_alu instid0(VALU_DEP_1) | instskip(NEXT) | instid1(VALU_DEP_1)
	v_add_co_u32 v13, s20, s19, v13
	v_add_co_ci_u32_e64 v14, null, s1, 0, s20
	flat_load_b64 v[13:14], v[13:14]
	s_or_b32 exec_lo, exec_lo, s0
	s_delay_alu instid0(SALU_CYCLE_1)
	s_mov_b32 s0, exec_lo
	v_cmpx_gt_u32_e64 s18, v19
	s_cbranch_execnz .LBB707_22
	s_branch .LBB707_23
.LBB707_15:
	s_or_b32 exec_lo, exec_lo, s20
	s_delay_alu instid0(SALU_CYCLE_1)
	s_mov_b32 s0, exec_lo
	v_cmpx_gt_u32_e64 s18, v25
	s_cbranch_execz .LBB707_9
.LBB707_16:
	v_lshlrev_b32_e32 v3, 3, v25
	s_delay_alu instid0(VALU_DEP_1) | instskip(NEXT) | instid1(VALU_DEP_1)
	v_add_co_u32 v3, s20, s19, v3
	v_add_co_ci_u32_e64 v4, null, s1, 0, s20
	flat_load_b64 v[3:4], v[3:4]
	s_or_b32 exec_lo, exec_lo, s0
	s_delay_alu instid0(SALU_CYCLE_1)
	s_mov_b32 s0, exec_lo
	v_cmpx_gt_u32_e64 s18, v24
	s_cbranch_execnz .LBB707_10
.LBB707_17:
	s_or_b32 exec_lo, exec_lo, s0
	s_delay_alu instid0(SALU_CYCLE_1)
	s_mov_b32 s0, exec_lo
	v_cmpx_gt_u32_e64 s18, v23
	s_cbranch_execz .LBB707_11
.LBB707_18:
	v_lshlrev_b32_e32 v7, 3, v23
	s_delay_alu instid0(VALU_DEP_1) | instskip(NEXT) | instid1(VALU_DEP_1)
	v_add_co_u32 v7, s20, s19, v7
	v_add_co_ci_u32_e64 v8, null, s1, 0, s20
	flat_load_b64 v[7:8], v[7:8]
	s_or_b32 exec_lo, exec_lo, s0
	s_delay_alu instid0(SALU_CYCLE_1)
	s_mov_b32 s0, exec_lo
	v_cmpx_gt_u32_e64 s18, v22
	s_cbranch_execnz .LBB707_12
.LBB707_19:
	s_or_b32 exec_lo, exec_lo, s0
	s_delay_alu instid0(SALU_CYCLE_1)
	s_mov_b32 s0, exec_lo
	v_cmpx_gt_u32_e64 s18, v21
	s_cbranch_execz .LBB707_13
.LBB707_20:
	v_lshlrev_b32_e32 v11, 3, v21
	s_delay_alu instid0(VALU_DEP_1) | instskip(NEXT) | instid1(VALU_DEP_1)
	v_add_co_u32 v11, s20, s19, v11
	v_add_co_ci_u32_e64 v12, null, s1, 0, s20
	flat_load_b64 v[11:12], v[11:12]
	s_or_b32 exec_lo, exec_lo, s0
	s_delay_alu instid0(SALU_CYCLE_1)
	s_mov_b32 s0, exec_lo
	v_cmpx_gt_u32_e64 s18, v20
	s_cbranch_execnz .LBB707_14
.LBB707_21:
	s_or_b32 exec_lo, exec_lo, s0
	s_delay_alu instid0(SALU_CYCLE_1)
	s_mov_b32 s0, exec_lo
	v_cmpx_gt_u32_e64 s18, v19
	s_cbranch_execz .LBB707_23
.LBB707_22:
	v_lshlrev_b32_e32 v15, 3, v19
	s_delay_alu instid0(VALU_DEP_1) | instskip(NEXT) | instid1(VALU_DEP_1)
	v_add_co_u32 v15, s20, s19, v15
	v_add_co_ci_u32_e64 v16, null, s1, 0, s20
	flat_load_b64 v[15:16], v[15:16]
.LBB707_23:
	s_or_b32 exec_lo, exec_lo, s0
	v_lshrrev_b32_e32 v27, 2, v25
	v_lshrrev_b32_e32 v28, 2, v24
	;; [unrolled: 1-line block ×4, first 2 shown]
	v_and_b32_e32 v29, 0x78, v26
	v_lshrrev_b32_e32 v33, 2, v21
	v_lshrrev_b32_e32 v34, 2, v20
	;; [unrolled: 1-line block ×3, first 2 shown]
	v_and_b32_e32 v27, 0xf8, v27
	v_and_b32_e32 v28, 0x1f8, v28
	v_and_b32_e32 v30, 0x1f8, v30
	v_and_b32_e32 v32, 0x3f8, v32
	v_add_nc_u32_e32 v29, v29, v31
	v_and_b32_e32 v33, 0x3f8, v33
	v_and_b32_e32 v34, 0x3f8, v34
	;; [unrolled: 1-line block ×3, first 2 shown]
	v_add_nc_u32_e32 v27, v27, v31
	v_add_nc_u32_e32 v28, v28, v31
	;; [unrolled: 1-line block ×7, first 2 shown]
	s_waitcnt vmcnt(0) lgkmcnt(0)
	ds_store_b64 v29, v[1:2]
	ds_store_b64 v27, v[3:4] offset:4096
	ds_store_b64 v28, v[5:6] offset:8192
	;; [unrolled: 1-line block ×7, first 2 shown]
	s_waitcnt lgkmcnt(0)
	s_barrier
.LBB707_24:
	v_add_nc_u32_e32 v26, v26, v31
	s_waitcnt vmcnt(0)
	buffer_gl0_inv
	s_lshl_b64 s[20:21], s[6:7], 2
	v_lshrrev_b32_e32 v28, 3, v0
	s_add_u32 s0, s8, s20
	v_lshlrev_b32_e32 v27, 3, v26
	s_addc_u32 s8, s9, s21
	s_lshl_b64 s[4:5], s[4:5], 2
	ds_load_2addr_b64 v[13:16], v27 offset1:1
	ds_load_2addr_b64 v[9:12], v27 offset0:2 offset1:3
	ds_load_2addr_b64 v[5:8], v27 offset0:4 offset1:5
	;; [unrolled: 1-line block ×3, first 2 shown]
	s_add_u32 s0, s0, s4
	s_addc_u32 s4, s8, s5
	s_and_b32 vcc_lo, exec_lo, s17
	s_mov_b32 s5, -1
	s_waitcnt lgkmcnt(0)
	s_barrier
	buffer_gl0_inv
	s_cbranch_vccz .LBB707_26
; %bb.25:
	v_lshlrev_b32_e32 v38, 2, v0
	v_lshrrev_b32_e32 v40, 3, v25
	v_lshrrev_b32_e32 v41, 3, v24
	;; [unrolled: 1-line block ×4, first 2 shown]
	v_add_co_u32 v29, s5, s0, v38
	s_delay_alu instid0(VALU_DEP_1) | instskip(SKIP_1) | instid1(VALU_DEP_3)
	v_add_co_ci_u32_e64 v30, null, s4, 0, s5
	v_lshrrev_b32_e32 v44, 3, v21
	v_add_co_u32 v32, vcc_lo, 0x1000, v29
	s_delay_alu instid0(VALU_DEP_3)
	v_add_co_ci_u32_e32 v33, vcc_lo, 0, v30, vcc_lo
	v_add_co_u32 v34, vcc_lo, 0x2000, v29
	v_add_co_ci_u32_e32 v35, vcc_lo, 0, v30, vcc_lo
	v_add_co_u32 v36, vcc_lo, 0x3000, v29
	v_add_co_ci_u32_e32 v37, vcc_lo, 0, v30, vcc_lo
	s_clause 0x7
	flat_load_b32 v39, v[29:30]
	flat_load_b32 v29, v[29:30] offset:2048
	flat_load_b32 v30, v[32:33]
	flat_load_b32 v32, v[32:33] offset:2048
	;; [unrolled: 2-line block ×4, first 2 shown]
	v_and_b32_e32 v37, 60, v28
	v_lshrrev_b32_e32 v45, 3, v20
	v_lshrrev_b32_e32 v46, 3, v19
	v_and_b32_e32 v40, 0x7c, v40
	v_and_b32_e32 v41, 0xbc, v41
	;; [unrolled: 1-line block ×4, first 2 shown]
	v_add_nc_u32_e32 v37, v37, v38
	v_and_b32_e32 v44, 0x17c, v44
	v_and_b32_e32 v45, 0x1bc, v45
	;; [unrolled: 1-line block ×3, first 2 shown]
	v_add_nc_u32_e32 v40, v40, v38
	v_add_nc_u32_e32 v41, v41, v38
	;; [unrolled: 1-line block ×4, first 2 shown]
	s_mov_b32 s5, 0
	v_add_nc_u32_e32 v44, v44, v38
	v_add_nc_u32_e32 v45, v45, v38
	;; [unrolled: 1-line block ×3, first 2 shown]
	s_waitcnt vmcnt(7) lgkmcnt(7)
	ds_store_b32 v37, v39
	s_waitcnt vmcnt(6) lgkmcnt(7)
	ds_store_b32 v40, v29 offset:2048
	s_waitcnt vmcnt(5) lgkmcnt(7)
	ds_store_b32 v41, v30 offset:4096
	;; [unrolled: 2-line block ×7, first 2 shown]
	s_waitcnt lgkmcnt(0)
	s_barrier
.LBB707_26:
	s_and_not1_b32 vcc_lo, exec_lo, s5
	s_cbranch_vccnz .LBB707_44
; %bb.27:
	s_mov_b32 s5, exec_lo
                                        ; implicit-def: $vgpr29
	v_cmpx_gt_u32_e64 s18, v0
	s_cbranch_execz .LBB707_29
; %bb.28:
	v_lshlrev_b32_e32 v29, 2, v0
	s_delay_alu instid0(VALU_DEP_1) | instskip(NEXT) | instid1(VALU_DEP_1)
	v_add_co_u32 v29, s8, s0, v29
	v_add_co_ci_u32_e64 v30, null, s4, 0, s8
	flat_load_b32 v29, v[29:30]
.LBB707_29:
	s_or_b32 exec_lo, exec_lo, s5
	s_delay_alu instid0(SALU_CYCLE_1)
	s_mov_b32 s5, exec_lo
                                        ; implicit-def: $vgpr30
	v_cmpx_gt_u32_e64 s18, v25
	s_cbranch_execz .LBB707_31
; %bb.30:
	v_lshlrev_b32_e32 v30, 2, v0
	s_delay_alu instid0(VALU_DEP_1) | instskip(NEXT) | instid1(VALU_DEP_1)
	v_add_co_u32 v32, s8, s0, v30
	v_add_co_ci_u32_e64 v33, null, s4, 0, s8
	flat_load_b32 v30, v[32:33] offset:2048
.LBB707_31:
	s_or_b32 exec_lo, exec_lo, s5
	s_delay_alu instid0(SALU_CYCLE_1)
	s_mov_b32 s5, exec_lo
                                        ; implicit-def: $vgpr32
	v_cmpx_gt_u32_e64 s18, v24
	s_cbranch_execz .LBB707_33
; %bb.32:
	v_lshlrev_b32_e32 v32, 2, v24
	s_delay_alu instid0(VALU_DEP_1) | instskip(NEXT) | instid1(VALU_DEP_1)
	v_add_co_u32 v32, s8, s0, v32
	v_add_co_ci_u32_e64 v33, null, s4, 0, s8
	flat_load_b32 v32, v[32:33]
.LBB707_33:
	s_or_b32 exec_lo, exec_lo, s5
	s_delay_alu instid0(SALU_CYCLE_1)
	s_mov_b32 s5, exec_lo
                                        ; implicit-def: $vgpr33
	v_cmpx_gt_u32_e64 s18, v23
	s_cbranch_execz .LBB707_35
; %bb.34:
	v_lshlrev_b32_e32 v33, 2, v23
	s_delay_alu instid0(VALU_DEP_1) | instskip(NEXT) | instid1(VALU_DEP_1)
	v_add_co_u32 v33, s8, s0, v33
	v_add_co_ci_u32_e64 v34, null, s4, 0, s8
	flat_load_b32 v33, v[33:34]
.LBB707_35:
	s_or_b32 exec_lo, exec_lo, s5
	s_delay_alu instid0(SALU_CYCLE_1)
	s_mov_b32 s5, exec_lo
                                        ; implicit-def: $vgpr34
	v_cmpx_gt_u32_e64 s18, v22
	s_cbranch_execz .LBB707_37
; %bb.36:
	v_lshlrev_b32_e32 v34, 2, v22
	s_delay_alu instid0(VALU_DEP_1) | instskip(NEXT) | instid1(VALU_DEP_1)
	v_add_co_u32 v34, s8, s0, v34
	v_add_co_ci_u32_e64 v35, null, s4, 0, s8
	flat_load_b32 v34, v[34:35]
.LBB707_37:
	s_or_b32 exec_lo, exec_lo, s5
	s_delay_alu instid0(SALU_CYCLE_1)
	s_mov_b32 s5, exec_lo
                                        ; implicit-def: $vgpr35
	v_cmpx_gt_u32_e64 s18, v21
	s_cbranch_execz .LBB707_39
; %bb.38:
	v_lshlrev_b32_e32 v35, 2, v21
	s_delay_alu instid0(VALU_DEP_1) | instskip(NEXT) | instid1(VALU_DEP_1)
	v_add_co_u32 v35, s8, s0, v35
	v_add_co_ci_u32_e64 v36, null, s4, 0, s8
	flat_load_b32 v35, v[35:36]
.LBB707_39:
	s_or_b32 exec_lo, exec_lo, s5
	s_delay_alu instid0(SALU_CYCLE_1)
	s_mov_b32 s5, exec_lo
                                        ; implicit-def: $vgpr36
	v_cmpx_gt_u32_e64 s18, v20
	s_cbranch_execz .LBB707_41
; %bb.40:
	v_lshlrev_b32_e32 v36, 2, v20
	s_delay_alu instid0(VALU_DEP_1) | instskip(NEXT) | instid1(VALU_DEP_1)
	v_add_co_u32 v36, s8, s0, v36
	v_add_co_ci_u32_e64 v37, null, s4, 0, s8
	flat_load_b32 v36, v[36:37]
.LBB707_41:
	s_or_b32 exec_lo, exec_lo, s5
	s_delay_alu instid0(SALU_CYCLE_1)
	s_mov_b32 s5, exec_lo
                                        ; implicit-def: $vgpr37
	v_cmpx_gt_u32_e64 s18, v19
	s_cbranch_execz .LBB707_43
; %bb.42:
	v_lshlrev_b32_e32 v37, 2, v19
	s_delay_alu instid0(VALU_DEP_1) | instskip(NEXT) | instid1(VALU_DEP_1)
	v_add_co_u32 v37, s0, s0, v37
	v_add_co_ci_u32_e64 v38, null, s4, 0, s0
	flat_load_b32 v37, v[37:38]
.LBB707_43:
	s_or_b32 exec_lo, exec_lo, s5
	v_lshrrev_b32_e32 v25, 3, v25
	v_lshrrev_b32_e32 v24, 3, v24
	;; [unrolled: 1-line block ×4, first 2 shown]
	v_and_b32_e32 v28, 60, v28
	v_lshlrev_b32_e32 v38, 2, v0
	v_lshrrev_b32_e32 v21, 3, v21
	v_lshrrev_b32_e32 v20, 3, v20
	;; [unrolled: 1-line block ×3, first 2 shown]
	v_and_b32_e32 v25, 0x7c, v25
	v_and_b32_e32 v24, 0xfc, v24
	;; [unrolled: 1-line block ×4, first 2 shown]
	v_add_nc_u32_e32 v28, v28, v38
	v_and_b32_e32 v21, 0x1fc, v21
	v_and_b32_e32 v20, 0x1fc, v20
	;; [unrolled: 1-line block ×3, first 2 shown]
	v_add_nc_u32_e32 v25, v25, v38
	v_add_nc_u32_e32 v24, v24, v38
	;; [unrolled: 1-line block ×7, first 2 shown]
	s_waitcnt vmcnt(0) lgkmcnt(0)
	ds_store_b32 v28, v29
	ds_store_b32 v25, v30 offset:2048
	ds_store_b32 v24, v32 offset:4096
	;; [unrolled: 1-line block ×7, first 2 shown]
	s_waitcnt lgkmcnt(0)
	s_barrier
.LBB707_44:
	v_lshlrev_b32_e32 v19, 2, v26
	buffer_gl0_inv
	s_cmp_lg_u32 s15, 0
	s_mov_b32 s20, 0
	s_cselect_b32 s9, -1, 0
	v_sub_nc_u32_e32 v19, v27, v19
	s_cmp_lg_u64 s[6:7], 0
	ds_load_2addr_b32 v[25:26], v19 offset1:1
	ds_load_2addr_b32 v[23:24], v19 offset0:2 offset1:3
	ds_load_2addr_b32 v[21:22], v19 offset0:4 offset1:5
	;; [unrolled: 1-line block ×3, first 2 shown]
	s_cselect_b32 s0, -1, 0
	s_waitcnt lgkmcnt(0)
	s_or_b32 s0, s0, s9
	s_barrier
	s_and_b32 vcc_lo, exec_lo, s0
	buffer_gl0_inv
	s_cbranch_vccz .LBB707_49
; %bb.45:
	v_add_co_u32 v27, s0, -8, s19
	s_delay_alu instid0(VALU_DEP_1)
	v_add_co_ci_u32_e64 v28, null, -1, s1, s0
	s_mov_b32 s1, -1
	s_and_b32 vcc_lo, exec_lo, s17
	flat_load_b64 v[29:30], v[27:28]
	ds_store_b64 v31, v[3:4]
	s_cbranch_vccz .LBB707_50
; %bb.46:
	s_waitcnt vmcnt(0) lgkmcnt(1)
	v_dual_mov_b32 v27, v29 :: v_dual_mov_b32 v28, v30
	s_waitcnt lgkmcnt(0)
	s_barrier
	buffer_gl0_inv
	s_and_saveexec_b32 s0, s3
	s_cbranch_execz .LBB707_48
; %bb.47:
	v_add_nc_u32_e32 v27, -8, v31
	ds_load_b64 v[27:28], v27
.LBB707_48:
	s_or_b32 exec_lo, exec_lo, s0
	v_cmp_ne_u64_e32 vcc_lo, v[1:2], v[3:4]
	s_waitcnt lgkmcnt(0)
	v_cmp_ne_u64_e64 s0, v[27:28], v[13:14]
	v_cndmask_b32_e64 v32, 0, 1, vcc_lo
	v_cmp_ne_u64_e32 vcc_lo, v[7:8], v[1:2]
	s_delay_alu instid0(VALU_DEP_2) | instskip(SKIP_2) | instid1(VALU_DEP_2)
	v_lshlrev_b16 v32, 8, v32
	v_cndmask_b32_e64 v33, 0, 1, vcc_lo
	v_cmp_ne_u64_e32 vcc_lo, v[5:6], v[7:8]
	v_or_b32_e32 v32, v33, v32
	v_cndmask_b32_e64 v34, 0, 1, vcc_lo
	v_cmp_ne_u64_e32 vcc_lo, v[9:10], v[11:12]
	s_delay_alu instid0(VALU_DEP_3) | instskip(NEXT) | instid1(VALU_DEP_3)
	v_lshlrev_b32_e32 v32, 16, v32
	v_lshlrev_b16 v34, 8, v34
	v_cndmask_b32_e64 v35, 0, 1, vcc_lo
	v_cmp_ne_u64_e32 vcc_lo, v[11:12], v[5:6]
	s_delay_alu instid0(VALU_DEP_2) | instskip(SKIP_2) | instid1(VALU_DEP_2)
	v_lshlrev_b16 v35, 8, v35
	v_cndmask_b32_e64 v36, 0, 1, vcc_lo
	v_cmp_ne_u64_e32 vcc_lo, v[15:16], v[9:10]
	v_or_b32_e32 v34, v36, v34
	v_cndmask_b32_e64 v37, 0, 1, vcc_lo
	v_cmp_ne_u64_e32 vcc_lo, v[13:14], v[15:16]
	s_delay_alu instid0(VALU_DEP_3) | instskip(NEXT) | instid1(VALU_DEP_3)
	v_and_b32_e32 v34, 0xffff, v34
	v_or_b32_e32 v35, v37, v35
	v_cndmask_b32_e64 v38, 0, 1, vcc_lo
	s_delay_alu instid0(VALU_DEP_3) | instskip(NEXT) | instid1(VALU_DEP_3)
	v_or_b32_e32 v28, v34, v32
	v_lshlrev_b32_e32 v33, 16, v35
	s_delay_alu instid0(VALU_DEP_3) | instskip(NEXT) | instid1(VALU_DEP_1)
	v_lshlrev_b16 v37, 8, v38
	v_and_b32_e32 v35, 0xffff, v37
	s_delay_alu instid0(VALU_DEP_1)
	v_or_b32_e32 v27, v35, v33
	s_branch .LBB707_54
.LBB707_49:
                                        ; implicit-def: $sgpr0
                                        ; implicit-def: $vgpr28
	s_branch .LBB707_55
.LBB707_50:
                                        ; implicit-def: $sgpr0
                                        ; implicit-def: $vgpr28
	s_and_b32 vcc_lo, exec_lo, s1
	s_cbranch_vccz .LBB707_54
; %bb.51:
	s_waitcnt vmcnt(0) lgkmcnt(0)
	s_barrier
	buffer_gl0_inv
	s_and_saveexec_b32 s0, s3
	s_cbranch_execz .LBB707_53
; %bb.52:
	v_add_nc_u32_e32 v27, -8, v31
	ds_load_b64 v[29:30], v27
.LBB707_53:
	s_or_b32 exec_lo, exec_lo, s0
	v_or_b32_e32 v27, 7, v31
	v_or_b32_e32 v28, 6, v31
	v_cmp_ne_u64_e32 vcc_lo, v[1:2], v[3:4]
	v_or_b32_e32 v32, 5, v31
	v_cmp_ne_u64_e64 s1, v[7:8], v[1:2]
	v_cmp_gt_u32_e64 s0, s18, v27
	v_cmp_gt_u32_e64 s4, s18, v28
	v_cmp_ne_u64_e64 s5, v[5:6], v[7:8]
	v_cmp_gt_u32_e64 s6, s18, v32
	v_or_b32_e32 v32, 3, v31
	s_and_b32 s0, s0, vcc_lo
	v_or_b32_e32 v33, 4, v31
	v_cndmask_b32_e64 v27, 0, 1, s0
	s_and_b32 s0, s4, s1
	v_cmp_ne_u64_e32 vcc_lo, v[9:10], v[11:12]
	v_cndmask_b32_e64 v28, 0, 1, s0
	s_and_b32 s0, s6, s5
	v_cmp_gt_u32_e64 s1, s18, v33
	v_cndmask_b32_e64 v34, 0, 1, s0
	v_cmp_gt_u32_e64 s0, s18, v32
	v_or_b32_e32 v32, 2, v31
	v_or_b32_e32 v33, 1, v31
	v_cmp_ne_u64_e64 s4, v[11:12], v[5:6]
	v_cmp_ne_u64_e64 s6, v[13:14], v[15:16]
	s_and_b32 s0, s0, vcc_lo
	v_cmp_ne_u64_e32 vcc_lo, v[15:16], v[9:10]
	v_cndmask_b32_e64 v35, 0, 1, s0
	v_cmp_gt_u32_e64 s0, s18, v32
	v_cmp_gt_u32_e64 s5, s18, v33
	s_and_b32 s1, s1, s4
	v_lshlrev_b16 v34, 8, v34
	v_cndmask_b32_e64 v32, 0, 1, s1
	s_and_b32 s0, s0, vcc_lo
	v_lshlrev_b16 v35, 8, v35
	v_cndmask_b32_e64 v33, 0, 1, s0
	s_and_b32 s0, s5, s6
	v_lshlrev_b16 v27, 8, v27
	v_cndmask_b32_e64 v36, 0, 1, s0
	v_or_b32_e32 v32, v32, v34
	v_or_b32_e32 v33, v33, v35
	s_waitcnt lgkmcnt(0)
	v_cmp_ne_u64_e32 vcc_lo, v[29:30], v[13:14]
	v_or_b32_e32 v27, v28, v27
	v_lshlrev_b16 v35, 8, v36
	v_and_b32_e32 v32, 0xffff, v32
	v_lshlrev_b32_e32 v28, 16, v33
	v_cmp_gt_u32_e64 s0, s18, v31
	v_lshlrev_b32_e32 v34, 16, v27
	v_and_b32_e32 v33, 0xffff, v35
	s_delay_alu instid0(VALU_DEP_3) | instskip(NEXT) | instid1(VALU_DEP_1)
	s_and_b32 s0, s0, vcc_lo
	v_or_b32_e32 v27, v33, v28
	s_delay_alu instid0(VALU_DEP_3)
	v_or_b32_e32 v28, v32, v34
.LBB707_54:
	s_mov_b32 s20, -1
	s_cbranch_execnz .LBB707_63
.LBB707_55:
	v_cmp_ne_u64_e64 s1, v[1:2], v[3:4]
	v_cmp_ne_u64_e64 s4, v[7:8], v[1:2]
	;; [unrolled: 1-line block ×7, first 2 shown]
	s_and_b32 vcc_lo, exec_lo, s17
	ds_store_b64 v31, v[3:4]
	s_cbranch_vccz .LBB707_59
; %bb.56:
	v_cndmask_b32_e64 v27, 0, 1, s1
	s_waitcnt vmcnt(0) lgkmcnt(2)
	v_cndmask_b32_e64 v29, 0, 1, s5
	v_cndmask_b32_e64 v32, 0, 1, s7
	;; [unrolled: 1-line block ×6, first 2 shown]
	v_lshlrev_b16 v29, 8, v29
	v_lshlrev_b16 v27, 8, v27
	;; [unrolled: 1-line block ×4, first 2 shown]
	s_waitcnt lgkmcnt(0)
	v_or_b32_e32 v29, v30, v29
	v_or_b32_e32 v27, v28, v27
	;; [unrolled: 1-line block ×4, first 2 shown]
	s_barrier
	v_and_b32_e32 v29, 0xffff, v29
	v_lshlrev_b32_e32 v27, 16, v27
	v_lshlrev_b32_e32 v32, 16, v28
	v_and_b32_e32 v30, 0xffff, v30
	buffer_gl0_inv
                                        ; implicit-def: $sgpr0
	v_or_b32_e32 v28, v29, v27
	v_or_b32_e32 v27, v30, v32
	s_and_saveexec_b32 s1, s3
	s_delay_alu instid0(SALU_CYCLE_1)
	s_xor_b32 s1, exec_lo, s1
	s_cbranch_execz .LBB707_58
; %bb.57:
	v_add_nc_u32_e32 v29, -8, v31
	s_or_b32 s20, s20, exec_lo
	ds_load_b64 v[29:30], v29
	s_waitcnt lgkmcnt(0)
	v_cmp_ne_u64_e32 vcc_lo, v[29:30], v[13:14]
	s_and_b32 s0, vcc_lo, exec_lo
.LBB707_58:
	s_or_b32 exec_lo, exec_lo, s1
	s_branch .LBB707_63
.LBB707_59:
                                        ; implicit-def: $sgpr0
                                        ; implicit-def: $vgpr28
	s_cbranch_execz .LBB707_63
; %bb.60:
	v_or_b32_e32 v27, 7, v31
	v_or_b32_e32 v28, 6, v31
	v_cmp_ne_u64_e32 vcc_lo, v[1:2], v[3:4]
	v_cmp_ne_u64_e64 s0, v[7:8], v[1:2]
	s_waitcnt vmcnt(0) lgkmcnt(2)
	v_or_b32_e32 v29, 4, v31
	v_cmp_gt_u32_e64 s1, s18, v27
	v_or_b32_e32 v27, 5, v31
	v_cmp_gt_u32_e64 s5, s18, v28
	v_cmp_ne_u64_e64 s4, v[5:6], v[7:8]
	v_cmp_ne_u64_e64 s6, v[11:12], v[5:6]
	s_and_b32 s1, s1, vcc_lo
	v_cmp_gt_u32_e32 vcc_lo, s18, v27
	v_cndmask_b32_e64 v28, 0, 1, s1
	v_cmp_gt_u32_e64 s1, s18, v29
	s_and_b32 s0, s5, s0
	v_or_b32_e32 v30, 3, v31
	v_cndmask_b32_e64 v27, 0, 1, s0
	s_and_b32 s0, vcc_lo, s4
	v_or_b32_e32 v33, 1, v31
	v_cndmask_b32_e64 v29, 0, 1, s0
	s_and_b32 s0, s1, s6
	v_cmp_ne_u64_e32 vcc_lo, v[9:10], v[11:12]
	v_cndmask_b32_e64 v32, 0, 1, s0
	v_cmp_gt_u32_e64 s0, s18, v30
	v_cmp_ne_u64_e64 s1, v[13:14], v[15:16]
	v_or_b32_e32 v34, 2, v31
	v_cmp_gt_u32_e64 s4, s18, v33
	v_cmp_ne_u64_e64 s5, v[15:16], v[9:10]
	s_and_b32 s0, s0, vcc_lo
	v_lshlrev_b16 v29, 8, v29
	v_cmp_gt_u32_e64 s6, s18, v34
	v_cndmask_b32_e64 v30, 0, 1, s0
	s_and_b32 s0, s4, s1
	v_lshlrev_b16 v28, 8, v28
	v_cndmask_b32_e64 v33, 0, 1, s0
	s_and_b32 s0, s6, s5
	v_lshlrev_b16 v30, 8, v30
	v_cndmask_b32_e64 v34, 0, 1, s0
	v_or_b32_e32 v29, v32, v29
	v_lshlrev_b16 v33, 8, v33
	v_or_b32_e32 v27, v27, v28
	s_waitcnt lgkmcnt(0)
	v_or_b32_e32 v28, v34, v30
	v_and_b32_e32 v29, 0xffff, v29
	v_or_b32_e32 v30, 1, v33
	v_lshlrev_b32_e32 v27, 16, v27
	s_barrier
	v_lshlrev_b32_e32 v32, 16, v28
	buffer_gl0_inv
	v_and_b32_e32 v30, 0xffff, v30
	v_or_b32_e32 v28, v29, v27
                                        ; implicit-def: $sgpr0
	s_delay_alu instid0(VALU_DEP_2)
	v_or_b32_e32 v27, v30, v32
	s_and_saveexec_b32 s1, s3
	s_cbranch_execz .LBB707_62
; %bb.61:
	v_add_nc_u32_e32 v29, -8, v31
	v_cmp_gt_u32_e64 s0, s18, v31
	s_or_b32 s20, s20, exec_lo
	ds_load_b64 v[29:30], v29
	s_waitcnt lgkmcnt(0)
	v_cmp_ne_u64_e32 vcc_lo, v[29:30], v[13:14]
	s_and_b32 s0, s0, vcc_lo
	s_delay_alu instid0(SALU_CYCLE_1)
	s_and_b32 s0, s0, exec_lo
.LBB707_62:
	s_or_b32 exec_lo, exec_lo, s1
.LBB707_63:
	s_and_saveexec_b32 s1, s20
	s_cbranch_execz .LBB707_65
; %bb.64:
	s_waitcnt vmcnt(0) lgkmcnt(1)
	v_and_b32_e32 v29, 0xffffff00, v27
	v_cndmask_b32_e64 v30, 0, 1, s0
	s_delay_alu instid0(VALU_DEP_1) | instskip(NEXT) | instid1(VALU_DEP_1)
	v_or_b32_e32 v29, v30, v29
	v_and_b32_e32 v29, 0xffff, v29
	s_delay_alu instid0(VALU_DEP_1)
	v_and_or_b32 v27, 0xffff0000, v27, v29
.LBB707_65:
	s_or_b32 exec_lo, exec_lo, s1
	s_delay_alu instid0(SALU_CYCLE_1)
	s_and_not1_b32 vcc_lo, exec_lo, s16
	s_cbranch_vccnz .LBB707_67
; %bb.66:
	v_cmp_gt_u32_e32 vcc_lo, s18, v31
	s_waitcnt vmcnt(0) lgkmcnt(1)
	v_or_b32_e32 v30, 1, v31
	v_or_b32_e32 v33, 2, v31
	v_dual_cndmask_b32 v29, 0, v27 :: v_dual_and_b32 v32, 0xffffff00, v28
	s_delay_alu instid0(VALU_DEP_3) | instskip(SKIP_1) | instid1(VALU_DEP_4)
	v_cmp_gt_u32_e32 vcc_lo, s18, v30
	v_or_b32_e32 v30, 4, v31
	v_cmp_gt_u32_e64 s0, s18, v33
	v_or_b32_e32 v33, 3, v31
	v_and_b32_e32 v29, 0xff, v29
	s_delay_alu instid0(VALU_DEP_2) | instskip(NEXT) | instid1(VALU_DEP_2)
	v_cmp_gt_u32_e64 s1, s18, v33
	v_cndmask_b32_e32 v29, v29, v27, vcc_lo
	v_cmp_gt_u32_e32 vcc_lo, s18, v30
	v_cndmask_b32_e32 v30, v32, v28, vcc_lo
	v_or_b32_e32 v32, 5, v31
	s_delay_alu instid0(VALU_DEP_2) | instskip(SKIP_1) | instid1(VALU_DEP_1)
	v_and_b32_e32 v30, 0xffff00ff, v30
	v_and_b32_e32 v29, 0xffff, v29
	v_cndmask_b32_e64 v29, v29, v27, s0
	s_delay_alu instid0(VALU_DEP_4) | instskip(SKIP_2) | instid1(VALU_DEP_4)
	v_cmp_gt_u32_e64 s0, s18, v32
	v_or_b32_e32 v32, 6, v31
	v_or_b32_e32 v31, 7, v31
	v_and_b32_e32 v29, 0xffffff, v29
	s_delay_alu instid0(VALU_DEP_4) | instskip(NEXT) | instid1(VALU_DEP_2)
	v_cndmask_b32_e64 v30, v30, v28, s0
	v_cndmask_b32_e64 v29, v29, v27, s1
	s_delay_alu instid0(VALU_DEP_1) | instskip(SKIP_1) | instid1(VALU_DEP_2)
	v_dual_cndmask_b32 v29, v29, v27 :: v_dual_and_b32 v30, 0xff00ffff, v30
	v_cmp_gt_u32_e32 vcc_lo, s18, v32
	v_cndmask_b32_e64 v29, v29, v27, s0
	s_delay_alu instid0(VALU_DEP_1) | instskip(NEXT) | instid1(VALU_DEP_1)
	v_dual_cndmask_b32 v30, v30, v28 :: v_dual_cndmask_b32 v29, v29, v27
	v_and_b32_e32 v30, 0xffffff, v30
	v_cmp_gt_u32_e32 vcc_lo, s18, v31
	s_delay_alu instid0(VALU_DEP_2)
	v_dual_cndmask_b32 v28, v30, v28 :: v_dual_cndmask_b32 v27, v29, v27
.LBB707_67:
	s_delay_alu instid0(VALU_DEP_1) | instskip(SKIP_1) | instid1(VALU_DEP_2)
	v_and_b32_e32 v38, 0xff, v27
	s_waitcnt vmcnt(0) lgkmcnt(1)
	v_alignbit_b32 v29, v28, v27, 24
	v_bfe_u32 v39, v27, 8, 8
	v_bfe_u32 v40, v27, 16, 8
	v_and_b32_e32 v42, 0xff, v28
	v_bfe_u32 v43, v28, 8, 8
	v_and_b32_e32 v41, 0xff, v29
	v_add_nc_u32_e32 v29, v39, v38
	v_mbcnt_lo_u32_b32 v45, -1, 0
	v_bfe_u32 v44, v28, 16, 8
	v_lshrrev_b32_e32 v37, 24, v28
	v_lshrrev_b32_e32 v46, 5, v0
	v_add3_u32 v29, v29, v40, v41
	v_and_b32_e32 v30, 15, v45
	v_and_b32_e32 v31, 16, v45
	s_and_b32 vcc_lo, exec_lo, s9
	s_mov_b32 s7, -1
	v_add3_u32 v29, v29, v42, v43
	v_cmp_eq_u32_e64 s3, 0, v30
	v_cmp_lt_u32_e64 s0, 1, v30
	v_cmp_lt_u32_e64 s4, 3, v30
	;; [unrolled: 1-line block ×3, first 2 shown]
	v_add3_u32 v47, v29, v44, v37
	v_or_b32_e32 v29, 31, v0
	v_cmp_eq_u32_e64 s6, 0, v31
	s_waitcnt lgkmcnt(0)
	s_barrier
	buffer_gl0_inv
	v_cmp_eq_u32_e64 s5, v29, v0
	s_cbranch_vccz .LBB707_98
; %bb.68:
	v_mov_b32_dpp v29, v47 row_shr:1 row_mask:0xf bank_mask:0xf
	s_delay_alu instid0(VALU_DEP_1) | instskip(NEXT) | instid1(VALU_DEP_1)
	v_cndmask_b32_e64 v29, v29, 0, s3
	v_add_nc_u32_e32 v29, v29, v47
	s_delay_alu instid0(VALU_DEP_1) | instskip(NEXT) | instid1(VALU_DEP_1)
	v_mov_b32_dpp v30, v29 row_shr:2 row_mask:0xf bank_mask:0xf
	v_cndmask_b32_e64 v30, 0, v30, s0
	s_delay_alu instid0(VALU_DEP_1) | instskip(NEXT) | instid1(VALU_DEP_1)
	v_add_nc_u32_e32 v29, v29, v30
	v_mov_b32_dpp v30, v29 row_shr:4 row_mask:0xf bank_mask:0xf
	s_delay_alu instid0(VALU_DEP_1) | instskip(NEXT) | instid1(VALU_DEP_1)
	v_cndmask_b32_e64 v30, 0, v30, s4
	v_add_nc_u32_e32 v29, v29, v30
	s_delay_alu instid0(VALU_DEP_1) | instskip(NEXT) | instid1(VALU_DEP_1)
	v_mov_b32_dpp v30, v29 row_shr:8 row_mask:0xf bank_mask:0xf
	v_cndmask_b32_e64 v30, 0, v30, s1
	s_delay_alu instid0(VALU_DEP_1) | instskip(SKIP_3) | instid1(VALU_DEP_1)
	v_add_nc_u32_e32 v29, v29, v30
	ds_swizzle_b32 v30, v29 offset:swizzle(BROADCAST,32,15)
	s_waitcnt lgkmcnt(0)
	v_cndmask_b32_e64 v30, v30, 0, s6
	v_add_nc_u32_e32 v29, v29, v30
	s_and_saveexec_b32 s7, s5
	s_cbranch_execz .LBB707_70
; %bb.69:
	v_lshlrev_b32_e32 v30, 2, v46
	ds_store_b32 v30, v29
.LBB707_70:
	s_or_b32 exec_lo, exec_lo, s7
	s_delay_alu instid0(SALU_CYCLE_1)
	s_mov_b32 s7, exec_lo
	s_waitcnt lgkmcnt(0)
	s_barrier
	buffer_gl0_inv
	v_cmpx_gt_u32_e32 16, v0
	s_cbranch_execz .LBB707_72
; %bb.71:
	v_lshlrev_b32_e32 v30, 2, v0
	ds_load_b32 v31, v30
	s_waitcnt lgkmcnt(0)
	v_mov_b32_dpp v32, v31 row_shr:1 row_mask:0xf bank_mask:0xf
	s_delay_alu instid0(VALU_DEP_1) | instskip(NEXT) | instid1(VALU_DEP_1)
	v_cndmask_b32_e64 v32, v32, 0, s3
	v_add_nc_u32_e32 v31, v32, v31
	s_delay_alu instid0(VALU_DEP_1) | instskip(NEXT) | instid1(VALU_DEP_1)
	v_mov_b32_dpp v32, v31 row_shr:2 row_mask:0xf bank_mask:0xf
	v_cndmask_b32_e64 v32, 0, v32, s0
	s_delay_alu instid0(VALU_DEP_1) | instskip(NEXT) | instid1(VALU_DEP_1)
	v_add_nc_u32_e32 v31, v31, v32
	v_mov_b32_dpp v32, v31 row_shr:4 row_mask:0xf bank_mask:0xf
	s_delay_alu instid0(VALU_DEP_1) | instskip(NEXT) | instid1(VALU_DEP_1)
	v_cndmask_b32_e64 v32, 0, v32, s4
	v_add_nc_u32_e32 v31, v31, v32
	s_delay_alu instid0(VALU_DEP_1) | instskip(NEXT) | instid1(VALU_DEP_1)
	v_mov_b32_dpp v32, v31 row_shr:8 row_mask:0xf bank_mask:0xf
	v_cndmask_b32_e64 v32, 0, v32, s1
	s_delay_alu instid0(VALU_DEP_1)
	v_add_nc_u32_e32 v31, v31, v32
	ds_store_b32 v30, v31
.LBB707_72:
	s_or_b32 exec_lo, exec_lo, s7
	v_cmp_gt_u32_e32 vcc_lo, 32, v0
	s_mov_b32 s8, exec_lo
	s_waitcnt lgkmcnt(0)
	s_barrier
	buffer_gl0_inv
                                        ; implicit-def: $vgpr48
	v_cmpx_lt_u32_e32 31, v0
	s_cbranch_execz .LBB707_74
; %bb.73:
	v_lshl_add_u32 v30, v46, 2, -4
	ds_load_b32 v48, v30
	s_waitcnt lgkmcnt(0)
	v_add_nc_u32_e32 v29, v48, v29
.LBB707_74:
	s_or_b32 exec_lo, exec_lo, s8
	v_add_nc_u32_e32 v30, -1, v45
	s_delay_alu instid0(VALU_DEP_1) | instskip(NEXT) | instid1(VALU_DEP_1)
	v_cmp_gt_i32_e64 s7, 0, v30
	v_cndmask_b32_e64 v30, v30, v45, s7
	v_cmp_eq_u32_e64 s7, 0, v45
	s_delay_alu instid0(VALU_DEP_2)
	v_lshlrev_b32_e32 v30, 2, v30
	ds_bpermute_b32 v49, v30, v29
	s_and_saveexec_b32 s8, vcc_lo
	s_cbranch_execz .LBB707_97
; %bb.75:
	v_mov_b32_e32 v33, 0
	ds_load_b32 v29, v33 offset:60
	s_and_saveexec_b32 s9, s7
	s_cbranch_execz .LBB707_77
; %bb.76:
	s_add_i32 s16, s15, 32
	s_mov_b32 s17, 0
	v_mov_b32_e32 v30, 1
	s_lshl_b64 s[16:17], s[16:17], 3
	s_delay_alu instid0(SALU_CYCLE_1)
	s_add_u32 s16, s10, s16
	s_addc_u32 s17, s11, s17
	s_waitcnt lgkmcnt(0)
	global_store_b64 v33, v[29:30], s[16:17]
.LBB707_77:
	s_or_b32 exec_lo, exec_lo, s9
	v_xad_u32 v31, v45, -1, s15
	s_mov_b32 s16, 0
	s_mov_b32 s9, exec_lo
	s_delay_alu instid0(VALU_DEP_1) | instskip(NEXT) | instid1(VALU_DEP_1)
	v_add_nc_u32_e32 v32, 32, v31
	v_lshlrev_b64 v[32:33], 3, v[32:33]
	s_delay_alu instid0(VALU_DEP_1) | instskip(NEXT) | instid1(VALU_DEP_2)
	v_add_co_u32 v35, vcc_lo, s10, v32
	v_add_co_ci_u32_e32 v36, vcc_lo, s11, v33, vcc_lo
	global_load_b64 v[33:34], v[35:36], off glc
	s_waitcnt vmcnt(0)
	v_and_b32_e32 v30, 0xff, v34
	s_delay_alu instid0(VALU_DEP_1)
	v_cmpx_eq_u16_e32 0, v30
	s_cbranch_execz .LBB707_83
; %bb.78:
	s_mov_b32 s17, 1
	.p2align	6
.LBB707_79:                             ; =>This Loop Header: Depth=1
                                        ;     Child Loop BB707_80 Depth 2
	s_delay_alu instid0(SALU_CYCLE_1)
	s_max_u32 s18, s17, 1
.LBB707_80:                             ;   Parent Loop BB707_79 Depth=1
                                        ; =>  This Inner Loop Header: Depth=2
	s_delay_alu instid0(SALU_CYCLE_1)
	s_add_i32 s18, s18, -1
	s_sleep 1
	s_cmp_eq_u32 s18, 0
	s_cbranch_scc0 .LBB707_80
; %bb.81:                               ;   in Loop: Header=BB707_79 Depth=1
	global_load_b64 v[33:34], v[35:36], off glc
	s_cmp_lt_u32 s17, 32
	s_cselect_b32 s18, -1, 0
	s_delay_alu instid0(SALU_CYCLE_1) | instskip(SKIP_3) | instid1(VALU_DEP_1)
	s_cmp_lg_u32 s18, 0
	s_addc_u32 s17, s17, 0
	s_waitcnt vmcnt(0)
	v_and_b32_e32 v30, 0xff, v34
	v_cmp_ne_u16_e32 vcc_lo, 0, v30
	s_or_b32 s16, vcc_lo, s16
	s_delay_alu instid0(SALU_CYCLE_1)
	s_and_not1_b32 exec_lo, exec_lo, s16
	s_cbranch_execnz .LBB707_79
; %bb.82:
	s_or_b32 exec_lo, exec_lo, s16
.LBB707_83:
	s_delay_alu instid0(SALU_CYCLE_1)
	s_or_b32 exec_lo, exec_lo, s9
	v_cmp_ne_u32_e32 vcc_lo, 31, v45
	v_lshlrev_b32_e64 v51, v45, -1
	v_add_nc_u32_e32 v53, 2, v45
	v_add_nc_u32_e32 v55, 4, v45
	;; [unrolled: 1-line block ×3, first 2 shown]
	v_add_co_ci_u32_e32 v30, vcc_lo, 0, v45, vcc_lo
	v_add_nc_u32_e32 v59, 16, v45
	s_delay_alu instid0(VALU_DEP_2)
	v_lshlrev_b32_e32 v50, 2, v30
	v_and_b32_e32 v30, 0xff, v34
	ds_bpermute_b32 v32, v50, v33
	v_cmp_eq_u16_e32 vcc_lo, 2, v30
	v_and_or_b32 v30, vcc_lo, v51, 0x80000000
	v_cmp_gt_u32_e32 vcc_lo, 30, v45
	s_delay_alu instid0(VALU_DEP_2) | instskip(SKIP_1) | instid1(VALU_DEP_2)
	v_ctz_i32_b32_e32 v30, v30
	v_cndmask_b32_e64 v35, 0, 1, vcc_lo
	v_cmp_lt_u32_e32 vcc_lo, v45, v30
	s_waitcnt lgkmcnt(0)
	s_delay_alu instid0(VALU_DEP_2) | instskip(NEXT) | instid1(VALU_DEP_1)
	v_dual_cndmask_b32 v32, 0, v32 :: v_dual_lshlrev_b32 v35, 1, v35
	v_add_lshl_u32 v52, v35, v45, 2
	v_cmp_gt_u32_e32 vcc_lo, 28, v45
	s_delay_alu instid0(VALU_DEP_3) | instskip(SKIP_4) | instid1(VALU_DEP_1)
	v_add_nc_u32_e32 v32, v32, v33
	v_cndmask_b32_e64 v35, 0, 1, vcc_lo
	v_cmp_le_u32_e32 vcc_lo, v53, v30
	ds_bpermute_b32 v33, v52, v32
	v_lshlrev_b32_e32 v35, 2, v35
	v_add_lshl_u32 v54, v35, v45, 2
	s_waitcnt lgkmcnt(0)
	v_cndmask_b32_e32 v33, 0, v33, vcc_lo
	v_cmp_gt_u32_e32 vcc_lo, 24, v45
	s_delay_alu instid0(VALU_DEP_2) | instskip(SKIP_4) | instid1(VALU_DEP_1)
	v_add_nc_u32_e32 v32, v32, v33
	v_cndmask_b32_e64 v35, 0, 1, vcc_lo
	v_cmp_le_u32_e32 vcc_lo, v55, v30
	ds_bpermute_b32 v33, v54, v32
	v_lshlrev_b32_e32 v35, 3, v35
	v_add_lshl_u32 v56, v35, v45, 2
	s_waitcnt lgkmcnt(0)
	v_cndmask_b32_e32 v33, 0, v33, vcc_lo
	v_cmp_gt_u32_e32 vcc_lo, 16, v45
	s_delay_alu instid0(VALU_DEP_2) | instskip(SKIP_4) | instid1(VALU_DEP_1)
	v_add_nc_u32_e32 v32, v32, v33
	v_cndmask_b32_e64 v35, 0, 1, vcc_lo
	v_cmp_le_u32_e32 vcc_lo, v57, v30
	ds_bpermute_b32 v33, v56, v32
	v_lshlrev_b32_e32 v35, 4, v35
	v_add_lshl_u32 v58, v35, v45, 2
	s_waitcnt lgkmcnt(0)
	v_cndmask_b32_e32 v33, 0, v33, vcc_lo
	v_cmp_le_u32_e32 vcc_lo, v59, v30
	s_delay_alu instid0(VALU_DEP_2) | instskip(SKIP_3) | instid1(VALU_DEP_1)
	v_add_nc_u32_e32 v32, v32, v33
	ds_bpermute_b32 v33, v58, v32
	s_waitcnt lgkmcnt(0)
	v_cndmask_b32_e32 v30, 0, v33, vcc_lo
	v_dual_mov_b32 v32, 0 :: v_dual_add_nc_u32 v33, v32, v30
	s_branch .LBB707_85
.LBB707_84:                             ;   in Loop: Header=BB707_85 Depth=1
	s_or_b32 exec_lo, exec_lo, s9
	ds_bpermute_b32 v36, v50, v33
	v_and_b32_e32 v35, 0xff, v34
	v_subrev_nc_u32_e32 v31, 32, v31
	s_delay_alu instid0(VALU_DEP_2) | instskip(SKIP_1) | instid1(VALU_DEP_1)
	v_cmp_eq_u16_e32 vcc_lo, 2, v35
	v_and_or_b32 v35, vcc_lo, v51, 0x80000000
	v_ctz_i32_b32_e32 v35, v35
	s_delay_alu instid0(VALU_DEP_1) | instskip(SKIP_3) | instid1(VALU_DEP_2)
	v_cmp_lt_u32_e32 vcc_lo, v45, v35
	s_waitcnt lgkmcnt(0)
	v_cndmask_b32_e32 v36, 0, v36, vcc_lo
	v_cmp_le_u32_e32 vcc_lo, v53, v35
	v_add_nc_u32_e32 v33, v36, v33
	ds_bpermute_b32 v36, v52, v33
	s_waitcnt lgkmcnt(0)
	v_cndmask_b32_e32 v36, 0, v36, vcc_lo
	v_cmp_le_u32_e32 vcc_lo, v55, v35
	s_delay_alu instid0(VALU_DEP_2) | instskip(SKIP_4) | instid1(VALU_DEP_2)
	v_add_nc_u32_e32 v33, v33, v36
	ds_bpermute_b32 v36, v54, v33
	s_waitcnt lgkmcnt(0)
	v_cndmask_b32_e32 v36, 0, v36, vcc_lo
	v_cmp_le_u32_e32 vcc_lo, v57, v35
	v_add_nc_u32_e32 v33, v33, v36
	ds_bpermute_b32 v36, v56, v33
	s_waitcnt lgkmcnt(0)
	v_cndmask_b32_e32 v36, 0, v36, vcc_lo
	v_cmp_le_u32_e32 vcc_lo, v59, v35
	s_delay_alu instid0(VALU_DEP_2) | instskip(SKIP_3) | instid1(VALU_DEP_1)
	v_add_nc_u32_e32 v33, v33, v36
	ds_bpermute_b32 v36, v58, v33
	s_waitcnt lgkmcnt(0)
	v_cndmask_b32_e32 v35, 0, v36, vcc_lo
	v_add3_u32 v33, v35, v30, v33
.LBB707_85:                             ; =>This Loop Header: Depth=1
                                        ;     Child Loop BB707_88 Depth 2
                                        ;       Child Loop BB707_89 Depth 3
	v_and_b32_e32 v30, 0xff, v34
	s_delay_alu instid0(VALU_DEP_1) | instskip(SKIP_2) | instid1(VALU_DEP_1)
	v_cmp_ne_u16_e32 vcc_lo, 2, v30
	v_cndmask_b32_e64 v30, 0, 1, vcc_lo
	;;#ASMSTART
	;;#ASMEND
	v_cmp_ne_u32_e32 vcc_lo, 0, v30
	v_mov_b32_e32 v30, v33
	s_cmp_lg_u32 vcc_lo, exec_lo
	s_cbranch_scc1 .LBB707_92
; %bb.86:                               ;   in Loop: Header=BB707_85 Depth=1
	v_lshlrev_b64 v[33:34], 3, v[31:32]
	s_mov_b32 s9, exec_lo
	s_delay_alu instid0(VALU_DEP_1) | instskip(NEXT) | instid1(VALU_DEP_2)
	v_add_co_u32 v35, vcc_lo, s10, v33
	v_add_co_ci_u32_e32 v36, vcc_lo, s11, v34, vcc_lo
	global_load_b64 v[33:34], v[35:36], off glc
	s_waitcnt vmcnt(0)
	v_and_b32_e32 v60, 0xff, v34
	s_delay_alu instid0(VALU_DEP_1)
	v_cmpx_eq_u16_e32 0, v60
	s_cbranch_execz .LBB707_84
; %bb.87:                               ;   in Loop: Header=BB707_85 Depth=1
	s_mov_b32 s17, 1
	s_mov_b32 s16, 0
	.p2align	6
.LBB707_88:                             ;   Parent Loop BB707_85 Depth=1
                                        ; =>  This Loop Header: Depth=2
                                        ;       Child Loop BB707_89 Depth 3
	s_max_u32 s18, s17, 1
.LBB707_89:                             ;   Parent Loop BB707_85 Depth=1
                                        ;     Parent Loop BB707_88 Depth=2
                                        ; =>    This Inner Loop Header: Depth=3
	s_delay_alu instid0(SALU_CYCLE_1)
	s_add_i32 s18, s18, -1
	s_sleep 1
	s_cmp_eq_u32 s18, 0
	s_cbranch_scc0 .LBB707_89
; %bb.90:                               ;   in Loop: Header=BB707_88 Depth=2
	global_load_b64 v[33:34], v[35:36], off glc
	s_cmp_lt_u32 s17, 32
	s_cselect_b32 s18, -1, 0
	s_delay_alu instid0(SALU_CYCLE_1) | instskip(SKIP_3) | instid1(VALU_DEP_1)
	s_cmp_lg_u32 s18, 0
	s_addc_u32 s17, s17, 0
	s_waitcnt vmcnt(0)
	v_and_b32_e32 v60, 0xff, v34
	v_cmp_ne_u16_e32 vcc_lo, 0, v60
	s_or_b32 s16, vcc_lo, s16
	s_delay_alu instid0(SALU_CYCLE_1)
	s_and_not1_b32 exec_lo, exec_lo, s16
	s_cbranch_execnz .LBB707_88
; %bb.91:                               ;   in Loop: Header=BB707_85 Depth=1
	s_or_b32 exec_lo, exec_lo, s16
	s_branch .LBB707_84
.LBB707_92:                             ;   in Loop: Header=BB707_85 Depth=1
                                        ; implicit-def: $vgpr33
                                        ; implicit-def: $vgpr34
	s_cbranch_execz .LBB707_85
; %bb.93:
	s_and_saveexec_b32 s9, s7
	s_cbranch_execz .LBB707_95
; %bb.94:
	s_add_i32 s16, s15, 32
	s_mov_b32 s17, 0
	v_dual_mov_b32 v32, 2 :: v_dual_add_nc_u32 v31, v30, v29
	s_lshl_b64 s[16:17], s[16:17], 3
	v_mov_b32_e32 v33, 0
	s_add_u32 s16, s10, s16
	s_addc_u32 s17, s11, s17
	global_store_b64 v33, v[31:32], s[16:17]
	ds_store_b64 v33, v[29:30] offset:33792
.LBB707_95:
	s_or_b32 exec_lo, exec_lo, s9
	s_delay_alu instid0(SALU_CYCLE_1)
	s_and_b32 exec_lo, exec_lo, s2
	s_cbranch_execz .LBB707_97
; %bb.96:
	v_mov_b32_e32 v29, 0
	ds_store_b32 v29, v30 offset:60
.LBB707_97:
	s_or_b32 exec_lo, exec_lo, s8
	v_mov_b32_e32 v29, 0
	s_waitcnt lgkmcnt(0)
	s_waitcnt_vscnt null, 0x0
	s_barrier
	buffer_gl0_inv
	v_cndmask_b32_e64 v31, v49, v48, s7
	ds_load_b32 v30, v29 offset:60
	s_waitcnt lgkmcnt(0)
	s_barrier
	buffer_gl0_inv
	v_cndmask_b32_e64 v31, v31, 0, s2
	s_delay_alu instid0(VALU_DEP_1) | instskip(NEXT) | instid1(VALU_DEP_1)
	v_add_nc_u32_e32 v51, v30, v31
	v_add_nc_u32_e32 v50, v51, v38
	ds_load_b64 v[29:30], v29 offset:33792
	v_add_nc_u32_e32 v49, v50, v39
	s_delay_alu instid0(VALU_DEP_1) | instskip(NEXT) | instid1(VALU_DEP_1)
	v_add_nc_u32_e32 v48, v49, v40
	v_add_nc_u32_e32 v36, v48, v41
	s_delay_alu instid0(VALU_DEP_1) | instskip(NEXT) | instid1(VALU_DEP_1)
	v_add_nc_u32_e32 v35, v36, v42
	v_add_nc_u32_e32 v34, v35, v43
	s_delay_alu instid0(VALU_DEP_1)
	v_add_nc_u32_e32 v33, v34, v44
	v_lshrrev_b64 v[31:32], 24, v[27:28]
	s_branch .LBB707_108
.LBB707_98:
                                        ; implicit-def: $vgpr33
                                        ; implicit-def: $vgpr34
                                        ; implicit-def: $vgpr35
                                        ; implicit-def: $vgpr36
                                        ; implicit-def: $vgpr48
                                        ; implicit-def: $vgpr49
                                        ; implicit-def: $vgpr50
                                        ; implicit-def: $vgpr51
                                        ; implicit-def: $vgpr30
	v_lshrrev_b64 v[31:32], 24, v[27:28]
	s_and_b32 vcc_lo, exec_lo, s7
	s_cbranch_vccz .LBB707_108
; %bb.99:
	s_waitcnt lgkmcnt(0)
	v_mov_b32_dpp v29, v47 row_shr:1 row_mask:0xf bank_mask:0xf
	s_delay_alu instid0(VALU_DEP_1) | instskip(NEXT) | instid1(VALU_DEP_1)
	v_cndmask_b32_e64 v29, v29, 0, s3
	v_add_nc_u32_e32 v29, v29, v47
	s_delay_alu instid0(VALU_DEP_1) | instskip(NEXT) | instid1(VALU_DEP_1)
	v_mov_b32_dpp v30, v29 row_shr:2 row_mask:0xf bank_mask:0xf
	v_cndmask_b32_e64 v30, 0, v30, s0
	s_delay_alu instid0(VALU_DEP_1) | instskip(NEXT) | instid1(VALU_DEP_1)
	v_add_nc_u32_e32 v29, v29, v30
	v_mov_b32_dpp v30, v29 row_shr:4 row_mask:0xf bank_mask:0xf
	s_delay_alu instid0(VALU_DEP_1) | instskip(NEXT) | instid1(VALU_DEP_1)
	v_cndmask_b32_e64 v30, 0, v30, s4
	v_add_nc_u32_e32 v29, v29, v30
	s_delay_alu instid0(VALU_DEP_1) | instskip(NEXT) | instid1(VALU_DEP_1)
	v_mov_b32_dpp v30, v29 row_shr:8 row_mask:0xf bank_mask:0xf
	v_cndmask_b32_e64 v30, 0, v30, s1
	s_delay_alu instid0(VALU_DEP_1) | instskip(SKIP_3) | instid1(VALU_DEP_1)
	v_add_nc_u32_e32 v29, v29, v30
	ds_swizzle_b32 v30, v29 offset:swizzle(BROADCAST,32,15)
	s_waitcnt lgkmcnt(0)
	v_cndmask_b32_e64 v30, v30, 0, s6
	v_add_nc_u32_e32 v29, v29, v30
	s_and_saveexec_b32 s6, s5
	s_cbranch_execz .LBB707_101
; %bb.100:
	v_lshlrev_b32_e32 v30, 2, v46
	ds_store_b32 v30, v29
.LBB707_101:
	s_or_b32 exec_lo, exec_lo, s6
	s_delay_alu instid0(SALU_CYCLE_1)
	s_mov_b32 s5, exec_lo
	s_waitcnt lgkmcnt(0)
	s_barrier
	buffer_gl0_inv
	v_cmpx_gt_u32_e32 16, v0
	s_cbranch_execz .LBB707_103
; %bb.102:
	v_lshlrev_b32_e32 v30, 2, v0
	ds_load_b32 v32, v30
	s_waitcnt lgkmcnt(0)
	v_mov_b32_dpp v33, v32 row_shr:1 row_mask:0xf bank_mask:0xf
	s_delay_alu instid0(VALU_DEP_1) | instskip(NEXT) | instid1(VALU_DEP_1)
	v_cndmask_b32_e64 v33, v33, 0, s3
	v_add_nc_u32_e32 v32, v33, v32
	s_delay_alu instid0(VALU_DEP_1) | instskip(NEXT) | instid1(VALU_DEP_1)
	v_mov_b32_dpp v33, v32 row_shr:2 row_mask:0xf bank_mask:0xf
	v_cndmask_b32_e64 v33, 0, v33, s0
	s_delay_alu instid0(VALU_DEP_1) | instskip(NEXT) | instid1(VALU_DEP_1)
	v_add_nc_u32_e32 v32, v32, v33
	v_mov_b32_dpp v33, v32 row_shr:4 row_mask:0xf bank_mask:0xf
	s_delay_alu instid0(VALU_DEP_1) | instskip(NEXT) | instid1(VALU_DEP_1)
	v_cndmask_b32_e64 v33, 0, v33, s4
	v_add_nc_u32_e32 v32, v32, v33
	s_delay_alu instid0(VALU_DEP_1) | instskip(NEXT) | instid1(VALU_DEP_1)
	v_mov_b32_dpp v33, v32 row_shr:8 row_mask:0xf bank_mask:0xf
	v_cndmask_b32_e64 v33, 0, v33, s1
	s_delay_alu instid0(VALU_DEP_1)
	v_add_nc_u32_e32 v32, v32, v33
	ds_store_b32 v30, v32
.LBB707_103:
	s_or_b32 exec_lo, exec_lo, s5
	v_cmp_lt_u32_e32 vcc_lo, 31, v0
	v_mov_b32_e32 v30, 0
	v_mov_b32_e32 v0, 0
	s_waitcnt lgkmcnt(0)
	s_barrier
	buffer_gl0_inv
	s_and_saveexec_b32 s0, vcc_lo
	s_cbranch_execz .LBB707_105
; %bb.104:
	v_lshl_add_u32 v0, v46, 2, -4
	ds_load_b32 v0, v0
.LBB707_105:
	s_or_b32 exec_lo, exec_lo, s0
	v_add_nc_u32_e32 v32, -1, v45
	s_waitcnt lgkmcnt(0)
	v_add_nc_u32_e32 v29, v0, v29
	s_delay_alu instid0(VALU_DEP_2) | instskip(SKIP_1) | instid1(VALU_DEP_1)
	v_cmp_gt_i32_e32 vcc_lo, 0, v32
	v_cndmask_b32_e32 v32, v32, v45, vcc_lo
	v_lshlrev_b32_e32 v32, 2, v32
	ds_bpermute_b32 v32, v32, v29
	ds_load_b32 v29, v30 offset:60
	s_and_saveexec_b32 s0, s2
	s_cbranch_execz .LBB707_107
; %bb.106:
	v_dual_mov_b32 v33, 0 :: v_dual_mov_b32 v30, 2
	s_waitcnt lgkmcnt(0)
	global_store_b64 v33, v[29:30], s[10:11] offset:256
.LBB707_107:
	s_or_b32 exec_lo, exec_lo, s0
	v_cmp_eq_u32_e32 vcc_lo, 0, v45
	s_waitcnt lgkmcnt(0)
	s_waitcnt_vscnt null, 0x0
	s_barrier
	buffer_gl0_inv
	v_mov_b32_e32 v30, 0
	v_cndmask_b32_e32 v0, v32, v0, vcc_lo
	s_delay_alu instid0(VALU_DEP_1) | instskip(NEXT) | instid1(VALU_DEP_1)
	v_cndmask_b32_e64 v51, v0, 0, s2
	v_add_nc_u32_e32 v50, v51, v38
	s_delay_alu instid0(VALU_DEP_1) | instskip(NEXT) | instid1(VALU_DEP_1)
	v_add_nc_u32_e32 v49, v50, v39
	v_add_nc_u32_e32 v48, v49, v40
	s_delay_alu instid0(VALU_DEP_1) | instskip(NEXT) | instid1(VALU_DEP_1)
	v_add_nc_u32_e32 v36, v48, v41
	;; [unrolled: 3-line block ×3, first 2 shown]
	v_add_nc_u32_e32 v33, v34, v44
.LBB707_108:
	v_lshrrev_b32_e32 v39, 8, v27
	v_lshrrev_b32_e32 v38, 16, v27
	v_and_b32_e32 v27, 1, v27
	s_waitcnt lgkmcnt(0)
	v_cmp_gt_u32_e32 vcc_lo, 0x201, v29
	v_lshrrev_b32_e32 v32, 8, v28
	v_lshrrev_b32_e32 v0, 16, v28
	v_cmp_lt_u32_e64 s0, 0x200, v29
	v_cmp_eq_u32_e64 s1, 1, v27
	s_cbranch_vccnz .LBB707_126
; %bb.109:
	s_delay_alu instid0(VALU_DEP_1)
	s_and_saveexec_b32 s3, s1
	s_cbranch_execz .LBB707_111
; %bb.110:
	v_sub_nc_u32_e32 v40, v51, v30
	s_delay_alu instid0(VALU_DEP_1)
	v_lshlrev_b32_e32 v40, 3, v40
	ds_store_b64 v40, v[13:14]
.LBB707_111:
	s_or_b32 exec_lo, exec_lo, s3
	v_and_b32_e32 v13, 1, v39
	s_mov_b32 s1, exec_lo
	s_delay_alu instid0(VALU_DEP_1)
	v_cmpx_eq_u32_e32 1, v13
	s_cbranch_execz .LBB707_113
; %bb.112:
	v_sub_nc_u32_e32 v13, v50, v30
	s_delay_alu instid0(VALU_DEP_1)
	v_lshlrev_b32_e32 v13, 3, v13
	ds_store_b64 v13, v[15:16]
.LBB707_113:
	s_or_b32 exec_lo, exec_lo, s1
	v_and_b32_e32 v13, 1, v38
	s_mov_b32 s1, exec_lo
	s_delay_alu instid0(VALU_DEP_1)
	v_cmpx_eq_u32_e32 1, v13
	;; [unrolled: 12-line block ×7, first 2 shown]
	s_cbranch_execz .LBB707_125
; %bb.124:
	v_sub_nc_u32_e32 v1, v33, v30
	s_delay_alu instid0(VALU_DEP_1)
	v_lshlrev_b32_e32 v1, 3, v1
	ds_store_b64 v1, v[3:4]
.LBB707_125:
	s_or_b32 exec_lo, exec_lo, s1
	s_waitcnt lgkmcnt(0)
	s_barrier
	buffer_gl0_inv
.LBB707_126:
	s_delay_alu instid0(VALU_DEP_2)
	s_and_not1_b32 vcc_lo, exec_lo, s0
	s_barrier
	buffer_gl0_inv
	s_cbranch_vccnz .LBB707_145
; %bb.127:
	s_mov_b32 s0, exec_lo
	v_cmpx_eq_u32_e32 1, v27
	s_cbranch_execz .LBB707_129
; %bb.128:
	v_sub_nc_u32_e32 v1, v51, v30
	s_delay_alu instid0(VALU_DEP_1)
	v_lshlrev_b32_e32 v1, 2, v1
	ds_store_b32 v1, v25
.LBB707_129:
	s_or_b32 exec_lo, exec_lo, s0
	v_and_b32_e32 v1, 1, v39
	s_mov_b32 s0, exec_lo
	s_delay_alu instid0(VALU_DEP_1)
	v_cmpx_eq_u32_e32 1, v1
	s_cbranch_execz .LBB707_131
; %bb.130:
	v_sub_nc_u32_e32 v1, v50, v30
	s_delay_alu instid0(VALU_DEP_1)
	v_lshlrev_b32_e32 v1, 2, v1
	ds_store_b32 v1, v26
.LBB707_131:
	s_or_b32 exec_lo, exec_lo, s0
	v_and_b32_e32 v1, 1, v38
	s_mov_b32 s0, exec_lo
	s_delay_alu instid0(VALU_DEP_1)
	v_cmpx_eq_u32_e32 1, v1
	s_cbranch_execz .LBB707_133
; %bb.132:
	v_sub_nc_u32_e32 v1, v49, v30
	s_delay_alu instid0(VALU_DEP_1)
	v_lshlrev_b32_e32 v1, 2, v1
	ds_store_b32 v1, v23
.LBB707_133:
	s_or_b32 exec_lo, exec_lo, s0
	v_and_b32_e32 v1, 1, v31
	s_mov_b32 s0, exec_lo
	s_delay_alu instid0(VALU_DEP_1)
	v_cmpx_eq_u32_e32 1, v1
	s_cbranch_execz .LBB707_135
; %bb.134:
	v_sub_nc_u32_e32 v1, v48, v30
	s_delay_alu instid0(VALU_DEP_1)
	v_lshlrev_b32_e32 v1, 2, v1
	ds_store_b32 v1, v24
.LBB707_135:
	s_or_b32 exec_lo, exec_lo, s0
	v_and_b32_e32 v1, 1, v28
	s_mov_b32 s0, exec_lo
	s_delay_alu instid0(VALU_DEP_1)
	v_cmpx_eq_u32_e32 1, v1
	s_cbranch_execz .LBB707_137
; %bb.136:
	v_sub_nc_u32_e32 v1, v36, v30
	s_delay_alu instid0(VALU_DEP_1)
	v_lshlrev_b32_e32 v1, 2, v1
	ds_store_b32 v1, v21
.LBB707_137:
	s_or_b32 exec_lo, exec_lo, s0
	v_and_b32_e32 v1, 1, v32
	s_mov_b32 s0, exec_lo
	s_delay_alu instid0(VALU_DEP_1)
	v_cmpx_eq_u32_e32 1, v1
	s_cbranch_execz .LBB707_139
; %bb.138:
	v_sub_nc_u32_e32 v1, v35, v30
	s_delay_alu instid0(VALU_DEP_1)
	v_lshlrev_b32_e32 v1, 2, v1
	ds_store_b32 v1, v22
.LBB707_139:
	s_or_b32 exec_lo, exec_lo, s0
	v_and_b32_e32 v0, 1, v0
	s_mov_b32 s0, exec_lo
	s_delay_alu instid0(VALU_DEP_1)
	v_cmpx_eq_u32_e32 1, v0
	s_cbranch_execz .LBB707_141
; %bb.140:
	v_sub_nc_u32_e32 v0, v34, v30
	s_delay_alu instid0(VALU_DEP_1)
	v_lshlrev_b32_e32 v0, 2, v0
	ds_store_b32 v0, v19
.LBB707_141:
	s_or_b32 exec_lo, exec_lo, s0
	v_and_b32_e32 v0, 1, v37
	s_mov_b32 s0, exec_lo
	s_delay_alu instid0(VALU_DEP_1)
	v_cmpx_eq_u32_e32 1, v0
	s_cbranch_execz .LBB707_143
; %bb.142:
	v_sub_nc_u32_e32 v0, v33, v30
	s_delay_alu instid0(VALU_DEP_1)
	v_lshlrev_b32_e32 v0, 2, v0
	ds_store_b32 v0, v20
.LBB707_143:
	s_or_b32 exec_lo, exec_lo, s0
	s_waitcnt lgkmcnt(0)
	s_barrier
	buffer_gl0_inv
	s_and_b32 s0, s2, s14
	s_delay_alu instid0(SALU_CYCLE_1)
	s_and_saveexec_b32 s1, s0
	s_cbranch_execnz .LBB707_146
.LBB707_144:
	s_endpgm
.LBB707_145:
	s_and_b32 s0, s2, s14
	s_delay_alu instid0(SALU_CYCLE_1)
	s_and_saveexec_b32 s1, s0
	s_cbranch_execz .LBB707_144
.LBB707_146:
	v_add_co_u32 v0, vcc_lo, v17, v29
	v_add_co_ci_u32_e32 v1, vcc_lo, 0, v18, vcc_lo
	v_mov_b32_e32 v2, 0
	s_delay_alu instid0(VALU_DEP_3) | instskip(NEXT) | instid1(VALU_DEP_3)
	v_add_co_u32 v0, vcc_lo, v0, v30
	v_add_co_ci_u32_e32 v1, vcc_lo, 0, v1, vcc_lo
	global_store_b64 v2, v[0:1], s[12:13]
	s_nop 0
	s_sendmsg sendmsg(MSG_DEALLOC_VGPRS)
	s_endpgm
	.section	.rodata,"a",@progbits
	.p2align	6, 0x0
	.amdhsa_kernel _ZN7rocprim17ROCPRIM_400000_NS6detail17trampoline_kernelINS0_14default_configENS1_25partition_config_selectorILNS1_17partition_subalgoE9EyjbEEZZNS1_14partition_implILS5_9ELb0ES3_jN6thrust23THRUST_200600_302600_NS6detail15normal_iteratorINS9_10device_ptrIyEEEENSB_INSC_IjEEEEPNS0_10empty_typeENS0_5tupleIJNS9_16discard_iteratorINS9_11use_defaultEEESH_EEENSJ_IJSM_SI_EEENS0_18inequality_wrapperINS9_8equal_toIyEEEEPmJSH_EEE10hipError_tPvRmT3_T4_T5_T6_T7_T9_mT8_P12ihipStream_tbDpT10_ENKUlT_T0_E_clISt17integral_constantIbLb1EES1D_EEDaS18_S19_EUlS18_E_NS1_11comp_targetILNS1_3genE9ELNS1_11target_archE1100ELNS1_3gpuE3ELNS1_3repE0EEENS1_30default_config_static_selectorELNS0_4arch9wavefront6targetE0EEEvT1_
		.amdhsa_group_segment_fixed_size 33800
		.amdhsa_private_segment_fixed_size 0
		.amdhsa_kernarg_size 144
		.amdhsa_user_sgpr_count 15
		.amdhsa_user_sgpr_dispatch_ptr 0
		.amdhsa_user_sgpr_queue_ptr 0
		.amdhsa_user_sgpr_kernarg_segment_ptr 1
		.amdhsa_user_sgpr_dispatch_id 0
		.amdhsa_user_sgpr_private_segment_size 0
		.amdhsa_wavefront_size32 1
		.amdhsa_uses_dynamic_stack 0
		.amdhsa_enable_private_segment 0
		.amdhsa_system_sgpr_workgroup_id_x 1
		.amdhsa_system_sgpr_workgroup_id_y 0
		.amdhsa_system_sgpr_workgroup_id_z 0
		.amdhsa_system_sgpr_workgroup_info 0
		.amdhsa_system_vgpr_workitem_id 0
		.amdhsa_next_free_vgpr 61
		.amdhsa_next_free_sgpr 24
		.amdhsa_reserve_vcc 1
		.amdhsa_float_round_mode_32 0
		.amdhsa_float_round_mode_16_64 0
		.amdhsa_float_denorm_mode_32 3
		.amdhsa_float_denorm_mode_16_64 3
		.amdhsa_dx10_clamp 1
		.amdhsa_ieee_mode 1
		.amdhsa_fp16_overflow 0
		.amdhsa_workgroup_processor_mode 1
		.amdhsa_memory_ordered 1
		.amdhsa_forward_progress 0
		.amdhsa_shared_vgpr_count 0
		.amdhsa_exception_fp_ieee_invalid_op 0
		.amdhsa_exception_fp_denorm_src 0
		.amdhsa_exception_fp_ieee_div_zero 0
		.amdhsa_exception_fp_ieee_overflow 0
		.amdhsa_exception_fp_ieee_underflow 0
		.amdhsa_exception_fp_ieee_inexact 0
		.amdhsa_exception_int_div_zero 0
	.end_amdhsa_kernel
	.section	.text._ZN7rocprim17ROCPRIM_400000_NS6detail17trampoline_kernelINS0_14default_configENS1_25partition_config_selectorILNS1_17partition_subalgoE9EyjbEEZZNS1_14partition_implILS5_9ELb0ES3_jN6thrust23THRUST_200600_302600_NS6detail15normal_iteratorINS9_10device_ptrIyEEEENSB_INSC_IjEEEEPNS0_10empty_typeENS0_5tupleIJNS9_16discard_iteratorINS9_11use_defaultEEESH_EEENSJ_IJSM_SI_EEENS0_18inequality_wrapperINS9_8equal_toIyEEEEPmJSH_EEE10hipError_tPvRmT3_T4_T5_T6_T7_T9_mT8_P12ihipStream_tbDpT10_ENKUlT_T0_E_clISt17integral_constantIbLb1EES1D_EEDaS18_S19_EUlS18_E_NS1_11comp_targetILNS1_3genE9ELNS1_11target_archE1100ELNS1_3gpuE3ELNS1_3repE0EEENS1_30default_config_static_selectorELNS0_4arch9wavefront6targetE0EEEvT1_,"axG",@progbits,_ZN7rocprim17ROCPRIM_400000_NS6detail17trampoline_kernelINS0_14default_configENS1_25partition_config_selectorILNS1_17partition_subalgoE9EyjbEEZZNS1_14partition_implILS5_9ELb0ES3_jN6thrust23THRUST_200600_302600_NS6detail15normal_iteratorINS9_10device_ptrIyEEEENSB_INSC_IjEEEEPNS0_10empty_typeENS0_5tupleIJNS9_16discard_iteratorINS9_11use_defaultEEESH_EEENSJ_IJSM_SI_EEENS0_18inequality_wrapperINS9_8equal_toIyEEEEPmJSH_EEE10hipError_tPvRmT3_T4_T5_T6_T7_T9_mT8_P12ihipStream_tbDpT10_ENKUlT_T0_E_clISt17integral_constantIbLb1EES1D_EEDaS18_S19_EUlS18_E_NS1_11comp_targetILNS1_3genE9ELNS1_11target_archE1100ELNS1_3gpuE3ELNS1_3repE0EEENS1_30default_config_static_selectorELNS0_4arch9wavefront6targetE0EEEvT1_,comdat
.Lfunc_end707:
	.size	_ZN7rocprim17ROCPRIM_400000_NS6detail17trampoline_kernelINS0_14default_configENS1_25partition_config_selectorILNS1_17partition_subalgoE9EyjbEEZZNS1_14partition_implILS5_9ELb0ES3_jN6thrust23THRUST_200600_302600_NS6detail15normal_iteratorINS9_10device_ptrIyEEEENSB_INSC_IjEEEEPNS0_10empty_typeENS0_5tupleIJNS9_16discard_iteratorINS9_11use_defaultEEESH_EEENSJ_IJSM_SI_EEENS0_18inequality_wrapperINS9_8equal_toIyEEEEPmJSH_EEE10hipError_tPvRmT3_T4_T5_T6_T7_T9_mT8_P12ihipStream_tbDpT10_ENKUlT_T0_E_clISt17integral_constantIbLb1EES1D_EEDaS18_S19_EUlS18_E_NS1_11comp_targetILNS1_3genE9ELNS1_11target_archE1100ELNS1_3gpuE3ELNS1_3repE0EEENS1_30default_config_static_selectorELNS0_4arch9wavefront6targetE0EEEvT1_, .Lfunc_end707-_ZN7rocprim17ROCPRIM_400000_NS6detail17trampoline_kernelINS0_14default_configENS1_25partition_config_selectorILNS1_17partition_subalgoE9EyjbEEZZNS1_14partition_implILS5_9ELb0ES3_jN6thrust23THRUST_200600_302600_NS6detail15normal_iteratorINS9_10device_ptrIyEEEENSB_INSC_IjEEEEPNS0_10empty_typeENS0_5tupleIJNS9_16discard_iteratorINS9_11use_defaultEEESH_EEENSJ_IJSM_SI_EEENS0_18inequality_wrapperINS9_8equal_toIyEEEEPmJSH_EEE10hipError_tPvRmT3_T4_T5_T6_T7_T9_mT8_P12ihipStream_tbDpT10_ENKUlT_T0_E_clISt17integral_constantIbLb1EES1D_EEDaS18_S19_EUlS18_E_NS1_11comp_targetILNS1_3genE9ELNS1_11target_archE1100ELNS1_3gpuE3ELNS1_3repE0EEENS1_30default_config_static_selectorELNS0_4arch9wavefront6targetE0EEEvT1_
                                        ; -- End function
	.section	.AMDGPU.csdata,"",@progbits
; Kernel info:
; codeLenInByte = 7768
; NumSgprs: 26
; NumVgprs: 61
; ScratchSize: 0
; MemoryBound: 0
; FloatMode: 240
; IeeeMode: 1
; LDSByteSize: 33800 bytes/workgroup (compile time only)
; SGPRBlocks: 3
; VGPRBlocks: 7
; NumSGPRsForWavesPerEU: 26
; NumVGPRsForWavesPerEU: 61
; Occupancy: 12
; WaveLimiterHint : 1
; COMPUTE_PGM_RSRC2:SCRATCH_EN: 0
; COMPUTE_PGM_RSRC2:USER_SGPR: 15
; COMPUTE_PGM_RSRC2:TRAP_HANDLER: 0
; COMPUTE_PGM_RSRC2:TGID_X_EN: 1
; COMPUTE_PGM_RSRC2:TGID_Y_EN: 0
; COMPUTE_PGM_RSRC2:TGID_Z_EN: 0
; COMPUTE_PGM_RSRC2:TIDIG_COMP_CNT: 0
	.section	.text._ZN7rocprim17ROCPRIM_400000_NS6detail17trampoline_kernelINS0_14default_configENS1_25partition_config_selectorILNS1_17partition_subalgoE9EyjbEEZZNS1_14partition_implILS5_9ELb0ES3_jN6thrust23THRUST_200600_302600_NS6detail15normal_iteratorINS9_10device_ptrIyEEEENSB_INSC_IjEEEEPNS0_10empty_typeENS0_5tupleIJNS9_16discard_iteratorINS9_11use_defaultEEESH_EEENSJ_IJSM_SI_EEENS0_18inequality_wrapperINS9_8equal_toIyEEEEPmJSH_EEE10hipError_tPvRmT3_T4_T5_T6_T7_T9_mT8_P12ihipStream_tbDpT10_ENKUlT_T0_E_clISt17integral_constantIbLb1EES1D_EEDaS18_S19_EUlS18_E_NS1_11comp_targetILNS1_3genE8ELNS1_11target_archE1030ELNS1_3gpuE2ELNS1_3repE0EEENS1_30default_config_static_selectorELNS0_4arch9wavefront6targetE0EEEvT1_,"axG",@progbits,_ZN7rocprim17ROCPRIM_400000_NS6detail17trampoline_kernelINS0_14default_configENS1_25partition_config_selectorILNS1_17partition_subalgoE9EyjbEEZZNS1_14partition_implILS5_9ELb0ES3_jN6thrust23THRUST_200600_302600_NS6detail15normal_iteratorINS9_10device_ptrIyEEEENSB_INSC_IjEEEEPNS0_10empty_typeENS0_5tupleIJNS9_16discard_iteratorINS9_11use_defaultEEESH_EEENSJ_IJSM_SI_EEENS0_18inequality_wrapperINS9_8equal_toIyEEEEPmJSH_EEE10hipError_tPvRmT3_T4_T5_T6_T7_T9_mT8_P12ihipStream_tbDpT10_ENKUlT_T0_E_clISt17integral_constantIbLb1EES1D_EEDaS18_S19_EUlS18_E_NS1_11comp_targetILNS1_3genE8ELNS1_11target_archE1030ELNS1_3gpuE2ELNS1_3repE0EEENS1_30default_config_static_selectorELNS0_4arch9wavefront6targetE0EEEvT1_,comdat
	.protected	_ZN7rocprim17ROCPRIM_400000_NS6detail17trampoline_kernelINS0_14default_configENS1_25partition_config_selectorILNS1_17partition_subalgoE9EyjbEEZZNS1_14partition_implILS5_9ELb0ES3_jN6thrust23THRUST_200600_302600_NS6detail15normal_iteratorINS9_10device_ptrIyEEEENSB_INSC_IjEEEEPNS0_10empty_typeENS0_5tupleIJNS9_16discard_iteratorINS9_11use_defaultEEESH_EEENSJ_IJSM_SI_EEENS0_18inequality_wrapperINS9_8equal_toIyEEEEPmJSH_EEE10hipError_tPvRmT3_T4_T5_T6_T7_T9_mT8_P12ihipStream_tbDpT10_ENKUlT_T0_E_clISt17integral_constantIbLb1EES1D_EEDaS18_S19_EUlS18_E_NS1_11comp_targetILNS1_3genE8ELNS1_11target_archE1030ELNS1_3gpuE2ELNS1_3repE0EEENS1_30default_config_static_selectorELNS0_4arch9wavefront6targetE0EEEvT1_ ; -- Begin function _ZN7rocprim17ROCPRIM_400000_NS6detail17trampoline_kernelINS0_14default_configENS1_25partition_config_selectorILNS1_17partition_subalgoE9EyjbEEZZNS1_14partition_implILS5_9ELb0ES3_jN6thrust23THRUST_200600_302600_NS6detail15normal_iteratorINS9_10device_ptrIyEEEENSB_INSC_IjEEEEPNS0_10empty_typeENS0_5tupleIJNS9_16discard_iteratorINS9_11use_defaultEEESH_EEENSJ_IJSM_SI_EEENS0_18inequality_wrapperINS9_8equal_toIyEEEEPmJSH_EEE10hipError_tPvRmT3_T4_T5_T6_T7_T9_mT8_P12ihipStream_tbDpT10_ENKUlT_T0_E_clISt17integral_constantIbLb1EES1D_EEDaS18_S19_EUlS18_E_NS1_11comp_targetILNS1_3genE8ELNS1_11target_archE1030ELNS1_3gpuE2ELNS1_3repE0EEENS1_30default_config_static_selectorELNS0_4arch9wavefront6targetE0EEEvT1_
	.globl	_ZN7rocprim17ROCPRIM_400000_NS6detail17trampoline_kernelINS0_14default_configENS1_25partition_config_selectorILNS1_17partition_subalgoE9EyjbEEZZNS1_14partition_implILS5_9ELb0ES3_jN6thrust23THRUST_200600_302600_NS6detail15normal_iteratorINS9_10device_ptrIyEEEENSB_INSC_IjEEEEPNS0_10empty_typeENS0_5tupleIJNS9_16discard_iteratorINS9_11use_defaultEEESH_EEENSJ_IJSM_SI_EEENS0_18inequality_wrapperINS9_8equal_toIyEEEEPmJSH_EEE10hipError_tPvRmT3_T4_T5_T6_T7_T9_mT8_P12ihipStream_tbDpT10_ENKUlT_T0_E_clISt17integral_constantIbLb1EES1D_EEDaS18_S19_EUlS18_E_NS1_11comp_targetILNS1_3genE8ELNS1_11target_archE1030ELNS1_3gpuE2ELNS1_3repE0EEENS1_30default_config_static_selectorELNS0_4arch9wavefront6targetE0EEEvT1_
	.p2align	8
	.type	_ZN7rocprim17ROCPRIM_400000_NS6detail17trampoline_kernelINS0_14default_configENS1_25partition_config_selectorILNS1_17partition_subalgoE9EyjbEEZZNS1_14partition_implILS5_9ELb0ES3_jN6thrust23THRUST_200600_302600_NS6detail15normal_iteratorINS9_10device_ptrIyEEEENSB_INSC_IjEEEEPNS0_10empty_typeENS0_5tupleIJNS9_16discard_iteratorINS9_11use_defaultEEESH_EEENSJ_IJSM_SI_EEENS0_18inequality_wrapperINS9_8equal_toIyEEEEPmJSH_EEE10hipError_tPvRmT3_T4_T5_T6_T7_T9_mT8_P12ihipStream_tbDpT10_ENKUlT_T0_E_clISt17integral_constantIbLb1EES1D_EEDaS18_S19_EUlS18_E_NS1_11comp_targetILNS1_3genE8ELNS1_11target_archE1030ELNS1_3gpuE2ELNS1_3repE0EEENS1_30default_config_static_selectorELNS0_4arch9wavefront6targetE0EEEvT1_,@function
_ZN7rocprim17ROCPRIM_400000_NS6detail17trampoline_kernelINS0_14default_configENS1_25partition_config_selectorILNS1_17partition_subalgoE9EyjbEEZZNS1_14partition_implILS5_9ELb0ES3_jN6thrust23THRUST_200600_302600_NS6detail15normal_iteratorINS9_10device_ptrIyEEEENSB_INSC_IjEEEEPNS0_10empty_typeENS0_5tupleIJNS9_16discard_iteratorINS9_11use_defaultEEESH_EEENSJ_IJSM_SI_EEENS0_18inequality_wrapperINS9_8equal_toIyEEEEPmJSH_EEE10hipError_tPvRmT3_T4_T5_T6_T7_T9_mT8_P12ihipStream_tbDpT10_ENKUlT_T0_E_clISt17integral_constantIbLb1EES1D_EEDaS18_S19_EUlS18_E_NS1_11comp_targetILNS1_3genE8ELNS1_11target_archE1030ELNS1_3gpuE2ELNS1_3repE0EEENS1_30default_config_static_selectorELNS0_4arch9wavefront6targetE0EEEvT1_: ; @_ZN7rocprim17ROCPRIM_400000_NS6detail17trampoline_kernelINS0_14default_configENS1_25partition_config_selectorILNS1_17partition_subalgoE9EyjbEEZZNS1_14partition_implILS5_9ELb0ES3_jN6thrust23THRUST_200600_302600_NS6detail15normal_iteratorINS9_10device_ptrIyEEEENSB_INSC_IjEEEEPNS0_10empty_typeENS0_5tupleIJNS9_16discard_iteratorINS9_11use_defaultEEESH_EEENSJ_IJSM_SI_EEENS0_18inequality_wrapperINS9_8equal_toIyEEEEPmJSH_EEE10hipError_tPvRmT3_T4_T5_T6_T7_T9_mT8_P12ihipStream_tbDpT10_ENKUlT_T0_E_clISt17integral_constantIbLb1EES1D_EEDaS18_S19_EUlS18_E_NS1_11comp_targetILNS1_3genE8ELNS1_11target_archE1030ELNS1_3gpuE2ELNS1_3repE0EEENS1_30default_config_static_selectorELNS0_4arch9wavefront6targetE0EEEvT1_
; %bb.0:
	.section	.rodata,"a",@progbits
	.p2align	6, 0x0
	.amdhsa_kernel _ZN7rocprim17ROCPRIM_400000_NS6detail17trampoline_kernelINS0_14default_configENS1_25partition_config_selectorILNS1_17partition_subalgoE9EyjbEEZZNS1_14partition_implILS5_9ELb0ES3_jN6thrust23THRUST_200600_302600_NS6detail15normal_iteratorINS9_10device_ptrIyEEEENSB_INSC_IjEEEEPNS0_10empty_typeENS0_5tupleIJNS9_16discard_iteratorINS9_11use_defaultEEESH_EEENSJ_IJSM_SI_EEENS0_18inequality_wrapperINS9_8equal_toIyEEEEPmJSH_EEE10hipError_tPvRmT3_T4_T5_T6_T7_T9_mT8_P12ihipStream_tbDpT10_ENKUlT_T0_E_clISt17integral_constantIbLb1EES1D_EEDaS18_S19_EUlS18_E_NS1_11comp_targetILNS1_3genE8ELNS1_11target_archE1030ELNS1_3gpuE2ELNS1_3repE0EEENS1_30default_config_static_selectorELNS0_4arch9wavefront6targetE0EEEvT1_
		.amdhsa_group_segment_fixed_size 0
		.amdhsa_private_segment_fixed_size 0
		.amdhsa_kernarg_size 144
		.amdhsa_user_sgpr_count 15
		.amdhsa_user_sgpr_dispatch_ptr 0
		.amdhsa_user_sgpr_queue_ptr 0
		.amdhsa_user_sgpr_kernarg_segment_ptr 1
		.amdhsa_user_sgpr_dispatch_id 0
		.amdhsa_user_sgpr_private_segment_size 0
		.amdhsa_wavefront_size32 1
		.amdhsa_uses_dynamic_stack 0
		.amdhsa_enable_private_segment 0
		.amdhsa_system_sgpr_workgroup_id_x 1
		.amdhsa_system_sgpr_workgroup_id_y 0
		.amdhsa_system_sgpr_workgroup_id_z 0
		.amdhsa_system_sgpr_workgroup_info 0
		.amdhsa_system_vgpr_workitem_id 0
		.amdhsa_next_free_vgpr 1
		.amdhsa_next_free_sgpr 1
		.amdhsa_reserve_vcc 0
		.amdhsa_float_round_mode_32 0
		.amdhsa_float_round_mode_16_64 0
		.amdhsa_float_denorm_mode_32 3
		.amdhsa_float_denorm_mode_16_64 3
		.amdhsa_dx10_clamp 1
		.amdhsa_ieee_mode 1
		.amdhsa_fp16_overflow 0
		.amdhsa_workgroup_processor_mode 1
		.amdhsa_memory_ordered 1
		.amdhsa_forward_progress 0
		.amdhsa_shared_vgpr_count 0
		.amdhsa_exception_fp_ieee_invalid_op 0
		.amdhsa_exception_fp_denorm_src 0
		.amdhsa_exception_fp_ieee_div_zero 0
		.amdhsa_exception_fp_ieee_overflow 0
		.amdhsa_exception_fp_ieee_underflow 0
		.amdhsa_exception_fp_ieee_inexact 0
		.amdhsa_exception_int_div_zero 0
	.end_amdhsa_kernel
	.section	.text._ZN7rocprim17ROCPRIM_400000_NS6detail17trampoline_kernelINS0_14default_configENS1_25partition_config_selectorILNS1_17partition_subalgoE9EyjbEEZZNS1_14partition_implILS5_9ELb0ES3_jN6thrust23THRUST_200600_302600_NS6detail15normal_iteratorINS9_10device_ptrIyEEEENSB_INSC_IjEEEEPNS0_10empty_typeENS0_5tupleIJNS9_16discard_iteratorINS9_11use_defaultEEESH_EEENSJ_IJSM_SI_EEENS0_18inequality_wrapperINS9_8equal_toIyEEEEPmJSH_EEE10hipError_tPvRmT3_T4_T5_T6_T7_T9_mT8_P12ihipStream_tbDpT10_ENKUlT_T0_E_clISt17integral_constantIbLb1EES1D_EEDaS18_S19_EUlS18_E_NS1_11comp_targetILNS1_3genE8ELNS1_11target_archE1030ELNS1_3gpuE2ELNS1_3repE0EEENS1_30default_config_static_selectorELNS0_4arch9wavefront6targetE0EEEvT1_,"axG",@progbits,_ZN7rocprim17ROCPRIM_400000_NS6detail17trampoline_kernelINS0_14default_configENS1_25partition_config_selectorILNS1_17partition_subalgoE9EyjbEEZZNS1_14partition_implILS5_9ELb0ES3_jN6thrust23THRUST_200600_302600_NS6detail15normal_iteratorINS9_10device_ptrIyEEEENSB_INSC_IjEEEEPNS0_10empty_typeENS0_5tupleIJNS9_16discard_iteratorINS9_11use_defaultEEESH_EEENSJ_IJSM_SI_EEENS0_18inequality_wrapperINS9_8equal_toIyEEEEPmJSH_EEE10hipError_tPvRmT3_T4_T5_T6_T7_T9_mT8_P12ihipStream_tbDpT10_ENKUlT_T0_E_clISt17integral_constantIbLb1EES1D_EEDaS18_S19_EUlS18_E_NS1_11comp_targetILNS1_3genE8ELNS1_11target_archE1030ELNS1_3gpuE2ELNS1_3repE0EEENS1_30default_config_static_selectorELNS0_4arch9wavefront6targetE0EEEvT1_,comdat
.Lfunc_end708:
	.size	_ZN7rocprim17ROCPRIM_400000_NS6detail17trampoline_kernelINS0_14default_configENS1_25partition_config_selectorILNS1_17partition_subalgoE9EyjbEEZZNS1_14partition_implILS5_9ELb0ES3_jN6thrust23THRUST_200600_302600_NS6detail15normal_iteratorINS9_10device_ptrIyEEEENSB_INSC_IjEEEEPNS0_10empty_typeENS0_5tupleIJNS9_16discard_iteratorINS9_11use_defaultEEESH_EEENSJ_IJSM_SI_EEENS0_18inequality_wrapperINS9_8equal_toIyEEEEPmJSH_EEE10hipError_tPvRmT3_T4_T5_T6_T7_T9_mT8_P12ihipStream_tbDpT10_ENKUlT_T0_E_clISt17integral_constantIbLb1EES1D_EEDaS18_S19_EUlS18_E_NS1_11comp_targetILNS1_3genE8ELNS1_11target_archE1030ELNS1_3gpuE2ELNS1_3repE0EEENS1_30default_config_static_selectorELNS0_4arch9wavefront6targetE0EEEvT1_, .Lfunc_end708-_ZN7rocprim17ROCPRIM_400000_NS6detail17trampoline_kernelINS0_14default_configENS1_25partition_config_selectorILNS1_17partition_subalgoE9EyjbEEZZNS1_14partition_implILS5_9ELb0ES3_jN6thrust23THRUST_200600_302600_NS6detail15normal_iteratorINS9_10device_ptrIyEEEENSB_INSC_IjEEEEPNS0_10empty_typeENS0_5tupleIJNS9_16discard_iteratorINS9_11use_defaultEEESH_EEENSJ_IJSM_SI_EEENS0_18inequality_wrapperINS9_8equal_toIyEEEEPmJSH_EEE10hipError_tPvRmT3_T4_T5_T6_T7_T9_mT8_P12ihipStream_tbDpT10_ENKUlT_T0_E_clISt17integral_constantIbLb1EES1D_EEDaS18_S19_EUlS18_E_NS1_11comp_targetILNS1_3genE8ELNS1_11target_archE1030ELNS1_3gpuE2ELNS1_3repE0EEENS1_30default_config_static_selectorELNS0_4arch9wavefront6targetE0EEEvT1_
                                        ; -- End function
	.section	.AMDGPU.csdata,"",@progbits
; Kernel info:
; codeLenInByte = 0
; NumSgprs: 0
; NumVgprs: 0
; ScratchSize: 0
; MemoryBound: 0
; FloatMode: 240
; IeeeMode: 1
; LDSByteSize: 0 bytes/workgroup (compile time only)
; SGPRBlocks: 0
; VGPRBlocks: 0
; NumSGPRsForWavesPerEU: 1
; NumVGPRsForWavesPerEU: 1
; Occupancy: 16
; WaveLimiterHint : 0
; COMPUTE_PGM_RSRC2:SCRATCH_EN: 0
; COMPUTE_PGM_RSRC2:USER_SGPR: 15
; COMPUTE_PGM_RSRC2:TRAP_HANDLER: 0
; COMPUTE_PGM_RSRC2:TGID_X_EN: 1
; COMPUTE_PGM_RSRC2:TGID_Y_EN: 0
; COMPUTE_PGM_RSRC2:TGID_Z_EN: 0
; COMPUTE_PGM_RSRC2:TIDIG_COMP_CNT: 0
	.section	.text._ZN7rocprim17ROCPRIM_400000_NS6detail17trampoline_kernelINS0_14default_configENS1_25partition_config_selectorILNS1_17partition_subalgoE9EyjbEEZZNS1_14partition_implILS5_9ELb0ES3_jN6thrust23THRUST_200600_302600_NS6detail15normal_iteratorINS9_10device_ptrIyEEEENSB_INSC_IjEEEEPNS0_10empty_typeENS0_5tupleIJNS9_16discard_iteratorINS9_11use_defaultEEESH_EEENSJ_IJSM_SI_EEENS0_18inequality_wrapperINS9_8equal_toIyEEEEPmJSH_EEE10hipError_tPvRmT3_T4_T5_T6_T7_T9_mT8_P12ihipStream_tbDpT10_ENKUlT_T0_E_clISt17integral_constantIbLb1EES1C_IbLb0EEEEDaS18_S19_EUlS18_E_NS1_11comp_targetILNS1_3genE0ELNS1_11target_archE4294967295ELNS1_3gpuE0ELNS1_3repE0EEENS1_30default_config_static_selectorELNS0_4arch9wavefront6targetE0EEEvT1_,"axG",@progbits,_ZN7rocprim17ROCPRIM_400000_NS6detail17trampoline_kernelINS0_14default_configENS1_25partition_config_selectorILNS1_17partition_subalgoE9EyjbEEZZNS1_14partition_implILS5_9ELb0ES3_jN6thrust23THRUST_200600_302600_NS6detail15normal_iteratorINS9_10device_ptrIyEEEENSB_INSC_IjEEEEPNS0_10empty_typeENS0_5tupleIJNS9_16discard_iteratorINS9_11use_defaultEEESH_EEENSJ_IJSM_SI_EEENS0_18inequality_wrapperINS9_8equal_toIyEEEEPmJSH_EEE10hipError_tPvRmT3_T4_T5_T6_T7_T9_mT8_P12ihipStream_tbDpT10_ENKUlT_T0_E_clISt17integral_constantIbLb1EES1C_IbLb0EEEEDaS18_S19_EUlS18_E_NS1_11comp_targetILNS1_3genE0ELNS1_11target_archE4294967295ELNS1_3gpuE0ELNS1_3repE0EEENS1_30default_config_static_selectorELNS0_4arch9wavefront6targetE0EEEvT1_,comdat
	.protected	_ZN7rocprim17ROCPRIM_400000_NS6detail17trampoline_kernelINS0_14default_configENS1_25partition_config_selectorILNS1_17partition_subalgoE9EyjbEEZZNS1_14partition_implILS5_9ELb0ES3_jN6thrust23THRUST_200600_302600_NS6detail15normal_iteratorINS9_10device_ptrIyEEEENSB_INSC_IjEEEEPNS0_10empty_typeENS0_5tupleIJNS9_16discard_iteratorINS9_11use_defaultEEESH_EEENSJ_IJSM_SI_EEENS0_18inequality_wrapperINS9_8equal_toIyEEEEPmJSH_EEE10hipError_tPvRmT3_T4_T5_T6_T7_T9_mT8_P12ihipStream_tbDpT10_ENKUlT_T0_E_clISt17integral_constantIbLb1EES1C_IbLb0EEEEDaS18_S19_EUlS18_E_NS1_11comp_targetILNS1_3genE0ELNS1_11target_archE4294967295ELNS1_3gpuE0ELNS1_3repE0EEENS1_30default_config_static_selectorELNS0_4arch9wavefront6targetE0EEEvT1_ ; -- Begin function _ZN7rocprim17ROCPRIM_400000_NS6detail17trampoline_kernelINS0_14default_configENS1_25partition_config_selectorILNS1_17partition_subalgoE9EyjbEEZZNS1_14partition_implILS5_9ELb0ES3_jN6thrust23THRUST_200600_302600_NS6detail15normal_iteratorINS9_10device_ptrIyEEEENSB_INSC_IjEEEEPNS0_10empty_typeENS0_5tupleIJNS9_16discard_iteratorINS9_11use_defaultEEESH_EEENSJ_IJSM_SI_EEENS0_18inequality_wrapperINS9_8equal_toIyEEEEPmJSH_EEE10hipError_tPvRmT3_T4_T5_T6_T7_T9_mT8_P12ihipStream_tbDpT10_ENKUlT_T0_E_clISt17integral_constantIbLb1EES1C_IbLb0EEEEDaS18_S19_EUlS18_E_NS1_11comp_targetILNS1_3genE0ELNS1_11target_archE4294967295ELNS1_3gpuE0ELNS1_3repE0EEENS1_30default_config_static_selectorELNS0_4arch9wavefront6targetE0EEEvT1_
	.globl	_ZN7rocprim17ROCPRIM_400000_NS6detail17trampoline_kernelINS0_14default_configENS1_25partition_config_selectorILNS1_17partition_subalgoE9EyjbEEZZNS1_14partition_implILS5_9ELb0ES3_jN6thrust23THRUST_200600_302600_NS6detail15normal_iteratorINS9_10device_ptrIyEEEENSB_INSC_IjEEEEPNS0_10empty_typeENS0_5tupleIJNS9_16discard_iteratorINS9_11use_defaultEEESH_EEENSJ_IJSM_SI_EEENS0_18inequality_wrapperINS9_8equal_toIyEEEEPmJSH_EEE10hipError_tPvRmT3_T4_T5_T6_T7_T9_mT8_P12ihipStream_tbDpT10_ENKUlT_T0_E_clISt17integral_constantIbLb1EES1C_IbLb0EEEEDaS18_S19_EUlS18_E_NS1_11comp_targetILNS1_3genE0ELNS1_11target_archE4294967295ELNS1_3gpuE0ELNS1_3repE0EEENS1_30default_config_static_selectorELNS0_4arch9wavefront6targetE0EEEvT1_
	.p2align	8
	.type	_ZN7rocprim17ROCPRIM_400000_NS6detail17trampoline_kernelINS0_14default_configENS1_25partition_config_selectorILNS1_17partition_subalgoE9EyjbEEZZNS1_14partition_implILS5_9ELb0ES3_jN6thrust23THRUST_200600_302600_NS6detail15normal_iteratorINS9_10device_ptrIyEEEENSB_INSC_IjEEEEPNS0_10empty_typeENS0_5tupleIJNS9_16discard_iteratorINS9_11use_defaultEEESH_EEENSJ_IJSM_SI_EEENS0_18inequality_wrapperINS9_8equal_toIyEEEEPmJSH_EEE10hipError_tPvRmT3_T4_T5_T6_T7_T9_mT8_P12ihipStream_tbDpT10_ENKUlT_T0_E_clISt17integral_constantIbLb1EES1C_IbLb0EEEEDaS18_S19_EUlS18_E_NS1_11comp_targetILNS1_3genE0ELNS1_11target_archE4294967295ELNS1_3gpuE0ELNS1_3repE0EEENS1_30default_config_static_selectorELNS0_4arch9wavefront6targetE0EEEvT1_,@function
_ZN7rocprim17ROCPRIM_400000_NS6detail17trampoline_kernelINS0_14default_configENS1_25partition_config_selectorILNS1_17partition_subalgoE9EyjbEEZZNS1_14partition_implILS5_9ELb0ES3_jN6thrust23THRUST_200600_302600_NS6detail15normal_iteratorINS9_10device_ptrIyEEEENSB_INSC_IjEEEEPNS0_10empty_typeENS0_5tupleIJNS9_16discard_iteratorINS9_11use_defaultEEESH_EEENSJ_IJSM_SI_EEENS0_18inequality_wrapperINS9_8equal_toIyEEEEPmJSH_EEE10hipError_tPvRmT3_T4_T5_T6_T7_T9_mT8_P12ihipStream_tbDpT10_ENKUlT_T0_E_clISt17integral_constantIbLb1EES1C_IbLb0EEEEDaS18_S19_EUlS18_E_NS1_11comp_targetILNS1_3genE0ELNS1_11target_archE4294967295ELNS1_3gpuE0ELNS1_3repE0EEENS1_30default_config_static_selectorELNS0_4arch9wavefront6targetE0EEEvT1_: ; @_ZN7rocprim17ROCPRIM_400000_NS6detail17trampoline_kernelINS0_14default_configENS1_25partition_config_selectorILNS1_17partition_subalgoE9EyjbEEZZNS1_14partition_implILS5_9ELb0ES3_jN6thrust23THRUST_200600_302600_NS6detail15normal_iteratorINS9_10device_ptrIyEEEENSB_INSC_IjEEEEPNS0_10empty_typeENS0_5tupleIJNS9_16discard_iteratorINS9_11use_defaultEEESH_EEENSJ_IJSM_SI_EEENS0_18inequality_wrapperINS9_8equal_toIyEEEEPmJSH_EEE10hipError_tPvRmT3_T4_T5_T6_T7_T9_mT8_P12ihipStream_tbDpT10_ENKUlT_T0_E_clISt17integral_constantIbLb1EES1C_IbLb0EEEEDaS18_S19_EUlS18_E_NS1_11comp_targetILNS1_3genE0ELNS1_11target_archE4294967295ELNS1_3gpuE0ELNS1_3repE0EEENS1_30default_config_static_selectorELNS0_4arch9wavefront6targetE0EEEvT1_
; %bb.0:
	.section	.rodata,"a",@progbits
	.p2align	6, 0x0
	.amdhsa_kernel _ZN7rocprim17ROCPRIM_400000_NS6detail17trampoline_kernelINS0_14default_configENS1_25partition_config_selectorILNS1_17partition_subalgoE9EyjbEEZZNS1_14partition_implILS5_9ELb0ES3_jN6thrust23THRUST_200600_302600_NS6detail15normal_iteratorINS9_10device_ptrIyEEEENSB_INSC_IjEEEEPNS0_10empty_typeENS0_5tupleIJNS9_16discard_iteratorINS9_11use_defaultEEESH_EEENSJ_IJSM_SI_EEENS0_18inequality_wrapperINS9_8equal_toIyEEEEPmJSH_EEE10hipError_tPvRmT3_T4_T5_T6_T7_T9_mT8_P12ihipStream_tbDpT10_ENKUlT_T0_E_clISt17integral_constantIbLb1EES1C_IbLb0EEEEDaS18_S19_EUlS18_E_NS1_11comp_targetILNS1_3genE0ELNS1_11target_archE4294967295ELNS1_3gpuE0ELNS1_3repE0EEENS1_30default_config_static_selectorELNS0_4arch9wavefront6targetE0EEEvT1_
		.amdhsa_group_segment_fixed_size 0
		.amdhsa_private_segment_fixed_size 0
		.amdhsa_kernarg_size 128
		.amdhsa_user_sgpr_count 15
		.amdhsa_user_sgpr_dispatch_ptr 0
		.amdhsa_user_sgpr_queue_ptr 0
		.amdhsa_user_sgpr_kernarg_segment_ptr 1
		.amdhsa_user_sgpr_dispatch_id 0
		.amdhsa_user_sgpr_private_segment_size 0
		.amdhsa_wavefront_size32 1
		.amdhsa_uses_dynamic_stack 0
		.amdhsa_enable_private_segment 0
		.amdhsa_system_sgpr_workgroup_id_x 1
		.amdhsa_system_sgpr_workgroup_id_y 0
		.amdhsa_system_sgpr_workgroup_id_z 0
		.amdhsa_system_sgpr_workgroup_info 0
		.amdhsa_system_vgpr_workitem_id 0
		.amdhsa_next_free_vgpr 1
		.amdhsa_next_free_sgpr 1
		.amdhsa_reserve_vcc 0
		.amdhsa_float_round_mode_32 0
		.amdhsa_float_round_mode_16_64 0
		.amdhsa_float_denorm_mode_32 3
		.amdhsa_float_denorm_mode_16_64 3
		.amdhsa_dx10_clamp 1
		.amdhsa_ieee_mode 1
		.amdhsa_fp16_overflow 0
		.amdhsa_workgroup_processor_mode 1
		.amdhsa_memory_ordered 1
		.amdhsa_forward_progress 0
		.amdhsa_shared_vgpr_count 0
		.amdhsa_exception_fp_ieee_invalid_op 0
		.amdhsa_exception_fp_denorm_src 0
		.amdhsa_exception_fp_ieee_div_zero 0
		.amdhsa_exception_fp_ieee_overflow 0
		.amdhsa_exception_fp_ieee_underflow 0
		.amdhsa_exception_fp_ieee_inexact 0
		.amdhsa_exception_int_div_zero 0
	.end_amdhsa_kernel
	.section	.text._ZN7rocprim17ROCPRIM_400000_NS6detail17trampoline_kernelINS0_14default_configENS1_25partition_config_selectorILNS1_17partition_subalgoE9EyjbEEZZNS1_14partition_implILS5_9ELb0ES3_jN6thrust23THRUST_200600_302600_NS6detail15normal_iteratorINS9_10device_ptrIyEEEENSB_INSC_IjEEEEPNS0_10empty_typeENS0_5tupleIJNS9_16discard_iteratorINS9_11use_defaultEEESH_EEENSJ_IJSM_SI_EEENS0_18inequality_wrapperINS9_8equal_toIyEEEEPmJSH_EEE10hipError_tPvRmT3_T4_T5_T6_T7_T9_mT8_P12ihipStream_tbDpT10_ENKUlT_T0_E_clISt17integral_constantIbLb1EES1C_IbLb0EEEEDaS18_S19_EUlS18_E_NS1_11comp_targetILNS1_3genE0ELNS1_11target_archE4294967295ELNS1_3gpuE0ELNS1_3repE0EEENS1_30default_config_static_selectorELNS0_4arch9wavefront6targetE0EEEvT1_,"axG",@progbits,_ZN7rocprim17ROCPRIM_400000_NS6detail17trampoline_kernelINS0_14default_configENS1_25partition_config_selectorILNS1_17partition_subalgoE9EyjbEEZZNS1_14partition_implILS5_9ELb0ES3_jN6thrust23THRUST_200600_302600_NS6detail15normal_iteratorINS9_10device_ptrIyEEEENSB_INSC_IjEEEEPNS0_10empty_typeENS0_5tupleIJNS9_16discard_iteratorINS9_11use_defaultEEESH_EEENSJ_IJSM_SI_EEENS0_18inequality_wrapperINS9_8equal_toIyEEEEPmJSH_EEE10hipError_tPvRmT3_T4_T5_T6_T7_T9_mT8_P12ihipStream_tbDpT10_ENKUlT_T0_E_clISt17integral_constantIbLb1EES1C_IbLb0EEEEDaS18_S19_EUlS18_E_NS1_11comp_targetILNS1_3genE0ELNS1_11target_archE4294967295ELNS1_3gpuE0ELNS1_3repE0EEENS1_30default_config_static_selectorELNS0_4arch9wavefront6targetE0EEEvT1_,comdat
.Lfunc_end709:
	.size	_ZN7rocprim17ROCPRIM_400000_NS6detail17trampoline_kernelINS0_14default_configENS1_25partition_config_selectorILNS1_17partition_subalgoE9EyjbEEZZNS1_14partition_implILS5_9ELb0ES3_jN6thrust23THRUST_200600_302600_NS6detail15normal_iteratorINS9_10device_ptrIyEEEENSB_INSC_IjEEEEPNS0_10empty_typeENS0_5tupleIJNS9_16discard_iteratorINS9_11use_defaultEEESH_EEENSJ_IJSM_SI_EEENS0_18inequality_wrapperINS9_8equal_toIyEEEEPmJSH_EEE10hipError_tPvRmT3_T4_T5_T6_T7_T9_mT8_P12ihipStream_tbDpT10_ENKUlT_T0_E_clISt17integral_constantIbLb1EES1C_IbLb0EEEEDaS18_S19_EUlS18_E_NS1_11comp_targetILNS1_3genE0ELNS1_11target_archE4294967295ELNS1_3gpuE0ELNS1_3repE0EEENS1_30default_config_static_selectorELNS0_4arch9wavefront6targetE0EEEvT1_, .Lfunc_end709-_ZN7rocprim17ROCPRIM_400000_NS6detail17trampoline_kernelINS0_14default_configENS1_25partition_config_selectorILNS1_17partition_subalgoE9EyjbEEZZNS1_14partition_implILS5_9ELb0ES3_jN6thrust23THRUST_200600_302600_NS6detail15normal_iteratorINS9_10device_ptrIyEEEENSB_INSC_IjEEEEPNS0_10empty_typeENS0_5tupleIJNS9_16discard_iteratorINS9_11use_defaultEEESH_EEENSJ_IJSM_SI_EEENS0_18inequality_wrapperINS9_8equal_toIyEEEEPmJSH_EEE10hipError_tPvRmT3_T4_T5_T6_T7_T9_mT8_P12ihipStream_tbDpT10_ENKUlT_T0_E_clISt17integral_constantIbLb1EES1C_IbLb0EEEEDaS18_S19_EUlS18_E_NS1_11comp_targetILNS1_3genE0ELNS1_11target_archE4294967295ELNS1_3gpuE0ELNS1_3repE0EEENS1_30default_config_static_selectorELNS0_4arch9wavefront6targetE0EEEvT1_
                                        ; -- End function
	.section	.AMDGPU.csdata,"",@progbits
; Kernel info:
; codeLenInByte = 0
; NumSgprs: 0
; NumVgprs: 0
; ScratchSize: 0
; MemoryBound: 0
; FloatMode: 240
; IeeeMode: 1
; LDSByteSize: 0 bytes/workgroup (compile time only)
; SGPRBlocks: 0
; VGPRBlocks: 0
; NumSGPRsForWavesPerEU: 1
; NumVGPRsForWavesPerEU: 1
; Occupancy: 16
; WaveLimiterHint : 0
; COMPUTE_PGM_RSRC2:SCRATCH_EN: 0
; COMPUTE_PGM_RSRC2:USER_SGPR: 15
; COMPUTE_PGM_RSRC2:TRAP_HANDLER: 0
; COMPUTE_PGM_RSRC2:TGID_X_EN: 1
; COMPUTE_PGM_RSRC2:TGID_Y_EN: 0
; COMPUTE_PGM_RSRC2:TGID_Z_EN: 0
; COMPUTE_PGM_RSRC2:TIDIG_COMP_CNT: 0
	.section	.text._ZN7rocprim17ROCPRIM_400000_NS6detail17trampoline_kernelINS0_14default_configENS1_25partition_config_selectorILNS1_17partition_subalgoE9EyjbEEZZNS1_14partition_implILS5_9ELb0ES3_jN6thrust23THRUST_200600_302600_NS6detail15normal_iteratorINS9_10device_ptrIyEEEENSB_INSC_IjEEEEPNS0_10empty_typeENS0_5tupleIJNS9_16discard_iteratorINS9_11use_defaultEEESH_EEENSJ_IJSM_SI_EEENS0_18inequality_wrapperINS9_8equal_toIyEEEEPmJSH_EEE10hipError_tPvRmT3_T4_T5_T6_T7_T9_mT8_P12ihipStream_tbDpT10_ENKUlT_T0_E_clISt17integral_constantIbLb1EES1C_IbLb0EEEEDaS18_S19_EUlS18_E_NS1_11comp_targetILNS1_3genE5ELNS1_11target_archE942ELNS1_3gpuE9ELNS1_3repE0EEENS1_30default_config_static_selectorELNS0_4arch9wavefront6targetE0EEEvT1_,"axG",@progbits,_ZN7rocprim17ROCPRIM_400000_NS6detail17trampoline_kernelINS0_14default_configENS1_25partition_config_selectorILNS1_17partition_subalgoE9EyjbEEZZNS1_14partition_implILS5_9ELb0ES3_jN6thrust23THRUST_200600_302600_NS6detail15normal_iteratorINS9_10device_ptrIyEEEENSB_INSC_IjEEEEPNS0_10empty_typeENS0_5tupleIJNS9_16discard_iteratorINS9_11use_defaultEEESH_EEENSJ_IJSM_SI_EEENS0_18inequality_wrapperINS9_8equal_toIyEEEEPmJSH_EEE10hipError_tPvRmT3_T4_T5_T6_T7_T9_mT8_P12ihipStream_tbDpT10_ENKUlT_T0_E_clISt17integral_constantIbLb1EES1C_IbLb0EEEEDaS18_S19_EUlS18_E_NS1_11comp_targetILNS1_3genE5ELNS1_11target_archE942ELNS1_3gpuE9ELNS1_3repE0EEENS1_30default_config_static_selectorELNS0_4arch9wavefront6targetE0EEEvT1_,comdat
	.protected	_ZN7rocprim17ROCPRIM_400000_NS6detail17trampoline_kernelINS0_14default_configENS1_25partition_config_selectorILNS1_17partition_subalgoE9EyjbEEZZNS1_14partition_implILS5_9ELb0ES3_jN6thrust23THRUST_200600_302600_NS6detail15normal_iteratorINS9_10device_ptrIyEEEENSB_INSC_IjEEEEPNS0_10empty_typeENS0_5tupleIJNS9_16discard_iteratorINS9_11use_defaultEEESH_EEENSJ_IJSM_SI_EEENS0_18inequality_wrapperINS9_8equal_toIyEEEEPmJSH_EEE10hipError_tPvRmT3_T4_T5_T6_T7_T9_mT8_P12ihipStream_tbDpT10_ENKUlT_T0_E_clISt17integral_constantIbLb1EES1C_IbLb0EEEEDaS18_S19_EUlS18_E_NS1_11comp_targetILNS1_3genE5ELNS1_11target_archE942ELNS1_3gpuE9ELNS1_3repE0EEENS1_30default_config_static_selectorELNS0_4arch9wavefront6targetE0EEEvT1_ ; -- Begin function _ZN7rocprim17ROCPRIM_400000_NS6detail17trampoline_kernelINS0_14default_configENS1_25partition_config_selectorILNS1_17partition_subalgoE9EyjbEEZZNS1_14partition_implILS5_9ELb0ES3_jN6thrust23THRUST_200600_302600_NS6detail15normal_iteratorINS9_10device_ptrIyEEEENSB_INSC_IjEEEEPNS0_10empty_typeENS0_5tupleIJNS9_16discard_iteratorINS9_11use_defaultEEESH_EEENSJ_IJSM_SI_EEENS0_18inequality_wrapperINS9_8equal_toIyEEEEPmJSH_EEE10hipError_tPvRmT3_T4_T5_T6_T7_T9_mT8_P12ihipStream_tbDpT10_ENKUlT_T0_E_clISt17integral_constantIbLb1EES1C_IbLb0EEEEDaS18_S19_EUlS18_E_NS1_11comp_targetILNS1_3genE5ELNS1_11target_archE942ELNS1_3gpuE9ELNS1_3repE0EEENS1_30default_config_static_selectorELNS0_4arch9wavefront6targetE0EEEvT1_
	.globl	_ZN7rocprim17ROCPRIM_400000_NS6detail17trampoline_kernelINS0_14default_configENS1_25partition_config_selectorILNS1_17partition_subalgoE9EyjbEEZZNS1_14partition_implILS5_9ELb0ES3_jN6thrust23THRUST_200600_302600_NS6detail15normal_iteratorINS9_10device_ptrIyEEEENSB_INSC_IjEEEEPNS0_10empty_typeENS0_5tupleIJNS9_16discard_iteratorINS9_11use_defaultEEESH_EEENSJ_IJSM_SI_EEENS0_18inequality_wrapperINS9_8equal_toIyEEEEPmJSH_EEE10hipError_tPvRmT3_T4_T5_T6_T7_T9_mT8_P12ihipStream_tbDpT10_ENKUlT_T0_E_clISt17integral_constantIbLb1EES1C_IbLb0EEEEDaS18_S19_EUlS18_E_NS1_11comp_targetILNS1_3genE5ELNS1_11target_archE942ELNS1_3gpuE9ELNS1_3repE0EEENS1_30default_config_static_selectorELNS0_4arch9wavefront6targetE0EEEvT1_
	.p2align	8
	.type	_ZN7rocprim17ROCPRIM_400000_NS6detail17trampoline_kernelINS0_14default_configENS1_25partition_config_selectorILNS1_17partition_subalgoE9EyjbEEZZNS1_14partition_implILS5_9ELb0ES3_jN6thrust23THRUST_200600_302600_NS6detail15normal_iteratorINS9_10device_ptrIyEEEENSB_INSC_IjEEEEPNS0_10empty_typeENS0_5tupleIJNS9_16discard_iteratorINS9_11use_defaultEEESH_EEENSJ_IJSM_SI_EEENS0_18inequality_wrapperINS9_8equal_toIyEEEEPmJSH_EEE10hipError_tPvRmT3_T4_T5_T6_T7_T9_mT8_P12ihipStream_tbDpT10_ENKUlT_T0_E_clISt17integral_constantIbLb1EES1C_IbLb0EEEEDaS18_S19_EUlS18_E_NS1_11comp_targetILNS1_3genE5ELNS1_11target_archE942ELNS1_3gpuE9ELNS1_3repE0EEENS1_30default_config_static_selectorELNS0_4arch9wavefront6targetE0EEEvT1_,@function
_ZN7rocprim17ROCPRIM_400000_NS6detail17trampoline_kernelINS0_14default_configENS1_25partition_config_selectorILNS1_17partition_subalgoE9EyjbEEZZNS1_14partition_implILS5_9ELb0ES3_jN6thrust23THRUST_200600_302600_NS6detail15normal_iteratorINS9_10device_ptrIyEEEENSB_INSC_IjEEEEPNS0_10empty_typeENS0_5tupleIJNS9_16discard_iteratorINS9_11use_defaultEEESH_EEENSJ_IJSM_SI_EEENS0_18inequality_wrapperINS9_8equal_toIyEEEEPmJSH_EEE10hipError_tPvRmT3_T4_T5_T6_T7_T9_mT8_P12ihipStream_tbDpT10_ENKUlT_T0_E_clISt17integral_constantIbLb1EES1C_IbLb0EEEEDaS18_S19_EUlS18_E_NS1_11comp_targetILNS1_3genE5ELNS1_11target_archE942ELNS1_3gpuE9ELNS1_3repE0EEENS1_30default_config_static_selectorELNS0_4arch9wavefront6targetE0EEEvT1_: ; @_ZN7rocprim17ROCPRIM_400000_NS6detail17trampoline_kernelINS0_14default_configENS1_25partition_config_selectorILNS1_17partition_subalgoE9EyjbEEZZNS1_14partition_implILS5_9ELb0ES3_jN6thrust23THRUST_200600_302600_NS6detail15normal_iteratorINS9_10device_ptrIyEEEENSB_INSC_IjEEEEPNS0_10empty_typeENS0_5tupleIJNS9_16discard_iteratorINS9_11use_defaultEEESH_EEENSJ_IJSM_SI_EEENS0_18inequality_wrapperINS9_8equal_toIyEEEEPmJSH_EEE10hipError_tPvRmT3_T4_T5_T6_T7_T9_mT8_P12ihipStream_tbDpT10_ENKUlT_T0_E_clISt17integral_constantIbLb1EES1C_IbLb0EEEEDaS18_S19_EUlS18_E_NS1_11comp_targetILNS1_3genE5ELNS1_11target_archE942ELNS1_3gpuE9ELNS1_3repE0EEENS1_30default_config_static_selectorELNS0_4arch9wavefront6targetE0EEEvT1_
; %bb.0:
	.section	.rodata,"a",@progbits
	.p2align	6, 0x0
	.amdhsa_kernel _ZN7rocprim17ROCPRIM_400000_NS6detail17trampoline_kernelINS0_14default_configENS1_25partition_config_selectorILNS1_17partition_subalgoE9EyjbEEZZNS1_14partition_implILS5_9ELb0ES3_jN6thrust23THRUST_200600_302600_NS6detail15normal_iteratorINS9_10device_ptrIyEEEENSB_INSC_IjEEEEPNS0_10empty_typeENS0_5tupleIJNS9_16discard_iteratorINS9_11use_defaultEEESH_EEENSJ_IJSM_SI_EEENS0_18inequality_wrapperINS9_8equal_toIyEEEEPmJSH_EEE10hipError_tPvRmT3_T4_T5_T6_T7_T9_mT8_P12ihipStream_tbDpT10_ENKUlT_T0_E_clISt17integral_constantIbLb1EES1C_IbLb0EEEEDaS18_S19_EUlS18_E_NS1_11comp_targetILNS1_3genE5ELNS1_11target_archE942ELNS1_3gpuE9ELNS1_3repE0EEENS1_30default_config_static_selectorELNS0_4arch9wavefront6targetE0EEEvT1_
		.amdhsa_group_segment_fixed_size 0
		.amdhsa_private_segment_fixed_size 0
		.amdhsa_kernarg_size 128
		.amdhsa_user_sgpr_count 15
		.amdhsa_user_sgpr_dispatch_ptr 0
		.amdhsa_user_sgpr_queue_ptr 0
		.amdhsa_user_sgpr_kernarg_segment_ptr 1
		.amdhsa_user_sgpr_dispatch_id 0
		.amdhsa_user_sgpr_private_segment_size 0
		.amdhsa_wavefront_size32 1
		.amdhsa_uses_dynamic_stack 0
		.amdhsa_enable_private_segment 0
		.amdhsa_system_sgpr_workgroup_id_x 1
		.amdhsa_system_sgpr_workgroup_id_y 0
		.amdhsa_system_sgpr_workgroup_id_z 0
		.amdhsa_system_sgpr_workgroup_info 0
		.amdhsa_system_vgpr_workitem_id 0
		.amdhsa_next_free_vgpr 1
		.amdhsa_next_free_sgpr 1
		.amdhsa_reserve_vcc 0
		.amdhsa_float_round_mode_32 0
		.amdhsa_float_round_mode_16_64 0
		.amdhsa_float_denorm_mode_32 3
		.amdhsa_float_denorm_mode_16_64 3
		.amdhsa_dx10_clamp 1
		.amdhsa_ieee_mode 1
		.amdhsa_fp16_overflow 0
		.amdhsa_workgroup_processor_mode 1
		.amdhsa_memory_ordered 1
		.amdhsa_forward_progress 0
		.amdhsa_shared_vgpr_count 0
		.amdhsa_exception_fp_ieee_invalid_op 0
		.amdhsa_exception_fp_denorm_src 0
		.amdhsa_exception_fp_ieee_div_zero 0
		.amdhsa_exception_fp_ieee_overflow 0
		.amdhsa_exception_fp_ieee_underflow 0
		.amdhsa_exception_fp_ieee_inexact 0
		.amdhsa_exception_int_div_zero 0
	.end_amdhsa_kernel
	.section	.text._ZN7rocprim17ROCPRIM_400000_NS6detail17trampoline_kernelINS0_14default_configENS1_25partition_config_selectorILNS1_17partition_subalgoE9EyjbEEZZNS1_14partition_implILS5_9ELb0ES3_jN6thrust23THRUST_200600_302600_NS6detail15normal_iteratorINS9_10device_ptrIyEEEENSB_INSC_IjEEEEPNS0_10empty_typeENS0_5tupleIJNS9_16discard_iteratorINS9_11use_defaultEEESH_EEENSJ_IJSM_SI_EEENS0_18inequality_wrapperINS9_8equal_toIyEEEEPmJSH_EEE10hipError_tPvRmT3_T4_T5_T6_T7_T9_mT8_P12ihipStream_tbDpT10_ENKUlT_T0_E_clISt17integral_constantIbLb1EES1C_IbLb0EEEEDaS18_S19_EUlS18_E_NS1_11comp_targetILNS1_3genE5ELNS1_11target_archE942ELNS1_3gpuE9ELNS1_3repE0EEENS1_30default_config_static_selectorELNS0_4arch9wavefront6targetE0EEEvT1_,"axG",@progbits,_ZN7rocprim17ROCPRIM_400000_NS6detail17trampoline_kernelINS0_14default_configENS1_25partition_config_selectorILNS1_17partition_subalgoE9EyjbEEZZNS1_14partition_implILS5_9ELb0ES3_jN6thrust23THRUST_200600_302600_NS6detail15normal_iteratorINS9_10device_ptrIyEEEENSB_INSC_IjEEEEPNS0_10empty_typeENS0_5tupleIJNS9_16discard_iteratorINS9_11use_defaultEEESH_EEENSJ_IJSM_SI_EEENS0_18inequality_wrapperINS9_8equal_toIyEEEEPmJSH_EEE10hipError_tPvRmT3_T4_T5_T6_T7_T9_mT8_P12ihipStream_tbDpT10_ENKUlT_T0_E_clISt17integral_constantIbLb1EES1C_IbLb0EEEEDaS18_S19_EUlS18_E_NS1_11comp_targetILNS1_3genE5ELNS1_11target_archE942ELNS1_3gpuE9ELNS1_3repE0EEENS1_30default_config_static_selectorELNS0_4arch9wavefront6targetE0EEEvT1_,comdat
.Lfunc_end710:
	.size	_ZN7rocprim17ROCPRIM_400000_NS6detail17trampoline_kernelINS0_14default_configENS1_25partition_config_selectorILNS1_17partition_subalgoE9EyjbEEZZNS1_14partition_implILS5_9ELb0ES3_jN6thrust23THRUST_200600_302600_NS6detail15normal_iteratorINS9_10device_ptrIyEEEENSB_INSC_IjEEEEPNS0_10empty_typeENS0_5tupleIJNS9_16discard_iteratorINS9_11use_defaultEEESH_EEENSJ_IJSM_SI_EEENS0_18inequality_wrapperINS9_8equal_toIyEEEEPmJSH_EEE10hipError_tPvRmT3_T4_T5_T6_T7_T9_mT8_P12ihipStream_tbDpT10_ENKUlT_T0_E_clISt17integral_constantIbLb1EES1C_IbLb0EEEEDaS18_S19_EUlS18_E_NS1_11comp_targetILNS1_3genE5ELNS1_11target_archE942ELNS1_3gpuE9ELNS1_3repE0EEENS1_30default_config_static_selectorELNS0_4arch9wavefront6targetE0EEEvT1_, .Lfunc_end710-_ZN7rocprim17ROCPRIM_400000_NS6detail17trampoline_kernelINS0_14default_configENS1_25partition_config_selectorILNS1_17partition_subalgoE9EyjbEEZZNS1_14partition_implILS5_9ELb0ES3_jN6thrust23THRUST_200600_302600_NS6detail15normal_iteratorINS9_10device_ptrIyEEEENSB_INSC_IjEEEEPNS0_10empty_typeENS0_5tupleIJNS9_16discard_iteratorINS9_11use_defaultEEESH_EEENSJ_IJSM_SI_EEENS0_18inequality_wrapperINS9_8equal_toIyEEEEPmJSH_EEE10hipError_tPvRmT3_T4_T5_T6_T7_T9_mT8_P12ihipStream_tbDpT10_ENKUlT_T0_E_clISt17integral_constantIbLb1EES1C_IbLb0EEEEDaS18_S19_EUlS18_E_NS1_11comp_targetILNS1_3genE5ELNS1_11target_archE942ELNS1_3gpuE9ELNS1_3repE0EEENS1_30default_config_static_selectorELNS0_4arch9wavefront6targetE0EEEvT1_
                                        ; -- End function
	.section	.AMDGPU.csdata,"",@progbits
; Kernel info:
; codeLenInByte = 0
; NumSgprs: 0
; NumVgprs: 0
; ScratchSize: 0
; MemoryBound: 0
; FloatMode: 240
; IeeeMode: 1
; LDSByteSize: 0 bytes/workgroup (compile time only)
; SGPRBlocks: 0
; VGPRBlocks: 0
; NumSGPRsForWavesPerEU: 1
; NumVGPRsForWavesPerEU: 1
; Occupancy: 16
; WaveLimiterHint : 0
; COMPUTE_PGM_RSRC2:SCRATCH_EN: 0
; COMPUTE_PGM_RSRC2:USER_SGPR: 15
; COMPUTE_PGM_RSRC2:TRAP_HANDLER: 0
; COMPUTE_PGM_RSRC2:TGID_X_EN: 1
; COMPUTE_PGM_RSRC2:TGID_Y_EN: 0
; COMPUTE_PGM_RSRC2:TGID_Z_EN: 0
; COMPUTE_PGM_RSRC2:TIDIG_COMP_CNT: 0
	.section	.text._ZN7rocprim17ROCPRIM_400000_NS6detail17trampoline_kernelINS0_14default_configENS1_25partition_config_selectorILNS1_17partition_subalgoE9EyjbEEZZNS1_14partition_implILS5_9ELb0ES3_jN6thrust23THRUST_200600_302600_NS6detail15normal_iteratorINS9_10device_ptrIyEEEENSB_INSC_IjEEEEPNS0_10empty_typeENS0_5tupleIJNS9_16discard_iteratorINS9_11use_defaultEEESH_EEENSJ_IJSM_SI_EEENS0_18inequality_wrapperINS9_8equal_toIyEEEEPmJSH_EEE10hipError_tPvRmT3_T4_T5_T6_T7_T9_mT8_P12ihipStream_tbDpT10_ENKUlT_T0_E_clISt17integral_constantIbLb1EES1C_IbLb0EEEEDaS18_S19_EUlS18_E_NS1_11comp_targetILNS1_3genE4ELNS1_11target_archE910ELNS1_3gpuE8ELNS1_3repE0EEENS1_30default_config_static_selectorELNS0_4arch9wavefront6targetE0EEEvT1_,"axG",@progbits,_ZN7rocprim17ROCPRIM_400000_NS6detail17trampoline_kernelINS0_14default_configENS1_25partition_config_selectorILNS1_17partition_subalgoE9EyjbEEZZNS1_14partition_implILS5_9ELb0ES3_jN6thrust23THRUST_200600_302600_NS6detail15normal_iteratorINS9_10device_ptrIyEEEENSB_INSC_IjEEEEPNS0_10empty_typeENS0_5tupleIJNS9_16discard_iteratorINS9_11use_defaultEEESH_EEENSJ_IJSM_SI_EEENS0_18inequality_wrapperINS9_8equal_toIyEEEEPmJSH_EEE10hipError_tPvRmT3_T4_T5_T6_T7_T9_mT8_P12ihipStream_tbDpT10_ENKUlT_T0_E_clISt17integral_constantIbLb1EES1C_IbLb0EEEEDaS18_S19_EUlS18_E_NS1_11comp_targetILNS1_3genE4ELNS1_11target_archE910ELNS1_3gpuE8ELNS1_3repE0EEENS1_30default_config_static_selectorELNS0_4arch9wavefront6targetE0EEEvT1_,comdat
	.protected	_ZN7rocprim17ROCPRIM_400000_NS6detail17trampoline_kernelINS0_14default_configENS1_25partition_config_selectorILNS1_17partition_subalgoE9EyjbEEZZNS1_14partition_implILS5_9ELb0ES3_jN6thrust23THRUST_200600_302600_NS6detail15normal_iteratorINS9_10device_ptrIyEEEENSB_INSC_IjEEEEPNS0_10empty_typeENS0_5tupleIJNS9_16discard_iteratorINS9_11use_defaultEEESH_EEENSJ_IJSM_SI_EEENS0_18inequality_wrapperINS9_8equal_toIyEEEEPmJSH_EEE10hipError_tPvRmT3_T4_T5_T6_T7_T9_mT8_P12ihipStream_tbDpT10_ENKUlT_T0_E_clISt17integral_constantIbLb1EES1C_IbLb0EEEEDaS18_S19_EUlS18_E_NS1_11comp_targetILNS1_3genE4ELNS1_11target_archE910ELNS1_3gpuE8ELNS1_3repE0EEENS1_30default_config_static_selectorELNS0_4arch9wavefront6targetE0EEEvT1_ ; -- Begin function _ZN7rocprim17ROCPRIM_400000_NS6detail17trampoline_kernelINS0_14default_configENS1_25partition_config_selectorILNS1_17partition_subalgoE9EyjbEEZZNS1_14partition_implILS5_9ELb0ES3_jN6thrust23THRUST_200600_302600_NS6detail15normal_iteratorINS9_10device_ptrIyEEEENSB_INSC_IjEEEEPNS0_10empty_typeENS0_5tupleIJNS9_16discard_iteratorINS9_11use_defaultEEESH_EEENSJ_IJSM_SI_EEENS0_18inequality_wrapperINS9_8equal_toIyEEEEPmJSH_EEE10hipError_tPvRmT3_T4_T5_T6_T7_T9_mT8_P12ihipStream_tbDpT10_ENKUlT_T0_E_clISt17integral_constantIbLb1EES1C_IbLb0EEEEDaS18_S19_EUlS18_E_NS1_11comp_targetILNS1_3genE4ELNS1_11target_archE910ELNS1_3gpuE8ELNS1_3repE0EEENS1_30default_config_static_selectorELNS0_4arch9wavefront6targetE0EEEvT1_
	.globl	_ZN7rocprim17ROCPRIM_400000_NS6detail17trampoline_kernelINS0_14default_configENS1_25partition_config_selectorILNS1_17partition_subalgoE9EyjbEEZZNS1_14partition_implILS5_9ELb0ES3_jN6thrust23THRUST_200600_302600_NS6detail15normal_iteratorINS9_10device_ptrIyEEEENSB_INSC_IjEEEEPNS0_10empty_typeENS0_5tupleIJNS9_16discard_iteratorINS9_11use_defaultEEESH_EEENSJ_IJSM_SI_EEENS0_18inequality_wrapperINS9_8equal_toIyEEEEPmJSH_EEE10hipError_tPvRmT3_T4_T5_T6_T7_T9_mT8_P12ihipStream_tbDpT10_ENKUlT_T0_E_clISt17integral_constantIbLb1EES1C_IbLb0EEEEDaS18_S19_EUlS18_E_NS1_11comp_targetILNS1_3genE4ELNS1_11target_archE910ELNS1_3gpuE8ELNS1_3repE0EEENS1_30default_config_static_selectorELNS0_4arch9wavefront6targetE0EEEvT1_
	.p2align	8
	.type	_ZN7rocprim17ROCPRIM_400000_NS6detail17trampoline_kernelINS0_14default_configENS1_25partition_config_selectorILNS1_17partition_subalgoE9EyjbEEZZNS1_14partition_implILS5_9ELb0ES3_jN6thrust23THRUST_200600_302600_NS6detail15normal_iteratorINS9_10device_ptrIyEEEENSB_INSC_IjEEEEPNS0_10empty_typeENS0_5tupleIJNS9_16discard_iteratorINS9_11use_defaultEEESH_EEENSJ_IJSM_SI_EEENS0_18inequality_wrapperINS9_8equal_toIyEEEEPmJSH_EEE10hipError_tPvRmT3_T4_T5_T6_T7_T9_mT8_P12ihipStream_tbDpT10_ENKUlT_T0_E_clISt17integral_constantIbLb1EES1C_IbLb0EEEEDaS18_S19_EUlS18_E_NS1_11comp_targetILNS1_3genE4ELNS1_11target_archE910ELNS1_3gpuE8ELNS1_3repE0EEENS1_30default_config_static_selectorELNS0_4arch9wavefront6targetE0EEEvT1_,@function
_ZN7rocprim17ROCPRIM_400000_NS6detail17trampoline_kernelINS0_14default_configENS1_25partition_config_selectorILNS1_17partition_subalgoE9EyjbEEZZNS1_14partition_implILS5_9ELb0ES3_jN6thrust23THRUST_200600_302600_NS6detail15normal_iteratorINS9_10device_ptrIyEEEENSB_INSC_IjEEEEPNS0_10empty_typeENS0_5tupleIJNS9_16discard_iteratorINS9_11use_defaultEEESH_EEENSJ_IJSM_SI_EEENS0_18inequality_wrapperINS9_8equal_toIyEEEEPmJSH_EEE10hipError_tPvRmT3_T4_T5_T6_T7_T9_mT8_P12ihipStream_tbDpT10_ENKUlT_T0_E_clISt17integral_constantIbLb1EES1C_IbLb0EEEEDaS18_S19_EUlS18_E_NS1_11comp_targetILNS1_3genE4ELNS1_11target_archE910ELNS1_3gpuE8ELNS1_3repE0EEENS1_30default_config_static_selectorELNS0_4arch9wavefront6targetE0EEEvT1_: ; @_ZN7rocprim17ROCPRIM_400000_NS6detail17trampoline_kernelINS0_14default_configENS1_25partition_config_selectorILNS1_17partition_subalgoE9EyjbEEZZNS1_14partition_implILS5_9ELb0ES3_jN6thrust23THRUST_200600_302600_NS6detail15normal_iteratorINS9_10device_ptrIyEEEENSB_INSC_IjEEEEPNS0_10empty_typeENS0_5tupleIJNS9_16discard_iteratorINS9_11use_defaultEEESH_EEENSJ_IJSM_SI_EEENS0_18inequality_wrapperINS9_8equal_toIyEEEEPmJSH_EEE10hipError_tPvRmT3_T4_T5_T6_T7_T9_mT8_P12ihipStream_tbDpT10_ENKUlT_T0_E_clISt17integral_constantIbLb1EES1C_IbLb0EEEEDaS18_S19_EUlS18_E_NS1_11comp_targetILNS1_3genE4ELNS1_11target_archE910ELNS1_3gpuE8ELNS1_3repE0EEENS1_30default_config_static_selectorELNS0_4arch9wavefront6targetE0EEEvT1_
; %bb.0:
	.section	.rodata,"a",@progbits
	.p2align	6, 0x0
	.amdhsa_kernel _ZN7rocprim17ROCPRIM_400000_NS6detail17trampoline_kernelINS0_14default_configENS1_25partition_config_selectorILNS1_17partition_subalgoE9EyjbEEZZNS1_14partition_implILS5_9ELb0ES3_jN6thrust23THRUST_200600_302600_NS6detail15normal_iteratorINS9_10device_ptrIyEEEENSB_INSC_IjEEEEPNS0_10empty_typeENS0_5tupleIJNS9_16discard_iteratorINS9_11use_defaultEEESH_EEENSJ_IJSM_SI_EEENS0_18inequality_wrapperINS9_8equal_toIyEEEEPmJSH_EEE10hipError_tPvRmT3_T4_T5_T6_T7_T9_mT8_P12ihipStream_tbDpT10_ENKUlT_T0_E_clISt17integral_constantIbLb1EES1C_IbLb0EEEEDaS18_S19_EUlS18_E_NS1_11comp_targetILNS1_3genE4ELNS1_11target_archE910ELNS1_3gpuE8ELNS1_3repE0EEENS1_30default_config_static_selectorELNS0_4arch9wavefront6targetE0EEEvT1_
		.amdhsa_group_segment_fixed_size 0
		.amdhsa_private_segment_fixed_size 0
		.amdhsa_kernarg_size 128
		.amdhsa_user_sgpr_count 15
		.amdhsa_user_sgpr_dispatch_ptr 0
		.amdhsa_user_sgpr_queue_ptr 0
		.amdhsa_user_sgpr_kernarg_segment_ptr 1
		.amdhsa_user_sgpr_dispatch_id 0
		.amdhsa_user_sgpr_private_segment_size 0
		.amdhsa_wavefront_size32 1
		.amdhsa_uses_dynamic_stack 0
		.amdhsa_enable_private_segment 0
		.amdhsa_system_sgpr_workgroup_id_x 1
		.amdhsa_system_sgpr_workgroup_id_y 0
		.amdhsa_system_sgpr_workgroup_id_z 0
		.amdhsa_system_sgpr_workgroup_info 0
		.amdhsa_system_vgpr_workitem_id 0
		.amdhsa_next_free_vgpr 1
		.amdhsa_next_free_sgpr 1
		.amdhsa_reserve_vcc 0
		.amdhsa_float_round_mode_32 0
		.amdhsa_float_round_mode_16_64 0
		.amdhsa_float_denorm_mode_32 3
		.amdhsa_float_denorm_mode_16_64 3
		.amdhsa_dx10_clamp 1
		.amdhsa_ieee_mode 1
		.amdhsa_fp16_overflow 0
		.amdhsa_workgroup_processor_mode 1
		.amdhsa_memory_ordered 1
		.amdhsa_forward_progress 0
		.amdhsa_shared_vgpr_count 0
		.amdhsa_exception_fp_ieee_invalid_op 0
		.amdhsa_exception_fp_denorm_src 0
		.amdhsa_exception_fp_ieee_div_zero 0
		.amdhsa_exception_fp_ieee_overflow 0
		.amdhsa_exception_fp_ieee_underflow 0
		.amdhsa_exception_fp_ieee_inexact 0
		.amdhsa_exception_int_div_zero 0
	.end_amdhsa_kernel
	.section	.text._ZN7rocprim17ROCPRIM_400000_NS6detail17trampoline_kernelINS0_14default_configENS1_25partition_config_selectorILNS1_17partition_subalgoE9EyjbEEZZNS1_14partition_implILS5_9ELb0ES3_jN6thrust23THRUST_200600_302600_NS6detail15normal_iteratorINS9_10device_ptrIyEEEENSB_INSC_IjEEEEPNS0_10empty_typeENS0_5tupleIJNS9_16discard_iteratorINS9_11use_defaultEEESH_EEENSJ_IJSM_SI_EEENS0_18inequality_wrapperINS9_8equal_toIyEEEEPmJSH_EEE10hipError_tPvRmT3_T4_T5_T6_T7_T9_mT8_P12ihipStream_tbDpT10_ENKUlT_T0_E_clISt17integral_constantIbLb1EES1C_IbLb0EEEEDaS18_S19_EUlS18_E_NS1_11comp_targetILNS1_3genE4ELNS1_11target_archE910ELNS1_3gpuE8ELNS1_3repE0EEENS1_30default_config_static_selectorELNS0_4arch9wavefront6targetE0EEEvT1_,"axG",@progbits,_ZN7rocprim17ROCPRIM_400000_NS6detail17trampoline_kernelINS0_14default_configENS1_25partition_config_selectorILNS1_17partition_subalgoE9EyjbEEZZNS1_14partition_implILS5_9ELb0ES3_jN6thrust23THRUST_200600_302600_NS6detail15normal_iteratorINS9_10device_ptrIyEEEENSB_INSC_IjEEEEPNS0_10empty_typeENS0_5tupleIJNS9_16discard_iteratorINS9_11use_defaultEEESH_EEENSJ_IJSM_SI_EEENS0_18inequality_wrapperINS9_8equal_toIyEEEEPmJSH_EEE10hipError_tPvRmT3_T4_T5_T6_T7_T9_mT8_P12ihipStream_tbDpT10_ENKUlT_T0_E_clISt17integral_constantIbLb1EES1C_IbLb0EEEEDaS18_S19_EUlS18_E_NS1_11comp_targetILNS1_3genE4ELNS1_11target_archE910ELNS1_3gpuE8ELNS1_3repE0EEENS1_30default_config_static_selectorELNS0_4arch9wavefront6targetE0EEEvT1_,comdat
.Lfunc_end711:
	.size	_ZN7rocprim17ROCPRIM_400000_NS6detail17trampoline_kernelINS0_14default_configENS1_25partition_config_selectorILNS1_17partition_subalgoE9EyjbEEZZNS1_14partition_implILS5_9ELb0ES3_jN6thrust23THRUST_200600_302600_NS6detail15normal_iteratorINS9_10device_ptrIyEEEENSB_INSC_IjEEEEPNS0_10empty_typeENS0_5tupleIJNS9_16discard_iteratorINS9_11use_defaultEEESH_EEENSJ_IJSM_SI_EEENS0_18inequality_wrapperINS9_8equal_toIyEEEEPmJSH_EEE10hipError_tPvRmT3_T4_T5_T6_T7_T9_mT8_P12ihipStream_tbDpT10_ENKUlT_T0_E_clISt17integral_constantIbLb1EES1C_IbLb0EEEEDaS18_S19_EUlS18_E_NS1_11comp_targetILNS1_3genE4ELNS1_11target_archE910ELNS1_3gpuE8ELNS1_3repE0EEENS1_30default_config_static_selectorELNS0_4arch9wavefront6targetE0EEEvT1_, .Lfunc_end711-_ZN7rocprim17ROCPRIM_400000_NS6detail17trampoline_kernelINS0_14default_configENS1_25partition_config_selectorILNS1_17partition_subalgoE9EyjbEEZZNS1_14partition_implILS5_9ELb0ES3_jN6thrust23THRUST_200600_302600_NS6detail15normal_iteratorINS9_10device_ptrIyEEEENSB_INSC_IjEEEEPNS0_10empty_typeENS0_5tupleIJNS9_16discard_iteratorINS9_11use_defaultEEESH_EEENSJ_IJSM_SI_EEENS0_18inequality_wrapperINS9_8equal_toIyEEEEPmJSH_EEE10hipError_tPvRmT3_T4_T5_T6_T7_T9_mT8_P12ihipStream_tbDpT10_ENKUlT_T0_E_clISt17integral_constantIbLb1EES1C_IbLb0EEEEDaS18_S19_EUlS18_E_NS1_11comp_targetILNS1_3genE4ELNS1_11target_archE910ELNS1_3gpuE8ELNS1_3repE0EEENS1_30default_config_static_selectorELNS0_4arch9wavefront6targetE0EEEvT1_
                                        ; -- End function
	.section	.AMDGPU.csdata,"",@progbits
; Kernel info:
; codeLenInByte = 0
; NumSgprs: 0
; NumVgprs: 0
; ScratchSize: 0
; MemoryBound: 0
; FloatMode: 240
; IeeeMode: 1
; LDSByteSize: 0 bytes/workgroup (compile time only)
; SGPRBlocks: 0
; VGPRBlocks: 0
; NumSGPRsForWavesPerEU: 1
; NumVGPRsForWavesPerEU: 1
; Occupancy: 15
; WaveLimiterHint : 0
; COMPUTE_PGM_RSRC2:SCRATCH_EN: 0
; COMPUTE_PGM_RSRC2:USER_SGPR: 15
; COMPUTE_PGM_RSRC2:TRAP_HANDLER: 0
; COMPUTE_PGM_RSRC2:TGID_X_EN: 1
; COMPUTE_PGM_RSRC2:TGID_Y_EN: 0
; COMPUTE_PGM_RSRC2:TGID_Z_EN: 0
; COMPUTE_PGM_RSRC2:TIDIG_COMP_CNT: 0
	.section	.text._ZN7rocprim17ROCPRIM_400000_NS6detail17trampoline_kernelINS0_14default_configENS1_25partition_config_selectorILNS1_17partition_subalgoE9EyjbEEZZNS1_14partition_implILS5_9ELb0ES3_jN6thrust23THRUST_200600_302600_NS6detail15normal_iteratorINS9_10device_ptrIyEEEENSB_INSC_IjEEEEPNS0_10empty_typeENS0_5tupleIJNS9_16discard_iteratorINS9_11use_defaultEEESH_EEENSJ_IJSM_SI_EEENS0_18inequality_wrapperINS9_8equal_toIyEEEEPmJSH_EEE10hipError_tPvRmT3_T4_T5_T6_T7_T9_mT8_P12ihipStream_tbDpT10_ENKUlT_T0_E_clISt17integral_constantIbLb1EES1C_IbLb0EEEEDaS18_S19_EUlS18_E_NS1_11comp_targetILNS1_3genE3ELNS1_11target_archE908ELNS1_3gpuE7ELNS1_3repE0EEENS1_30default_config_static_selectorELNS0_4arch9wavefront6targetE0EEEvT1_,"axG",@progbits,_ZN7rocprim17ROCPRIM_400000_NS6detail17trampoline_kernelINS0_14default_configENS1_25partition_config_selectorILNS1_17partition_subalgoE9EyjbEEZZNS1_14partition_implILS5_9ELb0ES3_jN6thrust23THRUST_200600_302600_NS6detail15normal_iteratorINS9_10device_ptrIyEEEENSB_INSC_IjEEEEPNS0_10empty_typeENS0_5tupleIJNS9_16discard_iteratorINS9_11use_defaultEEESH_EEENSJ_IJSM_SI_EEENS0_18inequality_wrapperINS9_8equal_toIyEEEEPmJSH_EEE10hipError_tPvRmT3_T4_T5_T6_T7_T9_mT8_P12ihipStream_tbDpT10_ENKUlT_T0_E_clISt17integral_constantIbLb1EES1C_IbLb0EEEEDaS18_S19_EUlS18_E_NS1_11comp_targetILNS1_3genE3ELNS1_11target_archE908ELNS1_3gpuE7ELNS1_3repE0EEENS1_30default_config_static_selectorELNS0_4arch9wavefront6targetE0EEEvT1_,comdat
	.protected	_ZN7rocprim17ROCPRIM_400000_NS6detail17trampoline_kernelINS0_14default_configENS1_25partition_config_selectorILNS1_17partition_subalgoE9EyjbEEZZNS1_14partition_implILS5_9ELb0ES3_jN6thrust23THRUST_200600_302600_NS6detail15normal_iteratorINS9_10device_ptrIyEEEENSB_INSC_IjEEEEPNS0_10empty_typeENS0_5tupleIJNS9_16discard_iteratorINS9_11use_defaultEEESH_EEENSJ_IJSM_SI_EEENS0_18inequality_wrapperINS9_8equal_toIyEEEEPmJSH_EEE10hipError_tPvRmT3_T4_T5_T6_T7_T9_mT8_P12ihipStream_tbDpT10_ENKUlT_T0_E_clISt17integral_constantIbLb1EES1C_IbLb0EEEEDaS18_S19_EUlS18_E_NS1_11comp_targetILNS1_3genE3ELNS1_11target_archE908ELNS1_3gpuE7ELNS1_3repE0EEENS1_30default_config_static_selectorELNS0_4arch9wavefront6targetE0EEEvT1_ ; -- Begin function _ZN7rocprim17ROCPRIM_400000_NS6detail17trampoline_kernelINS0_14default_configENS1_25partition_config_selectorILNS1_17partition_subalgoE9EyjbEEZZNS1_14partition_implILS5_9ELb0ES3_jN6thrust23THRUST_200600_302600_NS6detail15normal_iteratorINS9_10device_ptrIyEEEENSB_INSC_IjEEEEPNS0_10empty_typeENS0_5tupleIJNS9_16discard_iteratorINS9_11use_defaultEEESH_EEENSJ_IJSM_SI_EEENS0_18inequality_wrapperINS9_8equal_toIyEEEEPmJSH_EEE10hipError_tPvRmT3_T4_T5_T6_T7_T9_mT8_P12ihipStream_tbDpT10_ENKUlT_T0_E_clISt17integral_constantIbLb1EES1C_IbLb0EEEEDaS18_S19_EUlS18_E_NS1_11comp_targetILNS1_3genE3ELNS1_11target_archE908ELNS1_3gpuE7ELNS1_3repE0EEENS1_30default_config_static_selectorELNS0_4arch9wavefront6targetE0EEEvT1_
	.globl	_ZN7rocprim17ROCPRIM_400000_NS6detail17trampoline_kernelINS0_14default_configENS1_25partition_config_selectorILNS1_17partition_subalgoE9EyjbEEZZNS1_14partition_implILS5_9ELb0ES3_jN6thrust23THRUST_200600_302600_NS6detail15normal_iteratorINS9_10device_ptrIyEEEENSB_INSC_IjEEEEPNS0_10empty_typeENS0_5tupleIJNS9_16discard_iteratorINS9_11use_defaultEEESH_EEENSJ_IJSM_SI_EEENS0_18inequality_wrapperINS9_8equal_toIyEEEEPmJSH_EEE10hipError_tPvRmT3_T4_T5_T6_T7_T9_mT8_P12ihipStream_tbDpT10_ENKUlT_T0_E_clISt17integral_constantIbLb1EES1C_IbLb0EEEEDaS18_S19_EUlS18_E_NS1_11comp_targetILNS1_3genE3ELNS1_11target_archE908ELNS1_3gpuE7ELNS1_3repE0EEENS1_30default_config_static_selectorELNS0_4arch9wavefront6targetE0EEEvT1_
	.p2align	8
	.type	_ZN7rocprim17ROCPRIM_400000_NS6detail17trampoline_kernelINS0_14default_configENS1_25partition_config_selectorILNS1_17partition_subalgoE9EyjbEEZZNS1_14partition_implILS5_9ELb0ES3_jN6thrust23THRUST_200600_302600_NS6detail15normal_iteratorINS9_10device_ptrIyEEEENSB_INSC_IjEEEEPNS0_10empty_typeENS0_5tupleIJNS9_16discard_iteratorINS9_11use_defaultEEESH_EEENSJ_IJSM_SI_EEENS0_18inequality_wrapperINS9_8equal_toIyEEEEPmJSH_EEE10hipError_tPvRmT3_T4_T5_T6_T7_T9_mT8_P12ihipStream_tbDpT10_ENKUlT_T0_E_clISt17integral_constantIbLb1EES1C_IbLb0EEEEDaS18_S19_EUlS18_E_NS1_11comp_targetILNS1_3genE3ELNS1_11target_archE908ELNS1_3gpuE7ELNS1_3repE0EEENS1_30default_config_static_selectorELNS0_4arch9wavefront6targetE0EEEvT1_,@function
_ZN7rocprim17ROCPRIM_400000_NS6detail17trampoline_kernelINS0_14default_configENS1_25partition_config_selectorILNS1_17partition_subalgoE9EyjbEEZZNS1_14partition_implILS5_9ELb0ES3_jN6thrust23THRUST_200600_302600_NS6detail15normal_iteratorINS9_10device_ptrIyEEEENSB_INSC_IjEEEEPNS0_10empty_typeENS0_5tupleIJNS9_16discard_iteratorINS9_11use_defaultEEESH_EEENSJ_IJSM_SI_EEENS0_18inequality_wrapperINS9_8equal_toIyEEEEPmJSH_EEE10hipError_tPvRmT3_T4_T5_T6_T7_T9_mT8_P12ihipStream_tbDpT10_ENKUlT_T0_E_clISt17integral_constantIbLb1EES1C_IbLb0EEEEDaS18_S19_EUlS18_E_NS1_11comp_targetILNS1_3genE3ELNS1_11target_archE908ELNS1_3gpuE7ELNS1_3repE0EEENS1_30default_config_static_selectorELNS0_4arch9wavefront6targetE0EEEvT1_: ; @_ZN7rocprim17ROCPRIM_400000_NS6detail17trampoline_kernelINS0_14default_configENS1_25partition_config_selectorILNS1_17partition_subalgoE9EyjbEEZZNS1_14partition_implILS5_9ELb0ES3_jN6thrust23THRUST_200600_302600_NS6detail15normal_iteratorINS9_10device_ptrIyEEEENSB_INSC_IjEEEEPNS0_10empty_typeENS0_5tupleIJNS9_16discard_iteratorINS9_11use_defaultEEESH_EEENSJ_IJSM_SI_EEENS0_18inequality_wrapperINS9_8equal_toIyEEEEPmJSH_EEE10hipError_tPvRmT3_T4_T5_T6_T7_T9_mT8_P12ihipStream_tbDpT10_ENKUlT_T0_E_clISt17integral_constantIbLb1EES1C_IbLb0EEEEDaS18_S19_EUlS18_E_NS1_11comp_targetILNS1_3genE3ELNS1_11target_archE908ELNS1_3gpuE7ELNS1_3repE0EEENS1_30default_config_static_selectorELNS0_4arch9wavefront6targetE0EEEvT1_
; %bb.0:
	.section	.rodata,"a",@progbits
	.p2align	6, 0x0
	.amdhsa_kernel _ZN7rocprim17ROCPRIM_400000_NS6detail17trampoline_kernelINS0_14default_configENS1_25partition_config_selectorILNS1_17partition_subalgoE9EyjbEEZZNS1_14partition_implILS5_9ELb0ES3_jN6thrust23THRUST_200600_302600_NS6detail15normal_iteratorINS9_10device_ptrIyEEEENSB_INSC_IjEEEEPNS0_10empty_typeENS0_5tupleIJNS9_16discard_iteratorINS9_11use_defaultEEESH_EEENSJ_IJSM_SI_EEENS0_18inequality_wrapperINS9_8equal_toIyEEEEPmJSH_EEE10hipError_tPvRmT3_T4_T5_T6_T7_T9_mT8_P12ihipStream_tbDpT10_ENKUlT_T0_E_clISt17integral_constantIbLb1EES1C_IbLb0EEEEDaS18_S19_EUlS18_E_NS1_11comp_targetILNS1_3genE3ELNS1_11target_archE908ELNS1_3gpuE7ELNS1_3repE0EEENS1_30default_config_static_selectorELNS0_4arch9wavefront6targetE0EEEvT1_
		.amdhsa_group_segment_fixed_size 0
		.amdhsa_private_segment_fixed_size 0
		.amdhsa_kernarg_size 128
		.amdhsa_user_sgpr_count 15
		.amdhsa_user_sgpr_dispatch_ptr 0
		.amdhsa_user_sgpr_queue_ptr 0
		.amdhsa_user_sgpr_kernarg_segment_ptr 1
		.amdhsa_user_sgpr_dispatch_id 0
		.amdhsa_user_sgpr_private_segment_size 0
		.amdhsa_wavefront_size32 1
		.amdhsa_uses_dynamic_stack 0
		.amdhsa_enable_private_segment 0
		.amdhsa_system_sgpr_workgroup_id_x 1
		.amdhsa_system_sgpr_workgroup_id_y 0
		.amdhsa_system_sgpr_workgroup_id_z 0
		.amdhsa_system_sgpr_workgroup_info 0
		.amdhsa_system_vgpr_workitem_id 0
		.amdhsa_next_free_vgpr 1
		.amdhsa_next_free_sgpr 1
		.amdhsa_reserve_vcc 0
		.amdhsa_float_round_mode_32 0
		.amdhsa_float_round_mode_16_64 0
		.amdhsa_float_denorm_mode_32 3
		.amdhsa_float_denorm_mode_16_64 3
		.amdhsa_dx10_clamp 1
		.amdhsa_ieee_mode 1
		.amdhsa_fp16_overflow 0
		.amdhsa_workgroup_processor_mode 1
		.amdhsa_memory_ordered 1
		.amdhsa_forward_progress 0
		.amdhsa_shared_vgpr_count 0
		.amdhsa_exception_fp_ieee_invalid_op 0
		.amdhsa_exception_fp_denorm_src 0
		.amdhsa_exception_fp_ieee_div_zero 0
		.amdhsa_exception_fp_ieee_overflow 0
		.amdhsa_exception_fp_ieee_underflow 0
		.amdhsa_exception_fp_ieee_inexact 0
		.amdhsa_exception_int_div_zero 0
	.end_amdhsa_kernel
	.section	.text._ZN7rocprim17ROCPRIM_400000_NS6detail17trampoline_kernelINS0_14default_configENS1_25partition_config_selectorILNS1_17partition_subalgoE9EyjbEEZZNS1_14partition_implILS5_9ELb0ES3_jN6thrust23THRUST_200600_302600_NS6detail15normal_iteratorINS9_10device_ptrIyEEEENSB_INSC_IjEEEEPNS0_10empty_typeENS0_5tupleIJNS9_16discard_iteratorINS9_11use_defaultEEESH_EEENSJ_IJSM_SI_EEENS0_18inequality_wrapperINS9_8equal_toIyEEEEPmJSH_EEE10hipError_tPvRmT3_T4_T5_T6_T7_T9_mT8_P12ihipStream_tbDpT10_ENKUlT_T0_E_clISt17integral_constantIbLb1EES1C_IbLb0EEEEDaS18_S19_EUlS18_E_NS1_11comp_targetILNS1_3genE3ELNS1_11target_archE908ELNS1_3gpuE7ELNS1_3repE0EEENS1_30default_config_static_selectorELNS0_4arch9wavefront6targetE0EEEvT1_,"axG",@progbits,_ZN7rocprim17ROCPRIM_400000_NS6detail17trampoline_kernelINS0_14default_configENS1_25partition_config_selectorILNS1_17partition_subalgoE9EyjbEEZZNS1_14partition_implILS5_9ELb0ES3_jN6thrust23THRUST_200600_302600_NS6detail15normal_iteratorINS9_10device_ptrIyEEEENSB_INSC_IjEEEEPNS0_10empty_typeENS0_5tupleIJNS9_16discard_iteratorINS9_11use_defaultEEESH_EEENSJ_IJSM_SI_EEENS0_18inequality_wrapperINS9_8equal_toIyEEEEPmJSH_EEE10hipError_tPvRmT3_T4_T5_T6_T7_T9_mT8_P12ihipStream_tbDpT10_ENKUlT_T0_E_clISt17integral_constantIbLb1EES1C_IbLb0EEEEDaS18_S19_EUlS18_E_NS1_11comp_targetILNS1_3genE3ELNS1_11target_archE908ELNS1_3gpuE7ELNS1_3repE0EEENS1_30default_config_static_selectorELNS0_4arch9wavefront6targetE0EEEvT1_,comdat
.Lfunc_end712:
	.size	_ZN7rocprim17ROCPRIM_400000_NS6detail17trampoline_kernelINS0_14default_configENS1_25partition_config_selectorILNS1_17partition_subalgoE9EyjbEEZZNS1_14partition_implILS5_9ELb0ES3_jN6thrust23THRUST_200600_302600_NS6detail15normal_iteratorINS9_10device_ptrIyEEEENSB_INSC_IjEEEEPNS0_10empty_typeENS0_5tupleIJNS9_16discard_iteratorINS9_11use_defaultEEESH_EEENSJ_IJSM_SI_EEENS0_18inequality_wrapperINS9_8equal_toIyEEEEPmJSH_EEE10hipError_tPvRmT3_T4_T5_T6_T7_T9_mT8_P12ihipStream_tbDpT10_ENKUlT_T0_E_clISt17integral_constantIbLb1EES1C_IbLb0EEEEDaS18_S19_EUlS18_E_NS1_11comp_targetILNS1_3genE3ELNS1_11target_archE908ELNS1_3gpuE7ELNS1_3repE0EEENS1_30default_config_static_selectorELNS0_4arch9wavefront6targetE0EEEvT1_, .Lfunc_end712-_ZN7rocprim17ROCPRIM_400000_NS6detail17trampoline_kernelINS0_14default_configENS1_25partition_config_selectorILNS1_17partition_subalgoE9EyjbEEZZNS1_14partition_implILS5_9ELb0ES3_jN6thrust23THRUST_200600_302600_NS6detail15normal_iteratorINS9_10device_ptrIyEEEENSB_INSC_IjEEEEPNS0_10empty_typeENS0_5tupleIJNS9_16discard_iteratorINS9_11use_defaultEEESH_EEENSJ_IJSM_SI_EEENS0_18inequality_wrapperINS9_8equal_toIyEEEEPmJSH_EEE10hipError_tPvRmT3_T4_T5_T6_T7_T9_mT8_P12ihipStream_tbDpT10_ENKUlT_T0_E_clISt17integral_constantIbLb1EES1C_IbLb0EEEEDaS18_S19_EUlS18_E_NS1_11comp_targetILNS1_3genE3ELNS1_11target_archE908ELNS1_3gpuE7ELNS1_3repE0EEENS1_30default_config_static_selectorELNS0_4arch9wavefront6targetE0EEEvT1_
                                        ; -- End function
	.section	.AMDGPU.csdata,"",@progbits
; Kernel info:
; codeLenInByte = 0
; NumSgprs: 0
; NumVgprs: 0
; ScratchSize: 0
; MemoryBound: 0
; FloatMode: 240
; IeeeMode: 1
; LDSByteSize: 0 bytes/workgroup (compile time only)
; SGPRBlocks: 0
; VGPRBlocks: 0
; NumSGPRsForWavesPerEU: 1
; NumVGPRsForWavesPerEU: 1
; Occupancy: 16
; WaveLimiterHint : 0
; COMPUTE_PGM_RSRC2:SCRATCH_EN: 0
; COMPUTE_PGM_RSRC2:USER_SGPR: 15
; COMPUTE_PGM_RSRC2:TRAP_HANDLER: 0
; COMPUTE_PGM_RSRC2:TGID_X_EN: 1
; COMPUTE_PGM_RSRC2:TGID_Y_EN: 0
; COMPUTE_PGM_RSRC2:TGID_Z_EN: 0
; COMPUTE_PGM_RSRC2:TIDIG_COMP_CNT: 0
	.section	.text._ZN7rocprim17ROCPRIM_400000_NS6detail17trampoline_kernelINS0_14default_configENS1_25partition_config_selectorILNS1_17partition_subalgoE9EyjbEEZZNS1_14partition_implILS5_9ELb0ES3_jN6thrust23THRUST_200600_302600_NS6detail15normal_iteratorINS9_10device_ptrIyEEEENSB_INSC_IjEEEEPNS0_10empty_typeENS0_5tupleIJNS9_16discard_iteratorINS9_11use_defaultEEESH_EEENSJ_IJSM_SI_EEENS0_18inequality_wrapperINS9_8equal_toIyEEEEPmJSH_EEE10hipError_tPvRmT3_T4_T5_T6_T7_T9_mT8_P12ihipStream_tbDpT10_ENKUlT_T0_E_clISt17integral_constantIbLb1EES1C_IbLb0EEEEDaS18_S19_EUlS18_E_NS1_11comp_targetILNS1_3genE2ELNS1_11target_archE906ELNS1_3gpuE6ELNS1_3repE0EEENS1_30default_config_static_selectorELNS0_4arch9wavefront6targetE0EEEvT1_,"axG",@progbits,_ZN7rocprim17ROCPRIM_400000_NS6detail17trampoline_kernelINS0_14default_configENS1_25partition_config_selectorILNS1_17partition_subalgoE9EyjbEEZZNS1_14partition_implILS5_9ELb0ES3_jN6thrust23THRUST_200600_302600_NS6detail15normal_iteratorINS9_10device_ptrIyEEEENSB_INSC_IjEEEEPNS0_10empty_typeENS0_5tupleIJNS9_16discard_iteratorINS9_11use_defaultEEESH_EEENSJ_IJSM_SI_EEENS0_18inequality_wrapperINS9_8equal_toIyEEEEPmJSH_EEE10hipError_tPvRmT3_T4_T5_T6_T7_T9_mT8_P12ihipStream_tbDpT10_ENKUlT_T0_E_clISt17integral_constantIbLb1EES1C_IbLb0EEEEDaS18_S19_EUlS18_E_NS1_11comp_targetILNS1_3genE2ELNS1_11target_archE906ELNS1_3gpuE6ELNS1_3repE0EEENS1_30default_config_static_selectorELNS0_4arch9wavefront6targetE0EEEvT1_,comdat
	.protected	_ZN7rocprim17ROCPRIM_400000_NS6detail17trampoline_kernelINS0_14default_configENS1_25partition_config_selectorILNS1_17partition_subalgoE9EyjbEEZZNS1_14partition_implILS5_9ELb0ES3_jN6thrust23THRUST_200600_302600_NS6detail15normal_iteratorINS9_10device_ptrIyEEEENSB_INSC_IjEEEEPNS0_10empty_typeENS0_5tupleIJNS9_16discard_iteratorINS9_11use_defaultEEESH_EEENSJ_IJSM_SI_EEENS0_18inequality_wrapperINS9_8equal_toIyEEEEPmJSH_EEE10hipError_tPvRmT3_T4_T5_T6_T7_T9_mT8_P12ihipStream_tbDpT10_ENKUlT_T0_E_clISt17integral_constantIbLb1EES1C_IbLb0EEEEDaS18_S19_EUlS18_E_NS1_11comp_targetILNS1_3genE2ELNS1_11target_archE906ELNS1_3gpuE6ELNS1_3repE0EEENS1_30default_config_static_selectorELNS0_4arch9wavefront6targetE0EEEvT1_ ; -- Begin function _ZN7rocprim17ROCPRIM_400000_NS6detail17trampoline_kernelINS0_14default_configENS1_25partition_config_selectorILNS1_17partition_subalgoE9EyjbEEZZNS1_14partition_implILS5_9ELb0ES3_jN6thrust23THRUST_200600_302600_NS6detail15normal_iteratorINS9_10device_ptrIyEEEENSB_INSC_IjEEEEPNS0_10empty_typeENS0_5tupleIJNS9_16discard_iteratorINS9_11use_defaultEEESH_EEENSJ_IJSM_SI_EEENS0_18inequality_wrapperINS9_8equal_toIyEEEEPmJSH_EEE10hipError_tPvRmT3_T4_T5_T6_T7_T9_mT8_P12ihipStream_tbDpT10_ENKUlT_T0_E_clISt17integral_constantIbLb1EES1C_IbLb0EEEEDaS18_S19_EUlS18_E_NS1_11comp_targetILNS1_3genE2ELNS1_11target_archE906ELNS1_3gpuE6ELNS1_3repE0EEENS1_30default_config_static_selectorELNS0_4arch9wavefront6targetE0EEEvT1_
	.globl	_ZN7rocprim17ROCPRIM_400000_NS6detail17trampoline_kernelINS0_14default_configENS1_25partition_config_selectorILNS1_17partition_subalgoE9EyjbEEZZNS1_14partition_implILS5_9ELb0ES3_jN6thrust23THRUST_200600_302600_NS6detail15normal_iteratorINS9_10device_ptrIyEEEENSB_INSC_IjEEEEPNS0_10empty_typeENS0_5tupleIJNS9_16discard_iteratorINS9_11use_defaultEEESH_EEENSJ_IJSM_SI_EEENS0_18inequality_wrapperINS9_8equal_toIyEEEEPmJSH_EEE10hipError_tPvRmT3_T4_T5_T6_T7_T9_mT8_P12ihipStream_tbDpT10_ENKUlT_T0_E_clISt17integral_constantIbLb1EES1C_IbLb0EEEEDaS18_S19_EUlS18_E_NS1_11comp_targetILNS1_3genE2ELNS1_11target_archE906ELNS1_3gpuE6ELNS1_3repE0EEENS1_30default_config_static_selectorELNS0_4arch9wavefront6targetE0EEEvT1_
	.p2align	8
	.type	_ZN7rocprim17ROCPRIM_400000_NS6detail17trampoline_kernelINS0_14default_configENS1_25partition_config_selectorILNS1_17partition_subalgoE9EyjbEEZZNS1_14partition_implILS5_9ELb0ES3_jN6thrust23THRUST_200600_302600_NS6detail15normal_iteratorINS9_10device_ptrIyEEEENSB_INSC_IjEEEEPNS0_10empty_typeENS0_5tupleIJNS9_16discard_iteratorINS9_11use_defaultEEESH_EEENSJ_IJSM_SI_EEENS0_18inequality_wrapperINS9_8equal_toIyEEEEPmJSH_EEE10hipError_tPvRmT3_T4_T5_T6_T7_T9_mT8_P12ihipStream_tbDpT10_ENKUlT_T0_E_clISt17integral_constantIbLb1EES1C_IbLb0EEEEDaS18_S19_EUlS18_E_NS1_11comp_targetILNS1_3genE2ELNS1_11target_archE906ELNS1_3gpuE6ELNS1_3repE0EEENS1_30default_config_static_selectorELNS0_4arch9wavefront6targetE0EEEvT1_,@function
_ZN7rocprim17ROCPRIM_400000_NS6detail17trampoline_kernelINS0_14default_configENS1_25partition_config_selectorILNS1_17partition_subalgoE9EyjbEEZZNS1_14partition_implILS5_9ELb0ES3_jN6thrust23THRUST_200600_302600_NS6detail15normal_iteratorINS9_10device_ptrIyEEEENSB_INSC_IjEEEEPNS0_10empty_typeENS0_5tupleIJNS9_16discard_iteratorINS9_11use_defaultEEESH_EEENSJ_IJSM_SI_EEENS0_18inequality_wrapperINS9_8equal_toIyEEEEPmJSH_EEE10hipError_tPvRmT3_T4_T5_T6_T7_T9_mT8_P12ihipStream_tbDpT10_ENKUlT_T0_E_clISt17integral_constantIbLb1EES1C_IbLb0EEEEDaS18_S19_EUlS18_E_NS1_11comp_targetILNS1_3genE2ELNS1_11target_archE906ELNS1_3gpuE6ELNS1_3repE0EEENS1_30default_config_static_selectorELNS0_4arch9wavefront6targetE0EEEvT1_: ; @_ZN7rocprim17ROCPRIM_400000_NS6detail17trampoline_kernelINS0_14default_configENS1_25partition_config_selectorILNS1_17partition_subalgoE9EyjbEEZZNS1_14partition_implILS5_9ELb0ES3_jN6thrust23THRUST_200600_302600_NS6detail15normal_iteratorINS9_10device_ptrIyEEEENSB_INSC_IjEEEEPNS0_10empty_typeENS0_5tupleIJNS9_16discard_iteratorINS9_11use_defaultEEESH_EEENSJ_IJSM_SI_EEENS0_18inequality_wrapperINS9_8equal_toIyEEEEPmJSH_EEE10hipError_tPvRmT3_T4_T5_T6_T7_T9_mT8_P12ihipStream_tbDpT10_ENKUlT_T0_E_clISt17integral_constantIbLb1EES1C_IbLb0EEEEDaS18_S19_EUlS18_E_NS1_11comp_targetILNS1_3genE2ELNS1_11target_archE906ELNS1_3gpuE6ELNS1_3repE0EEENS1_30default_config_static_selectorELNS0_4arch9wavefront6targetE0EEEvT1_
; %bb.0:
	.section	.rodata,"a",@progbits
	.p2align	6, 0x0
	.amdhsa_kernel _ZN7rocprim17ROCPRIM_400000_NS6detail17trampoline_kernelINS0_14default_configENS1_25partition_config_selectorILNS1_17partition_subalgoE9EyjbEEZZNS1_14partition_implILS5_9ELb0ES3_jN6thrust23THRUST_200600_302600_NS6detail15normal_iteratorINS9_10device_ptrIyEEEENSB_INSC_IjEEEEPNS0_10empty_typeENS0_5tupleIJNS9_16discard_iteratorINS9_11use_defaultEEESH_EEENSJ_IJSM_SI_EEENS0_18inequality_wrapperINS9_8equal_toIyEEEEPmJSH_EEE10hipError_tPvRmT3_T4_T5_T6_T7_T9_mT8_P12ihipStream_tbDpT10_ENKUlT_T0_E_clISt17integral_constantIbLb1EES1C_IbLb0EEEEDaS18_S19_EUlS18_E_NS1_11comp_targetILNS1_3genE2ELNS1_11target_archE906ELNS1_3gpuE6ELNS1_3repE0EEENS1_30default_config_static_selectorELNS0_4arch9wavefront6targetE0EEEvT1_
		.amdhsa_group_segment_fixed_size 0
		.amdhsa_private_segment_fixed_size 0
		.amdhsa_kernarg_size 128
		.amdhsa_user_sgpr_count 15
		.amdhsa_user_sgpr_dispatch_ptr 0
		.amdhsa_user_sgpr_queue_ptr 0
		.amdhsa_user_sgpr_kernarg_segment_ptr 1
		.amdhsa_user_sgpr_dispatch_id 0
		.amdhsa_user_sgpr_private_segment_size 0
		.amdhsa_wavefront_size32 1
		.amdhsa_uses_dynamic_stack 0
		.amdhsa_enable_private_segment 0
		.amdhsa_system_sgpr_workgroup_id_x 1
		.amdhsa_system_sgpr_workgroup_id_y 0
		.amdhsa_system_sgpr_workgroup_id_z 0
		.amdhsa_system_sgpr_workgroup_info 0
		.amdhsa_system_vgpr_workitem_id 0
		.amdhsa_next_free_vgpr 1
		.amdhsa_next_free_sgpr 1
		.amdhsa_reserve_vcc 0
		.amdhsa_float_round_mode_32 0
		.amdhsa_float_round_mode_16_64 0
		.amdhsa_float_denorm_mode_32 3
		.amdhsa_float_denorm_mode_16_64 3
		.amdhsa_dx10_clamp 1
		.amdhsa_ieee_mode 1
		.amdhsa_fp16_overflow 0
		.amdhsa_workgroup_processor_mode 1
		.amdhsa_memory_ordered 1
		.amdhsa_forward_progress 0
		.amdhsa_shared_vgpr_count 0
		.amdhsa_exception_fp_ieee_invalid_op 0
		.amdhsa_exception_fp_denorm_src 0
		.amdhsa_exception_fp_ieee_div_zero 0
		.amdhsa_exception_fp_ieee_overflow 0
		.amdhsa_exception_fp_ieee_underflow 0
		.amdhsa_exception_fp_ieee_inexact 0
		.amdhsa_exception_int_div_zero 0
	.end_amdhsa_kernel
	.section	.text._ZN7rocprim17ROCPRIM_400000_NS6detail17trampoline_kernelINS0_14default_configENS1_25partition_config_selectorILNS1_17partition_subalgoE9EyjbEEZZNS1_14partition_implILS5_9ELb0ES3_jN6thrust23THRUST_200600_302600_NS6detail15normal_iteratorINS9_10device_ptrIyEEEENSB_INSC_IjEEEEPNS0_10empty_typeENS0_5tupleIJNS9_16discard_iteratorINS9_11use_defaultEEESH_EEENSJ_IJSM_SI_EEENS0_18inequality_wrapperINS9_8equal_toIyEEEEPmJSH_EEE10hipError_tPvRmT3_T4_T5_T6_T7_T9_mT8_P12ihipStream_tbDpT10_ENKUlT_T0_E_clISt17integral_constantIbLb1EES1C_IbLb0EEEEDaS18_S19_EUlS18_E_NS1_11comp_targetILNS1_3genE2ELNS1_11target_archE906ELNS1_3gpuE6ELNS1_3repE0EEENS1_30default_config_static_selectorELNS0_4arch9wavefront6targetE0EEEvT1_,"axG",@progbits,_ZN7rocprim17ROCPRIM_400000_NS6detail17trampoline_kernelINS0_14default_configENS1_25partition_config_selectorILNS1_17partition_subalgoE9EyjbEEZZNS1_14partition_implILS5_9ELb0ES3_jN6thrust23THRUST_200600_302600_NS6detail15normal_iteratorINS9_10device_ptrIyEEEENSB_INSC_IjEEEEPNS0_10empty_typeENS0_5tupleIJNS9_16discard_iteratorINS9_11use_defaultEEESH_EEENSJ_IJSM_SI_EEENS0_18inequality_wrapperINS9_8equal_toIyEEEEPmJSH_EEE10hipError_tPvRmT3_T4_T5_T6_T7_T9_mT8_P12ihipStream_tbDpT10_ENKUlT_T0_E_clISt17integral_constantIbLb1EES1C_IbLb0EEEEDaS18_S19_EUlS18_E_NS1_11comp_targetILNS1_3genE2ELNS1_11target_archE906ELNS1_3gpuE6ELNS1_3repE0EEENS1_30default_config_static_selectorELNS0_4arch9wavefront6targetE0EEEvT1_,comdat
.Lfunc_end713:
	.size	_ZN7rocprim17ROCPRIM_400000_NS6detail17trampoline_kernelINS0_14default_configENS1_25partition_config_selectorILNS1_17partition_subalgoE9EyjbEEZZNS1_14partition_implILS5_9ELb0ES3_jN6thrust23THRUST_200600_302600_NS6detail15normal_iteratorINS9_10device_ptrIyEEEENSB_INSC_IjEEEEPNS0_10empty_typeENS0_5tupleIJNS9_16discard_iteratorINS9_11use_defaultEEESH_EEENSJ_IJSM_SI_EEENS0_18inequality_wrapperINS9_8equal_toIyEEEEPmJSH_EEE10hipError_tPvRmT3_T4_T5_T6_T7_T9_mT8_P12ihipStream_tbDpT10_ENKUlT_T0_E_clISt17integral_constantIbLb1EES1C_IbLb0EEEEDaS18_S19_EUlS18_E_NS1_11comp_targetILNS1_3genE2ELNS1_11target_archE906ELNS1_3gpuE6ELNS1_3repE0EEENS1_30default_config_static_selectorELNS0_4arch9wavefront6targetE0EEEvT1_, .Lfunc_end713-_ZN7rocprim17ROCPRIM_400000_NS6detail17trampoline_kernelINS0_14default_configENS1_25partition_config_selectorILNS1_17partition_subalgoE9EyjbEEZZNS1_14partition_implILS5_9ELb0ES3_jN6thrust23THRUST_200600_302600_NS6detail15normal_iteratorINS9_10device_ptrIyEEEENSB_INSC_IjEEEEPNS0_10empty_typeENS0_5tupleIJNS9_16discard_iteratorINS9_11use_defaultEEESH_EEENSJ_IJSM_SI_EEENS0_18inequality_wrapperINS9_8equal_toIyEEEEPmJSH_EEE10hipError_tPvRmT3_T4_T5_T6_T7_T9_mT8_P12ihipStream_tbDpT10_ENKUlT_T0_E_clISt17integral_constantIbLb1EES1C_IbLb0EEEEDaS18_S19_EUlS18_E_NS1_11comp_targetILNS1_3genE2ELNS1_11target_archE906ELNS1_3gpuE6ELNS1_3repE0EEENS1_30default_config_static_selectorELNS0_4arch9wavefront6targetE0EEEvT1_
                                        ; -- End function
	.section	.AMDGPU.csdata,"",@progbits
; Kernel info:
; codeLenInByte = 0
; NumSgprs: 0
; NumVgprs: 0
; ScratchSize: 0
; MemoryBound: 0
; FloatMode: 240
; IeeeMode: 1
; LDSByteSize: 0 bytes/workgroup (compile time only)
; SGPRBlocks: 0
; VGPRBlocks: 0
; NumSGPRsForWavesPerEU: 1
; NumVGPRsForWavesPerEU: 1
; Occupancy: 16
; WaveLimiterHint : 0
; COMPUTE_PGM_RSRC2:SCRATCH_EN: 0
; COMPUTE_PGM_RSRC2:USER_SGPR: 15
; COMPUTE_PGM_RSRC2:TRAP_HANDLER: 0
; COMPUTE_PGM_RSRC2:TGID_X_EN: 1
; COMPUTE_PGM_RSRC2:TGID_Y_EN: 0
; COMPUTE_PGM_RSRC2:TGID_Z_EN: 0
; COMPUTE_PGM_RSRC2:TIDIG_COMP_CNT: 0
	.section	.text._ZN7rocprim17ROCPRIM_400000_NS6detail17trampoline_kernelINS0_14default_configENS1_25partition_config_selectorILNS1_17partition_subalgoE9EyjbEEZZNS1_14partition_implILS5_9ELb0ES3_jN6thrust23THRUST_200600_302600_NS6detail15normal_iteratorINS9_10device_ptrIyEEEENSB_INSC_IjEEEEPNS0_10empty_typeENS0_5tupleIJNS9_16discard_iteratorINS9_11use_defaultEEESH_EEENSJ_IJSM_SI_EEENS0_18inequality_wrapperINS9_8equal_toIyEEEEPmJSH_EEE10hipError_tPvRmT3_T4_T5_T6_T7_T9_mT8_P12ihipStream_tbDpT10_ENKUlT_T0_E_clISt17integral_constantIbLb1EES1C_IbLb0EEEEDaS18_S19_EUlS18_E_NS1_11comp_targetILNS1_3genE10ELNS1_11target_archE1200ELNS1_3gpuE4ELNS1_3repE0EEENS1_30default_config_static_selectorELNS0_4arch9wavefront6targetE0EEEvT1_,"axG",@progbits,_ZN7rocprim17ROCPRIM_400000_NS6detail17trampoline_kernelINS0_14default_configENS1_25partition_config_selectorILNS1_17partition_subalgoE9EyjbEEZZNS1_14partition_implILS5_9ELb0ES3_jN6thrust23THRUST_200600_302600_NS6detail15normal_iteratorINS9_10device_ptrIyEEEENSB_INSC_IjEEEEPNS0_10empty_typeENS0_5tupleIJNS9_16discard_iteratorINS9_11use_defaultEEESH_EEENSJ_IJSM_SI_EEENS0_18inequality_wrapperINS9_8equal_toIyEEEEPmJSH_EEE10hipError_tPvRmT3_T4_T5_T6_T7_T9_mT8_P12ihipStream_tbDpT10_ENKUlT_T0_E_clISt17integral_constantIbLb1EES1C_IbLb0EEEEDaS18_S19_EUlS18_E_NS1_11comp_targetILNS1_3genE10ELNS1_11target_archE1200ELNS1_3gpuE4ELNS1_3repE0EEENS1_30default_config_static_selectorELNS0_4arch9wavefront6targetE0EEEvT1_,comdat
	.protected	_ZN7rocprim17ROCPRIM_400000_NS6detail17trampoline_kernelINS0_14default_configENS1_25partition_config_selectorILNS1_17partition_subalgoE9EyjbEEZZNS1_14partition_implILS5_9ELb0ES3_jN6thrust23THRUST_200600_302600_NS6detail15normal_iteratorINS9_10device_ptrIyEEEENSB_INSC_IjEEEEPNS0_10empty_typeENS0_5tupleIJNS9_16discard_iteratorINS9_11use_defaultEEESH_EEENSJ_IJSM_SI_EEENS0_18inequality_wrapperINS9_8equal_toIyEEEEPmJSH_EEE10hipError_tPvRmT3_T4_T5_T6_T7_T9_mT8_P12ihipStream_tbDpT10_ENKUlT_T0_E_clISt17integral_constantIbLb1EES1C_IbLb0EEEEDaS18_S19_EUlS18_E_NS1_11comp_targetILNS1_3genE10ELNS1_11target_archE1200ELNS1_3gpuE4ELNS1_3repE0EEENS1_30default_config_static_selectorELNS0_4arch9wavefront6targetE0EEEvT1_ ; -- Begin function _ZN7rocprim17ROCPRIM_400000_NS6detail17trampoline_kernelINS0_14default_configENS1_25partition_config_selectorILNS1_17partition_subalgoE9EyjbEEZZNS1_14partition_implILS5_9ELb0ES3_jN6thrust23THRUST_200600_302600_NS6detail15normal_iteratorINS9_10device_ptrIyEEEENSB_INSC_IjEEEEPNS0_10empty_typeENS0_5tupleIJNS9_16discard_iteratorINS9_11use_defaultEEESH_EEENSJ_IJSM_SI_EEENS0_18inequality_wrapperINS9_8equal_toIyEEEEPmJSH_EEE10hipError_tPvRmT3_T4_T5_T6_T7_T9_mT8_P12ihipStream_tbDpT10_ENKUlT_T0_E_clISt17integral_constantIbLb1EES1C_IbLb0EEEEDaS18_S19_EUlS18_E_NS1_11comp_targetILNS1_3genE10ELNS1_11target_archE1200ELNS1_3gpuE4ELNS1_3repE0EEENS1_30default_config_static_selectorELNS0_4arch9wavefront6targetE0EEEvT1_
	.globl	_ZN7rocprim17ROCPRIM_400000_NS6detail17trampoline_kernelINS0_14default_configENS1_25partition_config_selectorILNS1_17partition_subalgoE9EyjbEEZZNS1_14partition_implILS5_9ELb0ES3_jN6thrust23THRUST_200600_302600_NS6detail15normal_iteratorINS9_10device_ptrIyEEEENSB_INSC_IjEEEEPNS0_10empty_typeENS0_5tupleIJNS9_16discard_iteratorINS9_11use_defaultEEESH_EEENSJ_IJSM_SI_EEENS0_18inequality_wrapperINS9_8equal_toIyEEEEPmJSH_EEE10hipError_tPvRmT3_T4_T5_T6_T7_T9_mT8_P12ihipStream_tbDpT10_ENKUlT_T0_E_clISt17integral_constantIbLb1EES1C_IbLb0EEEEDaS18_S19_EUlS18_E_NS1_11comp_targetILNS1_3genE10ELNS1_11target_archE1200ELNS1_3gpuE4ELNS1_3repE0EEENS1_30default_config_static_selectorELNS0_4arch9wavefront6targetE0EEEvT1_
	.p2align	8
	.type	_ZN7rocprim17ROCPRIM_400000_NS6detail17trampoline_kernelINS0_14default_configENS1_25partition_config_selectorILNS1_17partition_subalgoE9EyjbEEZZNS1_14partition_implILS5_9ELb0ES3_jN6thrust23THRUST_200600_302600_NS6detail15normal_iteratorINS9_10device_ptrIyEEEENSB_INSC_IjEEEEPNS0_10empty_typeENS0_5tupleIJNS9_16discard_iteratorINS9_11use_defaultEEESH_EEENSJ_IJSM_SI_EEENS0_18inequality_wrapperINS9_8equal_toIyEEEEPmJSH_EEE10hipError_tPvRmT3_T4_T5_T6_T7_T9_mT8_P12ihipStream_tbDpT10_ENKUlT_T0_E_clISt17integral_constantIbLb1EES1C_IbLb0EEEEDaS18_S19_EUlS18_E_NS1_11comp_targetILNS1_3genE10ELNS1_11target_archE1200ELNS1_3gpuE4ELNS1_3repE0EEENS1_30default_config_static_selectorELNS0_4arch9wavefront6targetE0EEEvT1_,@function
_ZN7rocprim17ROCPRIM_400000_NS6detail17trampoline_kernelINS0_14default_configENS1_25partition_config_selectorILNS1_17partition_subalgoE9EyjbEEZZNS1_14partition_implILS5_9ELb0ES3_jN6thrust23THRUST_200600_302600_NS6detail15normal_iteratorINS9_10device_ptrIyEEEENSB_INSC_IjEEEEPNS0_10empty_typeENS0_5tupleIJNS9_16discard_iteratorINS9_11use_defaultEEESH_EEENSJ_IJSM_SI_EEENS0_18inequality_wrapperINS9_8equal_toIyEEEEPmJSH_EEE10hipError_tPvRmT3_T4_T5_T6_T7_T9_mT8_P12ihipStream_tbDpT10_ENKUlT_T0_E_clISt17integral_constantIbLb1EES1C_IbLb0EEEEDaS18_S19_EUlS18_E_NS1_11comp_targetILNS1_3genE10ELNS1_11target_archE1200ELNS1_3gpuE4ELNS1_3repE0EEENS1_30default_config_static_selectorELNS0_4arch9wavefront6targetE0EEEvT1_: ; @_ZN7rocprim17ROCPRIM_400000_NS6detail17trampoline_kernelINS0_14default_configENS1_25partition_config_selectorILNS1_17partition_subalgoE9EyjbEEZZNS1_14partition_implILS5_9ELb0ES3_jN6thrust23THRUST_200600_302600_NS6detail15normal_iteratorINS9_10device_ptrIyEEEENSB_INSC_IjEEEEPNS0_10empty_typeENS0_5tupleIJNS9_16discard_iteratorINS9_11use_defaultEEESH_EEENSJ_IJSM_SI_EEENS0_18inequality_wrapperINS9_8equal_toIyEEEEPmJSH_EEE10hipError_tPvRmT3_T4_T5_T6_T7_T9_mT8_P12ihipStream_tbDpT10_ENKUlT_T0_E_clISt17integral_constantIbLb1EES1C_IbLb0EEEEDaS18_S19_EUlS18_E_NS1_11comp_targetILNS1_3genE10ELNS1_11target_archE1200ELNS1_3gpuE4ELNS1_3repE0EEENS1_30default_config_static_selectorELNS0_4arch9wavefront6targetE0EEEvT1_
; %bb.0:
	.section	.rodata,"a",@progbits
	.p2align	6, 0x0
	.amdhsa_kernel _ZN7rocprim17ROCPRIM_400000_NS6detail17trampoline_kernelINS0_14default_configENS1_25partition_config_selectorILNS1_17partition_subalgoE9EyjbEEZZNS1_14partition_implILS5_9ELb0ES3_jN6thrust23THRUST_200600_302600_NS6detail15normal_iteratorINS9_10device_ptrIyEEEENSB_INSC_IjEEEEPNS0_10empty_typeENS0_5tupleIJNS9_16discard_iteratorINS9_11use_defaultEEESH_EEENSJ_IJSM_SI_EEENS0_18inequality_wrapperINS9_8equal_toIyEEEEPmJSH_EEE10hipError_tPvRmT3_T4_T5_T6_T7_T9_mT8_P12ihipStream_tbDpT10_ENKUlT_T0_E_clISt17integral_constantIbLb1EES1C_IbLb0EEEEDaS18_S19_EUlS18_E_NS1_11comp_targetILNS1_3genE10ELNS1_11target_archE1200ELNS1_3gpuE4ELNS1_3repE0EEENS1_30default_config_static_selectorELNS0_4arch9wavefront6targetE0EEEvT1_
		.amdhsa_group_segment_fixed_size 0
		.amdhsa_private_segment_fixed_size 0
		.amdhsa_kernarg_size 128
		.amdhsa_user_sgpr_count 15
		.amdhsa_user_sgpr_dispatch_ptr 0
		.amdhsa_user_sgpr_queue_ptr 0
		.amdhsa_user_sgpr_kernarg_segment_ptr 1
		.amdhsa_user_sgpr_dispatch_id 0
		.amdhsa_user_sgpr_private_segment_size 0
		.amdhsa_wavefront_size32 1
		.amdhsa_uses_dynamic_stack 0
		.amdhsa_enable_private_segment 0
		.amdhsa_system_sgpr_workgroup_id_x 1
		.amdhsa_system_sgpr_workgroup_id_y 0
		.amdhsa_system_sgpr_workgroup_id_z 0
		.amdhsa_system_sgpr_workgroup_info 0
		.amdhsa_system_vgpr_workitem_id 0
		.amdhsa_next_free_vgpr 1
		.amdhsa_next_free_sgpr 1
		.amdhsa_reserve_vcc 0
		.amdhsa_float_round_mode_32 0
		.amdhsa_float_round_mode_16_64 0
		.amdhsa_float_denorm_mode_32 3
		.amdhsa_float_denorm_mode_16_64 3
		.amdhsa_dx10_clamp 1
		.amdhsa_ieee_mode 1
		.amdhsa_fp16_overflow 0
		.amdhsa_workgroup_processor_mode 1
		.amdhsa_memory_ordered 1
		.amdhsa_forward_progress 0
		.amdhsa_shared_vgpr_count 0
		.amdhsa_exception_fp_ieee_invalid_op 0
		.amdhsa_exception_fp_denorm_src 0
		.amdhsa_exception_fp_ieee_div_zero 0
		.amdhsa_exception_fp_ieee_overflow 0
		.amdhsa_exception_fp_ieee_underflow 0
		.amdhsa_exception_fp_ieee_inexact 0
		.amdhsa_exception_int_div_zero 0
	.end_amdhsa_kernel
	.section	.text._ZN7rocprim17ROCPRIM_400000_NS6detail17trampoline_kernelINS0_14default_configENS1_25partition_config_selectorILNS1_17partition_subalgoE9EyjbEEZZNS1_14partition_implILS5_9ELb0ES3_jN6thrust23THRUST_200600_302600_NS6detail15normal_iteratorINS9_10device_ptrIyEEEENSB_INSC_IjEEEEPNS0_10empty_typeENS0_5tupleIJNS9_16discard_iteratorINS9_11use_defaultEEESH_EEENSJ_IJSM_SI_EEENS0_18inequality_wrapperINS9_8equal_toIyEEEEPmJSH_EEE10hipError_tPvRmT3_T4_T5_T6_T7_T9_mT8_P12ihipStream_tbDpT10_ENKUlT_T0_E_clISt17integral_constantIbLb1EES1C_IbLb0EEEEDaS18_S19_EUlS18_E_NS1_11comp_targetILNS1_3genE10ELNS1_11target_archE1200ELNS1_3gpuE4ELNS1_3repE0EEENS1_30default_config_static_selectorELNS0_4arch9wavefront6targetE0EEEvT1_,"axG",@progbits,_ZN7rocprim17ROCPRIM_400000_NS6detail17trampoline_kernelINS0_14default_configENS1_25partition_config_selectorILNS1_17partition_subalgoE9EyjbEEZZNS1_14partition_implILS5_9ELb0ES3_jN6thrust23THRUST_200600_302600_NS6detail15normal_iteratorINS9_10device_ptrIyEEEENSB_INSC_IjEEEEPNS0_10empty_typeENS0_5tupleIJNS9_16discard_iteratorINS9_11use_defaultEEESH_EEENSJ_IJSM_SI_EEENS0_18inequality_wrapperINS9_8equal_toIyEEEEPmJSH_EEE10hipError_tPvRmT3_T4_T5_T6_T7_T9_mT8_P12ihipStream_tbDpT10_ENKUlT_T0_E_clISt17integral_constantIbLb1EES1C_IbLb0EEEEDaS18_S19_EUlS18_E_NS1_11comp_targetILNS1_3genE10ELNS1_11target_archE1200ELNS1_3gpuE4ELNS1_3repE0EEENS1_30default_config_static_selectorELNS0_4arch9wavefront6targetE0EEEvT1_,comdat
.Lfunc_end714:
	.size	_ZN7rocprim17ROCPRIM_400000_NS6detail17trampoline_kernelINS0_14default_configENS1_25partition_config_selectorILNS1_17partition_subalgoE9EyjbEEZZNS1_14partition_implILS5_9ELb0ES3_jN6thrust23THRUST_200600_302600_NS6detail15normal_iteratorINS9_10device_ptrIyEEEENSB_INSC_IjEEEEPNS0_10empty_typeENS0_5tupleIJNS9_16discard_iteratorINS9_11use_defaultEEESH_EEENSJ_IJSM_SI_EEENS0_18inequality_wrapperINS9_8equal_toIyEEEEPmJSH_EEE10hipError_tPvRmT3_T4_T5_T6_T7_T9_mT8_P12ihipStream_tbDpT10_ENKUlT_T0_E_clISt17integral_constantIbLb1EES1C_IbLb0EEEEDaS18_S19_EUlS18_E_NS1_11comp_targetILNS1_3genE10ELNS1_11target_archE1200ELNS1_3gpuE4ELNS1_3repE0EEENS1_30default_config_static_selectorELNS0_4arch9wavefront6targetE0EEEvT1_, .Lfunc_end714-_ZN7rocprim17ROCPRIM_400000_NS6detail17trampoline_kernelINS0_14default_configENS1_25partition_config_selectorILNS1_17partition_subalgoE9EyjbEEZZNS1_14partition_implILS5_9ELb0ES3_jN6thrust23THRUST_200600_302600_NS6detail15normal_iteratorINS9_10device_ptrIyEEEENSB_INSC_IjEEEEPNS0_10empty_typeENS0_5tupleIJNS9_16discard_iteratorINS9_11use_defaultEEESH_EEENSJ_IJSM_SI_EEENS0_18inequality_wrapperINS9_8equal_toIyEEEEPmJSH_EEE10hipError_tPvRmT3_T4_T5_T6_T7_T9_mT8_P12ihipStream_tbDpT10_ENKUlT_T0_E_clISt17integral_constantIbLb1EES1C_IbLb0EEEEDaS18_S19_EUlS18_E_NS1_11comp_targetILNS1_3genE10ELNS1_11target_archE1200ELNS1_3gpuE4ELNS1_3repE0EEENS1_30default_config_static_selectorELNS0_4arch9wavefront6targetE0EEEvT1_
                                        ; -- End function
	.section	.AMDGPU.csdata,"",@progbits
; Kernel info:
; codeLenInByte = 0
; NumSgprs: 0
; NumVgprs: 0
; ScratchSize: 0
; MemoryBound: 0
; FloatMode: 240
; IeeeMode: 1
; LDSByteSize: 0 bytes/workgroup (compile time only)
; SGPRBlocks: 0
; VGPRBlocks: 0
; NumSGPRsForWavesPerEU: 1
; NumVGPRsForWavesPerEU: 1
; Occupancy: 15
; WaveLimiterHint : 0
; COMPUTE_PGM_RSRC2:SCRATCH_EN: 0
; COMPUTE_PGM_RSRC2:USER_SGPR: 15
; COMPUTE_PGM_RSRC2:TRAP_HANDLER: 0
; COMPUTE_PGM_RSRC2:TGID_X_EN: 1
; COMPUTE_PGM_RSRC2:TGID_Y_EN: 0
; COMPUTE_PGM_RSRC2:TGID_Z_EN: 0
; COMPUTE_PGM_RSRC2:TIDIG_COMP_CNT: 0
	.section	.text._ZN7rocprim17ROCPRIM_400000_NS6detail17trampoline_kernelINS0_14default_configENS1_25partition_config_selectorILNS1_17partition_subalgoE9EyjbEEZZNS1_14partition_implILS5_9ELb0ES3_jN6thrust23THRUST_200600_302600_NS6detail15normal_iteratorINS9_10device_ptrIyEEEENSB_INSC_IjEEEEPNS0_10empty_typeENS0_5tupleIJNS9_16discard_iteratorINS9_11use_defaultEEESH_EEENSJ_IJSM_SI_EEENS0_18inequality_wrapperINS9_8equal_toIyEEEEPmJSH_EEE10hipError_tPvRmT3_T4_T5_T6_T7_T9_mT8_P12ihipStream_tbDpT10_ENKUlT_T0_E_clISt17integral_constantIbLb1EES1C_IbLb0EEEEDaS18_S19_EUlS18_E_NS1_11comp_targetILNS1_3genE9ELNS1_11target_archE1100ELNS1_3gpuE3ELNS1_3repE0EEENS1_30default_config_static_selectorELNS0_4arch9wavefront6targetE0EEEvT1_,"axG",@progbits,_ZN7rocprim17ROCPRIM_400000_NS6detail17trampoline_kernelINS0_14default_configENS1_25partition_config_selectorILNS1_17partition_subalgoE9EyjbEEZZNS1_14partition_implILS5_9ELb0ES3_jN6thrust23THRUST_200600_302600_NS6detail15normal_iteratorINS9_10device_ptrIyEEEENSB_INSC_IjEEEEPNS0_10empty_typeENS0_5tupleIJNS9_16discard_iteratorINS9_11use_defaultEEESH_EEENSJ_IJSM_SI_EEENS0_18inequality_wrapperINS9_8equal_toIyEEEEPmJSH_EEE10hipError_tPvRmT3_T4_T5_T6_T7_T9_mT8_P12ihipStream_tbDpT10_ENKUlT_T0_E_clISt17integral_constantIbLb1EES1C_IbLb0EEEEDaS18_S19_EUlS18_E_NS1_11comp_targetILNS1_3genE9ELNS1_11target_archE1100ELNS1_3gpuE3ELNS1_3repE0EEENS1_30default_config_static_selectorELNS0_4arch9wavefront6targetE0EEEvT1_,comdat
	.protected	_ZN7rocprim17ROCPRIM_400000_NS6detail17trampoline_kernelINS0_14default_configENS1_25partition_config_selectorILNS1_17partition_subalgoE9EyjbEEZZNS1_14partition_implILS5_9ELb0ES3_jN6thrust23THRUST_200600_302600_NS6detail15normal_iteratorINS9_10device_ptrIyEEEENSB_INSC_IjEEEEPNS0_10empty_typeENS0_5tupleIJNS9_16discard_iteratorINS9_11use_defaultEEESH_EEENSJ_IJSM_SI_EEENS0_18inequality_wrapperINS9_8equal_toIyEEEEPmJSH_EEE10hipError_tPvRmT3_T4_T5_T6_T7_T9_mT8_P12ihipStream_tbDpT10_ENKUlT_T0_E_clISt17integral_constantIbLb1EES1C_IbLb0EEEEDaS18_S19_EUlS18_E_NS1_11comp_targetILNS1_3genE9ELNS1_11target_archE1100ELNS1_3gpuE3ELNS1_3repE0EEENS1_30default_config_static_selectorELNS0_4arch9wavefront6targetE0EEEvT1_ ; -- Begin function _ZN7rocprim17ROCPRIM_400000_NS6detail17trampoline_kernelINS0_14default_configENS1_25partition_config_selectorILNS1_17partition_subalgoE9EyjbEEZZNS1_14partition_implILS5_9ELb0ES3_jN6thrust23THRUST_200600_302600_NS6detail15normal_iteratorINS9_10device_ptrIyEEEENSB_INSC_IjEEEEPNS0_10empty_typeENS0_5tupleIJNS9_16discard_iteratorINS9_11use_defaultEEESH_EEENSJ_IJSM_SI_EEENS0_18inequality_wrapperINS9_8equal_toIyEEEEPmJSH_EEE10hipError_tPvRmT3_T4_T5_T6_T7_T9_mT8_P12ihipStream_tbDpT10_ENKUlT_T0_E_clISt17integral_constantIbLb1EES1C_IbLb0EEEEDaS18_S19_EUlS18_E_NS1_11comp_targetILNS1_3genE9ELNS1_11target_archE1100ELNS1_3gpuE3ELNS1_3repE0EEENS1_30default_config_static_selectorELNS0_4arch9wavefront6targetE0EEEvT1_
	.globl	_ZN7rocprim17ROCPRIM_400000_NS6detail17trampoline_kernelINS0_14default_configENS1_25partition_config_selectorILNS1_17partition_subalgoE9EyjbEEZZNS1_14partition_implILS5_9ELb0ES3_jN6thrust23THRUST_200600_302600_NS6detail15normal_iteratorINS9_10device_ptrIyEEEENSB_INSC_IjEEEEPNS0_10empty_typeENS0_5tupleIJNS9_16discard_iteratorINS9_11use_defaultEEESH_EEENSJ_IJSM_SI_EEENS0_18inequality_wrapperINS9_8equal_toIyEEEEPmJSH_EEE10hipError_tPvRmT3_T4_T5_T6_T7_T9_mT8_P12ihipStream_tbDpT10_ENKUlT_T0_E_clISt17integral_constantIbLb1EES1C_IbLb0EEEEDaS18_S19_EUlS18_E_NS1_11comp_targetILNS1_3genE9ELNS1_11target_archE1100ELNS1_3gpuE3ELNS1_3repE0EEENS1_30default_config_static_selectorELNS0_4arch9wavefront6targetE0EEEvT1_
	.p2align	8
	.type	_ZN7rocprim17ROCPRIM_400000_NS6detail17trampoline_kernelINS0_14default_configENS1_25partition_config_selectorILNS1_17partition_subalgoE9EyjbEEZZNS1_14partition_implILS5_9ELb0ES3_jN6thrust23THRUST_200600_302600_NS6detail15normal_iteratorINS9_10device_ptrIyEEEENSB_INSC_IjEEEEPNS0_10empty_typeENS0_5tupleIJNS9_16discard_iteratorINS9_11use_defaultEEESH_EEENSJ_IJSM_SI_EEENS0_18inequality_wrapperINS9_8equal_toIyEEEEPmJSH_EEE10hipError_tPvRmT3_T4_T5_T6_T7_T9_mT8_P12ihipStream_tbDpT10_ENKUlT_T0_E_clISt17integral_constantIbLb1EES1C_IbLb0EEEEDaS18_S19_EUlS18_E_NS1_11comp_targetILNS1_3genE9ELNS1_11target_archE1100ELNS1_3gpuE3ELNS1_3repE0EEENS1_30default_config_static_selectorELNS0_4arch9wavefront6targetE0EEEvT1_,@function
_ZN7rocprim17ROCPRIM_400000_NS6detail17trampoline_kernelINS0_14default_configENS1_25partition_config_selectorILNS1_17partition_subalgoE9EyjbEEZZNS1_14partition_implILS5_9ELb0ES3_jN6thrust23THRUST_200600_302600_NS6detail15normal_iteratorINS9_10device_ptrIyEEEENSB_INSC_IjEEEEPNS0_10empty_typeENS0_5tupleIJNS9_16discard_iteratorINS9_11use_defaultEEESH_EEENSJ_IJSM_SI_EEENS0_18inequality_wrapperINS9_8equal_toIyEEEEPmJSH_EEE10hipError_tPvRmT3_T4_T5_T6_T7_T9_mT8_P12ihipStream_tbDpT10_ENKUlT_T0_E_clISt17integral_constantIbLb1EES1C_IbLb0EEEEDaS18_S19_EUlS18_E_NS1_11comp_targetILNS1_3genE9ELNS1_11target_archE1100ELNS1_3gpuE3ELNS1_3repE0EEENS1_30default_config_static_selectorELNS0_4arch9wavefront6targetE0EEEvT1_: ; @_ZN7rocprim17ROCPRIM_400000_NS6detail17trampoline_kernelINS0_14default_configENS1_25partition_config_selectorILNS1_17partition_subalgoE9EyjbEEZZNS1_14partition_implILS5_9ELb0ES3_jN6thrust23THRUST_200600_302600_NS6detail15normal_iteratorINS9_10device_ptrIyEEEENSB_INSC_IjEEEEPNS0_10empty_typeENS0_5tupleIJNS9_16discard_iteratorINS9_11use_defaultEEESH_EEENSJ_IJSM_SI_EEENS0_18inequality_wrapperINS9_8equal_toIyEEEEPmJSH_EEE10hipError_tPvRmT3_T4_T5_T6_T7_T9_mT8_P12ihipStream_tbDpT10_ENKUlT_T0_E_clISt17integral_constantIbLb1EES1C_IbLb0EEEEDaS18_S19_EUlS18_E_NS1_11comp_targetILNS1_3genE9ELNS1_11target_archE1100ELNS1_3gpuE3ELNS1_3repE0EEENS1_30default_config_static_selectorELNS0_4arch9wavefront6targetE0EEEvT1_
; %bb.0:
	s_clause 0x4
	s_load_b128 s[4:7], s[0:1], 0x8
	s_load_b32 s14, s[0:1], 0x78
	s_load_b128 s[16:19], s[0:1], 0x50
	s_load_b64 s[2:3], s[0:1], 0x60
	s_load_b64 s[12:13], s[0:1], 0x18
	s_mov_b32 s9, 0
	v_lshlrev_b32_e32 v29, 3, v0
	v_lshrrev_b32_e32 v24, 2, v0
	v_or_b32_e32 v21, 0x200, v0
	v_or_b32_e32 v20, 0x400, v0
	;; [unrolled: 1-line block ×7, first 2 shown]
	s_waitcnt lgkmcnt(0)
	s_lshl_b64 s[10:11], s[6:7], 3
	s_delay_alu instid0(SALU_CYCLE_1)
	s_add_u32 s21, s4, s10
	s_addc_u32 s22, s5, s11
	s_add_i32 s20, s14, -1
	s_load_b64 s[10:11], s[18:19], 0x0
	s_lshl_b32 s4, s20, 12
	s_lshl_b32 s5, s14, 12
	s_add_i32 s4, s6, s4
	s_lshl_b32 s8, s15, 12
	s_sub_i32 s18, s2, s4
	s_add_u32 s4, s6, s5
	s_addc_u32 s5, s7, 0
	s_cmp_eq_u32 s15, s20
	v_cmp_ge_u64_e64 s2, s[4:5], s[2:3]
	s_cselect_b32 s14, -1, 0
	s_mov_b32 s5, -1
	s_delay_alu instid0(VALU_DEP_1)
	s_and_b32 s19, s14, s2
	s_lshl_b64 s[2:3], s[8:9], 3
	s_xor_b32 s20, s19, -1
	s_add_u32 s4, s21, s2
	s_addc_u32 s3, s22, s3
	s_and_b32 vcc_lo, exec_lo, s20
	s_cbranch_vccz .LBB715_2
; %bb.1:
	v_add_co_u32 v1, s2, s4, v29
	s_delay_alu instid0(VALU_DEP_1) | instskip(SKIP_1) | instid1(VALU_DEP_3)
	v_add_co_ci_u32_e64 v2, null, s3, 0, s2
	v_lshrrev_b32_e32 v26, 2, v21
	v_add_co_u32 v3, vcc_lo, 0x1000, v1
	s_delay_alu instid0(VALU_DEP_3)
	v_add_co_ci_u32_e32 v4, vcc_lo, 0, v2, vcc_lo
	v_add_co_u32 v5, vcc_lo, 0x2000, v1
	v_add_co_ci_u32_e32 v6, vcc_lo, 0, v2, vcc_lo
	v_add_co_u32 v7, vcc_lo, 0x3000, v1
	;; [unrolled: 2-line block ×6, first 2 shown]
	v_add_co_ci_u32_e32 v16, vcc_lo, 0, v2, vcc_lo
	s_clause 0x7
	flat_load_b64 v[1:2], v[1:2]
	flat_load_b64 v[3:4], v[3:4]
	;; [unrolled: 1-line block ×8, first 2 shown]
	v_lshrrev_b32_e32 v27, 2, v20
	v_lshrrev_b32_e32 v28, 2, v23
	;; [unrolled: 1-line block ×3, first 2 shown]
	v_and_b32_e32 v25, 0x78, v24
	v_lshrrev_b32_e32 v31, 2, v18
	v_lshrrev_b32_e32 v32, 2, v17
	;; [unrolled: 1-line block ×3, first 2 shown]
	v_and_b32_e32 v26, 0xf8, v26
	v_and_b32_e32 v27, 0x178, v27
	;; [unrolled: 1-line block ×4, first 2 shown]
	v_add_nc_u32_e32 v25, v25, v29
	v_and_b32_e32 v31, 0x2f8, v31
	v_and_b32_e32 v32, 0x378, v32
	;; [unrolled: 1-line block ×3, first 2 shown]
	v_add_nc_u32_e32 v26, v26, v29
	v_add_nc_u32_e32 v27, v27, v29
	;; [unrolled: 1-line block ×4, first 2 shown]
	s_mov_b32 s5, s9
	v_add_nc_u32_e32 v31, v31, v29
	v_add_nc_u32_e32 v32, v32, v29
	;; [unrolled: 1-line block ×3, first 2 shown]
	s_waitcnt vmcnt(7) lgkmcnt(0)
	ds_store_b64 v25, v[1:2]
	s_waitcnt vmcnt(6)
	ds_store_b64 v26, v[3:4] offset:4096
	s_waitcnt vmcnt(5)
	ds_store_b64 v27, v[5:6] offset:8192
	;; [unrolled: 2-line block ×7, first 2 shown]
	s_waitcnt lgkmcnt(0)
	s_barrier
.LBB715_2:
	v_cmp_gt_u32_e64 s2, s18, v0
	s_and_not1_b32 vcc_lo, exec_lo, s5
	s_cbranch_vccnz .LBB715_20
; %bb.3:
                                        ; implicit-def: $vgpr1_vgpr2_vgpr3_vgpr4_vgpr5_vgpr6_vgpr7_vgpr8_vgpr9_vgpr10_vgpr11_vgpr12_vgpr13_vgpr14_vgpr15_vgpr16
	s_delay_alu instid0(VALU_DEP_1)
	s_and_saveexec_b32 s5, s2
	s_cbranch_execz .LBB715_11
; %bb.4:
	v_add_co_u32 v1, s2, s4, v29
	s_delay_alu instid0(VALU_DEP_1) | instskip(SKIP_2) | instid1(SALU_CYCLE_1)
	v_add_co_ci_u32_e64 v2, null, s3, 0, s2
	flat_load_b64 v[1:2], v[1:2]
	s_or_b32 exec_lo, exec_lo, s5
	s_mov_b32 s2, exec_lo
	v_cmpx_gt_u32_e64 s18, v21
	s_cbranch_execnz .LBB715_12
.LBB715_5:
	s_or_b32 exec_lo, exec_lo, s2
	s_delay_alu instid0(SALU_CYCLE_1)
	s_mov_b32 s2, exec_lo
	v_cmpx_gt_u32_e64 s18, v20
	s_cbranch_execz .LBB715_13
.LBB715_6:
	v_lshlrev_b32_e32 v5, 3, v20
	s_delay_alu instid0(VALU_DEP_1) | instskip(NEXT) | instid1(VALU_DEP_1)
	v_add_co_u32 v5, s5, s4, v5
	v_add_co_ci_u32_e64 v6, null, s3, 0, s5
	flat_load_b64 v[5:6], v[5:6]
	s_or_b32 exec_lo, exec_lo, s2
	s_delay_alu instid0(SALU_CYCLE_1)
	s_mov_b32 s2, exec_lo
	v_cmpx_gt_u32_e64 s18, v23
	s_cbranch_execnz .LBB715_14
.LBB715_7:
	s_or_b32 exec_lo, exec_lo, s2
	s_delay_alu instid0(SALU_CYCLE_1)
	s_mov_b32 s2, exec_lo
	v_cmpx_gt_u32_e64 s18, v22
	s_cbranch_execz .LBB715_15
.LBB715_8:
	v_lshlrev_b32_e32 v9, 3, v22
	s_delay_alu instid0(VALU_DEP_1) | instskip(NEXT) | instid1(VALU_DEP_1)
	v_add_co_u32 v9, s5, s4, v9
	v_add_co_ci_u32_e64 v10, null, s3, 0, s5
	flat_load_b64 v[9:10], v[9:10]
	s_or_b32 exec_lo, exec_lo, s2
	s_delay_alu instid0(SALU_CYCLE_1)
	s_mov_b32 s2, exec_lo
	v_cmpx_gt_u32_e64 s18, v18
	s_cbranch_execnz .LBB715_16
.LBB715_9:
	s_or_b32 exec_lo, exec_lo, s2
	s_delay_alu instid0(SALU_CYCLE_1)
	s_mov_b32 s2, exec_lo
	v_cmpx_gt_u32_e64 s18, v17
	s_cbranch_execz .LBB715_17
.LBB715_10:
	v_lshlrev_b32_e32 v13, 3, v17
	s_delay_alu instid0(VALU_DEP_1) | instskip(NEXT) | instid1(VALU_DEP_1)
	v_add_co_u32 v13, s5, s4, v13
	v_add_co_ci_u32_e64 v14, null, s3, 0, s5
	flat_load_b64 v[13:14], v[13:14]
	s_or_b32 exec_lo, exec_lo, s2
	s_delay_alu instid0(SALU_CYCLE_1)
	s_mov_b32 s2, exec_lo
	v_cmpx_gt_u32_e64 s18, v19
	s_cbranch_execnz .LBB715_18
	s_branch .LBB715_19
.LBB715_11:
	s_or_b32 exec_lo, exec_lo, s5
	s_delay_alu instid0(SALU_CYCLE_1)
	s_mov_b32 s2, exec_lo
	v_cmpx_gt_u32_e64 s18, v21
	s_cbranch_execz .LBB715_5
.LBB715_12:
	v_lshlrev_b32_e32 v3, 3, v21
	s_delay_alu instid0(VALU_DEP_1) | instskip(NEXT) | instid1(VALU_DEP_1)
	v_add_co_u32 v3, s5, s4, v3
	v_add_co_ci_u32_e64 v4, null, s3, 0, s5
	flat_load_b64 v[3:4], v[3:4]
	s_or_b32 exec_lo, exec_lo, s2
	s_delay_alu instid0(SALU_CYCLE_1)
	s_mov_b32 s2, exec_lo
	v_cmpx_gt_u32_e64 s18, v20
	s_cbranch_execnz .LBB715_6
.LBB715_13:
	s_or_b32 exec_lo, exec_lo, s2
	s_delay_alu instid0(SALU_CYCLE_1)
	s_mov_b32 s2, exec_lo
	v_cmpx_gt_u32_e64 s18, v23
	s_cbranch_execz .LBB715_7
.LBB715_14:
	v_lshlrev_b32_e32 v7, 3, v23
	s_delay_alu instid0(VALU_DEP_1) | instskip(NEXT) | instid1(VALU_DEP_1)
	v_add_co_u32 v7, s5, s4, v7
	v_add_co_ci_u32_e64 v8, null, s3, 0, s5
	flat_load_b64 v[7:8], v[7:8]
	s_or_b32 exec_lo, exec_lo, s2
	s_delay_alu instid0(SALU_CYCLE_1)
	s_mov_b32 s2, exec_lo
	v_cmpx_gt_u32_e64 s18, v22
	s_cbranch_execnz .LBB715_8
.LBB715_15:
	s_or_b32 exec_lo, exec_lo, s2
	s_delay_alu instid0(SALU_CYCLE_1)
	s_mov_b32 s2, exec_lo
	v_cmpx_gt_u32_e64 s18, v18
	s_cbranch_execz .LBB715_9
.LBB715_16:
	v_lshlrev_b32_e32 v11, 3, v18
	s_delay_alu instid0(VALU_DEP_1) | instskip(NEXT) | instid1(VALU_DEP_1)
	v_add_co_u32 v11, s5, s4, v11
	v_add_co_ci_u32_e64 v12, null, s3, 0, s5
	flat_load_b64 v[11:12], v[11:12]
	s_or_b32 exec_lo, exec_lo, s2
	s_delay_alu instid0(SALU_CYCLE_1)
	s_mov_b32 s2, exec_lo
	v_cmpx_gt_u32_e64 s18, v17
	s_cbranch_execnz .LBB715_10
.LBB715_17:
	s_or_b32 exec_lo, exec_lo, s2
	s_delay_alu instid0(SALU_CYCLE_1)
	s_mov_b32 s2, exec_lo
	v_cmpx_gt_u32_e64 s18, v19
	s_cbranch_execz .LBB715_19
.LBB715_18:
	v_lshlrev_b32_e32 v15, 3, v19
	s_delay_alu instid0(VALU_DEP_1) | instskip(NEXT) | instid1(VALU_DEP_1)
	v_add_co_u32 v15, s5, s4, v15
	v_add_co_ci_u32_e64 v16, null, s3, 0, s5
	flat_load_b64 v[15:16], v[15:16]
.LBB715_19:
	s_or_b32 exec_lo, exec_lo, s2
	v_lshrrev_b32_e32 v25, 2, v21
	v_lshrrev_b32_e32 v26, 2, v20
	;; [unrolled: 1-line block ×4, first 2 shown]
	v_and_b32_e32 v27, 0x78, v24
	v_lshrrev_b32_e32 v31, 2, v18
	v_lshrrev_b32_e32 v32, 2, v17
	;; [unrolled: 1-line block ×3, first 2 shown]
	v_and_b32_e32 v25, 0xf8, v25
	v_and_b32_e32 v26, 0x1f8, v26
	;; [unrolled: 1-line block ×4, first 2 shown]
	v_add_nc_u32_e32 v27, v27, v29
	v_and_b32_e32 v31, 0x3f8, v31
	v_and_b32_e32 v32, 0x3f8, v32
	v_and_b32_e32 v33, 0x3f8, v33
	v_add_nc_u32_e32 v25, v25, v29
	v_add_nc_u32_e32 v26, v26, v29
	;; [unrolled: 1-line block ×7, first 2 shown]
	s_waitcnt vmcnt(0) lgkmcnt(0)
	ds_store_b64 v27, v[1:2]
	ds_store_b64 v25, v[3:4] offset:4096
	ds_store_b64 v26, v[5:6] offset:8192
	;; [unrolled: 1-line block ×7, first 2 shown]
	s_waitcnt lgkmcnt(0)
	s_barrier
.LBB715_20:
	v_add_nc_u32_e32 v24, v24, v29
	s_waitcnt lgkmcnt(0)
	buffer_gl0_inv
	s_lshl_b64 s[22:23], s[6:7], 2
	v_lshrrev_b32_e32 v26, 3, v0
	s_add_u32 s2, s12, s22
	v_lshlrev_b32_e32 v25, 3, v24
	s_addc_u32 s5, s13, s23
	s_lshl_b64 s[8:9], s[8:9], 2
	ds_load_2addr_b64 v[13:16], v25 offset1:1
	ds_load_2addr_b64 v[9:12], v25 offset0:2 offset1:3
	ds_load_2addr_b64 v[5:8], v25 offset0:4 offset1:5
	;; [unrolled: 1-line block ×3, first 2 shown]
	s_add_u32 s2, s2, s8
	s_addc_u32 s5, s5, s9
	s_and_b32 vcc_lo, exec_lo, s20
	s_mov_b32 s8, -1
	s_waitcnt lgkmcnt(0)
	s_barrier
	buffer_gl0_inv
	s_cbranch_vccz .LBB715_22
; %bb.21:
	v_lshlrev_b32_e32 v36, 2, v0
	v_lshrrev_b32_e32 v38, 3, v21
	v_lshrrev_b32_e32 v39, 3, v20
	;; [unrolled: 1-line block ×4, first 2 shown]
	v_add_co_u32 v27, s8, s2, v36
	s_delay_alu instid0(VALU_DEP_1) | instskip(SKIP_1) | instid1(VALU_DEP_3)
	v_add_co_ci_u32_e64 v28, null, s5, 0, s8
	v_lshrrev_b32_e32 v42, 3, v18
	v_add_co_u32 v30, vcc_lo, 0x1000, v27
	s_delay_alu instid0(VALU_DEP_3)
	v_add_co_ci_u32_e32 v31, vcc_lo, 0, v28, vcc_lo
	v_add_co_u32 v32, vcc_lo, 0x2000, v27
	v_add_co_ci_u32_e32 v33, vcc_lo, 0, v28, vcc_lo
	v_add_co_u32 v34, vcc_lo, 0x3000, v27
	v_add_co_ci_u32_e32 v35, vcc_lo, 0, v28, vcc_lo
	s_clause 0x7
	flat_load_b32 v37, v[27:28]
	flat_load_b32 v27, v[27:28] offset:2048
	flat_load_b32 v28, v[30:31]
	flat_load_b32 v30, v[30:31] offset:2048
	flat_load_b32 v31, v[32:33]
	flat_load_b32 v32, v[32:33] offset:2048
	flat_load_b32 v33, v[34:35]
	flat_load_b32 v34, v[34:35] offset:2048
	v_and_b32_e32 v35, 60, v26
	v_lshrrev_b32_e32 v43, 3, v17
	v_lshrrev_b32_e32 v44, 3, v19
	v_and_b32_e32 v38, 0x7c, v38
	v_and_b32_e32 v39, 0xbc, v39
	;; [unrolled: 1-line block ×4, first 2 shown]
	v_add_nc_u32_e32 v35, v35, v36
	v_and_b32_e32 v42, 0x17c, v42
	v_and_b32_e32 v43, 0x1bc, v43
	;; [unrolled: 1-line block ×3, first 2 shown]
	v_add_nc_u32_e32 v38, v38, v36
	v_add_nc_u32_e32 v39, v39, v36
	;; [unrolled: 1-line block ×4, first 2 shown]
	s_mov_b32 s8, 0
	v_add_nc_u32_e32 v42, v42, v36
	v_add_nc_u32_e32 v43, v43, v36
	;; [unrolled: 1-line block ×3, first 2 shown]
	s_waitcnt vmcnt(7) lgkmcnt(7)
	ds_store_b32 v35, v37
	s_waitcnt vmcnt(6) lgkmcnt(7)
	ds_store_b32 v38, v27 offset:2048
	s_waitcnt vmcnt(5) lgkmcnt(7)
	ds_store_b32 v39, v28 offset:4096
	;; [unrolled: 2-line block ×7, first 2 shown]
	s_waitcnt lgkmcnt(0)
	s_barrier
.LBB715_22:
	s_and_not1_b32 vcc_lo, exec_lo, s8
	s_cbranch_vccnz .LBB715_40
; %bb.23:
	s_mov_b32 s8, exec_lo
                                        ; implicit-def: $vgpr27
	v_cmpx_gt_u32_e64 s18, v0
	s_cbranch_execz .LBB715_25
; %bb.24:
	v_lshlrev_b32_e32 v27, 2, v0
	s_delay_alu instid0(VALU_DEP_1) | instskip(NEXT) | instid1(VALU_DEP_1)
	v_add_co_u32 v27, s9, s2, v27
	v_add_co_ci_u32_e64 v28, null, s5, 0, s9
	flat_load_b32 v27, v[27:28]
.LBB715_25:
	s_or_b32 exec_lo, exec_lo, s8
	s_delay_alu instid0(SALU_CYCLE_1)
	s_mov_b32 s8, exec_lo
                                        ; implicit-def: $vgpr28
	v_cmpx_gt_u32_e64 s18, v21
	s_cbranch_execz .LBB715_27
; %bb.26:
	v_lshlrev_b32_e32 v28, 2, v0
	s_delay_alu instid0(VALU_DEP_1) | instskip(NEXT) | instid1(VALU_DEP_1)
	v_add_co_u32 v30, s9, s2, v28
	v_add_co_ci_u32_e64 v31, null, s5, 0, s9
	flat_load_b32 v28, v[30:31] offset:2048
.LBB715_27:
	s_or_b32 exec_lo, exec_lo, s8
	s_delay_alu instid0(SALU_CYCLE_1)
	s_mov_b32 s8, exec_lo
                                        ; implicit-def: $vgpr30
	v_cmpx_gt_u32_e64 s18, v20
	s_cbranch_execz .LBB715_29
; %bb.28:
	v_lshlrev_b32_e32 v30, 2, v20
	s_delay_alu instid0(VALU_DEP_1) | instskip(NEXT) | instid1(VALU_DEP_1)
	v_add_co_u32 v30, s9, s2, v30
	v_add_co_ci_u32_e64 v31, null, s5, 0, s9
	flat_load_b32 v30, v[30:31]
.LBB715_29:
	s_or_b32 exec_lo, exec_lo, s8
	s_delay_alu instid0(SALU_CYCLE_1)
	s_mov_b32 s8, exec_lo
                                        ; implicit-def: $vgpr31
	v_cmpx_gt_u32_e64 s18, v23
	s_cbranch_execz .LBB715_31
; %bb.30:
	v_lshlrev_b32_e32 v31, 2, v23
	s_delay_alu instid0(VALU_DEP_1) | instskip(NEXT) | instid1(VALU_DEP_1)
	v_add_co_u32 v31, s9, s2, v31
	v_add_co_ci_u32_e64 v32, null, s5, 0, s9
	flat_load_b32 v31, v[31:32]
.LBB715_31:
	s_or_b32 exec_lo, exec_lo, s8
	s_delay_alu instid0(SALU_CYCLE_1)
	s_mov_b32 s8, exec_lo
                                        ; implicit-def: $vgpr32
	v_cmpx_gt_u32_e64 s18, v22
	s_cbranch_execz .LBB715_33
; %bb.32:
	v_lshlrev_b32_e32 v32, 2, v22
	s_delay_alu instid0(VALU_DEP_1) | instskip(NEXT) | instid1(VALU_DEP_1)
	v_add_co_u32 v32, s9, s2, v32
	v_add_co_ci_u32_e64 v33, null, s5, 0, s9
	flat_load_b32 v32, v[32:33]
.LBB715_33:
	s_or_b32 exec_lo, exec_lo, s8
	s_delay_alu instid0(SALU_CYCLE_1)
	s_mov_b32 s8, exec_lo
                                        ; implicit-def: $vgpr33
	v_cmpx_gt_u32_e64 s18, v18
	s_cbranch_execz .LBB715_35
; %bb.34:
	v_lshlrev_b32_e32 v33, 2, v18
	s_delay_alu instid0(VALU_DEP_1) | instskip(NEXT) | instid1(VALU_DEP_1)
	v_add_co_u32 v33, s9, s2, v33
	v_add_co_ci_u32_e64 v34, null, s5, 0, s9
	flat_load_b32 v33, v[33:34]
.LBB715_35:
	s_or_b32 exec_lo, exec_lo, s8
	s_delay_alu instid0(SALU_CYCLE_1)
	s_mov_b32 s8, exec_lo
                                        ; implicit-def: $vgpr34
	v_cmpx_gt_u32_e64 s18, v17
	s_cbranch_execz .LBB715_37
; %bb.36:
	v_lshlrev_b32_e32 v34, 2, v17
	s_delay_alu instid0(VALU_DEP_1) | instskip(NEXT) | instid1(VALU_DEP_1)
	v_add_co_u32 v34, s9, s2, v34
	v_add_co_ci_u32_e64 v35, null, s5, 0, s9
	flat_load_b32 v34, v[34:35]
.LBB715_37:
	s_or_b32 exec_lo, exec_lo, s8
	s_delay_alu instid0(SALU_CYCLE_1)
	s_mov_b32 s8, exec_lo
                                        ; implicit-def: $vgpr35
	v_cmpx_gt_u32_e64 s18, v19
	s_cbranch_execz .LBB715_39
; %bb.38:
	v_lshlrev_b32_e32 v35, 2, v19
	s_delay_alu instid0(VALU_DEP_1) | instskip(NEXT) | instid1(VALU_DEP_1)
	v_add_co_u32 v35, s2, s2, v35
	v_add_co_ci_u32_e64 v36, null, s5, 0, s2
	flat_load_b32 v35, v[35:36]
.LBB715_39:
	s_or_b32 exec_lo, exec_lo, s8
	v_lshrrev_b32_e32 v21, 3, v21
	v_lshrrev_b32_e32 v20, 3, v20
	;; [unrolled: 1-line block ×4, first 2 shown]
	v_and_b32_e32 v26, 60, v26
	v_lshlrev_b32_e32 v36, 2, v0
	v_lshrrev_b32_e32 v18, 3, v18
	v_lshrrev_b32_e32 v17, 3, v17
	;; [unrolled: 1-line block ×3, first 2 shown]
	v_and_b32_e32 v21, 0x7c, v21
	v_and_b32_e32 v20, 0xfc, v20
	;; [unrolled: 1-line block ×4, first 2 shown]
	v_add_nc_u32_e32 v26, v26, v36
	v_and_b32_e32 v18, 0x1fc, v18
	v_and_b32_e32 v17, 0x1fc, v17
	;; [unrolled: 1-line block ×3, first 2 shown]
	v_add_nc_u32_e32 v21, v21, v36
	v_add_nc_u32_e32 v20, v20, v36
	;; [unrolled: 1-line block ×7, first 2 shown]
	s_waitcnt vmcnt(0) lgkmcnt(0)
	ds_store_b32 v26, v27
	ds_store_b32 v21, v28 offset:2048
	ds_store_b32 v20, v30 offset:4096
	;; [unrolled: 1-line block ×7, first 2 shown]
	s_waitcnt lgkmcnt(0)
	s_barrier
.LBB715_40:
	v_lshlrev_b32_e32 v17, 2, v24
	buffer_gl0_inv
	s_cmp_lg_u32 s15, 0
	s_mov_b32 s9, 0
	s_cselect_b32 s12, -1, 0
	v_sub_nc_u32_e32 v17, v25, v17
	s_cmp_lg_u64 s[6:7], 0
	ds_load_2addr_b32 v[23:24], v17 offset1:1
	ds_load_2addr_b32 v[21:22], v17 offset0:2 offset1:3
	ds_load_2addr_b32 v[19:20], v17 offset0:4 offset1:5
	;; [unrolled: 1-line block ×3, first 2 shown]
	s_cselect_b32 s2, -1, 0
	s_waitcnt lgkmcnt(0)
	s_or_b32 s2, s12, s2
	s_barrier
	s_and_b32 vcc_lo, exec_lo, s2
	buffer_gl0_inv
	s_cbranch_vccz .LBB715_45
; %bb.41:
	v_add_co_u32 v25, s2, -8, s4
	s_delay_alu instid0(VALU_DEP_1)
	v_add_co_ci_u32_e64 v26, null, -1, s3, s2
	s_mov_b32 s3, -1
	s_and_b32 vcc_lo, exec_lo, s20
	flat_load_b64 v[27:28], v[25:26]
	ds_store_b64 v29, v[3:4]
	s_cbranch_vccz .LBB715_46
; %bb.42:
	s_waitcnt vmcnt(0) lgkmcnt(1)
	v_dual_mov_b32 v25, v27 :: v_dual_mov_b32 v26, v28
	s_mov_b32 s3, 0
	s_mov_b32 s2, exec_lo
	s_waitcnt lgkmcnt(0)
	s_barrier
	buffer_gl0_inv
	v_cmpx_ne_u32_e32 0, v0
	s_cbranch_execz .LBB715_44
; %bb.43:
	v_add_nc_u32_e32 v25, -8, v29
	ds_load_b64 v[25:26], v25
.LBB715_44:
	s_or_b32 exec_lo, exec_lo, s2
	v_cmp_ne_u64_e32 vcc_lo, v[1:2], v[3:4]
	s_waitcnt lgkmcnt(0)
	v_cmp_ne_u64_e64 s2, v[25:26], v[13:14]
	v_cndmask_b32_e64 v30, 0, 1, vcc_lo
	v_cmp_ne_u64_e32 vcc_lo, v[7:8], v[1:2]
	s_delay_alu instid0(VALU_DEP_2) | instskip(SKIP_2) | instid1(VALU_DEP_2)
	v_lshlrev_b16 v30, 8, v30
	v_cndmask_b32_e64 v31, 0, 1, vcc_lo
	v_cmp_ne_u64_e32 vcc_lo, v[5:6], v[7:8]
	v_or_b32_e32 v30, v31, v30
	v_cndmask_b32_e64 v32, 0, 1, vcc_lo
	v_cmp_ne_u64_e32 vcc_lo, v[9:10], v[11:12]
	s_delay_alu instid0(VALU_DEP_3) | instskip(NEXT) | instid1(VALU_DEP_3)
	v_lshlrev_b32_e32 v30, 16, v30
	v_lshlrev_b16 v32, 8, v32
	v_cndmask_b32_e64 v33, 0, 1, vcc_lo
	v_cmp_ne_u64_e32 vcc_lo, v[11:12], v[5:6]
	s_delay_alu instid0(VALU_DEP_2) | instskip(SKIP_2) | instid1(VALU_DEP_2)
	v_lshlrev_b16 v33, 8, v33
	v_cndmask_b32_e64 v34, 0, 1, vcc_lo
	v_cmp_ne_u64_e32 vcc_lo, v[15:16], v[9:10]
	v_or_b32_e32 v32, v34, v32
	v_cndmask_b32_e64 v35, 0, 1, vcc_lo
	v_cmp_ne_u64_e32 vcc_lo, v[13:14], v[15:16]
	s_delay_alu instid0(VALU_DEP_3) | instskip(NEXT) | instid1(VALU_DEP_3)
	v_and_b32_e32 v32, 0xffff, v32
	v_or_b32_e32 v33, v35, v33
	v_cndmask_b32_e64 v36, 0, 1, vcc_lo
	s_delay_alu instid0(VALU_DEP_3) | instskip(NEXT) | instid1(VALU_DEP_3)
	v_or_b32_e32 v26, v32, v30
	v_lshlrev_b32_e32 v31, 16, v33
	s_delay_alu instid0(VALU_DEP_3) | instskip(NEXT) | instid1(VALU_DEP_1)
	v_lshlrev_b16 v35, 8, v36
	v_and_b32_e32 v33, 0xffff, v35
	s_delay_alu instid0(VALU_DEP_1)
	v_or_b32_e32 v25, v33, v31
	s_and_b32 vcc_lo, exec_lo, s3
	s_cbranch_vccnz .LBB715_47
	s_branch .LBB715_50
.LBB715_45:
                                        ; implicit-def: $sgpr2
                                        ; implicit-def: $vgpr26
	s_branch .LBB715_51
.LBB715_46:
                                        ; implicit-def: $sgpr2
                                        ; implicit-def: $vgpr26
	s_and_b32 vcc_lo, exec_lo, s3
	s_cbranch_vccz .LBB715_50
.LBB715_47:
	s_mov_b32 s2, exec_lo
	s_waitcnt vmcnt(0) lgkmcnt(0)
	s_barrier
	buffer_gl0_inv
	v_cmpx_ne_u32_e32 0, v0
	s_cbranch_execz .LBB715_49
; %bb.48:
	v_add_nc_u32_e32 v25, -8, v29
	ds_load_b64 v[27:28], v25
.LBB715_49:
	s_or_b32 exec_lo, exec_lo, s2
	v_or_b32_e32 v25, 7, v29
	v_or_b32_e32 v26, 6, v29
	v_cmp_ne_u64_e32 vcc_lo, v[1:2], v[3:4]
	v_or_b32_e32 v30, 5, v29
	v_cmp_ne_u64_e64 s3, v[7:8], v[1:2]
	v_cmp_gt_u32_e64 s2, s18, v25
	v_cmp_gt_u32_e64 s4, s18, v26
	v_cmp_ne_u64_e64 s5, v[5:6], v[7:8]
	v_cmp_gt_u32_e64 s6, s18, v30
	v_or_b32_e32 v30, 3, v29
	s_and_b32 s2, s2, vcc_lo
	v_or_b32_e32 v31, 4, v29
	v_cndmask_b32_e64 v25, 0, 1, s2
	s_and_b32 s2, s4, s3
	v_cmp_ne_u64_e32 vcc_lo, v[9:10], v[11:12]
	v_cndmask_b32_e64 v26, 0, 1, s2
	s_and_b32 s2, s6, s5
	v_cmp_gt_u32_e64 s3, s18, v31
	v_cndmask_b32_e64 v32, 0, 1, s2
	v_cmp_gt_u32_e64 s2, s18, v30
	v_or_b32_e32 v30, 2, v29
	v_or_b32_e32 v31, 1, v29
	v_cmp_ne_u64_e64 s4, v[11:12], v[5:6]
	v_cmp_ne_u64_e64 s6, v[13:14], v[15:16]
	s_and_b32 s2, s2, vcc_lo
	v_cmp_ne_u64_e32 vcc_lo, v[15:16], v[9:10]
	v_cndmask_b32_e64 v33, 0, 1, s2
	v_cmp_gt_u32_e64 s2, s18, v30
	v_cmp_gt_u32_e64 s5, s18, v31
	s_and_b32 s3, s3, s4
	v_lshlrev_b16 v32, 8, v32
	v_cndmask_b32_e64 v30, 0, 1, s3
	s_and_b32 s2, s2, vcc_lo
	v_lshlrev_b16 v33, 8, v33
	v_cndmask_b32_e64 v31, 0, 1, s2
	s_and_b32 s2, s5, s6
	v_lshlrev_b16 v25, 8, v25
	v_cndmask_b32_e64 v34, 0, 1, s2
	v_or_b32_e32 v30, v30, v32
	v_or_b32_e32 v31, v31, v33
	s_waitcnt lgkmcnt(0)
	v_cmp_ne_u64_e32 vcc_lo, v[27:28], v[13:14]
	v_or_b32_e32 v25, v26, v25
	v_lshlrev_b16 v33, 8, v34
	v_and_b32_e32 v30, 0xffff, v30
	v_lshlrev_b32_e32 v26, 16, v31
	v_cmp_gt_u32_e64 s2, s18, v29
	v_lshlrev_b32_e32 v32, 16, v25
	v_and_b32_e32 v31, 0xffff, v33
	s_delay_alu instid0(VALU_DEP_3) | instskip(NEXT) | instid1(VALU_DEP_1)
	s_and_b32 s2, s2, vcc_lo
	v_or_b32_e32 v25, v31, v26
	s_delay_alu instid0(VALU_DEP_3)
	v_or_b32_e32 v26, v30, v32
.LBB715_50:
	s_mov_b32 s9, -1
	s_cbranch_execnz .LBB715_59
.LBB715_51:
	v_cmp_ne_u64_e64 s3, v[1:2], v[3:4]
	v_cmp_ne_u64_e64 s4, v[7:8], v[1:2]
	v_cmp_ne_u64_e64 s5, v[5:6], v[7:8]
	v_cmp_ne_u64_e64 s6, v[11:12], v[5:6]
	v_cmp_ne_u64_e64 s7, v[9:10], v[11:12]
	v_cmp_ne_u64_e64 s2, v[15:16], v[9:10]
	v_cmp_ne_u64_e64 s8, v[13:14], v[15:16]
	s_and_b32 vcc_lo, exec_lo, s20
	ds_store_b64 v29, v[3:4]
	s_cbranch_vccz .LBB715_55
; %bb.52:
	v_cndmask_b32_e64 v25, 0, 1, s3
	s_waitcnt vmcnt(0) lgkmcnt(2)
	v_cndmask_b32_e64 v27, 0, 1, s5
	v_cndmask_b32_e64 v30, 0, 1, s7
	;; [unrolled: 1-line block ×6, first 2 shown]
	v_lshlrev_b16 v27, 8, v27
	v_lshlrev_b16 v25, 8, v25
	;; [unrolled: 1-line block ×4, first 2 shown]
	s_mov_b32 s3, 0
	v_or_b32_e32 v27, v28, v27
	v_or_b32_e32 v25, v26, v25
	;; [unrolled: 1-line block ×4, first 2 shown]
	s_mov_b32 s4, exec_lo
	v_and_b32_e32 v27, 0xffff, v27
	v_lshlrev_b32_e32 v25, 16, v25
	v_lshlrev_b32_e32 v30, 16, v26
	v_and_b32_e32 v28, 0xffff, v28
	s_waitcnt lgkmcnt(0)
	s_barrier
	v_or_b32_e32 v26, v27, v25
	buffer_gl0_inv
	v_or_b32_e32 v25, v28, v30
                                        ; implicit-def: $sgpr2
	v_cmpx_ne_u32_e32 0, v0
	s_xor_b32 s4, exec_lo, s4
	s_cbranch_execz .LBB715_54
; %bb.53:
	v_add_nc_u32_e32 v27, -8, v29
	s_or_b32 s9, s9, exec_lo
	ds_load_b64 v[27:28], v27
	s_waitcnt lgkmcnt(0)
	v_cmp_ne_u64_e32 vcc_lo, v[27:28], v[13:14]
	s_and_b32 s2, vcc_lo, exec_lo
.LBB715_54:
	s_or_b32 exec_lo, exec_lo, s4
	s_delay_alu instid0(SALU_CYCLE_1)
	s_and_b32 vcc_lo, exec_lo, s3
	s_cbranch_vccnz .LBB715_56
	s_branch .LBB715_59
.LBB715_55:
                                        ; implicit-def: $sgpr2
                                        ; implicit-def: $vgpr26
	s_cbranch_execz .LBB715_59
.LBB715_56:
	v_or_b32_e32 v25, 7, v29
	v_or_b32_e32 v26, 6, v29
	v_cmp_ne_u64_e32 vcc_lo, v[1:2], v[3:4]
	v_cmp_ne_u64_e64 s2, v[7:8], v[1:2]
	s_waitcnt vmcnt(0) lgkmcnt(2)
	v_or_b32_e32 v27, 4, v29
	v_cmp_gt_u32_e64 s3, s18, v25
	v_or_b32_e32 v25, 5, v29
	v_cmp_gt_u32_e64 s5, s18, v26
	v_cmp_ne_u64_e64 s4, v[5:6], v[7:8]
	v_cmp_ne_u64_e64 s6, v[11:12], v[5:6]
	s_and_b32 s3, s3, vcc_lo
	v_cmp_gt_u32_e32 vcc_lo, s18, v25
	v_cndmask_b32_e64 v26, 0, 1, s3
	v_cmp_gt_u32_e64 s3, s18, v27
	s_and_b32 s2, s5, s2
	v_or_b32_e32 v28, 3, v29
	v_cndmask_b32_e64 v25, 0, 1, s2
	s_and_b32 s2, vcc_lo, s4
	v_or_b32_e32 v31, 1, v29
	v_cndmask_b32_e64 v27, 0, 1, s2
	s_and_b32 s2, s3, s6
	v_cmp_ne_u64_e32 vcc_lo, v[9:10], v[11:12]
	v_cndmask_b32_e64 v30, 0, 1, s2
	v_cmp_gt_u32_e64 s2, s18, v28
	v_cmp_ne_u64_e64 s3, v[13:14], v[15:16]
	v_or_b32_e32 v32, 2, v29
	v_cmp_gt_u32_e64 s4, s18, v31
	v_cmp_ne_u64_e64 s5, v[15:16], v[9:10]
	s_and_b32 s2, s2, vcc_lo
	v_lshlrev_b16 v27, 8, v27
	v_cmp_gt_u32_e64 s6, s18, v32
	v_cndmask_b32_e64 v28, 0, 1, s2
	s_and_b32 s2, s4, s3
	v_lshlrev_b16 v26, 8, v26
	v_cndmask_b32_e64 v31, 0, 1, s2
	s_and_b32 s2, s6, s5
	v_lshlrev_b16 v28, 8, v28
	v_cndmask_b32_e64 v32, 0, 1, s2
	v_or_b32_e32 v27, v30, v27
	v_lshlrev_b16 v31, 8, v31
	v_or_b32_e32 v25, v25, v26
	s_mov_b32 s3, exec_lo
	v_or_b32_e32 v26, v32, v28
	v_and_b32_e32 v27, 0xffff, v27
	v_or_b32_e32 v28, 1, v31
	v_lshlrev_b32_e32 v25, 16, v25
	s_waitcnt lgkmcnt(0)
	v_lshlrev_b32_e32 v30, 16, v26
	s_barrier
	v_and_b32_e32 v28, 0xffff, v28
	v_or_b32_e32 v26, v27, v25
	buffer_gl0_inv
                                        ; implicit-def: $sgpr2
	v_or_b32_e32 v25, v28, v30
	v_cmpx_ne_u32_e32 0, v0
	s_cbranch_execz .LBB715_58
; %bb.57:
	v_add_nc_u32_e32 v27, -8, v29
	v_cmp_gt_u32_e64 s2, s18, v29
	s_or_b32 s9, s9, exec_lo
	ds_load_b64 v[27:28], v27
	s_waitcnt lgkmcnt(0)
	v_cmp_ne_u64_e32 vcc_lo, v[27:28], v[13:14]
	s_and_b32 s2, s2, vcc_lo
	s_delay_alu instid0(SALU_CYCLE_1)
	s_and_b32 s2, s2, exec_lo
.LBB715_58:
	s_or_b32 exec_lo, exec_lo, s3
.LBB715_59:
	s_and_saveexec_b32 s3, s9
	s_cbranch_execz .LBB715_61
; %bb.60:
	s_waitcnt vmcnt(0) lgkmcnt(1)
	v_and_b32_e32 v27, 0xffffff00, v25
	v_cndmask_b32_e64 v28, 0, 1, s2
	s_delay_alu instid0(VALU_DEP_1) | instskip(NEXT) | instid1(VALU_DEP_1)
	v_or_b32_e32 v27, v28, v27
	v_and_b32_e32 v27, 0xffff, v27
	s_delay_alu instid0(VALU_DEP_1)
	v_and_or_b32 v25, 0xffff0000, v25, v27
.LBB715_61:
	s_or_b32 exec_lo, exec_lo, s3
	s_load_b64 s[8:9], s[0:1], 0x70
	s_and_not1_b32 vcc_lo, exec_lo, s19
	s_cbranch_vccnz .LBB715_63
; %bb.62:
	v_cmp_gt_u32_e32 vcc_lo, s18, v29
	s_waitcnt vmcnt(0) lgkmcnt(0)
	v_or_b32_e32 v28, 1, v29
	v_or_b32_e32 v31, 2, v29
	v_dual_cndmask_b32 v27, 0, v25 :: v_dual_and_b32 v30, 0xffffff00, v26
	s_delay_alu instid0(VALU_DEP_3) | instskip(SKIP_1) | instid1(VALU_DEP_4)
	v_cmp_gt_u32_e32 vcc_lo, s18, v28
	v_or_b32_e32 v28, 4, v29
	v_cmp_gt_u32_e64 s0, s18, v31
	v_or_b32_e32 v31, 3, v29
	v_and_b32_e32 v27, 0xff, v27
	s_delay_alu instid0(VALU_DEP_2) | instskip(NEXT) | instid1(VALU_DEP_2)
	v_cmp_gt_u32_e64 s1, s18, v31
	v_cndmask_b32_e32 v27, v27, v25, vcc_lo
	v_cmp_gt_u32_e32 vcc_lo, s18, v28
	v_cndmask_b32_e32 v28, v30, v26, vcc_lo
	v_or_b32_e32 v30, 5, v29
	s_delay_alu instid0(VALU_DEP_2) | instskip(SKIP_1) | instid1(VALU_DEP_1)
	v_and_b32_e32 v28, 0xffff00ff, v28
	v_and_b32_e32 v27, 0xffff, v27
	v_cndmask_b32_e64 v27, v27, v25, s0
	s_delay_alu instid0(VALU_DEP_4) | instskip(SKIP_2) | instid1(VALU_DEP_4)
	v_cmp_gt_u32_e64 s0, s18, v30
	v_or_b32_e32 v30, 6, v29
	v_or_b32_e32 v29, 7, v29
	v_and_b32_e32 v27, 0xffffff, v27
	s_delay_alu instid0(VALU_DEP_4) | instskip(NEXT) | instid1(VALU_DEP_2)
	v_cndmask_b32_e64 v28, v28, v26, s0
	v_cndmask_b32_e64 v27, v27, v25, s1
	s_delay_alu instid0(VALU_DEP_1) | instskip(SKIP_1) | instid1(VALU_DEP_2)
	v_dual_cndmask_b32 v27, v27, v25 :: v_dual_and_b32 v28, 0xff00ffff, v28
	v_cmp_gt_u32_e32 vcc_lo, s18, v30
	v_cndmask_b32_e64 v27, v27, v25, s0
	s_delay_alu instid0(VALU_DEP_1) | instskip(NEXT) | instid1(VALU_DEP_1)
	v_dual_cndmask_b32 v28, v28, v26 :: v_dual_cndmask_b32 v27, v27, v25
	v_and_b32_e32 v28, 0xffffff, v28
	v_cmp_gt_u32_e32 vcc_lo, s18, v29
	s_delay_alu instid0(VALU_DEP_2)
	v_dual_cndmask_b32 v26, v28, v26 :: v_dual_cndmask_b32 v25, v27, v25
.LBB715_63:
	s_delay_alu instid0(VALU_DEP_1) | instskip(SKIP_1) | instid1(VALU_DEP_2)
	v_and_b32_e32 v36, 0xff, v25
	s_waitcnt vmcnt(0) lgkmcnt(0)
	v_alignbit_b32 v27, v26, v25, 24
	v_bfe_u32 v37, v25, 8, 8
	v_bfe_u32 v38, v25, 16, 8
	v_and_b32_e32 v40, 0xff, v26
	v_bfe_u32 v41, v26, 8, 8
	v_and_b32_e32 v39, 0xff, v27
	v_add_nc_u32_e32 v27, v37, v36
	v_mbcnt_lo_u32_b32 v43, -1, 0
	v_bfe_u32 v42, v26, 16, 8
	v_lshrrev_b32_e32 v35, 24, v26
	v_lshrrev_b32_e32 v44, 5, v0
	v_add3_u32 v27, v27, v38, v39
	v_and_b32_e32 v28, 15, v43
	v_and_b32_e32 v29, 16, v43
	s_and_b32 vcc_lo, exec_lo, s12
	s_mov_b32 s6, -1
	v_add3_u32 v27, v27, v40, v41
	v_cmp_eq_u32_e64 s2, 0, v28
	v_cmp_lt_u32_e64 s0, 1, v28
	v_cmp_lt_u32_e64 s3, 3, v28
	;; [unrolled: 1-line block ×3, first 2 shown]
	v_add3_u32 v45, v27, v42, v35
	v_or_b32_e32 v27, 31, v0
	v_cmp_eq_u32_e64 s5, 0, v29
	s_barrier
	buffer_gl0_inv
	v_cmp_eq_u32_e64 s4, v27, v0
	s_cbranch_vccz .LBB715_94
; %bb.64:
	v_mov_b32_dpp v27, v45 row_shr:1 row_mask:0xf bank_mask:0xf
	s_delay_alu instid0(VALU_DEP_1) | instskip(NEXT) | instid1(VALU_DEP_1)
	v_cndmask_b32_e64 v27, v27, 0, s2
	v_add_nc_u32_e32 v27, v27, v45
	s_delay_alu instid0(VALU_DEP_1) | instskip(NEXT) | instid1(VALU_DEP_1)
	v_mov_b32_dpp v28, v27 row_shr:2 row_mask:0xf bank_mask:0xf
	v_cndmask_b32_e64 v28, 0, v28, s0
	s_delay_alu instid0(VALU_DEP_1) | instskip(NEXT) | instid1(VALU_DEP_1)
	v_add_nc_u32_e32 v27, v27, v28
	v_mov_b32_dpp v28, v27 row_shr:4 row_mask:0xf bank_mask:0xf
	s_delay_alu instid0(VALU_DEP_1) | instskip(NEXT) | instid1(VALU_DEP_1)
	v_cndmask_b32_e64 v28, 0, v28, s3
	v_add_nc_u32_e32 v27, v27, v28
	s_delay_alu instid0(VALU_DEP_1) | instskip(NEXT) | instid1(VALU_DEP_1)
	v_mov_b32_dpp v28, v27 row_shr:8 row_mask:0xf bank_mask:0xf
	v_cndmask_b32_e64 v28, 0, v28, s1
	s_delay_alu instid0(VALU_DEP_1) | instskip(SKIP_3) | instid1(VALU_DEP_1)
	v_add_nc_u32_e32 v27, v27, v28
	ds_swizzle_b32 v28, v27 offset:swizzle(BROADCAST,32,15)
	s_waitcnt lgkmcnt(0)
	v_cndmask_b32_e64 v28, v28, 0, s5
	v_add_nc_u32_e32 v27, v27, v28
	s_and_saveexec_b32 s6, s4
	s_cbranch_execz .LBB715_66
; %bb.65:
	v_lshlrev_b32_e32 v28, 2, v44
	ds_store_b32 v28, v27
.LBB715_66:
	s_or_b32 exec_lo, exec_lo, s6
	s_delay_alu instid0(SALU_CYCLE_1)
	s_mov_b32 s6, exec_lo
	s_waitcnt lgkmcnt(0)
	s_barrier
	buffer_gl0_inv
	v_cmpx_gt_u32_e32 16, v0
	s_cbranch_execz .LBB715_68
; %bb.67:
	v_lshlrev_b32_e32 v28, 2, v0
	ds_load_b32 v29, v28
	s_waitcnt lgkmcnt(0)
	v_mov_b32_dpp v30, v29 row_shr:1 row_mask:0xf bank_mask:0xf
	s_delay_alu instid0(VALU_DEP_1) | instskip(NEXT) | instid1(VALU_DEP_1)
	v_cndmask_b32_e64 v30, v30, 0, s2
	v_add_nc_u32_e32 v29, v30, v29
	s_delay_alu instid0(VALU_DEP_1) | instskip(NEXT) | instid1(VALU_DEP_1)
	v_mov_b32_dpp v30, v29 row_shr:2 row_mask:0xf bank_mask:0xf
	v_cndmask_b32_e64 v30, 0, v30, s0
	s_delay_alu instid0(VALU_DEP_1) | instskip(NEXT) | instid1(VALU_DEP_1)
	v_add_nc_u32_e32 v29, v29, v30
	v_mov_b32_dpp v30, v29 row_shr:4 row_mask:0xf bank_mask:0xf
	s_delay_alu instid0(VALU_DEP_1) | instskip(NEXT) | instid1(VALU_DEP_1)
	v_cndmask_b32_e64 v30, 0, v30, s3
	v_add_nc_u32_e32 v29, v29, v30
	s_delay_alu instid0(VALU_DEP_1) | instskip(NEXT) | instid1(VALU_DEP_1)
	v_mov_b32_dpp v30, v29 row_shr:8 row_mask:0xf bank_mask:0xf
	v_cndmask_b32_e64 v30, 0, v30, s1
	s_delay_alu instid0(VALU_DEP_1)
	v_add_nc_u32_e32 v29, v29, v30
	ds_store_b32 v28, v29
.LBB715_68:
	s_or_b32 exec_lo, exec_lo, s6
	v_cmp_gt_u32_e32 vcc_lo, 32, v0
	s_mov_b32 s7, exec_lo
	s_waitcnt lgkmcnt(0)
	s_barrier
	buffer_gl0_inv
                                        ; implicit-def: $vgpr46
	v_cmpx_lt_u32_e32 31, v0
	s_cbranch_execz .LBB715_70
; %bb.69:
	v_lshl_add_u32 v28, v44, 2, -4
	ds_load_b32 v46, v28
	s_waitcnt lgkmcnt(0)
	v_add_nc_u32_e32 v27, v46, v27
.LBB715_70:
	s_or_b32 exec_lo, exec_lo, s7
	v_add_nc_u32_e32 v28, -1, v43
	s_delay_alu instid0(VALU_DEP_1) | instskip(NEXT) | instid1(VALU_DEP_1)
	v_cmp_gt_i32_e64 s6, 0, v28
	v_cndmask_b32_e64 v28, v28, v43, s6
	v_cmp_eq_u32_e64 s6, 0, v43
	s_delay_alu instid0(VALU_DEP_2)
	v_lshlrev_b32_e32 v28, 2, v28
	ds_bpermute_b32 v47, v28, v27
	s_and_saveexec_b32 s7, vcc_lo
	s_cbranch_execz .LBB715_93
; %bb.71:
	v_mov_b32_e32 v31, 0
	ds_load_b32 v27, v31 offset:60
	s_and_saveexec_b32 s12, s6
	s_cbranch_execz .LBB715_73
; %bb.72:
	s_add_i32 s18, s15, 32
	s_mov_b32 s19, 0
	v_mov_b32_e32 v28, 1
	s_lshl_b64 s[18:19], s[18:19], 3
	s_delay_alu instid0(SALU_CYCLE_1)
	s_add_u32 s18, s8, s18
	s_addc_u32 s19, s9, s19
	s_waitcnt lgkmcnt(0)
	global_store_b64 v31, v[27:28], s[18:19]
.LBB715_73:
	s_or_b32 exec_lo, exec_lo, s12
	v_xad_u32 v29, v43, -1, s15
	s_mov_b32 s13, 0
	s_mov_b32 s12, exec_lo
	s_delay_alu instid0(VALU_DEP_1) | instskip(NEXT) | instid1(VALU_DEP_1)
	v_add_nc_u32_e32 v30, 32, v29
	v_lshlrev_b64 v[30:31], 3, v[30:31]
	s_delay_alu instid0(VALU_DEP_1) | instskip(NEXT) | instid1(VALU_DEP_2)
	v_add_co_u32 v33, vcc_lo, s8, v30
	v_add_co_ci_u32_e32 v34, vcc_lo, s9, v31, vcc_lo
	global_load_b64 v[31:32], v[33:34], off glc
	s_waitcnt vmcnt(0)
	v_and_b32_e32 v28, 0xff, v32
	s_delay_alu instid0(VALU_DEP_1)
	v_cmpx_eq_u16_e32 0, v28
	s_cbranch_execz .LBB715_79
; %bb.74:
	s_mov_b32 s18, 1
	.p2align	6
.LBB715_75:                             ; =>This Loop Header: Depth=1
                                        ;     Child Loop BB715_76 Depth 2
	s_delay_alu instid0(SALU_CYCLE_1)
	s_max_u32 s19, s18, 1
.LBB715_76:                             ;   Parent Loop BB715_75 Depth=1
                                        ; =>  This Inner Loop Header: Depth=2
	s_delay_alu instid0(SALU_CYCLE_1)
	s_add_i32 s19, s19, -1
	s_sleep 1
	s_cmp_eq_u32 s19, 0
	s_cbranch_scc0 .LBB715_76
; %bb.77:                               ;   in Loop: Header=BB715_75 Depth=1
	global_load_b64 v[31:32], v[33:34], off glc
	s_cmp_lt_u32 s18, 32
	s_cselect_b32 s19, -1, 0
	s_delay_alu instid0(SALU_CYCLE_1) | instskip(SKIP_3) | instid1(VALU_DEP_1)
	s_cmp_lg_u32 s19, 0
	s_addc_u32 s18, s18, 0
	s_waitcnt vmcnt(0)
	v_and_b32_e32 v28, 0xff, v32
	v_cmp_ne_u16_e32 vcc_lo, 0, v28
	s_or_b32 s13, vcc_lo, s13
	s_delay_alu instid0(SALU_CYCLE_1)
	s_and_not1_b32 exec_lo, exec_lo, s13
	s_cbranch_execnz .LBB715_75
; %bb.78:
	s_or_b32 exec_lo, exec_lo, s13
.LBB715_79:
	s_delay_alu instid0(SALU_CYCLE_1)
	s_or_b32 exec_lo, exec_lo, s12
	v_cmp_ne_u32_e32 vcc_lo, 31, v43
	v_lshlrev_b32_e64 v49, v43, -1
	v_add_nc_u32_e32 v51, 2, v43
	v_add_nc_u32_e32 v53, 4, v43
	;; [unrolled: 1-line block ×3, first 2 shown]
	v_add_co_ci_u32_e32 v28, vcc_lo, 0, v43, vcc_lo
	v_add_nc_u32_e32 v57, 16, v43
	s_delay_alu instid0(VALU_DEP_2)
	v_lshlrev_b32_e32 v48, 2, v28
	v_and_b32_e32 v28, 0xff, v32
	ds_bpermute_b32 v30, v48, v31
	v_cmp_eq_u16_e32 vcc_lo, 2, v28
	v_and_or_b32 v28, vcc_lo, v49, 0x80000000
	v_cmp_gt_u32_e32 vcc_lo, 30, v43
	s_delay_alu instid0(VALU_DEP_2) | instskip(SKIP_1) | instid1(VALU_DEP_2)
	v_ctz_i32_b32_e32 v28, v28
	v_cndmask_b32_e64 v33, 0, 1, vcc_lo
	v_cmp_lt_u32_e32 vcc_lo, v43, v28
	s_waitcnt lgkmcnt(0)
	s_delay_alu instid0(VALU_DEP_2) | instskip(NEXT) | instid1(VALU_DEP_1)
	v_dual_cndmask_b32 v30, 0, v30 :: v_dual_lshlrev_b32 v33, 1, v33
	v_add_lshl_u32 v50, v33, v43, 2
	v_cmp_gt_u32_e32 vcc_lo, 28, v43
	s_delay_alu instid0(VALU_DEP_3) | instskip(SKIP_4) | instid1(VALU_DEP_1)
	v_add_nc_u32_e32 v30, v30, v31
	v_cndmask_b32_e64 v33, 0, 1, vcc_lo
	v_cmp_le_u32_e32 vcc_lo, v51, v28
	ds_bpermute_b32 v31, v50, v30
	v_lshlrev_b32_e32 v33, 2, v33
	v_add_lshl_u32 v52, v33, v43, 2
	s_waitcnt lgkmcnt(0)
	v_cndmask_b32_e32 v31, 0, v31, vcc_lo
	v_cmp_gt_u32_e32 vcc_lo, 24, v43
	s_delay_alu instid0(VALU_DEP_2) | instskip(SKIP_4) | instid1(VALU_DEP_1)
	v_add_nc_u32_e32 v30, v30, v31
	v_cndmask_b32_e64 v33, 0, 1, vcc_lo
	v_cmp_le_u32_e32 vcc_lo, v53, v28
	ds_bpermute_b32 v31, v52, v30
	v_lshlrev_b32_e32 v33, 3, v33
	v_add_lshl_u32 v54, v33, v43, 2
	s_waitcnt lgkmcnt(0)
	v_cndmask_b32_e32 v31, 0, v31, vcc_lo
	v_cmp_gt_u32_e32 vcc_lo, 16, v43
	s_delay_alu instid0(VALU_DEP_2) | instskip(SKIP_4) | instid1(VALU_DEP_1)
	v_add_nc_u32_e32 v30, v30, v31
	v_cndmask_b32_e64 v33, 0, 1, vcc_lo
	v_cmp_le_u32_e32 vcc_lo, v55, v28
	ds_bpermute_b32 v31, v54, v30
	v_lshlrev_b32_e32 v33, 4, v33
	v_add_lshl_u32 v56, v33, v43, 2
	s_waitcnt lgkmcnt(0)
	v_cndmask_b32_e32 v31, 0, v31, vcc_lo
	v_cmp_le_u32_e32 vcc_lo, v57, v28
	s_delay_alu instid0(VALU_DEP_2) | instskip(SKIP_3) | instid1(VALU_DEP_1)
	v_add_nc_u32_e32 v30, v30, v31
	ds_bpermute_b32 v31, v56, v30
	s_waitcnt lgkmcnt(0)
	v_cndmask_b32_e32 v28, 0, v31, vcc_lo
	v_dual_mov_b32 v30, 0 :: v_dual_add_nc_u32 v31, v30, v28
	s_branch .LBB715_81
.LBB715_80:                             ;   in Loop: Header=BB715_81 Depth=1
	s_or_b32 exec_lo, exec_lo, s12
	ds_bpermute_b32 v34, v48, v31
	v_and_b32_e32 v33, 0xff, v32
	v_subrev_nc_u32_e32 v29, 32, v29
	s_delay_alu instid0(VALU_DEP_2) | instskip(SKIP_1) | instid1(VALU_DEP_1)
	v_cmp_eq_u16_e32 vcc_lo, 2, v33
	v_and_or_b32 v33, vcc_lo, v49, 0x80000000
	v_ctz_i32_b32_e32 v33, v33
	s_delay_alu instid0(VALU_DEP_1) | instskip(SKIP_3) | instid1(VALU_DEP_2)
	v_cmp_lt_u32_e32 vcc_lo, v43, v33
	s_waitcnt lgkmcnt(0)
	v_cndmask_b32_e32 v34, 0, v34, vcc_lo
	v_cmp_le_u32_e32 vcc_lo, v51, v33
	v_add_nc_u32_e32 v31, v34, v31
	ds_bpermute_b32 v34, v50, v31
	s_waitcnt lgkmcnt(0)
	v_cndmask_b32_e32 v34, 0, v34, vcc_lo
	v_cmp_le_u32_e32 vcc_lo, v53, v33
	s_delay_alu instid0(VALU_DEP_2) | instskip(SKIP_4) | instid1(VALU_DEP_2)
	v_add_nc_u32_e32 v31, v31, v34
	ds_bpermute_b32 v34, v52, v31
	s_waitcnt lgkmcnt(0)
	v_cndmask_b32_e32 v34, 0, v34, vcc_lo
	v_cmp_le_u32_e32 vcc_lo, v55, v33
	v_add_nc_u32_e32 v31, v31, v34
	ds_bpermute_b32 v34, v54, v31
	s_waitcnt lgkmcnt(0)
	v_cndmask_b32_e32 v34, 0, v34, vcc_lo
	v_cmp_le_u32_e32 vcc_lo, v57, v33
	s_delay_alu instid0(VALU_DEP_2) | instskip(SKIP_3) | instid1(VALU_DEP_1)
	v_add_nc_u32_e32 v31, v31, v34
	ds_bpermute_b32 v34, v56, v31
	s_waitcnt lgkmcnt(0)
	v_cndmask_b32_e32 v33, 0, v34, vcc_lo
	v_add3_u32 v31, v33, v28, v31
.LBB715_81:                             ; =>This Loop Header: Depth=1
                                        ;     Child Loop BB715_84 Depth 2
                                        ;       Child Loop BB715_85 Depth 3
	v_and_b32_e32 v28, 0xff, v32
	s_delay_alu instid0(VALU_DEP_1) | instskip(SKIP_2) | instid1(VALU_DEP_1)
	v_cmp_ne_u16_e32 vcc_lo, 2, v28
	v_cndmask_b32_e64 v28, 0, 1, vcc_lo
	;;#ASMSTART
	;;#ASMEND
	v_cmp_ne_u32_e32 vcc_lo, 0, v28
	v_mov_b32_e32 v28, v31
	s_cmp_lg_u32 vcc_lo, exec_lo
	s_cbranch_scc1 .LBB715_88
; %bb.82:                               ;   in Loop: Header=BB715_81 Depth=1
	v_lshlrev_b64 v[31:32], 3, v[29:30]
	s_mov_b32 s12, exec_lo
	s_delay_alu instid0(VALU_DEP_1) | instskip(NEXT) | instid1(VALU_DEP_2)
	v_add_co_u32 v33, vcc_lo, s8, v31
	v_add_co_ci_u32_e32 v34, vcc_lo, s9, v32, vcc_lo
	global_load_b64 v[31:32], v[33:34], off glc
	s_waitcnt vmcnt(0)
	v_and_b32_e32 v58, 0xff, v32
	s_delay_alu instid0(VALU_DEP_1)
	v_cmpx_eq_u16_e32 0, v58
	s_cbranch_execz .LBB715_80
; %bb.83:                               ;   in Loop: Header=BB715_81 Depth=1
	s_mov_b32 s18, 1
	s_mov_b32 s13, 0
	.p2align	6
.LBB715_84:                             ;   Parent Loop BB715_81 Depth=1
                                        ; =>  This Loop Header: Depth=2
                                        ;       Child Loop BB715_85 Depth 3
	s_max_u32 s19, s18, 1
.LBB715_85:                             ;   Parent Loop BB715_81 Depth=1
                                        ;     Parent Loop BB715_84 Depth=2
                                        ; =>    This Inner Loop Header: Depth=3
	s_delay_alu instid0(SALU_CYCLE_1)
	s_add_i32 s19, s19, -1
	s_sleep 1
	s_cmp_eq_u32 s19, 0
	s_cbranch_scc0 .LBB715_85
; %bb.86:                               ;   in Loop: Header=BB715_84 Depth=2
	global_load_b64 v[31:32], v[33:34], off glc
	s_cmp_lt_u32 s18, 32
	s_cselect_b32 s19, -1, 0
	s_delay_alu instid0(SALU_CYCLE_1) | instskip(SKIP_3) | instid1(VALU_DEP_1)
	s_cmp_lg_u32 s19, 0
	s_addc_u32 s18, s18, 0
	s_waitcnt vmcnt(0)
	v_and_b32_e32 v58, 0xff, v32
	v_cmp_ne_u16_e32 vcc_lo, 0, v58
	s_or_b32 s13, vcc_lo, s13
	s_delay_alu instid0(SALU_CYCLE_1)
	s_and_not1_b32 exec_lo, exec_lo, s13
	s_cbranch_execnz .LBB715_84
; %bb.87:                               ;   in Loop: Header=BB715_81 Depth=1
	s_or_b32 exec_lo, exec_lo, s13
	s_branch .LBB715_80
.LBB715_88:                             ;   in Loop: Header=BB715_81 Depth=1
                                        ; implicit-def: $vgpr31
                                        ; implicit-def: $vgpr32
	s_cbranch_execz .LBB715_81
; %bb.89:
	s_and_saveexec_b32 s12, s6
	s_cbranch_execz .LBB715_91
; %bb.90:
	s_add_i32 s18, s15, 32
	s_mov_b32 s19, 0
	v_dual_mov_b32 v30, 2 :: v_dual_add_nc_u32 v29, v28, v27
	s_lshl_b64 s[18:19], s[18:19], 3
	v_mov_b32_e32 v31, 0
	s_add_u32 s18, s8, s18
	s_addc_u32 s19, s9, s19
	global_store_b64 v31, v[29:30], s[18:19]
	ds_store_b64 v31, v[27:28] offset:33792
.LBB715_91:
	s_or_b32 exec_lo, exec_lo, s12
	v_cmp_eq_u32_e32 vcc_lo, 0, v0
	s_and_b32 exec_lo, exec_lo, vcc_lo
	s_cbranch_execz .LBB715_93
; %bb.92:
	v_mov_b32_e32 v27, 0
	ds_store_b32 v27, v28 offset:60
.LBB715_93:
	s_or_b32 exec_lo, exec_lo, s7
	v_mov_b32_e32 v27, 0
	s_waitcnt lgkmcnt(0)
	s_waitcnt_vscnt null, 0x0
	s_barrier
	buffer_gl0_inv
	v_cndmask_b32_e64 v29, v47, v46, s6
	ds_load_b32 v28, v27 offset:60
	v_cmp_ne_u32_e32 vcc_lo, 0, v0
	s_waitcnt lgkmcnt(0)
	s_barrier
	buffer_gl0_inv
	v_cndmask_b32_e32 v29, 0, v29, vcc_lo
	s_delay_alu instid0(VALU_DEP_1) | instskip(NEXT) | instid1(VALU_DEP_1)
	v_add_nc_u32_e32 v49, v28, v29
	v_add_nc_u32_e32 v48, v49, v36
	ds_load_b64 v[27:28], v27 offset:33792
	v_add_nc_u32_e32 v47, v48, v37
	s_delay_alu instid0(VALU_DEP_1) | instskip(NEXT) | instid1(VALU_DEP_1)
	v_add_nc_u32_e32 v46, v47, v38
	v_add_nc_u32_e32 v34, v46, v39
	s_delay_alu instid0(VALU_DEP_1) | instskip(NEXT) | instid1(VALU_DEP_1)
	v_add_nc_u32_e32 v33, v34, v40
	v_add_nc_u32_e32 v32, v33, v41
	s_delay_alu instid0(VALU_DEP_1)
	v_add_nc_u32_e32 v31, v32, v42
	v_lshrrev_b64 v[29:30], 24, v[25:26]
	s_branch .LBB715_104
.LBB715_94:
                                        ; implicit-def: $vgpr31
                                        ; implicit-def: $vgpr32
                                        ; implicit-def: $vgpr33
                                        ; implicit-def: $vgpr34
                                        ; implicit-def: $vgpr46
                                        ; implicit-def: $vgpr47
                                        ; implicit-def: $vgpr48
                                        ; implicit-def: $vgpr49
                                        ; implicit-def: $vgpr28
	v_lshrrev_b64 v[29:30], 24, v[25:26]
	s_and_b32 vcc_lo, exec_lo, s6
	s_cbranch_vccz .LBB715_104
; %bb.95:
	s_waitcnt lgkmcnt(0)
	v_mov_b32_dpp v27, v45 row_shr:1 row_mask:0xf bank_mask:0xf
	s_delay_alu instid0(VALU_DEP_1) | instskip(NEXT) | instid1(VALU_DEP_1)
	v_cndmask_b32_e64 v27, v27, 0, s2
	v_add_nc_u32_e32 v27, v27, v45
	s_delay_alu instid0(VALU_DEP_1) | instskip(NEXT) | instid1(VALU_DEP_1)
	v_mov_b32_dpp v28, v27 row_shr:2 row_mask:0xf bank_mask:0xf
	v_cndmask_b32_e64 v28, 0, v28, s0
	s_delay_alu instid0(VALU_DEP_1) | instskip(NEXT) | instid1(VALU_DEP_1)
	v_add_nc_u32_e32 v27, v27, v28
	v_mov_b32_dpp v28, v27 row_shr:4 row_mask:0xf bank_mask:0xf
	s_delay_alu instid0(VALU_DEP_1) | instskip(NEXT) | instid1(VALU_DEP_1)
	v_cndmask_b32_e64 v28, 0, v28, s3
	v_add_nc_u32_e32 v27, v27, v28
	s_delay_alu instid0(VALU_DEP_1) | instskip(NEXT) | instid1(VALU_DEP_1)
	v_mov_b32_dpp v28, v27 row_shr:8 row_mask:0xf bank_mask:0xf
	v_cndmask_b32_e64 v28, 0, v28, s1
	s_delay_alu instid0(VALU_DEP_1) | instskip(SKIP_3) | instid1(VALU_DEP_1)
	v_add_nc_u32_e32 v27, v27, v28
	ds_swizzle_b32 v28, v27 offset:swizzle(BROADCAST,32,15)
	s_waitcnt lgkmcnt(0)
	v_cndmask_b32_e64 v28, v28, 0, s5
	v_add_nc_u32_e32 v27, v27, v28
	s_and_saveexec_b32 s5, s4
	s_cbranch_execz .LBB715_97
; %bb.96:
	v_lshlrev_b32_e32 v28, 2, v44
	ds_store_b32 v28, v27
.LBB715_97:
	s_or_b32 exec_lo, exec_lo, s5
	s_delay_alu instid0(SALU_CYCLE_1)
	s_mov_b32 s4, exec_lo
	s_waitcnt lgkmcnt(0)
	s_barrier
	buffer_gl0_inv
	v_cmpx_gt_u32_e32 16, v0
	s_cbranch_execz .LBB715_99
; %bb.98:
	v_lshlrev_b32_e32 v28, 2, v0
	ds_load_b32 v30, v28
	s_waitcnt lgkmcnt(0)
	v_mov_b32_dpp v31, v30 row_shr:1 row_mask:0xf bank_mask:0xf
	s_delay_alu instid0(VALU_DEP_1) | instskip(NEXT) | instid1(VALU_DEP_1)
	v_cndmask_b32_e64 v31, v31, 0, s2
	v_add_nc_u32_e32 v30, v31, v30
	s_delay_alu instid0(VALU_DEP_1) | instskip(NEXT) | instid1(VALU_DEP_1)
	v_mov_b32_dpp v31, v30 row_shr:2 row_mask:0xf bank_mask:0xf
	v_cndmask_b32_e64 v31, 0, v31, s0
	s_delay_alu instid0(VALU_DEP_1) | instskip(NEXT) | instid1(VALU_DEP_1)
	v_add_nc_u32_e32 v30, v30, v31
	v_mov_b32_dpp v31, v30 row_shr:4 row_mask:0xf bank_mask:0xf
	s_delay_alu instid0(VALU_DEP_1) | instskip(NEXT) | instid1(VALU_DEP_1)
	v_cndmask_b32_e64 v31, 0, v31, s3
	v_add_nc_u32_e32 v30, v30, v31
	s_delay_alu instid0(VALU_DEP_1) | instskip(NEXT) | instid1(VALU_DEP_1)
	v_mov_b32_dpp v31, v30 row_shr:8 row_mask:0xf bank_mask:0xf
	v_cndmask_b32_e64 v31, 0, v31, s1
	s_delay_alu instid0(VALU_DEP_1)
	v_add_nc_u32_e32 v30, v30, v31
	ds_store_b32 v28, v30
.LBB715_99:
	s_or_b32 exec_lo, exec_lo, s4
	v_mov_b32_e32 v28, 0
	v_mov_b32_e32 v30, 0
	s_mov_b32 s0, exec_lo
	s_waitcnt lgkmcnt(0)
	s_barrier
	buffer_gl0_inv
	v_cmpx_lt_u32_e32 31, v0
	s_cbranch_execz .LBB715_101
; %bb.100:
	v_lshl_add_u32 v30, v44, 2, -4
	ds_load_b32 v30, v30
.LBB715_101:
	s_or_b32 exec_lo, exec_lo, s0
	v_add_nc_u32_e32 v31, -1, v43
	s_waitcnt lgkmcnt(0)
	v_add_nc_u32_e32 v27, v30, v27
	s_delay_alu instid0(VALU_DEP_2) | instskip(SKIP_2) | instid1(VALU_DEP_2)
	v_cmp_gt_i32_e32 vcc_lo, 0, v31
	v_cndmask_b32_e32 v31, v31, v43, vcc_lo
	v_cmp_eq_u32_e32 vcc_lo, 0, v0
	v_lshlrev_b32_e32 v31, 2, v31
	ds_bpermute_b32 v31, v31, v27
	ds_load_b32 v27, v28 offset:60
	s_and_saveexec_b32 s0, vcc_lo
	s_cbranch_execz .LBB715_103
; %bb.102:
	v_mov_b32_e32 v32, 0
	v_mov_b32_e32 v28, 2
	s_waitcnt lgkmcnt(0)
	global_store_b64 v32, v[27:28], s[8:9] offset:256
.LBB715_103:
	s_or_b32 exec_lo, exec_lo, s0
	v_cmp_eq_u32_e64 s0, 0, v43
	s_waitcnt lgkmcnt(0)
	s_waitcnt_vscnt null, 0x0
	s_barrier
	buffer_gl0_inv
	v_cndmask_b32_e64 v28, v31, v30, s0
	s_delay_alu instid0(VALU_DEP_1) | instskip(SKIP_1) | instid1(VALU_DEP_2)
	v_cndmask_b32_e64 v49, v28, 0, vcc_lo
	v_mov_b32_e32 v28, 0
	v_add_nc_u32_e32 v48, v49, v36
	s_delay_alu instid0(VALU_DEP_1) | instskip(NEXT) | instid1(VALU_DEP_1)
	v_add_nc_u32_e32 v47, v48, v37
	v_add_nc_u32_e32 v46, v47, v38
	s_delay_alu instid0(VALU_DEP_1) | instskip(NEXT) | instid1(VALU_DEP_1)
	v_add_nc_u32_e32 v34, v46, v39
	;; [unrolled: 3-line block ×3, first 2 shown]
	v_add_nc_u32_e32 v31, v32, v42
.LBB715_104:
	v_lshrrev_b32_e32 v38, 8, v25
	v_lshrrev_b32_e32 v37, 16, v25
	v_and_b32_e32 v25, 1, v25
	s_waitcnt lgkmcnt(0)
	v_cmp_gt_u32_e32 vcc_lo, 0x201, v27
	v_lshrrev_b32_e32 v36, 8, v26
	v_lshrrev_b32_e32 v30, 16, v26
	v_cmp_lt_u32_e64 s0, 0x200, v27
	v_cmp_eq_u32_e64 s1, 1, v25
	s_cbranch_vccnz .LBB715_122
; %bb.105:
	s_delay_alu instid0(VALU_DEP_1)
	s_and_saveexec_b32 s2, s1
	s_cbranch_execz .LBB715_107
; %bb.106:
	v_sub_nc_u32_e32 v39, v49, v28
	s_delay_alu instid0(VALU_DEP_1)
	v_lshlrev_b32_e32 v39, 3, v39
	ds_store_b64 v39, v[13:14]
.LBB715_107:
	s_or_b32 exec_lo, exec_lo, s2
	v_and_b32_e32 v13, 1, v38
	s_mov_b32 s1, exec_lo
	s_delay_alu instid0(VALU_DEP_1)
	v_cmpx_eq_u32_e32 1, v13
	s_cbranch_execz .LBB715_109
; %bb.108:
	v_sub_nc_u32_e32 v13, v48, v28
	s_delay_alu instid0(VALU_DEP_1)
	v_lshlrev_b32_e32 v13, 3, v13
	ds_store_b64 v13, v[15:16]
.LBB715_109:
	s_or_b32 exec_lo, exec_lo, s1
	v_and_b32_e32 v13, 1, v37
	s_mov_b32 s1, exec_lo
	s_delay_alu instid0(VALU_DEP_1)
	v_cmpx_eq_u32_e32 1, v13
	;; [unrolled: 12-line block ×7, first 2 shown]
	s_cbranch_execz .LBB715_121
; %bb.120:
	v_sub_nc_u32_e32 v1, v31, v28
	s_delay_alu instid0(VALU_DEP_1)
	v_lshlrev_b32_e32 v1, 3, v1
	ds_store_b64 v1, v[3:4]
.LBB715_121:
	s_or_b32 exec_lo, exec_lo, s1
	s_waitcnt lgkmcnt(0)
	s_barrier
	buffer_gl0_inv
.LBB715_122:
	s_delay_alu instid0(VALU_DEP_2)
	s_and_not1_b32 vcc_lo, exec_lo, s0
	s_barrier
	buffer_gl0_inv
	s_cbranch_vccnz .LBB715_141
; %bb.123:
	s_mov_b32 s0, exec_lo
	v_cmpx_eq_u32_e32 1, v25
	s_cbranch_execz .LBB715_125
; %bb.124:
	v_sub_nc_u32_e32 v1, v49, v28
	s_delay_alu instid0(VALU_DEP_1)
	v_lshlrev_b32_e32 v1, 2, v1
	ds_store_b32 v1, v23
.LBB715_125:
	s_or_b32 exec_lo, exec_lo, s0
	v_and_b32_e32 v1, 1, v38
	s_mov_b32 s0, exec_lo
	s_delay_alu instid0(VALU_DEP_1)
	v_cmpx_eq_u32_e32 1, v1
	s_cbranch_execz .LBB715_127
; %bb.126:
	v_sub_nc_u32_e32 v1, v48, v28
	s_delay_alu instid0(VALU_DEP_1)
	v_lshlrev_b32_e32 v1, 2, v1
	ds_store_b32 v1, v24
.LBB715_127:
	s_or_b32 exec_lo, exec_lo, s0
	v_and_b32_e32 v1, 1, v37
	s_mov_b32 s0, exec_lo
	s_delay_alu instid0(VALU_DEP_1)
	;; [unrolled: 12-line block ×7, first 2 shown]
	v_cmpx_eq_u32_e32 1, v1
	s_cbranch_execz .LBB715_139
; %bb.138:
	v_sub_nc_u32_e32 v1, v31, v28
	s_delay_alu instid0(VALU_DEP_1)
	v_lshlrev_b32_e32 v1, 2, v1
	ds_store_b32 v1, v18
.LBB715_139:
	s_or_b32 exec_lo, exec_lo, s0
	s_waitcnt lgkmcnt(0)
	s_barrier
	buffer_gl0_inv
	v_cmp_eq_u32_e32 vcc_lo, 0, v0
	s_and_b32 s0, vcc_lo, s14
	s_delay_alu instid0(SALU_CYCLE_1)
	s_and_saveexec_b32 s1, s0
	s_cbranch_execnz .LBB715_142
.LBB715_140:
	s_endpgm
.LBB715_141:
	v_cmp_eq_u32_e32 vcc_lo, 0, v0
	s_and_b32 s0, vcc_lo, s14
	s_delay_alu instid0(SALU_CYCLE_1)
	s_and_saveexec_b32 s1, s0
	s_cbranch_execz .LBB715_140
.LBB715_142:
	v_add_co_u32 v0, s0, s10, v27
	s_delay_alu instid0(VALU_DEP_1) | instskip(SKIP_1) | instid1(VALU_DEP_3)
	v_add_co_ci_u32_e64 v1, null, s11, 0, s0
	v_mov_b32_e32 v2, 0
	v_add_co_u32 v0, vcc_lo, v0, v28
	s_delay_alu instid0(VALU_DEP_3)
	v_add_co_ci_u32_e32 v1, vcc_lo, 0, v1, vcc_lo
	global_store_b64 v2, v[0:1], s[16:17]
	s_nop 0
	s_sendmsg sendmsg(MSG_DEALLOC_VGPRS)
	s_endpgm
	.section	.rodata,"a",@progbits
	.p2align	6, 0x0
	.amdhsa_kernel _ZN7rocprim17ROCPRIM_400000_NS6detail17trampoline_kernelINS0_14default_configENS1_25partition_config_selectorILNS1_17partition_subalgoE9EyjbEEZZNS1_14partition_implILS5_9ELb0ES3_jN6thrust23THRUST_200600_302600_NS6detail15normal_iteratorINS9_10device_ptrIyEEEENSB_INSC_IjEEEEPNS0_10empty_typeENS0_5tupleIJNS9_16discard_iteratorINS9_11use_defaultEEESH_EEENSJ_IJSM_SI_EEENS0_18inequality_wrapperINS9_8equal_toIyEEEEPmJSH_EEE10hipError_tPvRmT3_T4_T5_T6_T7_T9_mT8_P12ihipStream_tbDpT10_ENKUlT_T0_E_clISt17integral_constantIbLb1EES1C_IbLb0EEEEDaS18_S19_EUlS18_E_NS1_11comp_targetILNS1_3genE9ELNS1_11target_archE1100ELNS1_3gpuE3ELNS1_3repE0EEENS1_30default_config_static_selectorELNS0_4arch9wavefront6targetE0EEEvT1_
		.amdhsa_group_segment_fixed_size 33800
		.amdhsa_private_segment_fixed_size 0
		.amdhsa_kernarg_size 128
		.amdhsa_user_sgpr_count 15
		.amdhsa_user_sgpr_dispatch_ptr 0
		.amdhsa_user_sgpr_queue_ptr 0
		.amdhsa_user_sgpr_kernarg_segment_ptr 1
		.amdhsa_user_sgpr_dispatch_id 0
		.amdhsa_user_sgpr_private_segment_size 0
		.amdhsa_wavefront_size32 1
		.amdhsa_uses_dynamic_stack 0
		.amdhsa_enable_private_segment 0
		.amdhsa_system_sgpr_workgroup_id_x 1
		.amdhsa_system_sgpr_workgroup_id_y 0
		.amdhsa_system_sgpr_workgroup_id_z 0
		.amdhsa_system_sgpr_workgroup_info 0
		.amdhsa_system_vgpr_workitem_id 0
		.amdhsa_next_free_vgpr 59
		.amdhsa_next_free_sgpr 24
		.amdhsa_reserve_vcc 1
		.amdhsa_float_round_mode_32 0
		.amdhsa_float_round_mode_16_64 0
		.amdhsa_float_denorm_mode_32 3
		.amdhsa_float_denorm_mode_16_64 3
		.amdhsa_dx10_clamp 1
		.amdhsa_ieee_mode 1
		.amdhsa_fp16_overflow 0
		.amdhsa_workgroup_processor_mode 1
		.amdhsa_memory_ordered 1
		.amdhsa_forward_progress 0
		.amdhsa_shared_vgpr_count 0
		.amdhsa_exception_fp_ieee_invalid_op 0
		.amdhsa_exception_fp_denorm_src 0
		.amdhsa_exception_fp_ieee_div_zero 0
		.amdhsa_exception_fp_ieee_overflow 0
		.amdhsa_exception_fp_ieee_underflow 0
		.amdhsa_exception_fp_ieee_inexact 0
		.amdhsa_exception_int_div_zero 0
	.end_amdhsa_kernel
	.section	.text._ZN7rocprim17ROCPRIM_400000_NS6detail17trampoline_kernelINS0_14default_configENS1_25partition_config_selectorILNS1_17partition_subalgoE9EyjbEEZZNS1_14partition_implILS5_9ELb0ES3_jN6thrust23THRUST_200600_302600_NS6detail15normal_iteratorINS9_10device_ptrIyEEEENSB_INSC_IjEEEEPNS0_10empty_typeENS0_5tupleIJNS9_16discard_iteratorINS9_11use_defaultEEESH_EEENSJ_IJSM_SI_EEENS0_18inequality_wrapperINS9_8equal_toIyEEEEPmJSH_EEE10hipError_tPvRmT3_T4_T5_T6_T7_T9_mT8_P12ihipStream_tbDpT10_ENKUlT_T0_E_clISt17integral_constantIbLb1EES1C_IbLb0EEEEDaS18_S19_EUlS18_E_NS1_11comp_targetILNS1_3genE9ELNS1_11target_archE1100ELNS1_3gpuE3ELNS1_3repE0EEENS1_30default_config_static_selectorELNS0_4arch9wavefront6targetE0EEEvT1_,"axG",@progbits,_ZN7rocprim17ROCPRIM_400000_NS6detail17trampoline_kernelINS0_14default_configENS1_25partition_config_selectorILNS1_17partition_subalgoE9EyjbEEZZNS1_14partition_implILS5_9ELb0ES3_jN6thrust23THRUST_200600_302600_NS6detail15normal_iteratorINS9_10device_ptrIyEEEENSB_INSC_IjEEEEPNS0_10empty_typeENS0_5tupleIJNS9_16discard_iteratorINS9_11use_defaultEEESH_EEENSJ_IJSM_SI_EEENS0_18inequality_wrapperINS9_8equal_toIyEEEEPmJSH_EEE10hipError_tPvRmT3_T4_T5_T6_T7_T9_mT8_P12ihipStream_tbDpT10_ENKUlT_T0_E_clISt17integral_constantIbLb1EES1C_IbLb0EEEEDaS18_S19_EUlS18_E_NS1_11comp_targetILNS1_3genE9ELNS1_11target_archE1100ELNS1_3gpuE3ELNS1_3repE0EEENS1_30default_config_static_selectorELNS0_4arch9wavefront6targetE0EEEvT1_,comdat
.Lfunc_end715:
	.size	_ZN7rocprim17ROCPRIM_400000_NS6detail17trampoline_kernelINS0_14default_configENS1_25partition_config_selectorILNS1_17partition_subalgoE9EyjbEEZZNS1_14partition_implILS5_9ELb0ES3_jN6thrust23THRUST_200600_302600_NS6detail15normal_iteratorINS9_10device_ptrIyEEEENSB_INSC_IjEEEEPNS0_10empty_typeENS0_5tupleIJNS9_16discard_iteratorINS9_11use_defaultEEESH_EEENSJ_IJSM_SI_EEENS0_18inequality_wrapperINS9_8equal_toIyEEEEPmJSH_EEE10hipError_tPvRmT3_T4_T5_T6_T7_T9_mT8_P12ihipStream_tbDpT10_ENKUlT_T0_E_clISt17integral_constantIbLb1EES1C_IbLb0EEEEDaS18_S19_EUlS18_E_NS1_11comp_targetILNS1_3genE9ELNS1_11target_archE1100ELNS1_3gpuE3ELNS1_3repE0EEENS1_30default_config_static_selectorELNS0_4arch9wavefront6targetE0EEEvT1_, .Lfunc_end715-_ZN7rocprim17ROCPRIM_400000_NS6detail17trampoline_kernelINS0_14default_configENS1_25partition_config_selectorILNS1_17partition_subalgoE9EyjbEEZZNS1_14partition_implILS5_9ELb0ES3_jN6thrust23THRUST_200600_302600_NS6detail15normal_iteratorINS9_10device_ptrIyEEEENSB_INSC_IjEEEEPNS0_10empty_typeENS0_5tupleIJNS9_16discard_iteratorINS9_11use_defaultEEESH_EEENSJ_IJSM_SI_EEENS0_18inequality_wrapperINS9_8equal_toIyEEEEPmJSH_EEE10hipError_tPvRmT3_T4_T5_T6_T7_T9_mT8_P12ihipStream_tbDpT10_ENKUlT_T0_E_clISt17integral_constantIbLb1EES1C_IbLb0EEEEDaS18_S19_EUlS18_E_NS1_11comp_targetILNS1_3genE9ELNS1_11target_archE1100ELNS1_3gpuE3ELNS1_3repE0EEENS1_30default_config_static_selectorELNS0_4arch9wavefront6targetE0EEEvT1_
                                        ; -- End function
	.section	.AMDGPU.csdata,"",@progbits
; Kernel info:
; codeLenInByte = 7652
; NumSgprs: 26
; NumVgprs: 59
; ScratchSize: 0
; MemoryBound: 0
; FloatMode: 240
; IeeeMode: 1
; LDSByteSize: 33800 bytes/workgroup (compile time only)
; SGPRBlocks: 3
; VGPRBlocks: 7
; NumSGPRsForWavesPerEU: 26
; NumVGPRsForWavesPerEU: 59
; Occupancy: 12
; WaveLimiterHint : 1
; COMPUTE_PGM_RSRC2:SCRATCH_EN: 0
; COMPUTE_PGM_RSRC2:USER_SGPR: 15
; COMPUTE_PGM_RSRC2:TRAP_HANDLER: 0
; COMPUTE_PGM_RSRC2:TGID_X_EN: 1
; COMPUTE_PGM_RSRC2:TGID_Y_EN: 0
; COMPUTE_PGM_RSRC2:TGID_Z_EN: 0
; COMPUTE_PGM_RSRC2:TIDIG_COMP_CNT: 0
	.section	.text._ZN7rocprim17ROCPRIM_400000_NS6detail17trampoline_kernelINS0_14default_configENS1_25partition_config_selectorILNS1_17partition_subalgoE9EyjbEEZZNS1_14partition_implILS5_9ELb0ES3_jN6thrust23THRUST_200600_302600_NS6detail15normal_iteratorINS9_10device_ptrIyEEEENSB_INSC_IjEEEEPNS0_10empty_typeENS0_5tupleIJNS9_16discard_iteratorINS9_11use_defaultEEESH_EEENSJ_IJSM_SI_EEENS0_18inequality_wrapperINS9_8equal_toIyEEEEPmJSH_EEE10hipError_tPvRmT3_T4_T5_T6_T7_T9_mT8_P12ihipStream_tbDpT10_ENKUlT_T0_E_clISt17integral_constantIbLb1EES1C_IbLb0EEEEDaS18_S19_EUlS18_E_NS1_11comp_targetILNS1_3genE8ELNS1_11target_archE1030ELNS1_3gpuE2ELNS1_3repE0EEENS1_30default_config_static_selectorELNS0_4arch9wavefront6targetE0EEEvT1_,"axG",@progbits,_ZN7rocprim17ROCPRIM_400000_NS6detail17trampoline_kernelINS0_14default_configENS1_25partition_config_selectorILNS1_17partition_subalgoE9EyjbEEZZNS1_14partition_implILS5_9ELb0ES3_jN6thrust23THRUST_200600_302600_NS6detail15normal_iteratorINS9_10device_ptrIyEEEENSB_INSC_IjEEEEPNS0_10empty_typeENS0_5tupleIJNS9_16discard_iteratorINS9_11use_defaultEEESH_EEENSJ_IJSM_SI_EEENS0_18inequality_wrapperINS9_8equal_toIyEEEEPmJSH_EEE10hipError_tPvRmT3_T4_T5_T6_T7_T9_mT8_P12ihipStream_tbDpT10_ENKUlT_T0_E_clISt17integral_constantIbLb1EES1C_IbLb0EEEEDaS18_S19_EUlS18_E_NS1_11comp_targetILNS1_3genE8ELNS1_11target_archE1030ELNS1_3gpuE2ELNS1_3repE0EEENS1_30default_config_static_selectorELNS0_4arch9wavefront6targetE0EEEvT1_,comdat
	.protected	_ZN7rocprim17ROCPRIM_400000_NS6detail17trampoline_kernelINS0_14default_configENS1_25partition_config_selectorILNS1_17partition_subalgoE9EyjbEEZZNS1_14partition_implILS5_9ELb0ES3_jN6thrust23THRUST_200600_302600_NS6detail15normal_iteratorINS9_10device_ptrIyEEEENSB_INSC_IjEEEEPNS0_10empty_typeENS0_5tupleIJNS9_16discard_iteratorINS9_11use_defaultEEESH_EEENSJ_IJSM_SI_EEENS0_18inequality_wrapperINS9_8equal_toIyEEEEPmJSH_EEE10hipError_tPvRmT3_T4_T5_T6_T7_T9_mT8_P12ihipStream_tbDpT10_ENKUlT_T0_E_clISt17integral_constantIbLb1EES1C_IbLb0EEEEDaS18_S19_EUlS18_E_NS1_11comp_targetILNS1_3genE8ELNS1_11target_archE1030ELNS1_3gpuE2ELNS1_3repE0EEENS1_30default_config_static_selectorELNS0_4arch9wavefront6targetE0EEEvT1_ ; -- Begin function _ZN7rocprim17ROCPRIM_400000_NS6detail17trampoline_kernelINS0_14default_configENS1_25partition_config_selectorILNS1_17partition_subalgoE9EyjbEEZZNS1_14partition_implILS5_9ELb0ES3_jN6thrust23THRUST_200600_302600_NS6detail15normal_iteratorINS9_10device_ptrIyEEEENSB_INSC_IjEEEEPNS0_10empty_typeENS0_5tupleIJNS9_16discard_iteratorINS9_11use_defaultEEESH_EEENSJ_IJSM_SI_EEENS0_18inequality_wrapperINS9_8equal_toIyEEEEPmJSH_EEE10hipError_tPvRmT3_T4_T5_T6_T7_T9_mT8_P12ihipStream_tbDpT10_ENKUlT_T0_E_clISt17integral_constantIbLb1EES1C_IbLb0EEEEDaS18_S19_EUlS18_E_NS1_11comp_targetILNS1_3genE8ELNS1_11target_archE1030ELNS1_3gpuE2ELNS1_3repE0EEENS1_30default_config_static_selectorELNS0_4arch9wavefront6targetE0EEEvT1_
	.globl	_ZN7rocprim17ROCPRIM_400000_NS6detail17trampoline_kernelINS0_14default_configENS1_25partition_config_selectorILNS1_17partition_subalgoE9EyjbEEZZNS1_14partition_implILS5_9ELb0ES3_jN6thrust23THRUST_200600_302600_NS6detail15normal_iteratorINS9_10device_ptrIyEEEENSB_INSC_IjEEEEPNS0_10empty_typeENS0_5tupleIJNS9_16discard_iteratorINS9_11use_defaultEEESH_EEENSJ_IJSM_SI_EEENS0_18inequality_wrapperINS9_8equal_toIyEEEEPmJSH_EEE10hipError_tPvRmT3_T4_T5_T6_T7_T9_mT8_P12ihipStream_tbDpT10_ENKUlT_T0_E_clISt17integral_constantIbLb1EES1C_IbLb0EEEEDaS18_S19_EUlS18_E_NS1_11comp_targetILNS1_3genE8ELNS1_11target_archE1030ELNS1_3gpuE2ELNS1_3repE0EEENS1_30default_config_static_selectorELNS0_4arch9wavefront6targetE0EEEvT1_
	.p2align	8
	.type	_ZN7rocprim17ROCPRIM_400000_NS6detail17trampoline_kernelINS0_14default_configENS1_25partition_config_selectorILNS1_17partition_subalgoE9EyjbEEZZNS1_14partition_implILS5_9ELb0ES3_jN6thrust23THRUST_200600_302600_NS6detail15normal_iteratorINS9_10device_ptrIyEEEENSB_INSC_IjEEEEPNS0_10empty_typeENS0_5tupleIJNS9_16discard_iteratorINS9_11use_defaultEEESH_EEENSJ_IJSM_SI_EEENS0_18inequality_wrapperINS9_8equal_toIyEEEEPmJSH_EEE10hipError_tPvRmT3_T4_T5_T6_T7_T9_mT8_P12ihipStream_tbDpT10_ENKUlT_T0_E_clISt17integral_constantIbLb1EES1C_IbLb0EEEEDaS18_S19_EUlS18_E_NS1_11comp_targetILNS1_3genE8ELNS1_11target_archE1030ELNS1_3gpuE2ELNS1_3repE0EEENS1_30default_config_static_selectorELNS0_4arch9wavefront6targetE0EEEvT1_,@function
_ZN7rocprim17ROCPRIM_400000_NS6detail17trampoline_kernelINS0_14default_configENS1_25partition_config_selectorILNS1_17partition_subalgoE9EyjbEEZZNS1_14partition_implILS5_9ELb0ES3_jN6thrust23THRUST_200600_302600_NS6detail15normal_iteratorINS9_10device_ptrIyEEEENSB_INSC_IjEEEEPNS0_10empty_typeENS0_5tupleIJNS9_16discard_iteratorINS9_11use_defaultEEESH_EEENSJ_IJSM_SI_EEENS0_18inequality_wrapperINS9_8equal_toIyEEEEPmJSH_EEE10hipError_tPvRmT3_T4_T5_T6_T7_T9_mT8_P12ihipStream_tbDpT10_ENKUlT_T0_E_clISt17integral_constantIbLb1EES1C_IbLb0EEEEDaS18_S19_EUlS18_E_NS1_11comp_targetILNS1_3genE8ELNS1_11target_archE1030ELNS1_3gpuE2ELNS1_3repE0EEENS1_30default_config_static_selectorELNS0_4arch9wavefront6targetE0EEEvT1_: ; @_ZN7rocprim17ROCPRIM_400000_NS6detail17trampoline_kernelINS0_14default_configENS1_25partition_config_selectorILNS1_17partition_subalgoE9EyjbEEZZNS1_14partition_implILS5_9ELb0ES3_jN6thrust23THRUST_200600_302600_NS6detail15normal_iteratorINS9_10device_ptrIyEEEENSB_INSC_IjEEEEPNS0_10empty_typeENS0_5tupleIJNS9_16discard_iteratorINS9_11use_defaultEEESH_EEENSJ_IJSM_SI_EEENS0_18inequality_wrapperINS9_8equal_toIyEEEEPmJSH_EEE10hipError_tPvRmT3_T4_T5_T6_T7_T9_mT8_P12ihipStream_tbDpT10_ENKUlT_T0_E_clISt17integral_constantIbLb1EES1C_IbLb0EEEEDaS18_S19_EUlS18_E_NS1_11comp_targetILNS1_3genE8ELNS1_11target_archE1030ELNS1_3gpuE2ELNS1_3repE0EEENS1_30default_config_static_selectorELNS0_4arch9wavefront6targetE0EEEvT1_
; %bb.0:
	.section	.rodata,"a",@progbits
	.p2align	6, 0x0
	.amdhsa_kernel _ZN7rocprim17ROCPRIM_400000_NS6detail17trampoline_kernelINS0_14default_configENS1_25partition_config_selectorILNS1_17partition_subalgoE9EyjbEEZZNS1_14partition_implILS5_9ELb0ES3_jN6thrust23THRUST_200600_302600_NS6detail15normal_iteratorINS9_10device_ptrIyEEEENSB_INSC_IjEEEEPNS0_10empty_typeENS0_5tupleIJNS9_16discard_iteratorINS9_11use_defaultEEESH_EEENSJ_IJSM_SI_EEENS0_18inequality_wrapperINS9_8equal_toIyEEEEPmJSH_EEE10hipError_tPvRmT3_T4_T5_T6_T7_T9_mT8_P12ihipStream_tbDpT10_ENKUlT_T0_E_clISt17integral_constantIbLb1EES1C_IbLb0EEEEDaS18_S19_EUlS18_E_NS1_11comp_targetILNS1_3genE8ELNS1_11target_archE1030ELNS1_3gpuE2ELNS1_3repE0EEENS1_30default_config_static_selectorELNS0_4arch9wavefront6targetE0EEEvT1_
		.amdhsa_group_segment_fixed_size 0
		.amdhsa_private_segment_fixed_size 0
		.amdhsa_kernarg_size 128
		.amdhsa_user_sgpr_count 15
		.amdhsa_user_sgpr_dispatch_ptr 0
		.amdhsa_user_sgpr_queue_ptr 0
		.amdhsa_user_sgpr_kernarg_segment_ptr 1
		.amdhsa_user_sgpr_dispatch_id 0
		.amdhsa_user_sgpr_private_segment_size 0
		.amdhsa_wavefront_size32 1
		.amdhsa_uses_dynamic_stack 0
		.amdhsa_enable_private_segment 0
		.amdhsa_system_sgpr_workgroup_id_x 1
		.amdhsa_system_sgpr_workgroup_id_y 0
		.amdhsa_system_sgpr_workgroup_id_z 0
		.amdhsa_system_sgpr_workgroup_info 0
		.amdhsa_system_vgpr_workitem_id 0
		.amdhsa_next_free_vgpr 1
		.amdhsa_next_free_sgpr 1
		.amdhsa_reserve_vcc 0
		.amdhsa_float_round_mode_32 0
		.amdhsa_float_round_mode_16_64 0
		.amdhsa_float_denorm_mode_32 3
		.amdhsa_float_denorm_mode_16_64 3
		.amdhsa_dx10_clamp 1
		.amdhsa_ieee_mode 1
		.amdhsa_fp16_overflow 0
		.amdhsa_workgroup_processor_mode 1
		.amdhsa_memory_ordered 1
		.amdhsa_forward_progress 0
		.amdhsa_shared_vgpr_count 0
		.amdhsa_exception_fp_ieee_invalid_op 0
		.amdhsa_exception_fp_denorm_src 0
		.amdhsa_exception_fp_ieee_div_zero 0
		.amdhsa_exception_fp_ieee_overflow 0
		.amdhsa_exception_fp_ieee_underflow 0
		.amdhsa_exception_fp_ieee_inexact 0
		.amdhsa_exception_int_div_zero 0
	.end_amdhsa_kernel
	.section	.text._ZN7rocprim17ROCPRIM_400000_NS6detail17trampoline_kernelINS0_14default_configENS1_25partition_config_selectorILNS1_17partition_subalgoE9EyjbEEZZNS1_14partition_implILS5_9ELb0ES3_jN6thrust23THRUST_200600_302600_NS6detail15normal_iteratorINS9_10device_ptrIyEEEENSB_INSC_IjEEEEPNS0_10empty_typeENS0_5tupleIJNS9_16discard_iteratorINS9_11use_defaultEEESH_EEENSJ_IJSM_SI_EEENS0_18inequality_wrapperINS9_8equal_toIyEEEEPmJSH_EEE10hipError_tPvRmT3_T4_T5_T6_T7_T9_mT8_P12ihipStream_tbDpT10_ENKUlT_T0_E_clISt17integral_constantIbLb1EES1C_IbLb0EEEEDaS18_S19_EUlS18_E_NS1_11comp_targetILNS1_3genE8ELNS1_11target_archE1030ELNS1_3gpuE2ELNS1_3repE0EEENS1_30default_config_static_selectorELNS0_4arch9wavefront6targetE0EEEvT1_,"axG",@progbits,_ZN7rocprim17ROCPRIM_400000_NS6detail17trampoline_kernelINS0_14default_configENS1_25partition_config_selectorILNS1_17partition_subalgoE9EyjbEEZZNS1_14partition_implILS5_9ELb0ES3_jN6thrust23THRUST_200600_302600_NS6detail15normal_iteratorINS9_10device_ptrIyEEEENSB_INSC_IjEEEEPNS0_10empty_typeENS0_5tupleIJNS9_16discard_iteratorINS9_11use_defaultEEESH_EEENSJ_IJSM_SI_EEENS0_18inequality_wrapperINS9_8equal_toIyEEEEPmJSH_EEE10hipError_tPvRmT3_T4_T5_T6_T7_T9_mT8_P12ihipStream_tbDpT10_ENKUlT_T0_E_clISt17integral_constantIbLb1EES1C_IbLb0EEEEDaS18_S19_EUlS18_E_NS1_11comp_targetILNS1_3genE8ELNS1_11target_archE1030ELNS1_3gpuE2ELNS1_3repE0EEENS1_30default_config_static_selectorELNS0_4arch9wavefront6targetE0EEEvT1_,comdat
.Lfunc_end716:
	.size	_ZN7rocprim17ROCPRIM_400000_NS6detail17trampoline_kernelINS0_14default_configENS1_25partition_config_selectorILNS1_17partition_subalgoE9EyjbEEZZNS1_14partition_implILS5_9ELb0ES3_jN6thrust23THRUST_200600_302600_NS6detail15normal_iteratorINS9_10device_ptrIyEEEENSB_INSC_IjEEEEPNS0_10empty_typeENS0_5tupleIJNS9_16discard_iteratorINS9_11use_defaultEEESH_EEENSJ_IJSM_SI_EEENS0_18inequality_wrapperINS9_8equal_toIyEEEEPmJSH_EEE10hipError_tPvRmT3_T4_T5_T6_T7_T9_mT8_P12ihipStream_tbDpT10_ENKUlT_T0_E_clISt17integral_constantIbLb1EES1C_IbLb0EEEEDaS18_S19_EUlS18_E_NS1_11comp_targetILNS1_3genE8ELNS1_11target_archE1030ELNS1_3gpuE2ELNS1_3repE0EEENS1_30default_config_static_selectorELNS0_4arch9wavefront6targetE0EEEvT1_, .Lfunc_end716-_ZN7rocprim17ROCPRIM_400000_NS6detail17trampoline_kernelINS0_14default_configENS1_25partition_config_selectorILNS1_17partition_subalgoE9EyjbEEZZNS1_14partition_implILS5_9ELb0ES3_jN6thrust23THRUST_200600_302600_NS6detail15normal_iteratorINS9_10device_ptrIyEEEENSB_INSC_IjEEEEPNS0_10empty_typeENS0_5tupleIJNS9_16discard_iteratorINS9_11use_defaultEEESH_EEENSJ_IJSM_SI_EEENS0_18inequality_wrapperINS9_8equal_toIyEEEEPmJSH_EEE10hipError_tPvRmT3_T4_T5_T6_T7_T9_mT8_P12ihipStream_tbDpT10_ENKUlT_T0_E_clISt17integral_constantIbLb1EES1C_IbLb0EEEEDaS18_S19_EUlS18_E_NS1_11comp_targetILNS1_3genE8ELNS1_11target_archE1030ELNS1_3gpuE2ELNS1_3repE0EEENS1_30default_config_static_selectorELNS0_4arch9wavefront6targetE0EEEvT1_
                                        ; -- End function
	.section	.AMDGPU.csdata,"",@progbits
; Kernel info:
; codeLenInByte = 0
; NumSgprs: 0
; NumVgprs: 0
; ScratchSize: 0
; MemoryBound: 0
; FloatMode: 240
; IeeeMode: 1
; LDSByteSize: 0 bytes/workgroup (compile time only)
; SGPRBlocks: 0
; VGPRBlocks: 0
; NumSGPRsForWavesPerEU: 1
; NumVGPRsForWavesPerEU: 1
; Occupancy: 16
; WaveLimiterHint : 0
; COMPUTE_PGM_RSRC2:SCRATCH_EN: 0
; COMPUTE_PGM_RSRC2:USER_SGPR: 15
; COMPUTE_PGM_RSRC2:TRAP_HANDLER: 0
; COMPUTE_PGM_RSRC2:TGID_X_EN: 1
; COMPUTE_PGM_RSRC2:TGID_Y_EN: 0
; COMPUTE_PGM_RSRC2:TGID_Z_EN: 0
; COMPUTE_PGM_RSRC2:TIDIG_COMP_CNT: 0
	.section	.text._ZN7rocprim17ROCPRIM_400000_NS6detail17trampoline_kernelINS0_14default_configENS1_25partition_config_selectorILNS1_17partition_subalgoE9EyjbEEZZNS1_14partition_implILS5_9ELb0ES3_jN6thrust23THRUST_200600_302600_NS6detail15normal_iteratorINS9_10device_ptrIyEEEENSB_INSC_IjEEEEPNS0_10empty_typeENS0_5tupleIJNS9_16discard_iteratorINS9_11use_defaultEEESH_EEENSJ_IJSM_SI_EEENS0_18inequality_wrapperINS9_8equal_toIyEEEEPmJSH_EEE10hipError_tPvRmT3_T4_T5_T6_T7_T9_mT8_P12ihipStream_tbDpT10_ENKUlT_T0_E_clISt17integral_constantIbLb0EES1C_IbLb1EEEEDaS18_S19_EUlS18_E_NS1_11comp_targetILNS1_3genE0ELNS1_11target_archE4294967295ELNS1_3gpuE0ELNS1_3repE0EEENS1_30default_config_static_selectorELNS0_4arch9wavefront6targetE0EEEvT1_,"axG",@progbits,_ZN7rocprim17ROCPRIM_400000_NS6detail17trampoline_kernelINS0_14default_configENS1_25partition_config_selectorILNS1_17partition_subalgoE9EyjbEEZZNS1_14partition_implILS5_9ELb0ES3_jN6thrust23THRUST_200600_302600_NS6detail15normal_iteratorINS9_10device_ptrIyEEEENSB_INSC_IjEEEEPNS0_10empty_typeENS0_5tupleIJNS9_16discard_iteratorINS9_11use_defaultEEESH_EEENSJ_IJSM_SI_EEENS0_18inequality_wrapperINS9_8equal_toIyEEEEPmJSH_EEE10hipError_tPvRmT3_T4_T5_T6_T7_T9_mT8_P12ihipStream_tbDpT10_ENKUlT_T0_E_clISt17integral_constantIbLb0EES1C_IbLb1EEEEDaS18_S19_EUlS18_E_NS1_11comp_targetILNS1_3genE0ELNS1_11target_archE4294967295ELNS1_3gpuE0ELNS1_3repE0EEENS1_30default_config_static_selectorELNS0_4arch9wavefront6targetE0EEEvT1_,comdat
	.protected	_ZN7rocprim17ROCPRIM_400000_NS6detail17trampoline_kernelINS0_14default_configENS1_25partition_config_selectorILNS1_17partition_subalgoE9EyjbEEZZNS1_14partition_implILS5_9ELb0ES3_jN6thrust23THRUST_200600_302600_NS6detail15normal_iteratorINS9_10device_ptrIyEEEENSB_INSC_IjEEEEPNS0_10empty_typeENS0_5tupleIJNS9_16discard_iteratorINS9_11use_defaultEEESH_EEENSJ_IJSM_SI_EEENS0_18inequality_wrapperINS9_8equal_toIyEEEEPmJSH_EEE10hipError_tPvRmT3_T4_T5_T6_T7_T9_mT8_P12ihipStream_tbDpT10_ENKUlT_T0_E_clISt17integral_constantIbLb0EES1C_IbLb1EEEEDaS18_S19_EUlS18_E_NS1_11comp_targetILNS1_3genE0ELNS1_11target_archE4294967295ELNS1_3gpuE0ELNS1_3repE0EEENS1_30default_config_static_selectorELNS0_4arch9wavefront6targetE0EEEvT1_ ; -- Begin function _ZN7rocprim17ROCPRIM_400000_NS6detail17trampoline_kernelINS0_14default_configENS1_25partition_config_selectorILNS1_17partition_subalgoE9EyjbEEZZNS1_14partition_implILS5_9ELb0ES3_jN6thrust23THRUST_200600_302600_NS6detail15normal_iteratorINS9_10device_ptrIyEEEENSB_INSC_IjEEEEPNS0_10empty_typeENS0_5tupleIJNS9_16discard_iteratorINS9_11use_defaultEEESH_EEENSJ_IJSM_SI_EEENS0_18inequality_wrapperINS9_8equal_toIyEEEEPmJSH_EEE10hipError_tPvRmT3_T4_T5_T6_T7_T9_mT8_P12ihipStream_tbDpT10_ENKUlT_T0_E_clISt17integral_constantIbLb0EES1C_IbLb1EEEEDaS18_S19_EUlS18_E_NS1_11comp_targetILNS1_3genE0ELNS1_11target_archE4294967295ELNS1_3gpuE0ELNS1_3repE0EEENS1_30default_config_static_selectorELNS0_4arch9wavefront6targetE0EEEvT1_
	.globl	_ZN7rocprim17ROCPRIM_400000_NS6detail17trampoline_kernelINS0_14default_configENS1_25partition_config_selectorILNS1_17partition_subalgoE9EyjbEEZZNS1_14partition_implILS5_9ELb0ES3_jN6thrust23THRUST_200600_302600_NS6detail15normal_iteratorINS9_10device_ptrIyEEEENSB_INSC_IjEEEEPNS0_10empty_typeENS0_5tupleIJNS9_16discard_iteratorINS9_11use_defaultEEESH_EEENSJ_IJSM_SI_EEENS0_18inequality_wrapperINS9_8equal_toIyEEEEPmJSH_EEE10hipError_tPvRmT3_T4_T5_T6_T7_T9_mT8_P12ihipStream_tbDpT10_ENKUlT_T0_E_clISt17integral_constantIbLb0EES1C_IbLb1EEEEDaS18_S19_EUlS18_E_NS1_11comp_targetILNS1_3genE0ELNS1_11target_archE4294967295ELNS1_3gpuE0ELNS1_3repE0EEENS1_30default_config_static_selectorELNS0_4arch9wavefront6targetE0EEEvT1_
	.p2align	8
	.type	_ZN7rocprim17ROCPRIM_400000_NS6detail17trampoline_kernelINS0_14default_configENS1_25partition_config_selectorILNS1_17partition_subalgoE9EyjbEEZZNS1_14partition_implILS5_9ELb0ES3_jN6thrust23THRUST_200600_302600_NS6detail15normal_iteratorINS9_10device_ptrIyEEEENSB_INSC_IjEEEEPNS0_10empty_typeENS0_5tupleIJNS9_16discard_iteratorINS9_11use_defaultEEESH_EEENSJ_IJSM_SI_EEENS0_18inequality_wrapperINS9_8equal_toIyEEEEPmJSH_EEE10hipError_tPvRmT3_T4_T5_T6_T7_T9_mT8_P12ihipStream_tbDpT10_ENKUlT_T0_E_clISt17integral_constantIbLb0EES1C_IbLb1EEEEDaS18_S19_EUlS18_E_NS1_11comp_targetILNS1_3genE0ELNS1_11target_archE4294967295ELNS1_3gpuE0ELNS1_3repE0EEENS1_30default_config_static_selectorELNS0_4arch9wavefront6targetE0EEEvT1_,@function
_ZN7rocprim17ROCPRIM_400000_NS6detail17trampoline_kernelINS0_14default_configENS1_25partition_config_selectorILNS1_17partition_subalgoE9EyjbEEZZNS1_14partition_implILS5_9ELb0ES3_jN6thrust23THRUST_200600_302600_NS6detail15normal_iteratorINS9_10device_ptrIyEEEENSB_INSC_IjEEEEPNS0_10empty_typeENS0_5tupleIJNS9_16discard_iteratorINS9_11use_defaultEEESH_EEENSJ_IJSM_SI_EEENS0_18inequality_wrapperINS9_8equal_toIyEEEEPmJSH_EEE10hipError_tPvRmT3_T4_T5_T6_T7_T9_mT8_P12ihipStream_tbDpT10_ENKUlT_T0_E_clISt17integral_constantIbLb0EES1C_IbLb1EEEEDaS18_S19_EUlS18_E_NS1_11comp_targetILNS1_3genE0ELNS1_11target_archE4294967295ELNS1_3gpuE0ELNS1_3repE0EEENS1_30default_config_static_selectorELNS0_4arch9wavefront6targetE0EEEvT1_: ; @_ZN7rocprim17ROCPRIM_400000_NS6detail17trampoline_kernelINS0_14default_configENS1_25partition_config_selectorILNS1_17partition_subalgoE9EyjbEEZZNS1_14partition_implILS5_9ELb0ES3_jN6thrust23THRUST_200600_302600_NS6detail15normal_iteratorINS9_10device_ptrIyEEEENSB_INSC_IjEEEEPNS0_10empty_typeENS0_5tupleIJNS9_16discard_iteratorINS9_11use_defaultEEESH_EEENSJ_IJSM_SI_EEENS0_18inequality_wrapperINS9_8equal_toIyEEEEPmJSH_EEE10hipError_tPvRmT3_T4_T5_T6_T7_T9_mT8_P12ihipStream_tbDpT10_ENKUlT_T0_E_clISt17integral_constantIbLb0EES1C_IbLb1EEEEDaS18_S19_EUlS18_E_NS1_11comp_targetILNS1_3genE0ELNS1_11target_archE4294967295ELNS1_3gpuE0ELNS1_3repE0EEENS1_30default_config_static_selectorELNS0_4arch9wavefront6targetE0EEEvT1_
; %bb.0:
	.section	.rodata,"a",@progbits
	.p2align	6, 0x0
	.amdhsa_kernel _ZN7rocprim17ROCPRIM_400000_NS6detail17trampoline_kernelINS0_14default_configENS1_25partition_config_selectorILNS1_17partition_subalgoE9EyjbEEZZNS1_14partition_implILS5_9ELb0ES3_jN6thrust23THRUST_200600_302600_NS6detail15normal_iteratorINS9_10device_ptrIyEEEENSB_INSC_IjEEEEPNS0_10empty_typeENS0_5tupleIJNS9_16discard_iteratorINS9_11use_defaultEEESH_EEENSJ_IJSM_SI_EEENS0_18inequality_wrapperINS9_8equal_toIyEEEEPmJSH_EEE10hipError_tPvRmT3_T4_T5_T6_T7_T9_mT8_P12ihipStream_tbDpT10_ENKUlT_T0_E_clISt17integral_constantIbLb0EES1C_IbLb1EEEEDaS18_S19_EUlS18_E_NS1_11comp_targetILNS1_3genE0ELNS1_11target_archE4294967295ELNS1_3gpuE0ELNS1_3repE0EEENS1_30default_config_static_selectorELNS0_4arch9wavefront6targetE0EEEvT1_
		.amdhsa_group_segment_fixed_size 0
		.amdhsa_private_segment_fixed_size 0
		.amdhsa_kernarg_size 144
		.amdhsa_user_sgpr_count 15
		.amdhsa_user_sgpr_dispatch_ptr 0
		.amdhsa_user_sgpr_queue_ptr 0
		.amdhsa_user_sgpr_kernarg_segment_ptr 1
		.amdhsa_user_sgpr_dispatch_id 0
		.amdhsa_user_sgpr_private_segment_size 0
		.amdhsa_wavefront_size32 1
		.amdhsa_uses_dynamic_stack 0
		.amdhsa_enable_private_segment 0
		.amdhsa_system_sgpr_workgroup_id_x 1
		.amdhsa_system_sgpr_workgroup_id_y 0
		.amdhsa_system_sgpr_workgroup_id_z 0
		.amdhsa_system_sgpr_workgroup_info 0
		.amdhsa_system_vgpr_workitem_id 0
		.amdhsa_next_free_vgpr 1
		.amdhsa_next_free_sgpr 1
		.amdhsa_reserve_vcc 0
		.amdhsa_float_round_mode_32 0
		.amdhsa_float_round_mode_16_64 0
		.amdhsa_float_denorm_mode_32 3
		.amdhsa_float_denorm_mode_16_64 3
		.amdhsa_dx10_clamp 1
		.amdhsa_ieee_mode 1
		.amdhsa_fp16_overflow 0
		.amdhsa_workgroup_processor_mode 1
		.amdhsa_memory_ordered 1
		.amdhsa_forward_progress 0
		.amdhsa_shared_vgpr_count 0
		.amdhsa_exception_fp_ieee_invalid_op 0
		.amdhsa_exception_fp_denorm_src 0
		.amdhsa_exception_fp_ieee_div_zero 0
		.amdhsa_exception_fp_ieee_overflow 0
		.amdhsa_exception_fp_ieee_underflow 0
		.amdhsa_exception_fp_ieee_inexact 0
		.amdhsa_exception_int_div_zero 0
	.end_amdhsa_kernel
	.section	.text._ZN7rocprim17ROCPRIM_400000_NS6detail17trampoline_kernelINS0_14default_configENS1_25partition_config_selectorILNS1_17partition_subalgoE9EyjbEEZZNS1_14partition_implILS5_9ELb0ES3_jN6thrust23THRUST_200600_302600_NS6detail15normal_iteratorINS9_10device_ptrIyEEEENSB_INSC_IjEEEEPNS0_10empty_typeENS0_5tupleIJNS9_16discard_iteratorINS9_11use_defaultEEESH_EEENSJ_IJSM_SI_EEENS0_18inequality_wrapperINS9_8equal_toIyEEEEPmJSH_EEE10hipError_tPvRmT3_T4_T5_T6_T7_T9_mT8_P12ihipStream_tbDpT10_ENKUlT_T0_E_clISt17integral_constantIbLb0EES1C_IbLb1EEEEDaS18_S19_EUlS18_E_NS1_11comp_targetILNS1_3genE0ELNS1_11target_archE4294967295ELNS1_3gpuE0ELNS1_3repE0EEENS1_30default_config_static_selectorELNS0_4arch9wavefront6targetE0EEEvT1_,"axG",@progbits,_ZN7rocprim17ROCPRIM_400000_NS6detail17trampoline_kernelINS0_14default_configENS1_25partition_config_selectorILNS1_17partition_subalgoE9EyjbEEZZNS1_14partition_implILS5_9ELb0ES3_jN6thrust23THRUST_200600_302600_NS6detail15normal_iteratorINS9_10device_ptrIyEEEENSB_INSC_IjEEEEPNS0_10empty_typeENS0_5tupleIJNS9_16discard_iteratorINS9_11use_defaultEEESH_EEENSJ_IJSM_SI_EEENS0_18inequality_wrapperINS9_8equal_toIyEEEEPmJSH_EEE10hipError_tPvRmT3_T4_T5_T6_T7_T9_mT8_P12ihipStream_tbDpT10_ENKUlT_T0_E_clISt17integral_constantIbLb0EES1C_IbLb1EEEEDaS18_S19_EUlS18_E_NS1_11comp_targetILNS1_3genE0ELNS1_11target_archE4294967295ELNS1_3gpuE0ELNS1_3repE0EEENS1_30default_config_static_selectorELNS0_4arch9wavefront6targetE0EEEvT1_,comdat
.Lfunc_end717:
	.size	_ZN7rocprim17ROCPRIM_400000_NS6detail17trampoline_kernelINS0_14default_configENS1_25partition_config_selectorILNS1_17partition_subalgoE9EyjbEEZZNS1_14partition_implILS5_9ELb0ES3_jN6thrust23THRUST_200600_302600_NS6detail15normal_iteratorINS9_10device_ptrIyEEEENSB_INSC_IjEEEEPNS0_10empty_typeENS0_5tupleIJNS9_16discard_iteratorINS9_11use_defaultEEESH_EEENSJ_IJSM_SI_EEENS0_18inequality_wrapperINS9_8equal_toIyEEEEPmJSH_EEE10hipError_tPvRmT3_T4_T5_T6_T7_T9_mT8_P12ihipStream_tbDpT10_ENKUlT_T0_E_clISt17integral_constantIbLb0EES1C_IbLb1EEEEDaS18_S19_EUlS18_E_NS1_11comp_targetILNS1_3genE0ELNS1_11target_archE4294967295ELNS1_3gpuE0ELNS1_3repE0EEENS1_30default_config_static_selectorELNS0_4arch9wavefront6targetE0EEEvT1_, .Lfunc_end717-_ZN7rocprim17ROCPRIM_400000_NS6detail17trampoline_kernelINS0_14default_configENS1_25partition_config_selectorILNS1_17partition_subalgoE9EyjbEEZZNS1_14partition_implILS5_9ELb0ES3_jN6thrust23THRUST_200600_302600_NS6detail15normal_iteratorINS9_10device_ptrIyEEEENSB_INSC_IjEEEEPNS0_10empty_typeENS0_5tupleIJNS9_16discard_iteratorINS9_11use_defaultEEESH_EEENSJ_IJSM_SI_EEENS0_18inequality_wrapperINS9_8equal_toIyEEEEPmJSH_EEE10hipError_tPvRmT3_T4_T5_T6_T7_T9_mT8_P12ihipStream_tbDpT10_ENKUlT_T0_E_clISt17integral_constantIbLb0EES1C_IbLb1EEEEDaS18_S19_EUlS18_E_NS1_11comp_targetILNS1_3genE0ELNS1_11target_archE4294967295ELNS1_3gpuE0ELNS1_3repE0EEENS1_30default_config_static_selectorELNS0_4arch9wavefront6targetE0EEEvT1_
                                        ; -- End function
	.section	.AMDGPU.csdata,"",@progbits
; Kernel info:
; codeLenInByte = 0
; NumSgprs: 0
; NumVgprs: 0
; ScratchSize: 0
; MemoryBound: 0
; FloatMode: 240
; IeeeMode: 1
; LDSByteSize: 0 bytes/workgroup (compile time only)
; SGPRBlocks: 0
; VGPRBlocks: 0
; NumSGPRsForWavesPerEU: 1
; NumVGPRsForWavesPerEU: 1
; Occupancy: 16
; WaveLimiterHint : 0
; COMPUTE_PGM_RSRC2:SCRATCH_EN: 0
; COMPUTE_PGM_RSRC2:USER_SGPR: 15
; COMPUTE_PGM_RSRC2:TRAP_HANDLER: 0
; COMPUTE_PGM_RSRC2:TGID_X_EN: 1
; COMPUTE_PGM_RSRC2:TGID_Y_EN: 0
; COMPUTE_PGM_RSRC2:TGID_Z_EN: 0
; COMPUTE_PGM_RSRC2:TIDIG_COMP_CNT: 0
	.section	.text._ZN7rocprim17ROCPRIM_400000_NS6detail17trampoline_kernelINS0_14default_configENS1_25partition_config_selectorILNS1_17partition_subalgoE9EyjbEEZZNS1_14partition_implILS5_9ELb0ES3_jN6thrust23THRUST_200600_302600_NS6detail15normal_iteratorINS9_10device_ptrIyEEEENSB_INSC_IjEEEEPNS0_10empty_typeENS0_5tupleIJNS9_16discard_iteratorINS9_11use_defaultEEESH_EEENSJ_IJSM_SI_EEENS0_18inequality_wrapperINS9_8equal_toIyEEEEPmJSH_EEE10hipError_tPvRmT3_T4_T5_T6_T7_T9_mT8_P12ihipStream_tbDpT10_ENKUlT_T0_E_clISt17integral_constantIbLb0EES1C_IbLb1EEEEDaS18_S19_EUlS18_E_NS1_11comp_targetILNS1_3genE5ELNS1_11target_archE942ELNS1_3gpuE9ELNS1_3repE0EEENS1_30default_config_static_selectorELNS0_4arch9wavefront6targetE0EEEvT1_,"axG",@progbits,_ZN7rocprim17ROCPRIM_400000_NS6detail17trampoline_kernelINS0_14default_configENS1_25partition_config_selectorILNS1_17partition_subalgoE9EyjbEEZZNS1_14partition_implILS5_9ELb0ES3_jN6thrust23THRUST_200600_302600_NS6detail15normal_iteratorINS9_10device_ptrIyEEEENSB_INSC_IjEEEEPNS0_10empty_typeENS0_5tupleIJNS9_16discard_iteratorINS9_11use_defaultEEESH_EEENSJ_IJSM_SI_EEENS0_18inequality_wrapperINS9_8equal_toIyEEEEPmJSH_EEE10hipError_tPvRmT3_T4_T5_T6_T7_T9_mT8_P12ihipStream_tbDpT10_ENKUlT_T0_E_clISt17integral_constantIbLb0EES1C_IbLb1EEEEDaS18_S19_EUlS18_E_NS1_11comp_targetILNS1_3genE5ELNS1_11target_archE942ELNS1_3gpuE9ELNS1_3repE0EEENS1_30default_config_static_selectorELNS0_4arch9wavefront6targetE0EEEvT1_,comdat
	.protected	_ZN7rocprim17ROCPRIM_400000_NS6detail17trampoline_kernelINS0_14default_configENS1_25partition_config_selectorILNS1_17partition_subalgoE9EyjbEEZZNS1_14partition_implILS5_9ELb0ES3_jN6thrust23THRUST_200600_302600_NS6detail15normal_iteratorINS9_10device_ptrIyEEEENSB_INSC_IjEEEEPNS0_10empty_typeENS0_5tupleIJNS9_16discard_iteratorINS9_11use_defaultEEESH_EEENSJ_IJSM_SI_EEENS0_18inequality_wrapperINS9_8equal_toIyEEEEPmJSH_EEE10hipError_tPvRmT3_T4_T5_T6_T7_T9_mT8_P12ihipStream_tbDpT10_ENKUlT_T0_E_clISt17integral_constantIbLb0EES1C_IbLb1EEEEDaS18_S19_EUlS18_E_NS1_11comp_targetILNS1_3genE5ELNS1_11target_archE942ELNS1_3gpuE9ELNS1_3repE0EEENS1_30default_config_static_selectorELNS0_4arch9wavefront6targetE0EEEvT1_ ; -- Begin function _ZN7rocprim17ROCPRIM_400000_NS6detail17trampoline_kernelINS0_14default_configENS1_25partition_config_selectorILNS1_17partition_subalgoE9EyjbEEZZNS1_14partition_implILS5_9ELb0ES3_jN6thrust23THRUST_200600_302600_NS6detail15normal_iteratorINS9_10device_ptrIyEEEENSB_INSC_IjEEEEPNS0_10empty_typeENS0_5tupleIJNS9_16discard_iteratorINS9_11use_defaultEEESH_EEENSJ_IJSM_SI_EEENS0_18inequality_wrapperINS9_8equal_toIyEEEEPmJSH_EEE10hipError_tPvRmT3_T4_T5_T6_T7_T9_mT8_P12ihipStream_tbDpT10_ENKUlT_T0_E_clISt17integral_constantIbLb0EES1C_IbLb1EEEEDaS18_S19_EUlS18_E_NS1_11comp_targetILNS1_3genE5ELNS1_11target_archE942ELNS1_3gpuE9ELNS1_3repE0EEENS1_30default_config_static_selectorELNS0_4arch9wavefront6targetE0EEEvT1_
	.globl	_ZN7rocprim17ROCPRIM_400000_NS6detail17trampoline_kernelINS0_14default_configENS1_25partition_config_selectorILNS1_17partition_subalgoE9EyjbEEZZNS1_14partition_implILS5_9ELb0ES3_jN6thrust23THRUST_200600_302600_NS6detail15normal_iteratorINS9_10device_ptrIyEEEENSB_INSC_IjEEEEPNS0_10empty_typeENS0_5tupleIJNS9_16discard_iteratorINS9_11use_defaultEEESH_EEENSJ_IJSM_SI_EEENS0_18inequality_wrapperINS9_8equal_toIyEEEEPmJSH_EEE10hipError_tPvRmT3_T4_T5_T6_T7_T9_mT8_P12ihipStream_tbDpT10_ENKUlT_T0_E_clISt17integral_constantIbLb0EES1C_IbLb1EEEEDaS18_S19_EUlS18_E_NS1_11comp_targetILNS1_3genE5ELNS1_11target_archE942ELNS1_3gpuE9ELNS1_3repE0EEENS1_30default_config_static_selectorELNS0_4arch9wavefront6targetE0EEEvT1_
	.p2align	8
	.type	_ZN7rocprim17ROCPRIM_400000_NS6detail17trampoline_kernelINS0_14default_configENS1_25partition_config_selectorILNS1_17partition_subalgoE9EyjbEEZZNS1_14partition_implILS5_9ELb0ES3_jN6thrust23THRUST_200600_302600_NS6detail15normal_iteratorINS9_10device_ptrIyEEEENSB_INSC_IjEEEEPNS0_10empty_typeENS0_5tupleIJNS9_16discard_iteratorINS9_11use_defaultEEESH_EEENSJ_IJSM_SI_EEENS0_18inequality_wrapperINS9_8equal_toIyEEEEPmJSH_EEE10hipError_tPvRmT3_T4_T5_T6_T7_T9_mT8_P12ihipStream_tbDpT10_ENKUlT_T0_E_clISt17integral_constantIbLb0EES1C_IbLb1EEEEDaS18_S19_EUlS18_E_NS1_11comp_targetILNS1_3genE5ELNS1_11target_archE942ELNS1_3gpuE9ELNS1_3repE0EEENS1_30default_config_static_selectorELNS0_4arch9wavefront6targetE0EEEvT1_,@function
_ZN7rocprim17ROCPRIM_400000_NS6detail17trampoline_kernelINS0_14default_configENS1_25partition_config_selectorILNS1_17partition_subalgoE9EyjbEEZZNS1_14partition_implILS5_9ELb0ES3_jN6thrust23THRUST_200600_302600_NS6detail15normal_iteratorINS9_10device_ptrIyEEEENSB_INSC_IjEEEEPNS0_10empty_typeENS0_5tupleIJNS9_16discard_iteratorINS9_11use_defaultEEESH_EEENSJ_IJSM_SI_EEENS0_18inequality_wrapperINS9_8equal_toIyEEEEPmJSH_EEE10hipError_tPvRmT3_T4_T5_T6_T7_T9_mT8_P12ihipStream_tbDpT10_ENKUlT_T0_E_clISt17integral_constantIbLb0EES1C_IbLb1EEEEDaS18_S19_EUlS18_E_NS1_11comp_targetILNS1_3genE5ELNS1_11target_archE942ELNS1_3gpuE9ELNS1_3repE0EEENS1_30default_config_static_selectorELNS0_4arch9wavefront6targetE0EEEvT1_: ; @_ZN7rocprim17ROCPRIM_400000_NS6detail17trampoline_kernelINS0_14default_configENS1_25partition_config_selectorILNS1_17partition_subalgoE9EyjbEEZZNS1_14partition_implILS5_9ELb0ES3_jN6thrust23THRUST_200600_302600_NS6detail15normal_iteratorINS9_10device_ptrIyEEEENSB_INSC_IjEEEEPNS0_10empty_typeENS0_5tupleIJNS9_16discard_iteratorINS9_11use_defaultEEESH_EEENSJ_IJSM_SI_EEENS0_18inequality_wrapperINS9_8equal_toIyEEEEPmJSH_EEE10hipError_tPvRmT3_T4_T5_T6_T7_T9_mT8_P12ihipStream_tbDpT10_ENKUlT_T0_E_clISt17integral_constantIbLb0EES1C_IbLb1EEEEDaS18_S19_EUlS18_E_NS1_11comp_targetILNS1_3genE5ELNS1_11target_archE942ELNS1_3gpuE9ELNS1_3repE0EEENS1_30default_config_static_selectorELNS0_4arch9wavefront6targetE0EEEvT1_
; %bb.0:
	.section	.rodata,"a",@progbits
	.p2align	6, 0x0
	.amdhsa_kernel _ZN7rocprim17ROCPRIM_400000_NS6detail17trampoline_kernelINS0_14default_configENS1_25partition_config_selectorILNS1_17partition_subalgoE9EyjbEEZZNS1_14partition_implILS5_9ELb0ES3_jN6thrust23THRUST_200600_302600_NS6detail15normal_iteratorINS9_10device_ptrIyEEEENSB_INSC_IjEEEEPNS0_10empty_typeENS0_5tupleIJNS9_16discard_iteratorINS9_11use_defaultEEESH_EEENSJ_IJSM_SI_EEENS0_18inequality_wrapperINS9_8equal_toIyEEEEPmJSH_EEE10hipError_tPvRmT3_T4_T5_T6_T7_T9_mT8_P12ihipStream_tbDpT10_ENKUlT_T0_E_clISt17integral_constantIbLb0EES1C_IbLb1EEEEDaS18_S19_EUlS18_E_NS1_11comp_targetILNS1_3genE5ELNS1_11target_archE942ELNS1_3gpuE9ELNS1_3repE0EEENS1_30default_config_static_selectorELNS0_4arch9wavefront6targetE0EEEvT1_
		.amdhsa_group_segment_fixed_size 0
		.amdhsa_private_segment_fixed_size 0
		.amdhsa_kernarg_size 144
		.amdhsa_user_sgpr_count 15
		.amdhsa_user_sgpr_dispatch_ptr 0
		.amdhsa_user_sgpr_queue_ptr 0
		.amdhsa_user_sgpr_kernarg_segment_ptr 1
		.amdhsa_user_sgpr_dispatch_id 0
		.amdhsa_user_sgpr_private_segment_size 0
		.amdhsa_wavefront_size32 1
		.amdhsa_uses_dynamic_stack 0
		.amdhsa_enable_private_segment 0
		.amdhsa_system_sgpr_workgroup_id_x 1
		.amdhsa_system_sgpr_workgroup_id_y 0
		.amdhsa_system_sgpr_workgroup_id_z 0
		.amdhsa_system_sgpr_workgroup_info 0
		.amdhsa_system_vgpr_workitem_id 0
		.amdhsa_next_free_vgpr 1
		.amdhsa_next_free_sgpr 1
		.amdhsa_reserve_vcc 0
		.amdhsa_float_round_mode_32 0
		.amdhsa_float_round_mode_16_64 0
		.amdhsa_float_denorm_mode_32 3
		.amdhsa_float_denorm_mode_16_64 3
		.amdhsa_dx10_clamp 1
		.amdhsa_ieee_mode 1
		.amdhsa_fp16_overflow 0
		.amdhsa_workgroup_processor_mode 1
		.amdhsa_memory_ordered 1
		.amdhsa_forward_progress 0
		.amdhsa_shared_vgpr_count 0
		.amdhsa_exception_fp_ieee_invalid_op 0
		.amdhsa_exception_fp_denorm_src 0
		.amdhsa_exception_fp_ieee_div_zero 0
		.amdhsa_exception_fp_ieee_overflow 0
		.amdhsa_exception_fp_ieee_underflow 0
		.amdhsa_exception_fp_ieee_inexact 0
		.amdhsa_exception_int_div_zero 0
	.end_amdhsa_kernel
	.section	.text._ZN7rocprim17ROCPRIM_400000_NS6detail17trampoline_kernelINS0_14default_configENS1_25partition_config_selectorILNS1_17partition_subalgoE9EyjbEEZZNS1_14partition_implILS5_9ELb0ES3_jN6thrust23THRUST_200600_302600_NS6detail15normal_iteratorINS9_10device_ptrIyEEEENSB_INSC_IjEEEEPNS0_10empty_typeENS0_5tupleIJNS9_16discard_iteratorINS9_11use_defaultEEESH_EEENSJ_IJSM_SI_EEENS0_18inequality_wrapperINS9_8equal_toIyEEEEPmJSH_EEE10hipError_tPvRmT3_T4_T5_T6_T7_T9_mT8_P12ihipStream_tbDpT10_ENKUlT_T0_E_clISt17integral_constantIbLb0EES1C_IbLb1EEEEDaS18_S19_EUlS18_E_NS1_11comp_targetILNS1_3genE5ELNS1_11target_archE942ELNS1_3gpuE9ELNS1_3repE0EEENS1_30default_config_static_selectorELNS0_4arch9wavefront6targetE0EEEvT1_,"axG",@progbits,_ZN7rocprim17ROCPRIM_400000_NS6detail17trampoline_kernelINS0_14default_configENS1_25partition_config_selectorILNS1_17partition_subalgoE9EyjbEEZZNS1_14partition_implILS5_9ELb0ES3_jN6thrust23THRUST_200600_302600_NS6detail15normal_iteratorINS9_10device_ptrIyEEEENSB_INSC_IjEEEEPNS0_10empty_typeENS0_5tupleIJNS9_16discard_iteratorINS9_11use_defaultEEESH_EEENSJ_IJSM_SI_EEENS0_18inequality_wrapperINS9_8equal_toIyEEEEPmJSH_EEE10hipError_tPvRmT3_T4_T5_T6_T7_T9_mT8_P12ihipStream_tbDpT10_ENKUlT_T0_E_clISt17integral_constantIbLb0EES1C_IbLb1EEEEDaS18_S19_EUlS18_E_NS1_11comp_targetILNS1_3genE5ELNS1_11target_archE942ELNS1_3gpuE9ELNS1_3repE0EEENS1_30default_config_static_selectorELNS0_4arch9wavefront6targetE0EEEvT1_,comdat
.Lfunc_end718:
	.size	_ZN7rocprim17ROCPRIM_400000_NS6detail17trampoline_kernelINS0_14default_configENS1_25partition_config_selectorILNS1_17partition_subalgoE9EyjbEEZZNS1_14partition_implILS5_9ELb0ES3_jN6thrust23THRUST_200600_302600_NS6detail15normal_iteratorINS9_10device_ptrIyEEEENSB_INSC_IjEEEEPNS0_10empty_typeENS0_5tupleIJNS9_16discard_iteratorINS9_11use_defaultEEESH_EEENSJ_IJSM_SI_EEENS0_18inequality_wrapperINS9_8equal_toIyEEEEPmJSH_EEE10hipError_tPvRmT3_T4_T5_T6_T7_T9_mT8_P12ihipStream_tbDpT10_ENKUlT_T0_E_clISt17integral_constantIbLb0EES1C_IbLb1EEEEDaS18_S19_EUlS18_E_NS1_11comp_targetILNS1_3genE5ELNS1_11target_archE942ELNS1_3gpuE9ELNS1_3repE0EEENS1_30default_config_static_selectorELNS0_4arch9wavefront6targetE0EEEvT1_, .Lfunc_end718-_ZN7rocprim17ROCPRIM_400000_NS6detail17trampoline_kernelINS0_14default_configENS1_25partition_config_selectorILNS1_17partition_subalgoE9EyjbEEZZNS1_14partition_implILS5_9ELb0ES3_jN6thrust23THRUST_200600_302600_NS6detail15normal_iteratorINS9_10device_ptrIyEEEENSB_INSC_IjEEEEPNS0_10empty_typeENS0_5tupleIJNS9_16discard_iteratorINS9_11use_defaultEEESH_EEENSJ_IJSM_SI_EEENS0_18inequality_wrapperINS9_8equal_toIyEEEEPmJSH_EEE10hipError_tPvRmT3_T4_T5_T6_T7_T9_mT8_P12ihipStream_tbDpT10_ENKUlT_T0_E_clISt17integral_constantIbLb0EES1C_IbLb1EEEEDaS18_S19_EUlS18_E_NS1_11comp_targetILNS1_3genE5ELNS1_11target_archE942ELNS1_3gpuE9ELNS1_3repE0EEENS1_30default_config_static_selectorELNS0_4arch9wavefront6targetE0EEEvT1_
                                        ; -- End function
	.section	.AMDGPU.csdata,"",@progbits
; Kernel info:
; codeLenInByte = 0
; NumSgprs: 0
; NumVgprs: 0
; ScratchSize: 0
; MemoryBound: 0
; FloatMode: 240
; IeeeMode: 1
; LDSByteSize: 0 bytes/workgroup (compile time only)
; SGPRBlocks: 0
; VGPRBlocks: 0
; NumSGPRsForWavesPerEU: 1
; NumVGPRsForWavesPerEU: 1
; Occupancy: 16
; WaveLimiterHint : 0
; COMPUTE_PGM_RSRC2:SCRATCH_EN: 0
; COMPUTE_PGM_RSRC2:USER_SGPR: 15
; COMPUTE_PGM_RSRC2:TRAP_HANDLER: 0
; COMPUTE_PGM_RSRC2:TGID_X_EN: 1
; COMPUTE_PGM_RSRC2:TGID_Y_EN: 0
; COMPUTE_PGM_RSRC2:TGID_Z_EN: 0
; COMPUTE_PGM_RSRC2:TIDIG_COMP_CNT: 0
	.section	.text._ZN7rocprim17ROCPRIM_400000_NS6detail17trampoline_kernelINS0_14default_configENS1_25partition_config_selectorILNS1_17partition_subalgoE9EyjbEEZZNS1_14partition_implILS5_9ELb0ES3_jN6thrust23THRUST_200600_302600_NS6detail15normal_iteratorINS9_10device_ptrIyEEEENSB_INSC_IjEEEEPNS0_10empty_typeENS0_5tupleIJNS9_16discard_iteratorINS9_11use_defaultEEESH_EEENSJ_IJSM_SI_EEENS0_18inequality_wrapperINS9_8equal_toIyEEEEPmJSH_EEE10hipError_tPvRmT3_T4_T5_T6_T7_T9_mT8_P12ihipStream_tbDpT10_ENKUlT_T0_E_clISt17integral_constantIbLb0EES1C_IbLb1EEEEDaS18_S19_EUlS18_E_NS1_11comp_targetILNS1_3genE4ELNS1_11target_archE910ELNS1_3gpuE8ELNS1_3repE0EEENS1_30default_config_static_selectorELNS0_4arch9wavefront6targetE0EEEvT1_,"axG",@progbits,_ZN7rocprim17ROCPRIM_400000_NS6detail17trampoline_kernelINS0_14default_configENS1_25partition_config_selectorILNS1_17partition_subalgoE9EyjbEEZZNS1_14partition_implILS5_9ELb0ES3_jN6thrust23THRUST_200600_302600_NS6detail15normal_iteratorINS9_10device_ptrIyEEEENSB_INSC_IjEEEEPNS0_10empty_typeENS0_5tupleIJNS9_16discard_iteratorINS9_11use_defaultEEESH_EEENSJ_IJSM_SI_EEENS0_18inequality_wrapperINS9_8equal_toIyEEEEPmJSH_EEE10hipError_tPvRmT3_T4_T5_T6_T7_T9_mT8_P12ihipStream_tbDpT10_ENKUlT_T0_E_clISt17integral_constantIbLb0EES1C_IbLb1EEEEDaS18_S19_EUlS18_E_NS1_11comp_targetILNS1_3genE4ELNS1_11target_archE910ELNS1_3gpuE8ELNS1_3repE0EEENS1_30default_config_static_selectorELNS0_4arch9wavefront6targetE0EEEvT1_,comdat
	.protected	_ZN7rocprim17ROCPRIM_400000_NS6detail17trampoline_kernelINS0_14default_configENS1_25partition_config_selectorILNS1_17partition_subalgoE9EyjbEEZZNS1_14partition_implILS5_9ELb0ES3_jN6thrust23THRUST_200600_302600_NS6detail15normal_iteratorINS9_10device_ptrIyEEEENSB_INSC_IjEEEEPNS0_10empty_typeENS0_5tupleIJNS9_16discard_iteratorINS9_11use_defaultEEESH_EEENSJ_IJSM_SI_EEENS0_18inequality_wrapperINS9_8equal_toIyEEEEPmJSH_EEE10hipError_tPvRmT3_T4_T5_T6_T7_T9_mT8_P12ihipStream_tbDpT10_ENKUlT_T0_E_clISt17integral_constantIbLb0EES1C_IbLb1EEEEDaS18_S19_EUlS18_E_NS1_11comp_targetILNS1_3genE4ELNS1_11target_archE910ELNS1_3gpuE8ELNS1_3repE0EEENS1_30default_config_static_selectorELNS0_4arch9wavefront6targetE0EEEvT1_ ; -- Begin function _ZN7rocprim17ROCPRIM_400000_NS6detail17trampoline_kernelINS0_14default_configENS1_25partition_config_selectorILNS1_17partition_subalgoE9EyjbEEZZNS1_14partition_implILS5_9ELb0ES3_jN6thrust23THRUST_200600_302600_NS6detail15normal_iteratorINS9_10device_ptrIyEEEENSB_INSC_IjEEEEPNS0_10empty_typeENS0_5tupleIJNS9_16discard_iteratorINS9_11use_defaultEEESH_EEENSJ_IJSM_SI_EEENS0_18inequality_wrapperINS9_8equal_toIyEEEEPmJSH_EEE10hipError_tPvRmT3_T4_T5_T6_T7_T9_mT8_P12ihipStream_tbDpT10_ENKUlT_T0_E_clISt17integral_constantIbLb0EES1C_IbLb1EEEEDaS18_S19_EUlS18_E_NS1_11comp_targetILNS1_3genE4ELNS1_11target_archE910ELNS1_3gpuE8ELNS1_3repE0EEENS1_30default_config_static_selectorELNS0_4arch9wavefront6targetE0EEEvT1_
	.globl	_ZN7rocprim17ROCPRIM_400000_NS6detail17trampoline_kernelINS0_14default_configENS1_25partition_config_selectorILNS1_17partition_subalgoE9EyjbEEZZNS1_14partition_implILS5_9ELb0ES3_jN6thrust23THRUST_200600_302600_NS6detail15normal_iteratorINS9_10device_ptrIyEEEENSB_INSC_IjEEEEPNS0_10empty_typeENS0_5tupleIJNS9_16discard_iteratorINS9_11use_defaultEEESH_EEENSJ_IJSM_SI_EEENS0_18inequality_wrapperINS9_8equal_toIyEEEEPmJSH_EEE10hipError_tPvRmT3_T4_T5_T6_T7_T9_mT8_P12ihipStream_tbDpT10_ENKUlT_T0_E_clISt17integral_constantIbLb0EES1C_IbLb1EEEEDaS18_S19_EUlS18_E_NS1_11comp_targetILNS1_3genE4ELNS1_11target_archE910ELNS1_3gpuE8ELNS1_3repE0EEENS1_30default_config_static_selectorELNS0_4arch9wavefront6targetE0EEEvT1_
	.p2align	8
	.type	_ZN7rocprim17ROCPRIM_400000_NS6detail17trampoline_kernelINS0_14default_configENS1_25partition_config_selectorILNS1_17partition_subalgoE9EyjbEEZZNS1_14partition_implILS5_9ELb0ES3_jN6thrust23THRUST_200600_302600_NS6detail15normal_iteratorINS9_10device_ptrIyEEEENSB_INSC_IjEEEEPNS0_10empty_typeENS0_5tupleIJNS9_16discard_iteratorINS9_11use_defaultEEESH_EEENSJ_IJSM_SI_EEENS0_18inequality_wrapperINS9_8equal_toIyEEEEPmJSH_EEE10hipError_tPvRmT3_T4_T5_T6_T7_T9_mT8_P12ihipStream_tbDpT10_ENKUlT_T0_E_clISt17integral_constantIbLb0EES1C_IbLb1EEEEDaS18_S19_EUlS18_E_NS1_11comp_targetILNS1_3genE4ELNS1_11target_archE910ELNS1_3gpuE8ELNS1_3repE0EEENS1_30default_config_static_selectorELNS0_4arch9wavefront6targetE0EEEvT1_,@function
_ZN7rocprim17ROCPRIM_400000_NS6detail17trampoline_kernelINS0_14default_configENS1_25partition_config_selectorILNS1_17partition_subalgoE9EyjbEEZZNS1_14partition_implILS5_9ELb0ES3_jN6thrust23THRUST_200600_302600_NS6detail15normal_iteratorINS9_10device_ptrIyEEEENSB_INSC_IjEEEEPNS0_10empty_typeENS0_5tupleIJNS9_16discard_iteratorINS9_11use_defaultEEESH_EEENSJ_IJSM_SI_EEENS0_18inequality_wrapperINS9_8equal_toIyEEEEPmJSH_EEE10hipError_tPvRmT3_T4_T5_T6_T7_T9_mT8_P12ihipStream_tbDpT10_ENKUlT_T0_E_clISt17integral_constantIbLb0EES1C_IbLb1EEEEDaS18_S19_EUlS18_E_NS1_11comp_targetILNS1_3genE4ELNS1_11target_archE910ELNS1_3gpuE8ELNS1_3repE0EEENS1_30default_config_static_selectorELNS0_4arch9wavefront6targetE0EEEvT1_: ; @_ZN7rocprim17ROCPRIM_400000_NS6detail17trampoline_kernelINS0_14default_configENS1_25partition_config_selectorILNS1_17partition_subalgoE9EyjbEEZZNS1_14partition_implILS5_9ELb0ES3_jN6thrust23THRUST_200600_302600_NS6detail15normal_iteratorINS9_10device_ptrIyEEEENSB_INSC_IjEEEEPNS0_10empty_typeENS0_5tupleIJNS9_16discard_iteratorINS9_11use_defaultEEESH_EEENSJ_IJSM_SI_EEENS0_18inequality_wrapperINS9_8equal_toIyEEEEPmJSH_EEE10hipError_tPvRmT3_T4_T5_T6_T7_T9_mT8_P12ihipStream_tbDpT10_ENKUlT_T0_E_clISt17integral_constantIbLb0EES1C_IbLb1EEEEDaS18_S19_EUlS18_E_NS1_11comp_targetILNS1_3genE4ELNS1_11target_archE910ELNS1_3gpuE8ELNS1_3repE0EEENS1_30default_config_static_selectorELNS0_4arch9wavefront6targetE0EEEvT1_
; %bb.0:
	.section	.rodata,"a",@progbits
	.p2align	6, 0x0
	.amdhsa_kernel _ZN7rocprim17ROCPRIM_400000_NS6detail17trampoline_kernelINS0_14default_configENS1_25partition_config_selectorILNS1_17partition_subalgoE9EyjbEEZZNS1_14partition_implILS5_9ELb0ES3_jN6thrust23THRUST_200600_302600_NS6detail15normal_iteratorINS9_10device_ptrIyEEEENSB_INSC_IjEEEEPNS0_10empty_typeENS0_5tupleIJNS9_16discard_iteratorINS9_11use_defaultEEESH_EEENSJ_IJSM_SI_EEENS0_18inequality_wrapperINS9_8equal_toIyEEEEPmJSH_EEE10hipError_tPvRmT3_T4_T5_T6_T7_T9_mT8_P12ihipStream_tbDpT10_ENKUlT_T0_E_clISt17integral_constantIbLb0EES1C_IbLb1EEEEDaS18_S19_EUlS18_E_NS1_11comp_targetILNS1_3genE4ELNS1_11target_archE910ELNS1_3gpuE8ELNS1_3repE0EEENS1_30default_config_static_selectorELNS0_4arch9wavefront6targetE0EEEvT1_
		.amdhsa_group_segment_fixed_size 0
		.amdhsa_private_segment_fixed_size 0
		.amdhsa_kernarg_size 144
		.amdhsa_user_sgpr_count 15
		.amdhsa_user_sgpr_dispatch_ptr 0
		.amdhsa_user_sgpr_queue_ptr 0
		.amdhsa_user_sgpr_kernarg_segment_ptr 1
		.amdhsa_user_sgpr_dispatch_id 0
		.amdhsa_user_sgpr_private_segment_size 0
		.amdhsa_wavefront_size32 1
		.amdhsa_uses_dynamic_stack 0
		.amdhsa_enable_private_segment 0
		.amdhsa_system_sgpr_workgroup_id_x 1
		.amdhsa_system_sgpr_workgroup_id_y 0
		.amdhsa_system_sgpr_workgroup_id_z 0
		.amdhsa_system_sgpr_workgroup_info 0
		.amdhsa_system_vgpr_workitem_id 0
		.amdhsa_next_free_vgpr 1
		.amdhsa_next_free_sgpr 1
		.amdhsa_reserve_vcc 0
		.amdhsa_float_round_mode_32 0
		.amdhsa_float_round_mode_16_64 0
		.amdhsa_float_denorm_mode_32 3
		.amdhsa_float_denorm_mode_16_64 3
		.amdhsa_dx10_clamp 1
		.amdhsa_ieee_mode 1
		.amdhsa_fp16_overflow 0
		.amdhsa_workgroup_processor_mode 1
		.amdhsa_memory_ordered 1
		.amdhsa_forward_progress 0
		.amdhsa_shared_vgpr_count 0
		.amdhsa_exception_fp_ieee_invalid_op 0
		.amdhsa_exception_fp_denorm_src 0
		.amdhsa_exception_fp_ieee_div_zero 0
		.amdhsa_exception_fp_ieee_overflow 0
		.amdhsa_exception_fp_ieee_underflow 0
		.amdhsa_exception_fp_ieee_inexact 0
		.amdhsa_exception_int_div_zero 0
	.end_amdhsa_kernel
	.section	.text._ZN7rocprim17ROCPRIM_400000_NS6detail17trampoline_kernelINS0_14default_configENS1_25partition_config_selectorILNS1_17partition_subalgoE9EyjbEEZZNS1_14partition_implILS5_9ELb0ES3_jN6thrust23THRUST_200600_302600_NS6detail15normal_iteratorINS9_10device_ptrIyEEEENSB_INSC_IjEEEEPNS0_10empty_typeENS0_5tupleIJNS9_16discard_iteratorINS9_11use_defaultEEESH_EEENSJ_IJSM_SI_EEENS0_18inequality_wrapperINS9_8equal_toIyEEEEPmJSH_EEE10hipError_tPvRmT3_T4_T5_T6_T7_T9_mT8_P12ihipStream_tbDpT10_ENKUlT_T0_E_clISt17integral_constantIbLb0EES1C_IbLb1EEEEDaS18_S19_EUlS18_E_NS1_11comp_targetILNS1_3genE4ELNS1_11target_archE910ELNS1_3gpuE8ELNS1_3repE0EEENS1_30default_config_static_selectorELNS0_4arch9wavefront6targetE0EEEvT1_,"axG",@progbits,_ZN7rocprim17ROCPRIM_400000_NS6detail17trampoline_kernelINS0_14default_configENS1_25partition_config_selectorILNS1_17partition_subalgoE9EyjbEEZZNS1_14partition_implILS5_9ELb0ES3_jN6thrust23THRUST_200600_302600_NS6detail15normal_iteratorINS9_10device_ptrIyEEEENSB_INSC_IjEEEEPNS0_10empty_typeENS0_5tupleIJNS9_16discard_iteratorINS9_11use_defaultEEESH_EEENSJ_IJSM_SI_EEENS0_18inequality_wrapperINS9_8equal_toIyEEEEPmJSH_EEE10hipError_tPvRmT3_T4_T5_T6_T7_T9_mT8_P12ihipStream_tbDpT10_ENKUlT_T0_E_clISt17integral_constantIbLb0EES1C_IbLb1EEEEDaS18_S19_EUlS18_E_NS1_11comp_targetILNS1_3genE4ELNS1_11target_archE910ELNS1_3gpuE8ELNS1_3repE0EEENS1_30default_config_static_selectorELNS0_4arch9wavefront6targetE0EEEvT1_,comdat
.Lfunc_end719:
	.size	_ZN7rocprim17ROCPRIM_400000_NS6detail17trampoline_kernelINS0_14default_configENS1_25partition_config_selectorILNS1_17partition_subalgoE9EyjbEEZZNS1_14partition_implILS5_9ELb0ES3_jN6thrust23THRUST_200600_302600_NS6detail15normal_iteratorINS9_10device_ptrIyEEEENSB_INSC_IjEEEEPNS0_10empty_typeENS0_5tupleIJNS9_16discard_iteratorINS9_11use_defaultEEESH_EEENSJ_IJSM_SI_EEENS0_18inequality_wrapperINS9_8equal_toIyEEEEPmJSH_EEE10hipError_tPvRmT3_T4_T5_T6_T7_T9_mT8_P12ihipStream_tbDpT10_ENKUlT_T0_E_clISt17integral_constantIbLb0EES1C_IbLb1EEEEDaS18_S19_EUlS18_E_NS1_11comp_targetILNS1_3genE4ELNS1_11target_archE910ELNS1_3gpuE8ELNS1_3repE0EEENS1_30default_config_static_selectorELNS0_4arch9wavefront6targetE0EEEvT1_, .Lfunc_end719-_ZN7rocprim17ROCPRIM_400000_NS6detail17trampoline_kernelINS0_14default_configENS1_25partition_config_selectorILNS1_17partition_subalgoE9EyjbEEZZNS1_14partition_implILS5_9ELb0ES3_jN6thrust23THRUST_200600_302600_NS6detail15normal_iteratorINS9_10device_ptrIyEEEENSB_INSC_IjEEEEPNS0_10empty_typeENS0_5tupleIJNS9_16discard_iteratorINS9_11use_defaultEEESH_EEENSJ_IJSM_SI_EEENS0_18inequality_wrapperINS9_8equal_toIyEEEEPmJSH_EEE10hipError_tPvRmT3_T4_T5_T6_T7_T9_mT8_P12ihipStream_tbDpT10_ENKUlT_T0_E_clISt17integral_constantIbLb0EES1C_IbLb1EEEEDaS18_S19_EUlS18_E_NS1_11comp_targetILNS1_3genE4ELNS1_11target_archE910ELNS1_3gpuE8ELNS1_3repE0EEENS1_30default_config_static_selectorELNS0_4arch9wavefront6targetE0EEEvT1_
                                        ; -- End function
	.section	.AMDGPU.csdata,"",@progbits
; Kernel info:
; codeLenInByte = 0
; NumSgprs: 0
; NumVgprs: 0
; ScratchSize: 0
; MemoryBound: 0
; FloatMode: 240
; IeeeMode: 1
; LDSByteSize: 0 bytes/workgroup (compile time only)
; SGPRBlocks: 0
; VGPRBlocks: 0
; NumSGPRsForWavesPerEU: 1
; NumVGPRsForWavesPerEU: 1
; Occupancy: 15
; WaveLimiterHint : 0
; COMPUTE_PGM_RSRC2:SCRATCH_EN: 0
; COMPUTE_PGM_RSRC2:USER_SGPR: 15
; COMPUTE_PGM_RSRC2:TRAP_HANDLER: 0
; COMPUTE_PGM_RSRC2:TGID_X_EN: 1
; COMPUTE_PGM_RSRC2:TGID_Y_EN: 0
; COMPUTE_PGM_RSRC2:TGID_Z_EN: 0
; COMPUTE_PGM_RSRC2:TIDIG_COMP_CNT: 0
	.section	.text._ZN7rocprim17ROCPRIM_400000_NS6detail17trampoline_kernelINS0_14default_configENS1_25partition_config_selectorILNS1_17partition_subalgoE9EyjbEEZZNS1_14partition_implILS5_9ELb0ES3_jN6thrust23THRUST_200600_302600_NS6detail15normal_iteratorINS9_10device_ptrIyEEEENSB_INSC_IjEEEEPNS0_10empty_typeENS0_5tupleIJNS9_16discard_iteratorINS9_11use_defaultEEESH_EEENSJ_IJSM_SI_EEENS0_18inequality_wrapperINS9_8equal_toIyEEEEPmJSH_EEE10hipError_tPvRmT3_T4_T5_T6_T7_T9_mT8_P12ihipStream_tbDpT10_ENKUlT_T0_E_clISt17integral_constantIbLb0EES1C_IbLb1EEEEDaS18_S19_EUlS18_E_NS1_11comp_targetILNS1_3genE3ELNS1_11target_archE908ELNS1_3gpuE7ELNS1_3repE0EEENS1_30default_config_static_selectorELNS0_4arch9wavefront6targetE0EEEvT1_,"axG",@progbits,_ZN7rocprim17ROCPRIM_400000_NS6detail17trampoline_kernelINS0_14default_configENS1_25partition_config_selectorILNS1_17partition_subalgoE9EyjbEEZZNS1_14partition_implILS5_9ELb0ES3_jN6thrust23THRUST_200600_302600_NS6detail15normal_iteratorINS9_10device_ptrIyEEEENSB_INSC_IjEEEEPNS0_10empty_typeENS0_5tupleIJNS9_16discard_iteratorINS9_11use_defaultEEESH_EEENSJ_IJSM_SI_EEENS0_18inequality_wrapperINS9_8equal_toIyEEEEPmJSH_EEE10hipError_tPvRmT3_T4_T5_T6_T7_T9_mT8_P12ihipStream_tbDpT10_ENKUlT_T0_E_clISt17integral_constantIbLb0EES1C_IbLb1EEEEDaS18_S19_EUlS18_E_NS1_11comp_targetILNS1_3genE3ELNS1_11target_archE908ELNS1_3gpuE7ELNS1_3repE0EEENS1_30default_config_static_selectorELNS0_4arch9wavefront6targetE0EEEvT1_,comdat
	.protected	_ZN7rocprim17ROCPRIM_400000_NS6detail17trampoline_kernelINS0_14default_configENS1_25partition_config_selectorILNS1_17partition_subalgoE9EyjbEEZZNS1_14partition_implILS5_9ELb0ES3_jN6thrust23THRUST_200600_302600_NS6detail15normal_iteratorINS9_10device_ptrIyEEEENSB_INSC_IjEEEEPNS0_10empty_typeENS0_5tupleIJNS9_16discard_iteratorINS9_11use_defaultEEESH_EEENSJ_IJSM_SI_EEENS0_18inequality_wrapperINS9_8equal_toIyEEEEPmJSH_EEE10hipError_tPvRmT3_T4_T5_T6_T7_T9_mT8_P12ihipStream_tbDpT10_ENKUlT_T0_E_clISt17integral_constantIbLb0EES1C_IbLb1EEEEDaS18_S19_EUlS18_E_NS1_11comp_targetILNS1_3genE3ELNS1_11target_archE908ELNS1_3gpuE7ELNS1_3repE0EEENS1_30default_config_static_selectorELNS0_4arch9wavefront6targetE0EEEvT1_ ; -- Begin function _ZN7rocprim17ROCPRIM_400000_NS6detail17trampoline_kernelINS0_14default_configENS1_25partition_config_selectorILNS1_17partition_subalgoE9EyjbEEZZNS1_14partition_implILS5_9ELb0ES3_jN6thrust23THRUST_200600_302600_NS6detail15normal_iteratorINS9_10device_ptrIyEEEENSB_INSC_IjEEEEPNS0_10empty_typeENS0_5tupleIJNS9_16discard_iteratorINS9_11use_defaultEEESH_EEENSJ_IJSM_SI_EEENS0_18inequality_wrapperINS9_8equal_toIyEEEEPmJSH_EEE10hipError_tPvRmT3_T4_T5_T6_T7_T9_mT8_P12ihipStream_tbDpT10_ENKUlT_T0_E_clISt17integral_constantIbLb0EES1C_IbLb1EEEEDaS18_S19_EUlS18_E_NS1_11comp_targetILNS1_3genE3ELNS1_11target_archE908ELNS1_3gpuE7ELNS1_3repE0EEENS1_30default_config_static_selectorELNS0_4arch9wavefront6targetE0EEEvT1_
	.globl	_ZN7rocprim17ROCPRIM_400000_NS6detail17trampoline_kernelINS0_14default_configENS1_25partition_config_selectorILNS1_17partition_subalgoE9EyjbEEZZNS1_14partition_implILS5_9ELb0ES3_jN6thrust23THRUST_200600_302600_NS6detail15normal_iteratorINS9_10device_ptrIyEEEENSB_INSC_IjEEEEPNS0_10empty_typeENS0_5tupleIJNS9_16discard_iteratorINS9_11use_defaultEEESH_EEENSJ_IJSM_SI_EEENS0_18inequality_wrapperINS9_8equal_toIyEEEEPmJSH_EEE10hipError_tPvRmT3_T4_T5_T6_T7_T9_mT8_P12ihipStream_tbDpT10_ENKUlT_T0_E_clISt17integral_constantIbLb0EES1C_IbLb1EEEEDaS18_S19_EUlS18_E_NS1_11comp_targetILNS1_3genE3ELNS1_11target_archE908ELNS1_3gpuE7ELNS1_3repE0EEENS1_30default_config_static_selectorELNS0_4arch9wavefront6targetE0EEEvT1_
	.p2align	8
	.type	_ZN7rocprim17ROCPRIM_400000_NS6detail17trampoline_kernelINS0_14default_configENS1_25partition_config_selectorILNS1_17partition_subalgoE9EyjbEEZZNS1_14partition_implILS5_9ELb0ES3_jN6thrust23THRUST_200600_302600_NS6detail15normal_iteratorINS9_10device_ptrIyEEEENSB_INSC_IjEEEEPNS0_10empty_typeENS0_5tupleIJNS9_16discard_iteratorINS9_11use_defaultEEESH_EEENSJ_IJSM_SI_EEENS0_18inequality_wrapperINS9_8equal_toIyEEEEPmJSH_EEE10hipError_tPvRmT3_T4_T5_T6_T7_T9_mT8_P12ihipStream_tbDpT10_ENKUlT_T0_E_clISt17integral_constantIbLb0EES1C_IbLb1EEEEDaS18_S19_EUlS18_E_NS1_11comp_targetILNS1_3genE3ELNS1_11target_archE908ELNS1_3gpuE7ELNS1_3repE0EEENS1_30default_config_static_selectorELNS0_4arch9wavefront6targetE0EEEvT1_,@function
_ZN7rocprim17ROCPRIM_400000_NS6detail17trampoline_kernelINS0_14default_configENS1_25partition_config_selectorILNS1_17partition_subalgoE9EyjbEEZZNS1_14partition_implILS5_9ELb0ES3_jN6thrust23THRUST_200600_302600_NS6detail15normal_iteratorINS9_10device_ptrIyEEEENSB_INSC_IjEEEEPNS0_10empty_typeENS0_5tupleIJNS9_16discard_iteratorINS9_11use_defaultEEESH_EEENSJ_IJSM_SI_EEENS0_18inequality_wrapperINS9_8equal_toIyEEEEPmJSH_EEE10hipError_tPvRmT3_T4_T5_T6_T7_T9_mT8_P12ihipStream_tbDpT10_ENKUlT_T0_E_clISt17integral_constantIbLb0EES1C_IbLb1EEEEDaS18_S19_EUlS18_E_NS1_11comp_targetILNS1_3genE3ELNS1_11target_archE908ELNS1_3gpuE7ELNS1_3repE0EEENS1_30default_config_static_selectorELNS0_4arch9wavefront6targetE0EEEvT1_: ; @_ZN7rocprim17ROCPRIM_400000_NS6detail17trampoline_kernelINS0_14default_configENS1_25partition_config_selectorILNS1_17partition_subalgoE9EyjbEEZZNS1_14partition_implILS5_9ELb0ES3_jN6thrust23THRUST_200600_302600_NS6detail15normal_iteratorINS9_10device_ptrIyEEEENSB_INSC_IjEEEEPNS0_10empty_typeENS0_5tupleIJNS9_16discard_iteratorINS9_11use_defaultEEESH_EEENSJ_IJSM_SI_EEENS0_18inequality_wrapperINS9_8equal_toIyEEEEPmJSH_EEE10hipError_tPvRmT3_T4_T5_T6_T7_T9_mT8_P12ihipStream_tbDpT10_ENKUlT_T0_E_clISt17integral_constantIbLb0EES1C_IbLb1EEEEDaS18_S19_EUlS18_E_NS1_11comp_targetILNS1_3genE3ELNS1_11target_archE908ELNS1_3gpuE7ELNS1_3repE0EEENS1_30default_config_static_selectorELNS0_4arch9wavefront6targetE0EEEvT1_
; %bb.0:
	.section	.rodata,"a",@progbits
	.p2align	6, 0x0
	.amdhsa_kernel _ZN7rocprim17ROCPRIM_400000_NS6detail17trampoline_kernelINS0_14default_configENS1_25partition_config_selectorILNS1_17partition_subalgoE9EyjbEEZZNS1_14partition_implILS5_9ELb0ES3_jN6thrust23THRUST_200600_302600_NS6detail15normal_iteratorINS9_10device_ptrIyEEEENSB_INSC_IjEEEEPNS0_10empty_typeENS0_5tupleIJNS9_16discard_iteratorINS9_11use_defaultEEESH_EEENSJ_IJSM_SI_EEENS0_18inequality_wrapperINS9_8equal_toIyEEEEPmJSH_EEE10hipError_tPvRmT3_T4_T5_T6_T7_T9_mT8_P12ihipStream_tbDpT10_ENKUlT_T0_E_clISt17integral_constantIbLb0EES1C_IbLb1EEEEDaS18_S19_EUlS18_E_NS1_11comp_targetILNS1_3genE3ELNS1_11target_archE908ELNS1_3gpuE7ELNS1_3repE0EEENS1_30default_config_static_selectorELNS0_4arch9wavefront6targetE0EEEvT1_
		.amdhsa_group_segment_fixed_size 0
		.amdhsa_private_segment_fixed_size 0
		.amdhsa_kernarg_size 144
		.amdhsa_user_sgpr_count 15
		.amdhsa_user_sgpr_dispatch_ptr 0
		.amdhsa_user_sgpr_queue_ptr 0
		.amdhsa_user_sgpr_kernarg_segment_ptr 1
		.amdhsa_user_sgpr_dispatch_id 0
		.amdhsa_user_sgpr_private_segment_size 0
		.amdhsa_wavefront_size32 1
		.amdhsa_uses_dynamic_stack 0
		.amdhsa_enable_private_segment 0
		.amdhsa_system_sgpr_workgroup_id_x 1
		.amdhsa_system_sgpr_workgroup_id_y 0
		.amdhsa_system_sgpr_workgroup_id_z 0
		.amdhsa_system_sgpr_workgroup_info 0
		.amdhsa_system_vgpr_workitem_id 0
		.amdhsa_next_free_vgpr 1
		.amdhsa_next_free_sgpr 1
		.amdhsa_reserve_vcc 0
		.amdhsa_float_round_mode_32 0
		.amdhsa_float_round_mode_16_64 0
		.amdhsa_float_denorm_mode_32 3
		.amdhsa_float_denorm_mode_16_64 3
		.amdhsa_dx10_clamp 1
		.amdhsa_ieee_mode 1
		.amdhsa_fp16_overflow 0
		.amdhsa_workgroup_processor_mode 1
		.amdhsa_memory_ordered 1
		.amdhsa_forward_progress 0
		.amdhsa_shared_vgpr_count 0
		.amdhsa_exception_fp_ieee_invalid_op 0
		.amdhsa_exception_fp_denorm_src 0
		.amdhsa_exception_fp_ieee_div_zero 0
		.amdhsa_exception_fp_ieee_overflow 0
		.amdhsa_exception_fp_ieee_underflow 0
		.amdhsa_exception_fp_ieee_inexact 0
		.amdhsa_exception_int_div_zero 0
	.end_amdhsa_kernel
	.section	.text._ZN7rocprim17ROCPRIM_400000_NS6detail17trampoline_kernelINS0_14default_configENS1_25partition_config_selectorILNS1_17partition_subalgoE9EyjbEEZZNS1_14partition_implILS5_9ELb0ES3_jN6thrust23THRUST_200600_302600_NS6detail15normal_iteratorINS9_10device_ptrIyEEEENSB_INSC_IjEEEEPNS0_10empty_typeENS0_5tupleIJNS9_16discard_iteratorINS9_11use_defaultEEESH_EEENSJ_IJSM_SI_EEENS0_18inequality_wrapperINS9_8equal_toIyEEEEPmJSH_EEE10hipError_tPvRmT3_T4_T5_T6_T7_T9_mT8_P12ihipStream_tbDpT10_ENKUlT_T0_E_clISt17integral_constantIbLb0EES1C_IbLb1EEEEDaS18_S19_EUlS18_E_NS1_11comp_targetILNS1_3genE3ELNS1_11target_archE908ELNS1_3gpuE7ELNS1_3repE0EEENS1_30default_config_static_selectorELNS0_4arch9wavefront6targetE0EEEvT1_,"axG",@progbits,_ZN7rocprim17ROCPRIM_400000_NS6detail17trampoline_kernelINS0_14default_configENS1_25partition_config_selectorILNS1_17partition_subalgoE9EyjbEEZZNS1_14partition_implILS5_9ELb0ES3_jN6thrust23THRUST_200600_302600_NS6detail15normal_iteratorINS9_10device_ptrIyEEEENSB_INSC_IjEEEEPNS0_10empty_typeENS0_5tupleIJNS9_16discard_iteratorINS9_11use_defaultEEESH_EEENSJ_IJSM_SI_EEENS0_18inequality_wrapperINS9_8equal_toIyEEEEPmJSH_EEE10hipError_tPvRmT3_T4_T5_T6_T7_T9_mT8_P12ihipStream_tbDpT10_ENKUlT_T0_E_clISt17integral_constantIbLb0EES1C_IbLb1EEEEDaS18_S19_EUlS18_E_NS1_11comp_targetILNS1_3genE3ELNS1_11target_archE908ELNS1_3gpuE7ELNS1_3repE0EEENS1_30default_config_static_selectorELNS0_4arch9wavefront6targetE0EEEvT1_,comdat
.Lfunc_end720:
	.size	_ZN7rocprim17ROCPRIM_400000_NS6detail17trampoline_kernelINS0_14default_configENS1_25partition_config_selectorILNS1_17partition_subalgoE9EyjbEEZZNS1_14partition_implILS5_9ELb0ES3_jN6thrust23THRUST_200600_302600_NS6detail15normal_iteratorINS9_10device_ptrIyEEEENSB_INSC_IjEEEEPNS0_10empty_typeENS0_5tupleIJNS9_16discard_iteratorINS9_11use_defaultEEESH_EEENSJ_IJSM_SI_EEENS0_18inequality_wrapperINS9_8equal_toIyEEEEPmJSH_EEE10hipError_tPvRmT3_T4_T5_T6_T7_T9_mT8_P12ihipStream_tbDpT10_ENKUlT_T0_E_clISt17integral_constantIbLb0EES1C_IbLb1EEEEDaS18_S19_EUlS18_E_NS1_11comp_targetILNS1_3genE3ELNS1_11target_archE908ELNS1_3gpuE7ELNS1_3repE0EEENS1_30default_config_static_selectorELNS0_4arch9wavefront6targetE0EEEvT1_, .Lfunc_end720-_ZN7rocprim17ROCPRIM_400000_NS6detail17trampoline_kernelINS0_14default_configENS1_25partition_config_selectorILNS1_17partition_subalgoE9EyjbEEZZNS1_14partition_implILS5_9ELb0ES3_jN6thrust23THRUST_200600_302600_NS6detail15normal_iteratorINS9_10device_ptrIyEEEENSB_INSC_IjEEEEPNS0_10empty_typeENS0_5tupleIJNS9_16discard_iteratorINS9_11use_defaultEEESH_EEENSJ_IJSM_SI_EEENS0_18inequality_wrapperINS9_8equal_toIyEEEEPmJSH_EEE10hipError_tPvRmT3_T4_T5_T6_T7_T9_mT8_P12ihipStream_tbDpT10_ENKUlT_T0_E_clISt17integral_constantIbLb0EES1C_IbLb1EEEEDaS18_S19_EUlS18_E_NS1_11comp_targetILNS1_3genE3ELNS1_11target_archE908ELNS1_3gpuE7ELNS1_3repE0EEENS1_30default_config_static_selectorELNS0_4arch9wavefront6targetE0EEEvT1_
                                        ; -- End function
	.section	.AMDGPU.csdata,"",@progbits
; Kernel info:
; codeLenInByte = 0
; NumSgprs: 0
; NumVgprs: 0
; ScratchSize: 0
; MemoryBound: 0
; FloatMode: 240
; IeeeMode: 1
; LDSByteSize: 0 bytes/workgroup (compile time only)
; SGPRBlocks: 0
; VGPRBlocks: 0
; NumSGPRsForWavesPerEU: 1
; NumVGPRsForWavesPerEU: 1
; Occupancy: 16
; WaveLimiterHint : 0
; COMPUTE_PGM_RSRC2:SCRATCH_EN: 0
; COMPUTE_PGM_RSRC2:USER_SGPR: 15
; COMPUTE_PGM_RSRC2:TRAP_HANDLER: 0
; COMPUTE_PGM_RSRC2:TGID_X_EN: 1
; COMPUTE_PGM_RSRC2:TGID_Y_EN: 0
; COMPUTE_PGM_RSRC2:TGID_Z_EN: 0
; COMPUTE_PGM_RSRC2:TIDIG_COMP_CNT: 0
	.section	.text._ZN7rocprim17ROCPRIM_400000_NS6detail17trampoline_kernelINS0_14default_configENS1_25partition_config_selectorILNS1_17partition_subalgoE9EyjbEEZZNS1_14partition_implILS5_9ELb0ES3_jN6thrust23THRUST_200600_302600_NS6detail15normal_iteratorINS9_10device_ptrIyEEEENSB_INSC_IjEEEEPNS0_10empty_typeENS0_5tupleIJNS9_16discard_iteratorINS9_11use_defaultEEESH_EEENSJ_IJSM_SI_EEENS0_18inequality_wrapperINS9_8equal_toIyEEEEPmJSH_EEE10hipError_tPvRmT3_T4_T5_T6_T7_T9_mT8_P12ihipStream_tbDpT10_ENKUlT_T0_E_clISt17integral_constantIbLb0EES1C_IbLb1EEEEDaS18_S19_EUlS18_E_NS1_11comp_targetILNS1_3genE2ELNS1_11target_archE906ELNS1_3gpuE6ELNS1_3repE0EEENS1_30default_config_static_selectorELNS0_4arch9wavefront6targetE0EEEvT1_,"axG",@progbits,_ZN7rocprim17ROCPRIM_400000_NS6detail17trampoline_kernelINS0_14default_configENS1_25partition_config_selectorILNS1_17partition_subalgoE9EyjbEEZZNS1_14partition_implILS5_9ELb0ES3_jN6thrust23THRUST_200600_302600_NS6detail15normal_iteratorINS9_10device_ptrIyEEEENSB_INSC_IjEEEEPNS0_10empty_typeENS0_5tupleIJNS9_16discard_iteratorINS9_11use_defaultEEESH_EEENSJ_IJSM_SI_EEENS0_18inequality_wrapperINS9_8equal_toIyEEEEPmJSH_EEE10hipError_tPvRmT3_T4_T5_T6_T7_T9_mT8_P12ihipStream_tbDpT10_ENKUlT_T0_E_clISt17integral_constantIbLb0EES1C_IbLb1EEEEDaS18_S19_EUlS18_E_NS1_11comp_targetILNS1_3genE2ELNS1_11target_archE906ELNS1_3gpuE6ELNS1_3repE0EEENS1_30default_config_static_selectorELNS0_4arch9wavefront6targetE0EEEvT1_,comdat
	.protected	_ZN7rocprim17ROCPRIM_400000_NS6detail17trampoline_kernelINS0_14default_configENS1_25partition_config_selectorILNS1_17partition_subalgoE9EyjbEEZZNS1_14partition_implILS5_9ELb0ES3_jN6thrust23THRUST_200600_302600_NS6detail15normal_iteratorINS9_10device_ptrIyEEEENSB_INSC_IjEEEEPNS0_10empty_typeENS0_5tupleIJNS9_16discard_iteratorINS9_11use_defaultEEESH_EEENSJ_IJSM_SI_EEENS0_18inequality_wrapperINS9_8equal_toIyEEEEPmJSH_EEE10hipError_tPvRmT3_T4_T5_T6_T7_T9_mT8_P12ihipStream_tbDpT10_ENKUlT_T0_E_clISt17integral_constantIbLb0EES1C_IbLb1EEEEDaS18_S19_EUlS18_E_NS1_11comp_targetILNS1_3genE2ELNS1_11target_archE906ELNS1_3gpuE6ELNS1_3repE0EEENS1_30default_config_static_selectorELNS0_4arch9wavefront6targetE0EEEvT1_ ; -- Begin function _ZN7rocprim17ROCPRIM_400000_NS6detail17trampoline_kernelINS0_14default_configENS1_25partition_config_selectorILNS1_17partition_subalgoE9EyjbEEZZNS1_14partition_implILS5_9ELb0ES3_jN6thrust23THRUST_200600_302600_NS6detail15normal_iteratorINS9_10device_ptrIyEEEENSB_INSC_IjEEEEPNS0_10empty_typeENS0_5tupleIJNS9_16discard_iteratorINS9_11use_defaultEEESH_EEENSJ_IJSM_SI_EEENS0_18inequality_wrapperINS9_8equal_toIyEEEEPmJSH_EEE10hipError_tPvRmT3_T4_T5_T6_T7_T9_mT8_P12ihipStream_tbDpT10_ENKUlT_T0_E_clISt17integral_constantIbLb0EES1C_IbLb1EEEEDaS18_S19_EUlS18_E_NS1_11comp_targetILNS1_3genE2ELNS1_11target_archE906ELNS1_3gpuE6ELNS1_3repE0EEENS1_30default_config_static_selectorELNS0_4arch9wavefront6targetE0EEEvT1_
	.globl	_ZN7rocprim17ROCPRIM_400000_NS6detail17trampoline_kernelINS0_14default_configENS1_25partition_config_selectorILNS1_17partition_subalgoE9EyjbEEZZNS1_14partition_implILS5_9ELb0ES3_jN6thrust23THRUST_200600_302600_NS6detail15normal_iteratorINS9_10device_ptrIyEEEENSB_INSC_IjEEEEPNS0_10empty_typeENS0_5tupleIJNS9_16discard_iteratorINS9_11use_defaultEEESH_EEENSJ_IJSM_SI_EEENS0_18inequality_wrapperINS9_8equal_toIyEEEEPmJSH_EEE10hipError_tPvRmT3_T4_T5_T6_T7_T9_mT8_P12ihipStream_tbDpT10_ENKUlT_T0_E_clISt17integral_constantIbLb0EES1C_IbLb1EEEEDaS18_S19_EUlS18_E_NS1_11comp_targetILNS1_3genE2ELNS1_11target_archE906ELNS1_3gpuE6ELNS1_3repE0EEENS1_30default_config_static_selectorELNS0_4arch9wavefront6targetE0EEEvT1_
	.p2align	8
	.type	_ZN7rocprim17ROCPRIM_400000_NS6detail17trampoline_kernelINS0_14default_configENS1_25partition_config_selectorILNS1_17partition_subalgoE9EyjbEEZZNS1_14partition_implILS5_9ELb0ES3_jN6thrust23THRUST_200600_302600_NS6detail15normal_iteratorINS9_10device_ptrIyEEEENSB_INSC_IjEEEEPNS0_10empty_typeENS0_5tupleIJNS9_16discard_iteratorINS9_11use_defaultEEESH_EEENSJ_IJSM_SI_EEENS0_18inequality_wrapperINS9_8equal_toIyEEEEPmJSH_EEE10hipError_tPvRmT3_T4_T5_T6_T7_T9_mT8_P12ihipStream_tbDpT10_ENKUlT_T0_E_clISt17integral_constantIbLb0EES1C_IbLb1EEEEDaS18_S19_EUlS18_E_NS1_11comp_targetILNS1_3genE2ELNS1_11target_archE906ELNS1_3gpuE6ELNS1_3repE0EEENS1_30default_config_static_selectorELNS0_4arch9wavefront6targetE0EEEvT1_,@function
_ZN7rocprim17ROCPRIM_400000_NS6detail17trampoline_kernelINS0_14default_configENS1_25partition_config_selectorILNS1_17partition_subalgoE9EyjbEEZZNS1_14partition_implILS5_9ELb0ES3_jN6thrust23THRUST_200600_302600_NS6detail15normal_iteratorINS9_10device_ptrIyEEEENSB_INSC_IjEEEEPNS0_10empty_typeENS0_5tupleIJNS9_16discard_iteratorINS9_11use_defaultEEESH_EEENSJ_IJSM_SI_EEENS0_18inequality_wrapperINS9_8equal_toIyEEEEPmJSH_EEE10hipError_tPvRmT3_T4_T5_T6_T7_T9_mT8_P12ihipStream_tbDpT10_ENKUlT_T0_E_clISt17integral_constantIbLb0EES1C_IbLb1EEEEDaS18_S19_EUlS18_E_NS1_11comp_targetILNS1_3genE2ELNS1_11target_archE906ELNS1_3gpuE6ELNS1_3repE0EEENS1_30default_config_static_selectorELNS0_4arch9wavefront6targetE0EEEvT1_: ; @_ZN7rocprim17ROCPRIM_400000_NS6detail17trampoline_kernelINS0_14default_configENS1_25partition_config_selectorILNS1_17partition_subalgoE9EyjbEEZZNS1_14partition_implILS5_9ELb0ES3_jN6thrust23THRUST_200600_302600_NS6detail15normal_iteratorINS9_10device_ptrIyEEEENSB_INSC_IjEEEEPNS0_10empty_typeENS0_5tupleIJNS9_16discard_iteratorINS9_11use_defaultEEESH_EEENSJ_IJSM_SI_EEENS0_18inequality_wrapperINS9_8equal_toIyEEEEPmJSH_EEE10hipError_tPvRmT3_T4_T5_T6_T7_T9_mT8_P12ihipStream_tbDpT10_ENKUlT_T0_E_clISt17integral_constantIbLb0EES1C_IbLb1EEEEDaS18_S19_EUlS18_E_NS1_11comp_targetILNS1_3genE2ELNS1_11target_archE906ELNS1_3gpuE6ELNS1_3repE0EEENS1_30default_config_static_selectorELNS0_4arch9wavefront6targetE0EEEvT1_
; %bb.0:
	.section	.rodata,"a",@progbits
	.p2align	6, 0x0
	.amdhsa_kernel _ZN7rocprim17ROCPRIM_400000_NS6detail17trampoline_kernelINS0_14default_configENS1_25partition_config_selectorILNS1_17partition_subalgoE9EyjbEEZZNS1_14partition_implILS5_9ELb0ES3_jN6thrust23THRUST_200600_302600_NS6detail15normal_iteratorINS9_10device_ptrIyEEEENSB_INSC_IjEEEEPNS0_10empty_typeENS0_5tupleIJNS9_16discard_iteratorINS9_11use_defaultEEESH_EEENSJ_IJSM_SI_EEENS0_18inequality_wrapperINS9_8equal_toIyEEEEPmJSH_EEE10hipError_tPvRmT3_T4_T5_T6_T7_T9_mT8_P12ihipStream_tbDpT10_ENKUlT_T0_E_clISt17integral_constantIbLb0EES1C_IbLb1EEEEDaS18_S19_EUlS18_E_NS1_11comp_targetILNS1_3genE2ELNS1_11target_archE906ELNS1_3gpuE6ELNS1_3repE0EEENS1_30default_config_static_selectorELNS0_4arch9wavefront6targetE0EEEvT1_
		.amdhsa_group_segment_fixed_size 0
		.amdhsa_private_segment_fixed_size 0
		.amdhsa_kernarg_size 144
		.amdhsa_user_sgpr_count 15
		.amdhsa_user_sgpr_dispatch_ptr 0
		.amdhsa_user_sgpr_queue_ptr 0
		.amdhsa_user_sgpr_kernarg_segment_ptr 1
		.amdhsa_user_sgpr_dispatch_id 0
		.amdhsa_user_sgpr_private_segment_size 0
		.amdhsa_wavefront_size32 1
		.amdhsa_uses_dynamic_stack 0
		.amdhsa_enable_private_segment 0
		.amdhsa_system_sgpr_workgroup_id_x 1
		.amdhsa_system_sgpr_workgroup_id_y 0
		.amdhsa_system_sgpr_workgroup_id_z 0
		.amdhsa_system_sgpr_workgroup_info 0
		.amdhsa_system_vgpr_workitem_id 0
		.amdhsa_next_free_vgpr 1
		.amdhsa_next_free_sgpr 1
		.amdhsa_reserve_vcc 0
		.amdhsa_float_round_mode_32 0
		.amdhsa_float_round_mode_16_64 0
		.amdhsa_float_denorm_mode_32 3
		.amdhsa_float_denorm_mode_16_64 3
		.amdhsa_dx10_clamp 1
		.amdhsa_ieee_mode 1
		.amdhsa_fp16_overflow 0
		.amdhsa_workgroup_processor_mode 1
		.amdhsa_memory_ordered 1
		.amdhsa_forward_progress 0
		.amdhsa_shared_vgpr_count 0
		.amdhsa_exception_fp_ieee_invalid_op 0
		.amdhsa_exception_fp_denorm_src 0
		.amdhsa_exception_fp_ieee_div_zero 0
		.amdhsa_exception_fp_ieee_overflow 0
		.amdhsa_exception_fp_ieee_underflow 0
		.amdhsa_exception_fp_ieee_inexact 0
		.amdhsa_exception_int_div_zero 0
	.end_amdhsa_kernel
	.section	.text._ZN7rocprim17ROCPRIM_400000_NS6detail17trampoline_kernelINS0_14default_configENS1_25partition_config_selectorILNS1_17partition_subalgoE9EyjbEEZZNS1_14partition_implILS5_9ELb0ES3_jN6thrust23THRUST_200600_302600_NS6detail15normal_iteratorINS9_10device_ptrIyEEEENSB_INSC_IjEEEEPNS0_10empty_typeENS0_5tupleIJNS9_16discard_iteratorINS9_11use_defaultEEESH_EEENSJ_IJSM_SI_EEENS0_18inequality_wrapperINS9_8equal_toIyEEEEPmJSH_EEE10hipError_tPvRmT3_T4_T5_T6_T7_T9_mT8_P12ihipStream_tbDpT10_ENKUlT_T0_E_clISt17integral_constantIbLb0EES1C_IbLb1EEEEDaS18_S19_EUlS18_E_NS1_11comp_targetILNS1_3genE2ELNS1_11target_archE906ELNS1_3gpuE6ELNS1_3repE0EEENS1_30default_config_static_selectorELNS0_4arch9wavefront6targetE0EEEvT1_,"axG",@progbits,_ZN7rocprim17ROCPRIM_400000_NS6detail17trampoline_kernelINS0_14default_configENS1_25partition_config_selectorILNS1_17partition_subalgoE9EyjbEEZZNS1_14partition_implILS5_9ELb0ES3_jN6thrust23THRUST_200600_302600_NS6detail15normal_iteratorINS9_10device_ptrIyEEEENSB_INSC_IjEEEEPNS0_10empty_typeENS0_5tupleIJNS9_16discard_iteratorINS9_11use_defaultEEESH_EEENSJ_IJSM_SI_EEENS0_18inequality_wrapperINS9_8equal_toIyEEEEPmJSH_EEE10hipError_tPvRmT3_T4_T5_T6_T7_T9_mT8_P12ihipStream_tbDpT10_ENKUlT_T0_E_clISt17integral_constantIbLb0EES1C_IbLb1EEEEDaS18_S19_EUlS18_E_NS1_11comp_targetILNS1_3genE2ELNS1_11target_archE906ELNS1_3gpuE6ELNS1_3repE0EEENS1_30default_config_static_selectorELNS0_4arch9wavefront6targetE0EEEvT1_,comdat
.Lfunc_end721:
	.size	_ZN7rocprim17ROCPRIM_400000_NS6detail17trampoline_kernelINS0_14default_configENS1_25partition_config_selectorILNS1_17partition_subalgoE9EyjbEEZZNS1_14partition_implILS5_9ELb0ES3_jN6thrust23THRUST_200600_302600_NS6detail15normal_iteratorINS9_10device_ptrIyEEEENSB_INSC_IjEEEEPNS0_10empty_typeENS0_5tupleIJNS9_16discard_iteratorINS9_11use_defaultEEESH_EEENSJ_IJSM_SI_EEENS0_18inequality_wrapperINS9_8equal_toIyEEEEPmJSH_EEE10hipError_tPvRmT3_T4_T5_T6_T7_T9_mT8_P12ihipStream_tbDpT10_ENKUlT_T0_E_clISt17integral_constantIbLb0EES1C_IbLb1EEEEDaS18_S19_EUlS18_E_NS1_11comp_targetILNS1_3genE2ELNS1_11target_archE906ELNS1_3gpuE6ELNS1_3repE0EEENS1_30default_config_static_selectorELNS0_4arch9wavefront6targetE0EEEvT1_, .Lfunc_end721-_ZN7rocprim17ROCPRIM_400000_NS6detail17trampoline_kernelINS0_14default_configENS1_25partition_config_selectorILNS1_17partition_subalgoE9EyjbEEZZNS1_14partition_implILS5_9ELb0ES3_jN6thrust23THRUST_200600_302600_NS6detail15normal_iteratorINS9_10device_ptrIyEEEENSB_INSC_IjEEEEPNS0_10empty_typeENS0_5tupleIJNS9_16discard_iteratorINS9_11use_defaultEEESH_EEENSJ_IJSM_SI_EEENS0_18inequality_wrapperINS9_8equal_toIyEEEEPmJSH_EEE10hipError_tPvRmT3_T4_T5_T6_T7_T9_mT8_P12ihipStream_tbDpT10_ENKUlT_T0_E_clISt17integral_constantIbLb0EES1C_IbLb1EEEEDaS18_S19_EUlS18_E_NS1_11comp_targetILNS1_3genE2ELNS1_11target_archE906ELNS1_3gpuE6ELNS1_3repE0EEENS1_30default_config_static_selectorELNS0_4arch9wavefront6targetE0EEEvT1_
                                        ; -- End function
	.section	.AMDGPU.csdata,"",@progbits
; Kernel info:
; codeLenInByte = 0
; NumSgprs: 0
; NumVgprs: 0
; ScratchSize: 0
; MemoryBound: 0
; FloatMode: 240
; IeeeMode: 1
; LDSByteSize: 0 bytes/workgroup (compile time only)
; SGPRBlocks: 0
; VGPRBlocks: 0
; NumSGPRsForWavesPerEU: 1
; NumVGPRsForWavesPerEU: 1
; Occupancy: 16
; WaveLimiterHint : 0
; COMPUTE_PGM_RSRC2:SCRATCH_EN: 0
; COMPUTE_PGM_RSRC2:USER_SGPR: 15
; COMPUTE_PGM_RSRC2:TRAP_HANDLER: 0
; COMPUTE_PGM_RSRC2:TGID_X_EN: 1
; COMPUTE_PGM_RSRC2:TGID_Y_EN: 0
; COMPUTE_PGM_RSRC2:TGID_Z_EN: 0
; COMPUTE_PGM_RSRC2:TIDIG_COMP_CNT: 0
	.section	.text._ZN7rocprim17ROCPRIM_400000_NS6detail17trampoline_kernelINS0_14default_configENS1_25partition_config_selectorILNS1_17partition_subalgoE9EyjbEEZZNS1_14partition_implILS5_9ELb0ES3_jN6thrust23THRUST_200600_302600_NS6detail15normal_iteratorINS9_10device_ptrIyEEEENSB_INSC_IjEEEEPNS0_10empty_typeENS0_5tupleIJNS9_16discard_iteratorINS9_11use_defaultEEESH_EEENSJ_IJSM_SI_EEENS0_18inequality_wrapperINS9_8equal_toIyEEEEPmJSH_EEE10hipError_tPvRmT3_T4_T5_T6_T7_T9_mT8_P12ihipStream_tbDpT10_ENKUlT_T0_E_clISt17integral_constantIbLb0EES1C_IbLb1EEEEDaS18_S19_EUlS18_E_NS1_11comp_targetILNS1_3genE10ELNS1_11target_archE1200ELNS1_3gpuE4ELNS1_3repE0EEENS1_30default_config_static_selectorELNS0_4arch9wavefront6targetE0EEEvT1_,"axG",@progbits,_ZN7rocprim17ROCPRIM_400000_NS6detail17trampoline_kernelINS0_14default_configENS1_25partition_config_selectorILNS1_17partition_subalgoE9EyjbEEZZNS1_14partition_implILS5_9ELb0ES3_jN6thrust23THRUST_200600_302600_NS6detail15normal_iteratorINS9_10device_ptrIyEEEENSB_INSC_IjEEEEPNS0_10empty_typeENS0_5tupleIJNS9_16discard_iteratorINS9_11use_defaultEEESH_EEENSJ_IJSM_SI_EEENS0_18inequality_wrapperINS9_8equal_toIyEEEEPmJSH_EEE10hipError_tPvRmT3_T4_T5_T6_T7_T9_mT8_P12ihipStream_tbDpT10_ENKUlT_T0_E_clISt17integral_constantIbLb0EES1C_IbLb1EEEEDaS18_S19_EUlS18_E_NS1_11comp_targetILNS1_3genE10ELNS1_11target_archE1200ELNS1_3gpuE4ELNS1_3repE0EEENS1_30default_config_static_selectorELNS0_4arch9wavefront6targetE0EEEvT1_,comdat
	.protected	_ZN7rocprim17ROCPRIM_400000_NS6detail17trampoline_kernelINS0_14default_configENS1_25partition_config_selectorILNS1_17partition_subalgoE9EyjbEEZZNS1_14partition_implILS5_9ELb0ES3_jN6thrust23THRUST_200600_302600_NS6detail15normal_iteratorINS9_10device_ptrIyEEEENSB_INSC_IjEEEEPNS0_10empty_typeENS0_5tupleIJNS9_16discard_iteratorINS9_11use_defaultEEESH_EEENSJ_IJSM_SI_EEENS0_18inequality_wrapperINS9_8equal_toIyEEEEPmJSH_EEE10hipError_tPvRmT3_T4_T5_T6_T7_T9_mT8_P12ihipStream_tbDpT10_ENKUlT_T0_E_clISt17integral_constantIbLb0EES1C_IbLb1EEEEDaS18_S19_EUlS18_E_NS1_11comp_targetILNS1_3genE10ELNS1_11target_archE1200ELNS1_3gpuE4ELNS1_3repE0EEENS1_30default_config_static_selectorELNS0_4arch9wavefront6targetE0EEEvT1_ ; -- Begin function _ZN7rocprim17ROCPRIM_400000_NS6detail17trampoline_kernelINS0_14default_configENS1_25partition_config_selectorILNS1_17partition_subalgoE9EyjbEEZZNS1_14partition_implILS5_9ELb0ES3_jN6thrust23THRUST_200600_302600_NS6detail15normal_iteratorINS9_10device_ptrIyEEEENSB_INSC_IjEEEEPNS0_10empty_typeENS0_5tupleIJNS9_16discard_iteratorINS9_11use_defaultEEESH_EEENSJ_IJSM_SI_EEENS0_18inequality_wrapperINS9_8equal_toIyEEEEPmJSH_EEE10hipError_tPvRmT3_T4_T5_T6_T7_T9_mT8_P12ihipStream_tbDpT10_ENKUlT_T0_E_clISt17integral_constantIbLb0EES1C_IbLb1EEEEDaS18_S19_EUlS18_E_NS1_11comp_targetILNS1_3genE10ELNS1_11target_archE1200ELNS1_3gpuE4ELNS1_3repE0EEENS1_30default_config_static_selectorELNS0_4arch9wavefront6targetE0EEEvT1_
	.globl	_ZN7rocprim17ROCPRIM_400000_NS6detail17trampoline_kernelINS0_14default_configENS1_25partition_config_selectorILNS1_17partition_subalgoE9EyjbEEZZNS1_14partition_implILS5_9ELb0ES3_jN6thrust23THRUST_200600_302600_NS6detail15normal_iteratorINS9_10device_ptrIyEEEENSB_INSC_IjEEEEPNS0_10empty_typeENS0_5tupleIJNS9_16discard_iteratorINS9_11use_defaultEEESH_EEENSJ_IJSM_SI_EEENS0_18inequality_wrapperINS9_8equal_toIyEEEEPmJSH_EEE10hipError_tPvRmT3_T4_T5_T6_T7_T9_mT8_P12ihipStream_tbDpT10_ENKUlT_T0_E_clISt17integral_constantIbLb0EES1C_IbLb1EEEEDaS18_S19_EUlS18_E_NS1_11comp_targetILNS1_3genE10ELNS1_11target_archE1200ELNS1_3gpuE4ELNS1_3repE0EEENS1_30default_config_static_selectorELNS0_4arch9wavefront6targetE0EEEvT1_
	.p2align	8
	.type	_ZN7rocprim17ROCPRIM_400000_NS6detail17trampoline_kernelINS0_14default_configENS1_25partition_config_selectorILNS1_17partition_subalgoE9EyjbEEZZNS1_14partition_implILS5_9ELb0ES3_jN6thrust23THRUST_200600_302600_NS6detail15normal_iteratorINS9_10device_ptrIyEEEENSB_INSC_IjEEEEPNS0_10empty_typeENS0_5tupleIJNS9_16discard_iteratorINS9_11use_defaultEEESH_EEENSJ_IJSM_SI_EEENS0_18inequality_wrapperINS9_8equal_toIyEEEEPmJSH_EEE10hipError_tPvRmT3_T4_T5_T6_T7_T9_mT8_P12ihipStream_tbDpT10_ENKUlT_T0_E_clISt17integral_constantIbLb0EES1C_IbLb1EEEEDaS18_S19_EUlS18_E_NS1_11comp_targetILNS1_3genE10ELNS1_11target_archE1200ELNS1_3gpuE4ELNS1_3repE0EEENS1_30default_config_static_selectorELNS0_4arch9wavefront6targetE0EEEvT1_,@function
_ZN7rocprim17ROCPRIM_400000_NS6detail17trampoline_kernelINS0_14default_configENS1_25partition_config_selectorILNS1_17partition_subalgoE9EyjbEEZZNS1_14partition_implILS5_9ELb0ES3_jN6thrust23THRUST_200600_302600_NS6detail15normal_iteratorINS9_10device_ptrIyEEEENSB_INSC_IjEEEEPNS0_10empty_typeENS0_5tupleIJNS9_16discard_iteratorINS9_11use_defaultEEESH_EEENSJ_IJSM_SI_EEENS0_18inequality_wrapperINS9_8equal_toIyEEEEPmJSH_EEE10hipError_tPvRmT3_T4_T5_T6_T7_T9_mT8_P12ihipStream_tbDpT10_ENKUlT_T0_E_clISt17integral_constantIbLb0EES1C_IbLb1EEEEDaS18_S19_EUlS18_E_NS1_11comp_targetILNS1_3genE10ELNS1_11target_archE1200ELNS1_3gpuE4ELNS1_3repE0EEENS1_30default_config_static_selectorELNS0_4arch9wavefront6targetE0EEEvT1_: ; @_ZN7rocprim17ROCPRIM_400000_NS6detail17trampoline_kernelINS0_14default_configENS1_25partition_config_selectorILNS1_17partition_subalgoE9EyjbEEZZNS1_14partition_implILS5_9ELb0ES3_jN6thrust23THRUST_200600_302600_NS6detail15normal_iteratorINS9_10device_ptrIyEEEENSB_INSC_IjEEEEPNS0_10empty_typeENS0_5tupleIJNS9_16discard_iteratorINS9_11use_defaultEEESH_EEENSJ_IJSM_SI_EEENS0_18inequality_wrapperINS9_8equal_toIyEEEEPmJSH_EEE10hipError_tPvRmT3_T4_T5_T6_T7_T9_mT8_P12ihipStream_tbDpT10_ENKUlT_T0_E_clISt17integral_constantIbLb0EES1C_IbLb1EEEEDaS18_S19_EUlS18_E_NS1_11comp_targetILNS1_3genE10ELNS1_11target_archE1200ELNS1_3gpuE4ELNS1_3repE0EEENS1_30default_config_static_selectorELNS0_4arch9wavefront6targetE0EEEvT1_
; %bb.0:
	.section	.rodata,"a",@progbits
	.p2align	6, 0x0
	.amdhsa_kernel _ZN7rocprim17ROCPRIM_400000_NS6detail17trampoline_kernelINS0_14default_configENS1_25partition_config_selectorILNS1_17partition_subalgoE9EyjbEEZZNS1_14partition_implILS5_9ELb0ES3_jN6thrust23THRUST_200600_302600_NS6detail15normal_iteratorINS9_10device_ptrIyEEEENSB_INSC_IjEEEEPNS0_10empty_typeENS0_5tupleIJNS9_16discard_iteratorINS9_11use_defaultEEESH_EEENSJ_IJSM_SI_EEENS0_18inequality_wrapperINS9_8equal_toIyEEEEPmJSH_EEE10hipError_tPvRmT3_T4_T5_T6_T7_T9_mT8_P12ihipStream_tbDpT10_ENKUlT_T0_E_clISt17integral_constantIbLb0EES1C_IbLb1EEEEDaS18_S19_EUlS18_E_NS1_11comp_targetILNS1_3genE10ELNS1_11target_archE1200ELNS1_3gpuE4ELNS1_3repE0EEENS1_30default_config_static_selectorELNS0_4arch9wavefront6targetE0EEEvT1_
		.amdhsa_group_segment_fixed_size 0
		.amdhsa_private_segment_fixed_size 0
		.amdhsa_kernarg_size 144
		.amdhsa_user_sgpr_count 15
		.amdhsa_user_sgpr_dispatch_ptr 0
		.amdhsa_user_sgpr_queue_ptr 0
		.amdhsa_user_sgpr_kernarg_segment_ptr 1
		.amdhsa_user_sgpr_dispatch_id 0
		.amdhsa_user_sgpr_private_segment_size 0
		.amdhsa_wavefront_size32 1
		.amdhsa_uses_dynamic_stack 0
		.amdhsa_enable_private_segment 0
		.amdhsa_system_sgpr_workgroup_id_x 1
		.amdhsa_system_sgpr_workgroup_id_y 0
		.amdhsa_system_sgpr_workgroup_id_z 0
		.amdhsa_system_sgpr_workgroup_info 0
		.amdhsa_system_vgpr_workitem_id 0
		.amdhsa_next_free_vgpr 1
		.amdhsa_next_free_sgpr 1
		.amdhsa_reserve_vcc 0
		.amdhsa_float_round_mode_32 0
		.amdhsa_float_round_mode_16_64 0
		.amdhsa_float_denorm_mode_32 3
		.amdhsa_float_denorm_mode_16_64 3
		.amdhsa_dx10_clamp 1
		.amdhsa_ieee_mode 1
		.amdhsa_fp16_overflow 0
		.amdhsa_workgroup_processor_mode 1
		.amdhsa_memory_ordered 1
		.amdhsa_forward_progress 0
		.amdhsa_shared_vgpr_count 0
		.amdhsa_exception_fp_ieee_invalid_op 0
		.amdhsa_exception_fp_denorm_src 0
		.amdhsa_exception_fp_ieee_div_zero 0
		.amdhsa_exception_fp_ieee_overflow 0
		.amdhsa_exception_fp_ieee_underflow 0
		.amdhsa_exception_fp_ieee_inexact 0
		.amdhsa_exception_int_div_zero 0
	.end_amdhsa_kernel
	.section	.text._ZN7rocprim17ROCPRIM_400000_NS6detail17trampoline_kernelINS0_14default_configENS1_25partition_config_selectorILNS1_17partition_subalgoE9EyjbEEZZNS1_14partition_implILS5_9ELb0ES3_jN6thrust23THRUST_200600_302600_NS6detail15normal_iteratorINS9_10device_ptrIyEEEENSB_INSC_IjEEEEPNS0_10empty_typeENS0_5tupleIJNS9_16discard_iteratorINS9_11use_defaultEEESH_EEENSJ_IJSM_SI_EEENS0_18inequality_wrapperINS9_8equal_toIyEEEEPmJSH_EEE10hipError_tPvRmT3_T4_T5_T6_T7_T9_mT8_P12ihipStream_tbDpT10_ENKUlT_T0_E_clISt17integral_constantIbLb0EES1C_IbLb1EEEEDaS18_S19_EUlS18_E_NS1_11comp_targetILNS1_3genE10ELNS1_11target_archE1200ELNS1_3gpuE4ELNS1_3repE0EEENS1_30default_config_static_selectorELNS0_4arch9wavefront6targetE0EEEvT1_,"axG",@progbits,_ZN7rocprim17ROCPRIM_400000_NS6detail17trampoline_kernelINS0_14default_configENS1_25partition_config_selectorILNS1_17partition_subalgoE9EyjbEEZZNS1_14partition_implILS5_9ELb0ES3_jN6thrust23THRUST_200600_302600_NS6detail15normal_iteratorINS9_10device_ptrIyEEEENSB_INSC_IjEEEEPNS0_10empty_typeENS0_5tupleIJNS9_16discard_iteratorINS9_11use_defaultEEESH_EEENSJ_IJSM_SI_EEENS0_18inequality_wrapperINS9_8equal_toIyEEEEPmJSH_EEE10hipError_tPvRmT3_T4_T5_T6_T7_T9_mT8_P12ihipStream_tbDpT10_ENKUlT_T0_E_clISt17integral_constantIbLb0EES1C_IbLb1EEEEDaS18_S19_EUlS18_E_NS1_11comp_targetILNS1_3genE10ELNS1_11target_archE1200ELNS1_3gpuE4ELNS1_3repE0EEENS1_30default_config_static_selectorELNS0_4arch9wavefront6targetE0EEEvT1_,comdat
.Lfunc_end722:
	.size	_ZN7rocprim17ROCPRIM_400000_NS6detail17trampoline_kernelINS0_14default_configENS1_25partition_config_selectorILNS1_17partition_subalgoE9EyjbEEZZNS1_14partition_implILS5_9ELb0ES3_jN6thrust23THRUST_200600_302600_NS6detail15normal_iteratorINS9_10device_ptrIyEEEENSB_INSC_IjEEEEPNS0_10empty_typeENS0_5tupleIJNS9_16discard_iteratorINS9_11use_defaultEEESH_EEENSJ_IJSM_SI_EEENS0_18inequality_wrapperINS9_8equal_toIyEEEEPmJSH_EEE10hipError_tPvRmT3_T4_T5_T6_T7_T9_mT8_P12ihipStream_tbDpT10_ENKUlT_T0_E_clISt17integral_constantIbLb0EES1C_IbLb1EEEEDaS18_S19_EUlS18_E_NS1_11comp_targetILNS1_3genE10ELNS1_11target_archE1200ELNS1_3gpuE4ELNS1_3repE0EEENS1_30default_config_static_selectorELNS0_4arch9wavefront6targetE0EEEvT1_, .Lfunc_end722-_ZN7rocprim17ROCPRIM_400000_NS6detail17trampoline_kernelINS0_14default_configENS1_25partition_config_selectorILNS1_17partition_subalgoE9EyjbEEZZNS1_14partition_implILS5_9ELb0ES3_jN6thrust23THRUST_200600_302600_NS6detail15normal_iteratorINS9_10device_ptrIyEEEENSB_INSC_IjEEEEPNS0_10empty_typeENS0_5tupleIJNS9_16discard_iteratorINS9_11use_defaultEEESH_EEENSJ_IJSM_SI_EEENS0_18inequality_wrapperINS9_8equal_toIyEEEEPmJSH_EEE10hipError_tPvRmT3_T4_T5_T6_T7_T9_mT8_P12ihipStream_tbDpT10_ENKUlT_T0_E_clISt17integral_constantIbLb0EES1C_IbLb1EEEEDaS18_S19_EUlS18_E_NS1_11comp_targetILNS1_3genE10ELNS1_11target_archE1200ELNS1_3gpuE4ELNS1_3repE0EEENS1_30default_config_static_selectorELNS0_4arch9wavefront6targetE0EEEvT1_
                                        ; -- End function
	.section	.AMDGPU.csdata,"",@progbits
; Kernel info:
; codeLenInByte = 0
; NumSgprs: 0
; NumVgprs: 0
; ScratchSize: 0
; MemoryBound: 0
; FloatMode: 240
; IeeeMode: 1
; LDSByteSize: 0 bytes/workgroup (compile time only)
; SGPRBlocks: 0
; VGPRBlocks: 0
; NumSGPRsForWavesPerEU: 1
; NumVGPRsForWavesPerEU: 1
; Occupancy: 15
; WaveLimiterHint : 0
; COMPUTE_PGM_RSRC2:SCRATCH_EN: 0
; COMPUTE_PGM_RSRC2:USER_SGPR: 15
; COMPUTE_PGM_RSRC2:TRAP_HANDLER: 0
; COMPUTE_PGM_RSRC2:TGID_X_EN: 1
; COMPUTE_PGM_RSRC2:TGID_Y_EN: 0
; COMPUTE_PGM_RSRC2:TGID_Z_EN: 0
; COMPUTE_PGM_RSRC2:TIDIG_COMP_CNT: 0
	.section	.text._ZN7rocprim17ROCPRIM_400000_NS6detail17trampoline_kernelINS0_14default_configENS1_25partition_config_selectorILNS1_17partition_subalgoE9EyjbEEZZNS1_14partition_implILS5_9ELb0ES3_jN6thrust23THRUST_200600_302600_NS6detail15normal_iteratorINS9_10device_ptrIyEEEENSB_INSC_IjEEEEPNS0_10empty_typeENS0_5tupleIJNS9_16discard_iteratorINS9_11use_defaultEEESH_EEENSJ_IJSM_SI_EEENS0_18inequality_wrapperINS9_8equal_toIyEEEEPmJSH_EEE10hipError_tPvRmT3_T4_T5_T6_T7_T9_mT8_P12ihipStream_tbDpT10_ENKUlT_T0_E_clISt17integral_constantIbLb0EES1C_IbLb1EEEEDaS18_S19_EUlS18_E_NS1_11comp_targetILNS1_3genE9ELNS1_11target_archE1100ELNS1_3gpuE3ELNS1_3repE0EEENS1_30default_config_static_selectorELNS0_4arch9wavefront6targetE0EEEvT1_,"axG",@progbits,_ZN7rocprim17ROCPRIM_400000_NS6detail17trampoline_kernelINS0_14default_configENS1_25partition_config_selectorILNS1_17partition_subalgoE9EyjbEEZZNS1_14partition_implILS5_9ELb0ES3_jN6thrust23THRUST_200600_302600_NS6detail15normal_iteratorINS9_10device_ptrIyEEEENSB_INSC_IjEEEEPNS0_10empty_typeENS0_5tupleIJNS9_16discard_iteratorINS9_11use_defaultEEESH_EEENSJ_IJSM_SI_EEENS0_18inequality_wrapperINS9_8equal_toIyEEEEPmJSH_EEE10hipError_tPvRmT3_T4_T5_T6_T7_T9_mT8_P12ihipStream_tbDpT10_ENKUlT_T0_E_clISt17integral_constantIbLb0EES1C_IbLb1EEEEDaS18_S19_EUlS18_E_NS1_11comp_targetILNS1_3genE9ELNS1_11target_archE1100ELNS1_3gpuE3ELNS1_3repE0EEENS1_30default_config_static_selectorELNS0_4arch9wavefront6targetE0EEEvT1_,comdat
	.protected	_ZN7rocprim17ROCPRIM_400000_NS6detail17trampoline_kernelINS0_14default_configENS1_25partition_config_selectorILNS1_17partition_subalgoE9EyjbEEZZNS1_14partition_implILS5_9ELb0ES3_jN6thrust23THRUST_200600_302600_NS6detail15normal_iteratorINS9_10device_ptrIyEEEENSB_INSC_IjEEEEPNS0_10empty_typeENS0_5tupleIJNS9_16discard_iteratorINS9_11use_defaultEEESH_EEENSJ_IJSM_SI_EEENS0_18inequality_wrapperINS9_8equal_toIyEEEEPmJSH_EEE10hipError_tPvRmT3_T4_T5_T6_T7_T9_mT8_P12ihipStream_tbDpT10_ENKUlT_T0_E_clISt17integral_constantIbLb0EES1C_IbLb1EEEEDaS18_S19_EUlS18_E_NS1_11comp_targetILNS1_3genE9ELNS1_11target_archE1100ELNS1_3gpuE3ELNS1_3repE0EEENS1_30default_config_static_selectorELNS0_4arch9wavefront6targetE0EEEvT1_ ; -- Begin function _ZN7rocprim17ROCPRIM_400000_NS6detail17trampoline_kernelINS0_14default_configENS1_25partition_config_selectorILNS1_17partition_subalgoE9EyjbEEZZNS1_14partition_implILS5_9ELb0ES3_jN6thrust23THRUST_200600_302600_NS6detail15normal_iteratorINS9_10device_ptrIyEEEENSB_INSC_IjEEEEPNS0_10empty_typeENS0_5tupleIJNS9_16discard_iteratorINS9_11use_defaultEEESH_EEENSJ_IJSM_SI_EEENS0_18inequality_wrapperINS9_8equal_toIyEEEEPmJSH_EEE10hipError_tPvRmT3_T4_T5_T6_T7_T9_mT8_P12ihipStream_tbDpT10_ENKUlT_T0_E_clISt17integral_constantIbLb0EES1C_IbLb1EEEEDaS18_S19_EUlS18_E_NS1_11comp_targetILNS1_3genE9ELNS1_11target_archE1100ELNS1_3gpuE3ELNS1_3repE0EEENS1_30default_config_static_selectorELNS0_4arch9wavefront6targetE0EEEvT1_
	.globl	_ZN7rocprim17ROCPRIM_400000_NS6detail17trampoline_kernelINS0_14default_configENS1_25partition_config_selectorILNS1_17partition_subalgoE9EyjbEEZZNS1_14partition_implILS5_9ELb0ES3_jN6thrust23THRUST_200600_302600_NS6detail15normal_iteratorINS9_10device_ptrIyEEEENSB_INSC_IjEEEEPNS0_10empty_typeENS0_5tupleIJNS9_16discard_iteratorINS9_11use_defaultEEESH_EEENSJ_IJSM_SI_EEENS0_18inequality_wrapperINS9_8equal_toIyEEEEPmJSH_EEE10hipError_tPvRmT3_T4_T5_T6_T7_T9_mT8_P12ihipStream_tbDpT10_ENKUlT_T0_E_clISt17integral_constantIbLb0EES1C_IbLb1EEEEDaS18_S19_EUlS18_E_NS1_11comp_targetILNS1_3genE9ELNS1_11target_archE1100ELNS1_3gpuE3ELNS1_3repE0EEENS1_30default_config_static_selectorELNS0_4arch9wavefront6targetE0EEEvT1_
	.p2align	8
	.type	_ZN7rocprim17ROCPRIM_400000_NS6detail17trampoline_kernelINS0_14default_configENS1_25partition_config_selectorILNS1_17partition_subalgoE9EyjbEEZZNS1_14partition_implILS5_9ELb0ES3_jN6thrust23THRUST_200600_302600_NS6detail15normal_iteratorINS9_10device_ptrIyEEEENSB_INSC_IjEEEEPNS0_10empty_typeENS0_5tupleIJNS9_16discard_iteratorINS9_11use_defaultEEESH_EEENSJ_IJSM_SI_EEENS0_18inequality_wrapperINS9_8equal_toIyEEEEPmJSH_EEE10hipError_tPvRmT3_T4_T5_T6_T7_T9_mT8_P12ihipStream_tbDpT10_ENKUlT_T0_E_clISt17integral_constantIbLb0EES1C_IbLb1EEEEDaS18_S19_EUlS18_E_NS1_11comp_targetILNS1_3genE9ELNS1_11target_archE1100ELNS1_3gpuE3ELNS1_3repE0EEENS1_30default_config_static_selectorELNS0_4arch9wavefront6targetE0EEEvT1_,@function
_ZN7rocprim17ROCPRIM_400000_NS6detail17trampoline_kernelINS0_14default_configENS1_25partition_config_selectorILNS1_17partition_subalgoE9EyjbEEZZNS1_14partition_implILS5_9ELb0ES3_jN6thrust23THRUST_200600_302600_NS6detail15normal_iteratorINS9_10device_ptrIyEEEENSB_INSC_IjEEEEPNS0_10empty_typeENS0_5tupleIJNS9_16discard_iteratorINS9_11use_defaultEEESH_EEENSJ_IJSM_SI_EEENS0_18inequality_wrapperINS9_8equal_toIyEEEEPmJSH_EEE10hipError_tPvRmT3_T4_T5_T6_T7_T9_mT8_P12ihipStream_tbDpT10_ENKUlT_T0_E_clISt17integral_constantIbLb0EES1C_IbLb1EEEEDaS18_S19_EUlS18_E_NS1_11comp_targetILNS1_3genE9ELNS1_11target_archE1100ELNS1_3gpuE3ELNS1_3repE0EEENS1_30default_config_static_selectorELNS0_4arch9wavefront6targetE0EEEvT1_: ; @_ZN7rocprim17ROCPRIM_400000_NS6detail17trampoline_kernelINS0_14default_configENS1_25partition_config_selectorILNS1_17partition_subalgoE9EyjbEEZZNS1_14partition_implILS5_9ELb0ES3_jN6thrust23THRUST_200600_302600_NS6detail15normal_iteratorINS9_10device_ptrIyEEEENSB_INSC_IjEEEEPNS0_10empty_typeENS0_5tupleIJNS9_16discard_iteratorINS9_11use_defaultEEESH_EEENSJ_IJSM_SI_EEENS0_18inequality_wrapperINS9_8equal_toIyEEEEPmJSH_EEE10hipError_tPvRmT3_T4_T5_T6_T7_T9_mT8_P12ihipStream_tbDpT10_ENKUlT_T0_E_clISt17integral_constantIbLb0EES1C_IbLb1EEEEDaS18_S19_EUlS18_E_NS1_11comp_targetILNS1_3genE9ELNS1_11target_archE1100ELNS1_3gpuE3ELNS1_3repE0EEENS1_30default_config_static_selectorELNS0_4arch9wavefront6targetE0EEEvT1_
; %bb.0:
	s_clause 0x4
	s_load_b128 s[4:7], s[0:1], 0x8
	s_load_b64 s[8:9], s[0:1], 0x18
	s_load_b64 s[16:17], s[0:1], 0x60
	s_load_b128 s[12:15], s[0:1], 0x50
	s_load_b64 s[10:11], s[0:1], 0x70
	v_cmp_ne_u32_e64 s3, 0, v0
	v_cmp_eq_u32_e64 s2, 0, v0
	s_delay_alu instid0(VALU_DEP_1)
	s_and_saveexec_b32 s18, s2
	s_cbranch_execz .LBB723_4
; %bb.1:
	s_mov_b32 s20, exec_lo
	s_mov_b32 s19, exec_lo
	v_mbcnt_lo_u32_b32 v1, s20, 0
                                        ; implicit-def: $vgpr2
	s_delay_alu instid0(VALU_DEP_1)
	v_cmpx_eq_u32_e32 0, v1
	s_cbranch_execz .LBB723_3
; %bb.2:
	s_load_b64 s[22:23], s[0:1], 0x80
	s_bcnt1_i32_b32 s20, s20
	s_delay_alu instid0(SALU_CYCLE_1)
	v_dual_mov_b32 v2, 0 :: v_dual_mov_b32 v3, s20
	s_waitcnt lgkmcnt(0)
	global_atomic_add_u32 v2, v2, v3, s[22:23] glc
.LBB723_3:
	s_or_b32 exec_lo, exec_lo, s19
	s_waitcnt vmcnt(0)
	v_readfirstlane_b32 s19, v2
	s_delay_alu instid0(VALU_DEP_1)
	v_dual_mov_b32 v2, 0 :: v_dual_add_nc_u32 v1, s19, v1
	ds_store_b32 v2, v1
.LBB723_4:
	s_or_b32 exec_lo, exec_lo, s18
	v_mov_b32_e32 v1, 0
	s_waitcnt lgkmcnt(0)
	s_barrier
	buffer_gl0_inv
	s_load_b32 s0, s[0:1], 0x78
	ds_load_b32 v2, v1
	s_waitcnt lgkmcnt(0)
	s_barrier
	buffer_gl0_inv
	global_load_b64 v[17:18], v1, s[14:15]
	s_lshl_b64 s[18:19], s[6:7], 3
	v_lshlrev_b32_e32 v31, 3, v0
	s_add_u32 s20, s4, s18
	s_addc_u32 s21, s5, s19
	v_lshrrev_b32_e32 v26, 2, v0
	v_or_b32_e32 v25, 0x200, v0
	v_or_b32_e32 v24, 0x400, v0
	;; [unrolled: 1-line block ×7, first 2 shown]
	s_add_i32 s5, s0, -1
	v_readfirstlane_b32 s15, v2
	s_lshl_b32 s1, s5, 12
	s_lshl_b32 s0, s0, 12
	s_add_i32 s1, s6, s1
	s_delay_alu instid0(SALU_CYCLE_1)
	s_sub_i32 s18, s16, s1
	s_lshl_b32 s4, s15, 12
	s_add_u32 s0, s6, s0
	s_addc_u32 s1, s7, 0
	s_cmp_eq_u32 s15, s5
	v_cmp_ge_u64_e64 s0, s[0:1], s[16:17]
	s_cselect_b32 s14, -1, 0
	s_mov_b32 s5, 0
	s_delay_alu instid0(VALU_DEP_1)
	s_and_b32 s16, s0, s14
	s_lshl_b64 s[0:1], s[4:5], 3
	s_xor_b32 s17, s16, -1
	s_add_u32 s19, s20, s0
	s_addc_u32 s1, s21, s1
	s_and_b32 vcc_lo, exec_lo, s17
	s_mov_b32 s20, -1
	s_cbranch_vccz .LBB723_6
; %bb.5:
	v_add_co_u32 v1, s0, s19, v31
	s_delay_alu instid0(VALU_DEP_1) | instskip(SKIP_1) | instid1(VALU_DEP_3)
	v_add_co_ci_u32_e64 v2, null, s1, 0, s0
	v_lshrrev_b32_e32 v28, 2, v25
	v_add_co_u32 v3, vcc_lo, 0x1000, v1
	s_delay_alu instid0(VALU_DEP_3)
	v_add_co_ci_u32_e32 v4, vcc_lo, 0, v2, vcc_lo
	v_add_co_u32 v5, vcc_lo, 0x2000, v1
	v_add_co_ci_u32_e32 v6, vcc_lo, 0, v2, vcc_lo
	v_add_co_u32 v7, vcc_lo, 0x3000, v1
	;; [unrolled: 2-line block ×6, first 2 shown]
	v_add_co_ci_u32_e32 v16, vcc_lo, 0, v2, vcc_lo
	s_clause 0x7
	flat_load_b64 v[1:2], v[1:2]
	flat_load_b64 v[3:4], v[3:4]
	;; [unrolled: 1-line block ×8, first 2 shown]
	v_lshrrev_b32_e32 v29, 2, v24
	v_lshrrev_b32_e32 v30, 2, v23
	;; [unrolled: 1-line block ×3, first 2 shown]
	v_and_b32_e32 v27, 0x78, v26
	v_lshrrev_b32_e32 v33, 2, v21
	v_lshrrev_b32_e32 v34, 2, v20
	;; [unrolled: 1-line block ×3, first 2 shown]
	v_and_b32_e32 v28, 0xf8, v28
	v_and_b32_e32 v29, 0x178, v29
	;; [unrolled: 1-line block ×4, first 2 shown]
	v_add_nc_u32_e32 v27, v27, v31
	v_and_b32_e32 v33, 0x2f8, v33
	v_and_b32_e32 v34, 0x378, v34
	;; [unrolled: 1-line block ×3, first 2 shown]
	v_add_nc_u32_e32 v28, v28, v31
	v_add_nc_u32_e32 v29, v29, v31
	;; [unrolled: 1-line block ×4, first 2 shown]
	s_mov_b32 s20, s5
	v_add_nc_u32_e32 v33, v33, v31
	v_add_nc_u32_e32 v34, v34, v31
	;; [unrolled: 1-line block ×3, first 2 shown]
	s_waitcnt vmcnt(7) lgkmcnt(7)
	ds_store_b64 v27, v[1:2]
	s_waitcnt vmcnt(6) lgkmcnt(7)
	ds_store_b64 v28, v[3:4] offset:4096
	s_waitcnt vmcnt(5) lgkmcnt(7)
	ds_store_b64 v29, v[5:6] offset:8192
	;; [unrolled: 2-line block ×7, first 2 shown]
	s_waitcnt lgkmcnt(0)
	s_barrier
.LBB723_6:
	v_cmp_gt_u32_e64 s0, s18, v0
	s_and_not1_b32 vcc_lo, exec_lo, s20
	s_cbranch_vccnz .LBB723_24
; %bb.7:
                                        ; implicit-def: $vgpr1_vgpr2_vgpr3_vgpr4_vgpr5_vgpr6_vgpr7_vgpr8_vgpr9_vgpr10_vgpr11_vgpr12_vgpr13_vgpr14_vgpr15_vgpr16
	s_delay_alu instid0(VALU_DEP_1)
	s_and_saveexec_b32 s20, s0
	s_cbranch_execz .LBB723_15
; %bb.8:
	v_add_co_u32 v1, s0, s19, v31
	s_delay_alu instid0(VALU_DEP_1) | instskip(SKIP_2) | instid1(SALU_CYCLE_1)
	v_add_co_ci_u32_e64 v2, null, s1, 0, s0
	flat_load_b64 v[1:2], v[1:2]
	s_or_b32 exec_lo, exec_lo, s20
	s_mov_b32 s0, exec_lo
	v_cmpx_gt_u32_e64 s18, v25
	s_cbranch_execnz .LBB723_16
.LBB723_9:
	s_or_b32 exec_lo, exec_lo, s0
	s_delay_alu instid0(SALU_CYCLE_1)
	s_mov_b32 s0, exec_lo
	v_cmpx_gt_u32_e64 s18, v24
	s_cbranch_execz .LBB723_17
.LBB723_10:
	v_lshlrev_b32_e32 v5, 3, v24
	s_delay_alu instid0(VALU_DEP_1) | instskip(NEXT) | instid1(VALU_DEP_1)
	v_add_co_u32 v5, s20, s19, v5
	v_add_co_ci_u32_e64 v6, null, s1, 0, s20
	flat_load_b64 v[5:6], v[5:6]
	s_or_b32 exec_lo, exec_lo, s0
	s_delay_alu instid0(SALU_CYCLE_1)
	s_mov_b32 s0, exec_lo
	v_cmpx_gt_u32_e64 s18, v23
	s_cbranch_execnz .LBB723_18
.LBB723_11:
	s_or_b32 exec_lo, exec_lo, s0
	s_delay_alu instid0(SALU_CYCLE_1)
	s_mov_b32 s0, exec_lo
	v_cmpx_gt_u32_e64 s18, v22
	s_cbranch_execz .LBB723_19
.LBB723_12:
	v_lshlrev_b32_e32 v9, 3, v22
	s_delay_alu instid0(VALU_DEP_1) | instskip(NEXT) | instid1(VALU_DEP_1)
	v_add_co_u32 v9, s20, s19, v9
	v_add_co_ci_u32_e64 v10, null, s1, 0, s20
	flat_load_b64 v[9:10], v[9:10]
	s_or_b32 exec_lo, exec_lo, s0
	s_delay_alu instid0(SALU_CYCLE_1)
	s_mov_b32 s0, exec_lo
	v_cmpx_gt_u32_e64 s18, v21
	s_cbranch_execnz .LBB723_20
.LBB723_13:
	s_or_b32 exec_lo, exec_lo, s0
	s_delay_alu instid0(SALU_CYCLE_1)
	s_mov_b32 s0, exec_lo
	v_cmpx_gt_u32_e64 s18, v20
	s_cbranch_execz .LBB723_21
.LBB723_14:
	v_lshlrev_b32_e32 v13, 3, v20
	s_delay_alu instid0(VALU_DEP_1) | instskip(NEXT) | instid1(VALU_DEP_1)
	v_add_co_u32 v13, s20, s19, v13
	v_add_co_ci_u32_e64 v14, null, s1, 0, s20
	flat_load_b64 v[13:14], v[13:14]
	s_or_b32 exec_lo, exec_lo, s0
	s_delay_alu instid0(SALU_CYCLE_1)
	s_mov_b32 s0, exec_lo
	v_cmpx_gt_u32_e64 s18, v19
	s_cbranch_execnz .LBB723_22
	s_branch .LBB723_23
.LBB723_15:
	s_or_b32 exec_lo, exec_lo, s20
	s_delay_alu instid0(SALU_CYCLE_1)
	s_mov_b32 s0, exec_lo
	v_cmpx_gt_u32_e64 s18, v25
	s_cbranch_execz .LBB723_9
.LBB723_16:
	v_lshlrev_b32_e32 v3, 3, v25
	s_delay_alu instid0(VALU_DEP_1) | instskip(NEXT) | instid1(VALU_DEP_1)
	v_add_co_u32 v3, s20, s19, v3
	v_add_co_ci_u32_e64 v4, null, s1, 0, s20
	flat_load_b64 v[3:4], v[3:4]
	s_or_b32 exec_lo, exec_lo, s0
	s_delay_alu instid0(SALU_CYCLE_1)
	s_mov_b32 s0, exec_lo
	v_cmpx_gt_u32_e64 s18, v24
	s_cbranch_execnz .LBB723_10
.LBB723_17:
	s_or_b32 exec_lo, exec_lo, s0
	s_delay_alu instid0(SALU_CYCLE_1)
	s_mov_b32 s0, exec_lo
	v_cmpx_gt_u32_e64 s18, v23
	s_cbranch_execz .LBB723_11
.LBB723_18:
	v_lshlrev_b32_e32 v7, 3, v23
	s_delay_alu instid0(VALU_DEP_1) | instskip(NEXT) | instid1(VALU_DEP_1)
	v_add_co_u32 v7, s20, s19, v7
	v_add_co_ci_u32_e64 v8, null, s1, 0, s20
	flat_load_b64 v[7:8], v[7:8]
	s_or_b32 exec_lo, exec_lo, s0
	s_delay_alu instid0(SALU_CYCLE_1)
	s_mov_b32 s0, exec_lo
	v_cmpx_gt_u32_e64 s18, v22
	s_cbranch_execnz .LBB723_12
.LBB723_19:
	s_or_b32 exec_lo, exec_lo, s0
	s_delay_alu instid0(SALU_CYCLE_1)
	s_mov_b32 s0, exec_lo
	v_cmpx_gt_u32_e64 s18, v21
	s_cbranch_execz .LBB723_13
.LBB723_20:
	v_lshlrev_b32_e32 v11, 3, v21
	s_delay_alu instid0(VALU_DEP_1) | instskip(NEXT) | instid1(VALU_DEP_1)
	v_add_co_u32 v11, s20, s19, v11
	v_add_co_ci_u32_e64 v12, null, s1, 0, s20
	flat_load_b64 v[11:12], v[11:12]
	s_or_b32 exec_lo, exec_lo, s0
	s_delay_alu instid0(SALU_CYCLE_1)
	s_mov_b32 s0, exec_lo
	v_cmpx_gt_u32_e64 s18, v20
	s_cbranch_execnz .LBB723_14
.LBB723_21:
	s_or_b32 exec_lo, exec_lo, s0
	s_delay_alu instid0(SALU_CYCLE_1)
	s_mov_b32 s0, exec_lo
	v_cmpx_gt_u32_e64 s18, v19
	s_cbranch_execz .LBB723_23
.LBB723_22:
	v_lshlrev_b32_e32 v15, 3, v19
	s_delay_alu instid0(VALU_DEP_1) | instskip(NEXT) | instid1(VALU_DEP_1)
	v_add_co_u32 v15, s20, s19, v15
	v_add_co_ci_u32_e64 v16, null, s1, 0, s20
	flat_load_b64 v[15:16], v[15:16]
.LBB723_23:
	s_or_b32 exec_lo, exec_lo, s0
	v_lshrrev_b32_e32 v27, 2, v25
	v_lshrrev_b32_e32 v28, 2, v24
	;; [unrolled: 1-line block ×4, first 2 shown]
	v_and_b32_e32 v29, 0x78, v26
	v_lshrrev_b32_e32 v33, 2, v21
	v_lshrrev_b32_e32 v34, 2, v20
	;; [unrolled: 1-line block ×3, first 2 shown]
	v_and_b32_e32 v27, 0xf8, v27
	v_and_b32_e32 v28, 0x1f8, v28
	;; [unrolled: 1-line block ×4, first 2 shown]
	v_add_nc_u32_e32 v29, v29, v31
	v_and_b32_e32 v33, 0x3f8, v33
	v_and_b32_e32 v34, 0x3f8, v34
	;; [unrolled: 1-line block ×3, first 2 shown]
	v_add_nc_u32_e32 v27, v27, v31
	v_add_nc_u32_e32 v28, v28, v31
	;; [unrolled: 1-line block ×7, first 2 shown]
	s_waitcnt vmcnt(0) lgkmcnt(0)
	ds_store_b64 v29, v[1:2]
	ds_store_b64 v27, v[3:4] offset:4096
	ds_store_b64 v28, v[5:6] offset:8192
	;; [unrolled: 1-line block ×7, first 2 shown]
	s_waitcnt lgkmcnt(0)
	s_barrier
.LBB723_24:
	v_add_nc_u32_e32 v26, v26, v31
	s_waitcnt vmcnt(0)
	buffer_gl0_inv
	s_lshl_b64 s[20:21], s[6:7], 2
	v_lshrrev_b32_e32 v28, 3, v0
	s_add_u32 s0, s8, s20
	v_lshlrev_b32_e32 v27, 3, v26
	s_addc_u32 s8, s9, s21
	s_lshl_b64 s[4:5], s[4:5], 2
	ds_load_2addr_b64 v[13:16], v27 offset1:1
	ds_load_2addr_b64 v[9:12], v27 offset0:2 offset1:3
	ds_load_2addr_b64 v[5:8], v27 offset0:4 offset1:5
	;; [unrolled: 1-line block ×3, first 2 shown]
	s_add_u32 s0, s0, s4
	s_addc_u32 s4, s8, s5
	s_and_b32 vcc_lo, exec_lo, s17
	s_mov_b32 s5, -1
	s_waitcnt lgkmcnt(0)
	s_barrier
	buffer_gl0_inv
	s_cbranch_vccz .LBB723_26
; %bb.25:
	v_lshlrev_b32_e32 v38, 2, v0
	v_lshrrev_b32_e32 v40, 3, v25
	v_lshrrev_b32_e32 v41, 3, v24
	;; [unrolled: 1-line block ×4, first 2 shown]
	v_add_co_u32 v29, s5, s0, v38
	s_delay_alu instid0(VALU_DEP_1) | instskip(SKIP_1) | instid1(VALU_DEP_3)
	v_add_co_ci_u32_e64 v30, null, s4, 0, s5
	v_lshrrev_b32_e32 v44, 3, v21
	v_add_co_u32 v32, vcc_lo, 0x1000, v29
	s_delay_alu instid0(VALU_DEP_3)
	v_add_co_ci_u32_e32 v33, vcc_lo, 0, v30, vcc_lo
	v_add_co_u32 v34, vcc_lo, 0x2000, v29
	v_add_co_ci_u32_e32 v35, vcc_lo, 0, v30, vcc_lo
	v_add_co_u32 v36, vcc_lo, 0x3000, v29
	v_add_co_ci_u32_e32 v37, vcc_lo, 0, v30, vcc_lo
	s_clause 0x7
	flat_load_b32 v39, v[29:30]
	flat_load_b32 v29, v[29:30] offset:2048
	flat_load_b32 v30, v[32:33]
	flat_load_b32 v32, v[32:33] offset:2048
	;; [unrolled: 2-line block ×4, first 2 shown]
	v_and_b32_e32 v37, 60, v28
	v_lshrrev_b32_e32 v45, 3, v20
	v_lshrrev_b32_e32 v46, 3, v19
	v_and_b32_e32 v40, 0x7c, v40
	v_and_b32_e32 v41, 0xbc, v41
	;; [unrolled: 1-line block ×4, first 2 shown]
	v_add_nc_u32_e32 v37, v37, v38
	v_and_b32_e32 v44, 0x17c, v44
	v_and_b32_e32 v45, 0x1bc, v45
	;; [unrolled: 1-line block ×3, first 2 shown]
	v_add_nc_u32_e32 v40, v40, v38
	v_add_nc_u32_e32 v41, v41, v38
	;; [unrolled: 1-line block ×4, first 2 shown]
	s_mov_b32 s5, 0
	v_add_nc_u32_e32 v44, v44, v38
	v_add_nc_u32_e32 v45, v45, v38
	;; [unrolled: 1-line block ×3, first 2 shown]
	s_waitcnt vmcnt(7) lgkmcnt(7)
	ds_store_b32 v37, v39
	s_waitcnt vmcnt(6) lgkmcnt(7)
	ds_store_b32 v40, v29 offset:2048
	s_waitcnt vmcnt(5) lgkmcnt(7)
	ds_store_b32 v41, v30 offset:4096
	;; [unrolled: 2-line block ×7, first 2 shown]
	s_waitcnt lgkmcnt(0)
	s_barrier
.LBB723_26:
	s_and_not1_b32 vcc_lo, exec_lo, s5
	s_cbranch_vccnz .LBB723_44
; %bb.27:
	s_mov_b32 s5, exec_lo
                                        ; implicit-def: $vgpr29
	v_cmpx_gt_u32_e64 s18, v0
	s_cbranch_execz .LBB723_29
; %bb.28:
	v_lshlrev_b32_e32 v29, 2, v0
	s_delay_alu instid0(VALU_DEP_1) | instskip(NEXT) | instid1(VALU_DEP_1)
	v_add_co_u32 v29, s8, s0, v29
	v_add_co_ci_u32_e64 v30, null, s4, 0, s8
	flat_load_b32 v29, v[29:30]
.LBB723_29:
	s_or_b32 exec_lo, exec_lo, s5
	s_delay_alu instid0(SALU_CYCLE_1)
	s_mov_b32 s5, exec_lo
                                        ; implicit-def: $vgpr30
	v_cmpx_gt_u32_e64 s18, v25
	s_cbranch_execz .LBB723_31
; %bb.30:
	v_lshlrev_b32_e32 v30, 2, v0
	s_delay_alu instid0(VALU_DEP_1) | instskip(NEXT) | instid1(VALU_DEP_1)
	v_add_co_u32 v32, s8, s0, v30
	v_add_co_ci_u32_e64 v33, null, s4, 0, s8
	flat_load_b32 v30, v[32:33] offset:2048
.LBB723_31:
	s_or_b32 exec_lo, exec_lo, s5
	s_delay_alu instid0(SALU_CYCLE_1)
	s_mov_b32 s5, exec_lo
                                        ; implicit-def: $vgpr32
	v_cmpx_gt_u32_e64 s18, v24
	s_cbranch_execz .LBB723_33
; %bb.32:
	v_lshlrev_b32_e32 v32, 2, v24
	s_delay_alu instid0(VALU_DEP_1) | instskip(NEXT) | instid1(VALU_DEP_1)
	v_add_co_u32 v32, s8, s0, v32
	v_add_co_ci_u32_e64 v33, null, s4, 0, s8
	flat_load_b32 v32, v[32:33]
.LBB723_33:
	s_or_b32 exec_lo, exec_lo, s5
	s_delay_alu instid0(SALU_CYCLE_1)
	s_mov_b32 s5, exec_lo
                                        ; implicit-def: $vgpr33
	v_cmpx_gt_u32_e64 s18, v23
	s_cbranch_execz .LBB723_35
; %bb.34:
	v_lshlrev_b32_e32 v33, 2, v23
	s_delay_alu instid0(VALU_DEP_1) | instskip(NEXT) | instid1(VALU_DEP_1)
	v_add_co_u32 v33, s8, s0, v33
	v_add_co_ci_u32_e64 v34, null, s4, 0, s8
	flat_load_b32 v33, v[33:34]
.LBB723_35:
	s_or_b32 exec_lo, exec_lo, s5
	s_delay_alu instid0(SALU_CYCLE_1)
	s_mov_b32 s5, exec_lo
                                        ; implicit-def: $vgpr34
	v_cmpx_gt_u32_e64 s18, v22
	s_cbranch_execz .LBB723_37
; %bb.36:
	v_lshlrev_b32_e32 v34, 2, v22
	s_delay_alu instid0(VALU_DEP_1) | instskip(NEXT) | instid1(VALU_DEP_1)
	v_add_co_u32 v34, s8, s0, v34
	v_add_co_ci_u32_e64 v35, null, s4, 0, s8
	flat_load_b32 v34, v[34:35]
.LBB723_37:
	s_or_b32 exec_lo, exec_lo, s5
	s_delay_alu instid0(SALU_CYCLE_1)
	s_mov_b32 s5, exec_lo
                                        ; implicit-def: $vgpr35
	v_cmpx_gt_u32_e64 s18, v21
	s_cbranch_execz .LBB723_39
; %bb.38:
	v_lshlrev_b32_e32 v35, 2, v21
	s_delay_alu instid0(VALU_DEP_1) | instskip(NEXT) | instid1(VALU_DEP_1)
	v_add_co_u32 v35, s8, s0, v35
	v_add_co_ci_u32_e64 v36, null, s4, 0, s8
	flat_load_b32 v35, v[35:36]
.LBB723_39:
	s_or_b32 exec_lo, exec_lo, s5
	s_delay_alu instid0(SALU_CYCLE_1)
	s_mov_b32 s5, exec_lo
                                        ; implicit-def: $vgpr36
	v_cmpx_gt_u32_e64 s18, v20
	s_cbranch_execz .LBB723_41
; %bb.40:
	v_lshlrev_b32_e32 v36, 2, v20
	s_delay_alu instid0(VALU_DEP_1) | instskip(NEXT) | instid1(VALU_DEP_1)
	v_add_co_u32 v36, s8, s0, v36
	v_add_co_ci_u32_e64 v37, null, s4, 0, s8
	flat_load_b32 v36, v[36:37]
.LBB723_41:
	s_or_b32 exec_lo, exec_lo, s5
	s_delay_alu instid0(SALU_CYCLE_1)
	s_mov_b32 s5, exec_lo
                                        ; implicit-def: $vgpr37
	v_cmpx_gt_u32_e64 s18, v19
	s_cbranch_execz .LBB723_43
; %bb.42:
	v_lshlrev_b32_e32 v37, 2, v19
	s_delay_alu instid0(VALU_DEP_1) | instskip(NEXT) | instid1(VALU_DEP_1)
	v_add_co_u32 v37, s0, s0, v37
	v_add_co_ci_u32_e64 v38, null, s4, 0, s0
	flat_load_b32 v37, v[37:38]
.LBB723_43:
	s_or_b32 exec_lo, exec_lo, s5
	v_lshrrev_b32_e32 v25, 3, v25
	v_lshrrev_b32_e32 v24, 3, v24
	v_lshrrev_b32_e32 v23, 3, v23
	v_lshrrev_b32_e32 v22, 3, v22
	v_and_b32_e32 v28, 60, v28
	v_lshlrev_b32_e32 v38, 2, v0
	v_lshrrev_b32_e32 v21, 3, v21
	v_lshrrev_b32_e32 v20, 3, v20
	;; [unrolled: 1-line block ×3, first 2 shown]
	v_and_b32_e32 v25, 0x7c, v25
	v_and_b32_e32 v24, 0xfc, v24
	;; [unrolled: 1-line block ×4, first 2 shown]
	v_add_nc_u32_e32 v28, v28, v38
	v_and_b32_e32 v21, 0x1fc, v21
	v_and_b32_e32 v20, 0x1fc, v20
	;; [unrolled: 1-line block ×3, first 2 shown]
	v_add_nc_u32_e32 v25, v25, v38
	v_add_nc_u32_e32 v24, v24, v38
	;; [unrolled: 1-line block ×7, first 2 shown]
	s_waitcnt vmcnt(0) lgkmcnt(0)
	ds_store_b32 v28, v29
	ds_store_b32 v25, v30 offset:2048
	ds_store_b32 v24, v32 offset:4096
	;; [unrolled: 1-line block ×7, first 2 shown]
	s_waitcnt lgkmcnt(0)
	s_barrier
.LBB723_44:
	v_lshlrev_b32_e32 v19, 2, v26
	buffer_gl0_inv
	s_cmp_lg_u32 s15, 0
	s_mov_b32 s20, 0
	s_cselect_b32 s9, -1, 0
	v_sub_nc_u32_e32 v19, v27, v19
	s_cmp_lg_u64 s[6:7], 0
	ds_load_2addr_b32 v[25:26], v19 offset1:1
	ds_load_2addr_b32 v[23:24], v19 offset0:2 offset1:3
	ds_load_2addr_b32 v[21:22], v19 offset0:4 offset1:5
	;; [unrolled: 1-line block ×3, first 2 shown]
	s_cselect_b32 s0, -1, 0
	s_waitcnt lgkmcnt(0)
	s_or_b32 s0, s0, s9
	s_barrier
	s_and_b32 vcc_lo, exec_lo, s0
	buffer_gl0_inv
	s_cbranch_vccz .LBB723_49
; %bb.45:
	v_add_co_u32 v27, s0, -8, s19
	s_delay_alu instid0(VALU_DEP_1)
	v_add_co_ci_u32_e64 v28, null, -1, s1, s0
	s_mov_b32 s1, -1
	s_and_b32 vcc_lo, exec_lo, s17
	flat_load_b64 v[29:30], v[27:28]
	ds_store_b64 v31, v[3:4]
	s_cbranch_vccz .LBB723_50
; %bb.46:
	s_waitcnt vmcnt(0) lgkmcnt(1)
	v_dual_mov_b32 v27, v29 :: v_dual_mov_b32 v28, v30
	s_waitcnt lgkmcnt(0)
	s_barrier
	buffer_gl0_inv
	s_and_saveexec_b32 s0, s3
	s_cbranch_execz .LBB723_48
; %bb.47:
	v_add_nc_u32_e32 v27, -8, v31
	ds_load_b64 v[27:28], v27
.LBB723_48:
	s_or_b32 exec_lo, exec_lo, s0
	v_cmp_ne_u64_e32 vcc_lo, v[1:2], v[3:4]
	s_waitcnt lgkmcnt(0)
	v_cmp_ne_u64_e64 s0, v[27:28], v[13:14]
	v_cndmask_b32_e64 v32, 0, 1, vcc_lo
	v_cmp_ne_u64_e32 vcc_lo, v[7:8], v[1:2]
	s_delay_alu instid0(VALU_DEP_2) | instskip(SKIP_2) | instid1(VALU_DEP_2)
	v_lshlrev_b16 v32, 8, v32
	v_cndmask_b32_e64 v33, 0, 1, vcc_lo
	v_cmp_ne_u64_e32 vcc_lo, v[5:6], v[7:8]
	v_or_b32_e32 v32, v33, v32
	v_cndmask_b32_e64 v34, 0, 1, vcc_lo
	v_cmp_ne_u64_e32 vcc_lo, v[9:10], v[11:12]
	s_delay_alu instid0(VALU_DEP_3) | instskip(NEXT) | instid1(VALU_DEP_3)
	v_lshlrev_b32_e32 v32, 16, v32
	v_lshlrev_b16 v34, 8, v34
	v_cndmask_b32_e64 v35, 0, 1, vcc_lo
	v_cmp_ne_u64_e32 vcc_lo, v[11:12], v[5:6]
	s_delay_alu instid0(VALU_DEP_2) | instskip(SKIP_2) | instid1(VALU_DEP_2)
	v_lshlrev_b16 v35, 8, v35
	v_cndmask_b32_e64 v36, 0, 1, vcc_lo
	v_cmp_ne_u64_e32 vcc_lo, v[15:16], v[9:10]
	v_or_b32_e32 v34, v36, v34
	v_cndmask_b32_e64 v37, 0, 1, vcc_lo
	v_cmp_ne_u64_e32 vcc_lo, v[13:14], v[15:16]
	s_delay_alu instid0(VALU_DEP_3) | instskip(NEXT) | instid1(VALU_DEP_3)
	v_and_b32_e32 v34, 0xffff, v34
	v_or_b32_e32 v35, v37, v35
	v_cndmask_b32_e64 v38, 0, 1, vcc_lo
	s_delay_alu instid0(VALU_DEP_3) | instskip(NEXT) | instid1(VALU_DEP_3)
	v_or_b32_e32 v28, v34, v32
	v_lshlrev_b32_e32 v33, 16, v35
	s_delay_alu instid0(VALU_DEP_3) | instskip(NEXT) | instid1(VALU_DEP_1)
	v_lshlrev_b16 v37, 8, v38
	v_and_b32_e32 v35, 0xffff, v37
	s_delay_alu instid0(VALU_DEP_1)
	v_or_b32_e32 v27, v35, v33
	s_branch .LBB723_54
.LBB723_49:
                                        ; implicit-def: $sgpr0
                                        ; implicit-def: $vgpr28
	s_branch .LBB723_55
.LBB723_50:
                                        ; implicit-def: $sgpr0
                                        ; implicit-def: $vgpr28
	s_and_b32 vcc_lo, exec_lo, s1
	s_cbranch_vccz .LBB723_54
; %bb.51:
	s_waitcnt vmcnt(0) lgkmcnt(0)
	s_barrier
	buffer_gl0_inv
	s_and_saveexec_b32 s0, s3
	s_cbranch_execz .LBB723_53
; %bb.52:
	v_add_nc_u32_e32 v27, -8, v31
	ds_load_b64 v[29:30], v27
.LBB723_53:
	s_or_b32 exec_lo, exec_lo, s0
	v_or_b32_e32 v27, 7, v31
	v_or_b32_e32 v28, 6, v31
	v_cmp_ne_u64_e32 vcc_lo, v[1:2], v[3:4]
	v_or_b32_e32 v32, 5, v31
	v_cmp_ne_u64_e64 s1, v[7:8], v[1:2]
	v_cmp_gt_u32_e64 s0, s18, v27
	v_cmp_gt_u32_e64 s4, s18, v28
	v_cmp_ne_u64_e64 s5, v[5:6], v[7:8]
	v_cmp_gt_u32_e64 s6, s18, v32
	v_or_b32_e32 v32, 3, v31
	s_and_b32 s0, s0, vcc_lo
	v_or_b32_e32 v33, 4, v31
	v_cndmask_b32_e64 v27, 0, 1, s0
	s_and_b32 s0, s4, s1
	v_cmp_ne_u64_e32 vcc_lo, v[9:10], v[11:12]
	v_cndmask_b32_e64 v28, 0, 1, s0
	s_and_b32 s0, s6, s5
	v_cmp_gt_u32_e64 s1, s18, v33
	v_cndmask_b32_e64 v34, 0, 1, s0
	v_cmp_gt_u32_e64 s0, s18, v32
	v_or_b32_e32 v32, 2, v31
	v_or_b32_e32 v33, 1, v31
	v_cmp_ne_u64_e64 s4, v[11:12], v[5:6]
	v_cmp_ne_u64_e64 s6, v[13:14], v[15:16]
	s_and_b32 s0, s0, vcc_lo
	v_cmp_ne_u64_e32 vcc_lo, v[15:16], v[9:10]
	v_cndmask_b32_e64 v35, 0, 1, s0
	v_cmp_gt_u32_e64 s0, s18, v32
	v_cmp_gt_u32_e64 s5, s18, v33
	s_and_b32 s1, s1, s4
	v_lshlrev_b16 v34, 8, v34
	v_cndmask_b32_e64 v32, 0, 1, s1
	s_and_b32 s0, s0, vcc_lo
	v_lshlrev_b16 v35, 8, v35
	v_cndmask_b32_e64 v33, 0, 1, s0
	s_and_b32 s0, s5, s6
	v_lshlrev_b16 v27, 8, v27
	v_cndmask_b32_e64 v36, 0, 1, s0
	v_or_b32_e32 v32, v32, v34
	v_or_b32_e32 v33, v33, v35
	s_waitcnt lgkmcnt(0)
	v_cmp_ne_u64_e32 vcc_lo, v[29:30], v[13:14]
	v_or_b32_e32 v27, v28, v27
	v_lshlrev_b16 v35, 8, v36
	v_and_b32_e32 v32, 0xffff, v32
	v_lshlrev_b32_e32 v28, 16, v33
	v_cmp_gt_u32_e64 s0, s18, v31
	v_lshlrev_b32_e32 v34, 16, v27
	v_and_b32_e32 v33, 0xffff, v35
	s_delay_alu instid0(VALU_DEP_3) | instskip(NEXT) | instid1(VALU_DEP_1)
	s_and_b32 s0, s0, vcc_lo
	v_or_b32_e32 v27, v33, v28
	s_delay_alu instid0(VALU_DEP_3)
	v_or_b32_e32 v28, v32, v34
.LBB723_54:
	s_mov_b32 s20, -1
	s_cbranch_execnz .LBB723_63
.LBB723_55:
	v_cmp_ne_u64_e64 s1, v[1:2], v[3:4]
	v_cmp_ne_u64_e64 s4, v[7:8], v[1:2]
	;; [unrolled: 1-line block ×7, first 2 shown]
	s_and_b32 vcc_lo, exec_lo, s17
	ds_store_b64 v31, v[3:4]
	s_cbranch_vccz .LBB723_59
; %bb.56:
	v_cndmask_b32_e64 v27, 0, 1, s1
	s_waitcnt vmcnt(0) lgkmcnt(2)
	v_cndmask_b32_e64 v29, 0, 1, s5
	v_cndmask_b32_e64 v32, 0, 1, s7
	;; [unrolled: 1-line block ×6, first 2 shown]
	v_lshlrev_b16 v29, 8, v29
	v_lshlrev_b16 v27, 8, v27
	;; [unrolled: 1-line block ×4, first 2 shown]
	s_waitcnt lgkmcnt(0)
	v_or_b32_e32 v29, v30, v29
	v_or_b32_e32 v27, v28, v27
	;; [unrolled: 1-line block ×4, first 2 shown]
	s_barrier
	v_and_b32_e32 v29, 0xffff, v29
	v_lshlrev_b32_e32 v27, 16, v27
	v_lshlrev_b32_e32 v32, 16, v28
	v_and_b32_e32 v30, 0xffff, v30
	buffer_gl0_inv
                                        ; implicit-def: $sgpr0
	v_or_b32_e32 v28, v29, v27
	v_or_b32_e32 v27, v30, v32
	s_and_saveexec_b32 s1, s3
	s_delay_alu instid0(SALU_CYCLE_1)
	s_xor_b32 s1, exec_lo, s1
	s_cbranch_execz .LBB723_58
; %bb.57:
	v_add_nc_u32_e32 v29, -8, v31
	s_or_b32 s20, s20, exec_lo
	ds_load_b64 v[29:30], v29
	s_waitcnt lgkmcnt(0)
	v_cmp_ne_u64_e32 vcc_lo, v[29:30], v[13:14]
	s_and_b32 s0, vcc_lo, exec_lo
.LBB723_58:
	s_or_b32 exec_lo, exec_lo, s1
	s_branch .LBB723_63
.LBB723_59:
                                        ; implicit-def: $sgpr0
                                        ; implicit-def: $vgpr28
	s_cbranch_execz .LBB723_63
; %bb.60:
	v_or_b32_e32 v27, 7, v31
	v_or_b32_e32 v28, 6, v31
	v_cmp_ne_u64_e32 vcc_lo, v[1:2], v[3:4]
	v_cmp_ne_u64_e64 s0, v[7:8], v[1:2]
	s_waitcnt vmcnt(0) lgkmcnt(2)
	v_or_b32_e32 v29, 4, v31
	v_cmp_gt_u32_e64 s1, s18, v27
	v_or_b32_e32 v27, 5, v31
	v_cmp_gt_u32_e64 s5, s18, v28
	v_cmp_ne_u64_e64 s4, v[5:6], v[7:8]
	v_cmp_ne_u64_e64 s6, v[11:12], v[5:6]
	s_and_b32 s1, s1, vcc_lo
	v_cmp_gt_u32_e32 vcc_lo, s18, v27
	v_cndmask_b32_e64 v28, 0, 1, s1
	v_cmp_gt_u32_e64 s1, s18, v29
	s_and_b32 s0, s5, s0
	v_or_b32_e32 v30, 3, v31
	v_cndmask_b32_e64 v27, 0, 1, s0
	s_and_b32 s0, vcc_lo, s4
	v_or_b32_e32 v33, 1, v31
	v_cndmask_b32_e64 v29, 0, 1, s0
	s_and_b32 s0, s1, s6
	v_cmp_ne_u64_e32 vcc_lo, v[9:10], v[11:12]
	v_cndmask_b32_e64 v32, 0, 1, s0
	v_cmp_gt_u32_e64 s0, s18, v30
	v_cmp_ne_u64_e64 s1, v[13:14], v[15:16]
	v_or_b32_e32 v34, 2, v31
	v_cmp_gt_u32_e64 s4, s18, v33
	v_cmp_ne_u64_e64 s5, v[15:16], v[9:10]
	s_and_b32 s0, s0, vcc_lo
	v_lshlrev_b16 v29, 8, v29
	v_cmp_gt_u32_e64 s6, s18, v34
	v_cndmask_b32_e64 v30, 0, 1, s0
	s_and_b32 s0, s4, s1
	v_lshlrev_b16 v28, 8, v28
	v_cndmask_b32_e64 v33, 0, 1, s0
	s_and_b32 s0, s6, s5
	v_lshlrev_b16 v30, 8, v30
	v_cndmask_b32_e64 v34, 0, 1, s0
	v_or_b32_e32 v29, v32, v29
	v_lshlrev_b16 v33, 8, v33
	v_or_b32_e32 v27, v27, v28
	s_waitcnt lgkmcnt(0)
	v_or_b32_e32 v28, v34, v30
	v_and_b32_e32 v29, 0xffff, v29
	v_or_b32_e32 v30, 1, v33
	v_lshlrev_b32_e32 v27, 16, v27
	s_barrier
	v_lshlrev_b32_e32 v32, 16, v28
	buffer_gl0_inv
	v_and_b32_e32 v30, 0xffff, v30
	v_or_b32_e32 v28, v29, v27
                                        ; implicit-def: $sgpr0
	s_delay_alu instid0(VALU_DEP_2)
	v_or_b32_e32 v27, v30, v32
	s_and_saveexec_b32 s1, s3
	s_cbranch_execz .LBB723_62
; %bb.61:
	v_add_nc_u32_e32 v29, -8, v31
	v_cmp_gt_u32_e64 s0, s18, v31
	s_or_b32 s20, s20, exec_lo
	ds_load_b64 v[29:30], v29
	s_waitcnt lgkmcnt(0)
	v_cmp_ne_u64_e32 vcc_lo, v[29:30], v[13:14]
	s_and_b32 s0, s0, vcc_lo
	s_delay_alu instid0(SALU_CYCLE_1)
	s_and_b32 s0, s0, exec_lo
.LBB723_62:
	s_or_b32 exec_lo, exec_lo, s1
.LBB723_63:
	s_and_saveexec_b32 s1, s20
	s_cbranch_execz .LBB723_65
; %bb.64:
	s_waitcnt vmcnt(0) lgkmcnt(1)
	v_and_b32_e32 v29, 0xffffff00, v27
	v_cndmask_b32_e64 v30, 0, 1, s0
	s_delay_alu instid0(VALU_DEP_1) | instskip(NEXT) | instid1(VALU_DEP_1)
	v_or_b32_e32 v29, v30, v29
	v_and_b32_e32 v29, 0xffff, v29
	s_delay_alu instid0(VALU_DEP_1)
	v_and_or_b32 v27, 0xffff0000, v27, v29
.LBB723_65:
	s_or_b32 exec_lo, exec_lo, s1
	s_delay_alu instid0(SALU_CYCLE_1)
	s_and_not1_b32 vcc_lo, exec_lo, s16
	s_cbranch_vccnz .LBB723_67
; %bb.66:
	v_cmp_gt_u32_e32 vcc_lo, s18, v31
	s_waitcnt vmcnt(0) lgkmcnt(1)
	v_or_b32_e32 v30, 1, v31
	v_or_b32_e32 v33, 2, v31
	v_dual_cndmask_b32 v29, 0, v27 :: v_dual_and_b32 v32, 0xffffff00, v28
	s_delay_alu instid0(VALU_DEP_3) | instskip(SKIP_1) | instid1(VALU_DEP_4)
	v_cmp_gt_u32_e32 vcc_lo, s18, v30
	v_or_b32_e32 v30, 4, v31
	v_cmp_gt_u32_e64 s0, s18, v33
	v_or_b32_e32 v33, 3, v31
	v_and_b32_e32 v29, 0xff, v29
	s_delay_alu instid0(VALU_DEP_2) | instskip(NEXT) | instid1(VALU_DEP_2)
	v_cmp_gt_u32_e64 s1, s18, v33
	v_cndmask_b32_e32 v29, v29, v27, vcc_lo
	v_cmp_gt_u32_e32 vcc_lo, s18, v30
	v_cndmask_b32_e32 v30, v32, v28, vcc_lo
	v_or_b32_e32 v32, 5, v31
	s_delay_alu instid0(VALU_DEP_2) | instskip(SKIP_1) | instid1(VALU_DEP_1)
	v_and_b32_e32 v30, 0xffff00ff, v30
	v_and_b32_e32 v29, 0xffff, v29
	v_cndmask_b32_e64 v29, v29, v27, s0
	s_delay_alu instid0(VALU_DEP_4) | instskip(SKIP_2) | instid1(VALU_DEP_4)
	v_cmp_gt_u32_e64 s0, s18, v32
	v_or_b32_e32 v32, 6, v31
	v_or_b32_e32 v31, 7, v31
	v_and_b32_e32 v29, 0xffffff, v29
	s_delay_alu instid0(VALU_DEP_4) | instskip(NEXT) | instid1(VALU_DEP_2)
	v_cndmask_b32_e64 v30, v30, v28, s0
	v_cndmask_b32_e64 v29, v29, v27, s1
	s_delay_alu instid0(VALU_DEP_1) | instskip(SKIP_1) | instid1(VALU_DEP_2)
	v_dual_cndmask_b32 v29, v29, v27 :: v_dual_and_b32 v30, 0xff00ffff, v30
	v_cmp_gt_u32_e32 vcc_lo, s18, v32
	v_cndmask_b32_e64 v29, v29, v27, s0
	s_delay_alu instid0(VALU_DEP_1) | instskip(NEXT) | instid1(VALU_DEP_1)
	v_dual_cndmask_b32 v30, v30, v28 :: v_dual_cndmask_b32 v29, v29, v27
	v_and_b32_e32 v30, 0xffffff, v30
	v_cmp_gt_u32_e32 vcc_lo, s18, v31
	s_delay_alu instid0(VALU_DEP_2)
	v_dual_cndmask_b32 v28, v30, v28 :: v_dual_cndmask_b32 v27, v29, v27
.LBB723_67:
	s_delay_alu instid0(VALU_DEP_1) | instskip(SKIP_1) | instid1(VALU_DEP_2)
	v_and_b32_e32 v38, 0xff, v27
	s_waitcnt vmcnt(0) lgkmcnt(1)
	v_alignbit_b32 v29, v28, v27, 24
	v_bfe_u32 v39, v27, 8, 8
	v_bfe_u32 v40, v27, 16, 8
	v_and_b32_e32 v42, 0xff, v28
	v_bfe_u32 v43, v28, 8, 8
	v_and_b32_e32 v41, 0xff, v29
	v_add_nc_u32_e32 v29, v39, v38
	v_mbcnt_lo_u32_b32 v45, -1, 0
	v_bfe_u32 v44, v28, 16, 8
	v_lshrrev_b32_e32 v37, 24, v28
	v_lshrrev_b32_e32 v46, 5, v0
	v_add3_u32 v29, v29, v40, v41
	v_and_b32_e32 v30, 15, v45
	v_and_b32_e32 v31, 16, v45
	s_and_b32 vcc_lo, exec_lo, s9
	s_mov_b32 s7, -1
	v_add3_u32 v29, v29, v42, v43
	v_cmp_eq_u32_e64 s3, 0, v30
	v_cmp_lt_u32_e64 s0, 1, v30
	v_cmp_lt_u32_e64 s4, 3, v30
	;; [unrolled: 1-line block ×3, first 2 shown]
	v_add3_u32 v47, v29, v44, v37
	v_or_b32_e32 v29, 31, v0
	v_cmp_eq_u32_e64 s6, 0, v31
	s_waitcnt lgkmcnt(0)
	s_barrier
	buffer_gl0_inv
	v_cmp_eq_u32_e64 s5, v29, v0
	s_cbranch_vccz .LBB723_93
; %bb.68:
	v_mov_b32_dpp v29, v47 row_shr:1 row_mask:0xf bank_mask:0xf
	s_delay_alu instid0(VALU_DEP_1) | instskip(NEXT) | instid1(VALU_DEP_1)
	v_cndmask_b32_e64 v29, v29, 0, s3
	v_add_nc_u32_e32 v29, v29, v47
	s_delay_alu instid0(VALU_DEP_1) | instskip(NEXT) | instid1(VALU_DEP_1)
	v_mov_b32_dpp v30, v29 row_shr:2 row_mask:0xf bank_mask:0xf
	v_cndmask_b32_e64 v30, 0, v30, s0
	s_delay_alu instid0(VALU_DEP_1) | instskip(NEXT) | instid1(VALU_DEP_1)
	v_add_nc_u32_e32 v29, v29, v30
	v_mov_b32_dpp v30, v29 row_shr:4 row_mask:0xf bank_mask:0xf
	s_delay_alu instid0(VALU_DEP_1) | instskip(NEXT) | instid1(VALU_DEP_1)
	v_cndmask_b32_e64 v30, 0, v30, s4
	v_add_nc_u32_e32 v29, v29, v30
	s_delay_alu instid0(VALU_DEP_1) | instskip(NEXT) | instid1(VALU_DEP_1)
	v_mov_b32_dpp v30, v29 row_shr:8 row_mask:0xf bank_mask:0xf
	v_cndmask_b32_e64 v30, 0, v30, s1
	s_delay_alu instid0(VALU_DEP_1) | instskip(SKIP_3) | instid1(VALU_DEP_1)
	v_add_nc_u32_e32 v29, v29, v30
	ds_swizzle_b32 v30, v29 offset:swizzle(BROADCAST,32,15)
	s_waitcnt lgkmcnt(0)
	v_cndmask_b32_e64 v30, v30, 0, s6
	v_add_nc_u32_e32 v29, v29, v30
	s_and_saveexec_b32 s7, s5
	s_cbranch_execz .LBB723_70
; %bb.69:
	v_lshlrev_b32_e32 v30, 2, v46
	ds_store_b32 v30, v29
.LBB723_70:
	s_or_b32 exec_lo, exec_lo, s7
	s_delay_alu instid0(SALU_CYCLE_1)
	s_mov_b32 s7, exec_lo
	s_waitcnt lgkmcnt(0)
	s_barrier
	buffer_gl0_inv
	v_cmpx_gt_u32_e32 16, v0
	s_cbranch_execz .LBB723_72
; %bb.71:
	v_lshlrev_b32_e32 v30, 2, v0
	ds_load_b32 v31, v30
	s_waitcnt lgkmcnt(0)
	v_mov_b32_dpp v32, v31 row_shr:1 row_mask:0xf bank_mask:0xf
	s_delay_alu instid0(VALU_DEP_1) | instskip(NEXT) | instid1(VALU_DEP_1)
	v_cndmask_b32_e64 v32, v32, 0, s3
	v_add_nc_u32_e32 v31, v32, v31
	s_delay_alu instid0(VALU_DEP_1) | instskip(NEXT) | instid1(VALU_DEP_1)
	v_mov_b32_dpp v32, v31 row_shr:2 row_mask:0xf bank_mask:0xf
	v_cndmask_b32_e64 v32, 0, v32, s0
	s_delay_alu instid0(VALU_DEP_1) | instskip(NEXT) | instid1(VALU_DEP_1)
	v_add_nc_u32_e32 v31, v31, v32
	v_mov_b32_dpp v32, v31 row_shr:4 row_mask:0xf bank_mask:0xf
	s_delay_alu instid0(VALU_DEP_1) | instskip(NEXT) | instid1(VALU_DEP_1)
	v_cndmask_b32_e64 v32, 0, v32, s4
	v_add_nc_u32_e32 v31, v31, v32
	s_delay_alu instid0(VALU_DEP_1) | instskip(NEXT) | instid1(VALU_DEP_1)
	v_mov_b32_dpp v32, v31 row_shr:8 row_mask:0xf bank_mask:0xf
	v_cndmask_b32_e64 v32, 0, v32, s1
	s_delay_alu instid0(VALU_DEP_1)
	v_add_nc_u32_e32 v31, v31, v32
	ds_store_b32 v30, v31
.LBB723_72:
	s_or_b32 exec_lo, exec_lo, s7
	v_cmp_gt_u32_e32 vcc_lo, 32, v0
	s_mov_b32 s8, exec_lo
	s_waitcnt lgkmcnt(0)
	s_barrier
	buffer_gl0_inv
                                        ; implicit-def: $vgpr48
	v_cmpx_lt_u32_e32 31, v0
	s_cbranch_execz .LBB723_74
; %bb.73:
	v_lshl_add_u32 v30, v46, 2, -4
	ds_load_b32 v48, v30
	s_waitcnt lgkmcnt(0)
	v_add_nc_u32_e32 v29, v48, v29
.LBB723_74:
	s_or_b32 exec_lo, exec_lo, s8
	v_add_nc_u32_e32 v30, -1, v45
	s_delay_alu instid0(VALU_DEP_1) | instskip(NEXT) | instid1(VALU_DEP_1)
	v_cmp_gt_i32_e64 s7, 0, v30
	v_cndmask_b32_e64 v30, v30, v45, s7
	v_cmp_eq_u32_e64 s7, 0, v45
	s_delay_alu instid0(VALU_DEP_2)
	v_lshlrev_b32_e32 v30, 2, v30
	ds_bpermute_b32 v49, v30, v29
	s_and_saveexec_b32 s8, vcc_lo
	s_cbranch_execz .LBB723_92
; %bb.75:
	v_mov_b32_e32 v33, 0
	ds_load_b32 v29, v33 offset:60
	s_and_saveexec_b32 s9, s7
	s_cbranch_execz .LBB723_77
; %bb.76:
	s_add_i32 s16, s15, 32
	s_mov_b32 s17, 0
	v_mov_b32_e32 v30, 1
	s_lshl_b64 s[16:17], s[16:17], 3
	s_delay_alu instid0(SALU_CYCLE_1)
	s_add_u32 s16, s10, s16
	s_addc_u32 s17, s11, s17
	s_waitcnt lgkmcnt(0)
	global_store_b64 v33, v[29:30], s[16:17]
.LBB723_77:
	s_or_b32 exec_lo, exec_lo, s9
	v_xad_u32 v31, v45, -1, s15
	s_mov_b32 s16, 0
	s_mov_b32 s9, exec_lo
	s_delay_alu instid0(VALU_DEP_1) | instskip(NEXT) | instid1(VALU_DEP_1)
	v_add_nc_u32_e32 v32, 32, v31
	v_lshlrev_b64 v[32:33], 3, v[32:33]
	s_delay_alu instid0(VALU_DEP_1) | instskip(NEXT) | instid1(VALU_DEP_2)
	v_add_co_u32 v35, vcc_lo, s10, v32
	v_add_co_ci_u32_e32 v36, vcc_lo, s11, v33, vcc_lo
	global_load_b64 v[33:34], v[35:36], off glc
	s_waitcnt vmcnt(0)
	v_and_b32_e32 v30, 0xff, v34
	s_delay_alu instid0(VALU_DEP_1)
	v_cmpx_eq_u16_e32 0, v30
	s_cbranch_execz .LBB723_80
.LBB723_78:                             ; =>This Inner Loop Header: Depth=1
	global_load_b64 v[33:34], v[35:36], off glc
	s_waitcnt vmcnt(0)
	v_and_b32_e32 v30, 0xff, v34
	s_delay_alu instid0(VALU_DEP_1) | instskip(SKIP_1) | instid1(SALU_CYCLE_1)
	v_cmp_ne_u16_e32 vcc_lo, 0, v30
	s_or_b32 s16, vcc_lo, s16
	s_and_not1_b32 exec_lo, exec_lo, s16
	s_cbranch_execnz .LBB723_78
; %bb.79:
	s_or_b32 exec_lo, exec_lo, s16
.LBB723_80:
	s_delay_alu instid0(SALU_CYCLE_1)
	s_or_b32 exec_lo, exec_lo, s9
	v_cmp_ne_u32_e32 vcc_lo, 31, v45
	v_lshlrev_b32_e64 v51, v45, -1
	v_add_nc_u32_e32 v53, 2, v45
	v_add_nc_u32_e32 v55, 4, v45
	;; [unrolled: 1-line block ×3, first 2 shown]
	v_add_co_ci_u32_e32 v30, vcc_lo, 0, v45, vcc_lo
	v_add_nc_u32_e32 v59, 16, v45
	s_delay_alu instid0(VALU_DEP_2)
	v_lshlrev_b32_e32 v50, 2, v30
	v_and_b32_e32 v30, 0xff, v34
	ds_bpermute_b32 v32, v50, v33
	v_cmp_eq_u16_e32 vcc_lo, 2, v30
	v_and_or_b32 v30, vcc_lo, v51, 0x80000000
	v_cmp_gt_u32_e32 vcc_lo, 30, v45
	s_delay_alu instid0(VALU_DEP_2) | instskip(SKIP_1) | instid1(VALU_DEP_2)
	v_ctz_i32_b32_e32 v30, v30
	v_cndmask_b32_e64 v35, 0, 1, vcc_lo
	v_cmp_lt_u32_e32 vcc_lo, v45, v30
	s_waitcnt lgkmcnt(0)
	s_delay_alu instid0(VALU_DEP_2) | instskip(NEXT) | instid1(VALU_DEP_1)
	v_dual_cndmask_b32 v32, 0, v32 :: v_dual_lshlrev_b32 v35, 1, v35
	v_add_lshl_u32 v52, v35, v45, 2
	v_cmp_gt_u32_e32 vcc_lo, 28, v45
	s_delay_alu instid0(VALU_DEP_3) | instskip(SKIP_4) | instid1(VALU_DEP_1)
	v_add_nc_u32_e32 v32, v32, v33
	v_cndmask_b32_e64 v35, 0, 1, vcc_lo
	v_cmp_le_u32_e32 vcc_lo, v53, v30
	ds_bpermute_b32 v33, v52, v32
	v_lshlrev_b32_e32 v35, 2, v35
	v_add_lshl_u32 v54, v35, v45, 2
	s_waitcnt lgkmcnt(0)
	v_cndmask_b32_e32 v33, 0, v33, vcc_lo
	v_cmp_gt_u32_e32 vcc_lo, 24, v45
	s_delay_alu instid0(VALU_DEP_2) | instskip(SKIP_4) | instid1(VALU_DEP_1)
	v_add_nc_u32_e32 v32, v32, v33
	v_cndmask_b32_e64 v35, 0, 1, vcc_lo
	v_cmp_le_u32_e32 vcc_lo, v55, v30
	ds_bpermute_b32 v33, v54, v32
	v_lshlrev_b32_e32 v35, 3, v35
	v_add_lshl_u32 v56, v35, v45, 2
	s_waitcnt lgkmcnt(0)
	v_cndmask_b32_e32 v33, 0, v33, vcc_lo
	v_cmp_gt_u32_e32 vcc_lo, 16, v45
	s_delay_alu instid0(VALU_DEP_2) | instskip(SKIP_4) | instid1(VALU_DEP_1)
	v_add_nc_u32_e32 v32, v32, v33
	v_cndmask_b32_e64 v35, 0, 1, vcc_lo
	v_cmp_le_u32_e32 vcc_lo, v57, v30
	ds_bpermute_b32 v33, v56, v32
	v_lshlrev_b32_e32 v35, 4, v35
	v_add_lshl_u32 v58, v35, v45, 2
	s_waitcnt lgkmcnt(0)
	v_cndmask_b32_e32 v33, 0, v33, vcc_lo
	v_cmp_le_u32_e32 vcc_lo, v59, v30
	s_delay_alu instid0(VALU_DEP_2) | instskip(SKIP_3) | instid1(VALU_DEP_1)
	v_add_nc_u32_e32 v32, v32, v33
	ds_bpermute_b32 v33, v58, v32
	s_waitcnt lgkmcnt(0)
	v_cndmask_b32_e32 v30, 0, v33, vcc_lo
	v_dual_mov_b32 v32, 0 :: v_dual_add_nc_u32 v33, v32, v30
	s_branch .LBB723_82
.LBB723_81:                             ;   in Loop: Header=BB723_82 Depth=1
	s_or_b32 exec_lo, exec_lo, s9
	ds_bpermute_b32 v36, v50, v33
	v_and_b32_e32 v35, 0xff, v34
	v_subrev_nc_u32_e32 v31, 32, v31
	s_delay_alu instid0(VALU_DEP_2) | instskip(SKIP_1) | instid1(VALU_DEP_1)
	v_cmp_eq_u16_e32 vcc_lo, 2, v35
	v_and_or_b32 v35, vcc_lo, v51, 0x80000000
	v_ctz_i32_b32_e32 v35, v35
	s_delay_alu instid0(VALU_DEP_1) | instskip(SKIP_3) | instid1(VALU_DEP_2)
	v_cmp_lt_u32_e32 vcc_lo, v45, v35
	s_waitcnt lgkmcnt(0)
	v_cndmask_b32_e32 v36, 0, v36, vcc_lo
	v_cmp_le_u32_e32 vcc_lo, v53, v35
	v_add_nc_u32_e32 v33, v36, v33
	ds_bpermute_b32 v36, v52, v33
	s_waitcnt lgkmcnt(0)
	v_cndmask_b32_e32 v36, 0, v36, vcc_lo
	v_cmp_le_u32_e32 vcc_lo, v55, v35
	s_delay_alu instid0(VALU_DEP_2) | instskip(SKIP_4) | instid1(VALU_DEP_2)
	v_add_nc_u32_e32 v33, v33, v36
	ds_bpermute_b32 v36, v54, v33
	s_waitcnt lgkmcnt(0)
	v_cndmask_b32_e32 v36, 0, v36, vcc_lo
	v_cmp_le_u32_e32 vcc_lo, v57, v35
	v_add_nc_u32_e32 v33, v33, v36
	ds_bpermute_b32 v36, v56, v33
	s_waitcnt lgkmcnt(0)
	v_cndmask_b32_e32 v36, 0, v36, vcc_lo
	v_cmp_le_u32_e32 vcc_lo, v59, v35
	s_delay_alu instid0(VALU_DEP_2) | instskip(SKIP_3) | instid1(VALU_DEP_1)
	v_add_nc_u32_e32 v33, v33, v36
	ds_bpermute_b32 v36, v58, v33
	s_waitcnt lgkmcnt(0)
	v_cndmask_b32_e32 v35, 0, v36, vcc_lo
	v_add3_u32 v33, v35, v30, v33
.LBB723_82:                             ; =>This Loop Header: Depth=1
                                        ;     Child Loop BB723_85 Depth 2
	v_and_b32_e32 v30, 0xff, v34
	s_delay_alu instid0(VALU_DEP_1) | instskip(SKIP_2) | instid1(VALU_DEP_1)
	v_cmp_ne_u16_e32 vcc_lo, 2, v30
	v_cndmask_b32_e64 v30, 0, 1, vcc_lo
	;;#ASMSTART
	;;#ASMEND
	v_cmp_ne_u32_e32 vcc_lo, 0, v30
	v_mov_b32_e32 v30, v33
	s_cmp_lg_u32 vcc_lo, exec_lo
	s_cbranch_scc1 .LBB723_87
; %bb.83:                               ;   in Loop: Header=BB723_82 Depth=1
	v_lshlrev_b64 v[33:34], 3, v[31:32]
	s_mov_b32 s9, exec_lo
	s_delay_alu instid0(VALU_DEP_1) | instskip(NEXT) | instid1(VALU_DEP_2)
	v_add_co_u32 v35, vcc_lo, s10, v33
	v_add_co_ci_u32_e32 v36, vcc_lo, s11, v34, vcc_lo
	global_load_b64 v[33:34], v[35:36], off glc
	s_waitcnt vmcnt(0)
	v_and_b32_e32 v60, 0xff, v34
	s_delay_alu instid0(VALU_DEP_1)
	v_cmpx_eq_u16_e32 0, v60
	s_cbranch_execz .LBB723_81
; %bb.84:                               ;   in Loop: Header=BB723_82 Depth=1
	s_mov_b32 s16, 0
.LBB723_85:                             ;   Parent Loop BB723_82 Depth=1
                                        ; =>  This Inner Loop Header: Depth=2
	global_load_b64 v[33:34], v[35:36], off glc
	s_waitcnt vmcnt(0)
	v_and_b32_e32 v60, 0xff, v34
	s_delay_alu instid0(VALU_DEP_1) | instskip(SKIP_1) | instid1(SALU_CYCLE_1)
	v_cmp_ne_u16_e32 vcc_lo, 0, v60
	s_or_b32 s16, vcc_lo, s16
	s_and_not1_b32 exec_lo, exec_lo, s16
	s_cbranch_execnz .LBB723_85
; %bb.86:                               ;   in Loop: Header=BB723_82 Depth=1
	s_or_b32 exec_lo, exec_lo, s16
	s_branch .LBB723_81
.LBB723_87:                             ;   in Loop: Header=BB723_82 Depth=1
                                        ; implicit-def: $vgpr33
                                        ; implicit-def: $vgpr34
	s_cbranch_execz .LBB723_82
; %bb.88:
	s_and_saveexec_b32 s9, s7
	s_cbranch_execz .LBB723_90
; %bb.89:
	s_add_i32 s16, s15, 32
	s_mov_b32 s17, 0
	v_dual_mov_b32 v32, 2 :: v_dual_add_nc_u32 v31, v30, v29
	s_lshl_b64 s[16:17], s[16:17], 3
	v_mov_b32_e32 v33, 0
	s_add_u32 s16, s10, s16
	s_addc_u32 s17, s11, s17
	global_store_b64 v33, v[31:32], s[16:17]
	ds_store_b64 v33, v[29:30] offset:33792
.LBB723_90:
	s_or_b32 exec_lo, exec_lo, s9
	s_delay_alu instid0(SALU_CYCLE_1)
	s_and_b32 exec_lo, exec_lo, s2
	s_cbranch_execz .LBB723_92
; %bb.91:
	v_mov_b32_e32 v29, 0
	ds_store_b32 v29, v30 offset:60
.LBB723_92:
	s_or_b32 exec_lo, exec_lo, s8
	v_mov_b32_e32 v29, 0
	s_waitcnt lgkmcnt(0)
	s_waitcnt_vscnt null, 0x0
	s_barrier
	buffer_gl0_inv
	v_cndmask_b32_e64 v31, v49, v48, s7
	ds_load_b32 v30, v29 offset:60
	s_waitcnt lgkmcnt(0)
	s_barrier
	buffer_gl0_inv
	v_cndmask_b32_e64 v31, v31, 0, s2
	s_delay_alu instid0(VALU_DEP_1) | instskip(NEXT) | instid1(VALU_DEP_1)
	v_add_nc_u32_e32 v51, v30, v31
	v_add_nc_u32_e32 v50, v51, v38
	ds_load_b64 v[29:30], v29 offset:33792
	v_add_nc_u32_e32 v49, v50, v39
	s_delay_alu instid0(VALU_DEP_1) | instskip(NEXT) | instid1(VALU_DEP_1)
	v_add_nc_u32_e32 v48, v49, v40
	v_add_nc_u32_e32 v36, v48, v41
	s_delay_alu instid0(VALU_DEP_1) | instskip(NEXT) | instid1(VALU_DEP_1)
	v_add_nc_u32_e32 v35, v36, v42
	v_add_nc_u32_e32 v34, v35, v43
	s_delay_alu instid0(VALU_DEP_1)
	v_add_nc_u32_e32 v33, v34, v44
	v_lshrrev_b64 v[31:32], 24, v[27:28]
	s_branch .LBB723_103
.LBB723_93:
                                        ; implicit-def: $vgpr33
                                        ; implicit-def: $vgpr34
                                        ; implicit-def: $vgpr35
                                        ; implicit-def: $vgpr36
                                        ; implicit-def: $vgpr48
                                        ; implicit-def: $vgpr49
                                        ; implicit-def: $vgpr50
                                        ; implicit-def: $vgpr51
                                        ; implicit-def: $vgpr30
	v_lshrrev_b64 v[31:32], 24, v[27:28]
	s_and_b32 vcc_lo, exec_lo, s7
	s_cbranch_vccz .LBB723_103
; %bb.94:
	s_waitcnt lgkmcnt(0)
	v_mov_b32_dpp v29, v47 row_shr:1 row_mask:0xf bank_mask:0xf
	s_delay_alu instid0(VALU_DEP_1) | instskip(NEXT) | instid1(VALU_DEP_1)
	v_cndmask_b32_e64 v29, v29, 0, s3
	v_add_nc_u32_e32 v29, v29, v47
	s_delay_alu instid0(VALU_DEP_1) | instskip(NEXT) | instid1(VALU_DEP_1)
	v_mov_b32_dpp v30, v29 row_shr:2 row_mask:0xf bank_mask:0xf
	v_cndmask_b32_e64 v30, 0, v30, s0
	s_delay_alu instid0(VALU_DEP_1) | instskip(NEXT) | instid1(VALU_DEP_1)
	v_add_nc_u32_e32 v29, v29, v30
	v_mov_b32_dpp v30, v29 row_shr:4 row_mask:0xf bank_mask:0xf
	s_delay_alu instid0(VALU_DEP_1) | instskip(NEXT) | instid1(VALU_DEP_1)
	v_cndmask_b32_e64 v30, 0, v30, s4
	v_add_nc_u32_e32 v29, v29, v30
	s_delay_alu instid0(VALU_DEP_1) | instskip(NEXT) | instid1(VALU_DEP_1)
	v_mov_b32_dpp v30, v29 row_shr:8 row_mask:0xf bank_mask:0xf
	v_cndmask_b32_e64 v30, 0, v30, s1
	s_delay_alu instid0(VALU_DEP_1) | instskip(SKIP_3) | instid1(VALU_DEP_1)
	v_add_nc_u32_e32 v29, v29, v30
	ds_swizzle_b32 v30, v29 offset:swizzle(BROADCAST,32,15)
	s_waitcnt lgkmcnt(0)
	v_cndmask_b32_e64 v30, v30, 0, s6
	v_add_nc_u32_e32 v29, v29, v30
	s_and_saveexec_b32 s6, s5
	s_cbranch_execz .LBB723_96
; %bb.95:
	v_lshlrev_b32_e32 v30, 2, v46
	ds_store_b32 v30, v29
.LBB723_96:
	s_or_b32 exec_lo, exec_lo, s6
	s_delay_alu instid0(SALU_CYCLE_1)
	s_mov_b32 s5, exec_lo
	s_waitcnt lgkmcnt(0)
	s_barrier
	buffer_gl0_inv
	v_cmpx_gt_u32_e32 16, v0
	s_cbranch_execz .LBB723_98
; %bb.97:
	v_lshlrev_b32_e32 v30, 2, v0
	ds_load_b32 v32, v30
	s_waitcnt lgkmcnt(0)
	v_mov_b32_dpp v33, v32 row_shr:1 row_mask:0xf bank_mask:0xf
	s_delay_alu instid0(VALU_DEP_1) | instskip(NEXT) | instid1(VALU_DEP_1)
	v_cndmask_b32_e64 v33, v33, 0, s3
	v_add_nc_u32_e32 v32, v33, v32
	s_delay_alu instid0(VALU_DEP_1) | instskip(NEXT) | instid1(VALU_DEP_1)
	v_mov_b32_dpp v33, v32 row_shr:2 row_mask:0xf bank_mask:0xf
	v_cndmask_b32_e64 v33, 0, v33, s0
	s_delay_alu instid0(VALU_DEP_1) | instskip(NEXT) | instid1(VALU_DEP_1)
	v_add_nc_u32_e32 v32, v32, v33
	v_mov_b32_dpp v33, v32 row_shr:4 row_mask:0xf bank_mask:0xf
	s_delay_alu instid0(VALU_DEP_1) | instskip(NEXT) | instid1(VALU_DEP_1)
	v_cndmask_b32_e64 v33, 0, v33, s4
	v_add_nc_u32_e32 v32, v32, v33
	s_delay_alu instid0(VALU_DEP_1) | instskip(NEXT) | instid1(VALU_DEP_1)
	v_mov_b32_dpp v33, v32 row_shr:8 row_mask:0xf bank_mask:0xf
	v_cndmask_b32_e64 v33, 0, v33, s1
	s_delay_alu instid0(VALU_DEP_1)
	v_add_nc_u32_e32 v32, v32, v33
	ds_store_b32 v30, v32
.LBB723_98:
	s_or_b32 exec_lo, exec_lo, s5
	v_cmp_lt_u32_e32 vcc_lo, 31, v0
	v_mov_b32_e32 v30, 0
	v_mov_b32_e32 v0, 0
	s_waitcnt lgkmcnt(0)
	s_barrier
	buffer_gl0_inv
	s_and_saveexec_b32 s0, vcc_lo
	s_cbranch_execz .LBB723_100
; %bb.99:
	v_lshl_add_u32 v0, v46, 2, -4
	ds_load_b32 v0, v0
.LBB723_100:
	s_or_b32 exec_lo, exec_lo, s0
	v_add_nc_u32_e32 v32, -1, v45
	s_waitcnt lgkmcnt(0)
	v_add_nc_u32_e32 v29, v0, v29
	s_delay_alu instid0(VALU_DEP_2) | instskip(SKIP_1) | instid1(VALU_DEP_1)
	v_cmp_gt_i32_e32 vcc_lo, 0, v32
	v_cndmask_b32_e32 v32, v32, v45, vcc_lo
	v_lshlrev_b32_e32 v32, 2, v32
	ds_bpermute_b32 v32, v32, v29
	ds_load_b32 v29, v30 offset:60
	s_and_saveexec_b32 s0, s2
	s_cbranch_execz .LBB723_102
; %bb.101:
	v_dual_mov_b32 v33, 0 :: v_dual_mov_b32 v30, 2
	s_waitcnt lgkmcnt(0)
	global_store_b64 v33, v[29:30], s[10:11] offset:256
.LBB723_102:
	s_or_b32 exec_lo, exec_lo, s0
	v_cmp_eq_u32_e32 vcc_lo, 0, v45
	s_waitcnt lgkmcnt(0)
	s_waitcnt_vscnt null, 0x0
	s_barrier
	buffer_gl0_inv
	v_mov_b32_e32 v30, 0
	v_cndmask_b32_e32 v0, v32, v0, vcc_lo
	s_delay_alu instid0(VALU_DEP_1) | instskip(NEXT) | instid1(VALU_DEP_1)
	v_cndmask_b32_e64 v51, v0, 0, s2
	v_add_nc_u32_e32 v50, v51, v38
	s_delay_alu instid0(VALU_DEP_1) | instskip(NEXT) | instid1(VALU_DEP_1)
	v_add_nc_u32_e32 v49, v50, v39
	v_add_nc_u32_e32 v48, v49, v40
	s_delay_alu instid0(VALU_DEP_1) | instskip(NEXT) | instid1(VALU_DEP_1)
	v_add_nc_u32_e32 v36, v48, v41
	;; [unrolled: 3-line block ×3, first 2 shown]
	v_add_nc_u32_e32 v33, v34, v44
.LBB723_103:
	v_lshrrev_b32_e32 v39, 8, v27
	v_lshrrev_b32_e32 v38, 16, v27
	v_and_b32_e32 v27, 1, v27
	s_waitcnt lgkmcnt(0)
	v_cmp_gt_u32_e32 vcc_lo, 0x201, v29
	v_lshrrev_b32_e32 v32, 8, v28
	v_lshrrev_b32_e32 v0, 16, v28
	v_cmp_lt_u32_e64 s0, 0x200, v29
	v_cmp_eq_u32_e64 s1, 1, v27
	s_cbranch_vccnz .LBB723_121
; %bb.104:
	s_delay_alu instid0(VALU_DEP_1)
	s_and_saveexec_b32 s3, s1
	s_cbranch_execz .LBB723_106
; %bb.105:
	v_sub_nc_u32_e32 v40, v51, v30
	s_delay_alu instid0(VALU_DEP_1)
	v_lshlrev_b32_e32 v40, 3, v40
	ds_store_b64 v40, v[13:14]
.LBB723_106:
	s_or_b32 exec_lo, exec_lo, s3
	v_and_b32_e32 v13, 1, v39
	s_mov_b32 s1, exec_lo
	s_delay_alu instid0(VALU_DEP_1)
	v_cmpx_eq_u32_e32 1, v13
	s_cbranch_execz .LBB723_108
; %bb.107:
	v_sub_nc_u32_e32 v13, v50, v30
	s_delay_alu instid0(VALU_DEP_1)
	v_lshlrev_b32_e32 v13, 3, v13
	ds_store_b64 v13, v[15:16]
.LBB723_108:
	s_or_b32 exec_lo, exec_lo, s1
	v_and_b32_e32 v13, 1, v38
	s_mov_b32 s1, exec_lo
	s_delay_alu instid0(VALU_DEP_1)
	v_cmpx_eq_u32_e32 1, v13
	;; [unrolled: 12-line block ×7, first 2 shown]
	s_cbranch_execz .LBB723_120
; %bb.119:
	v_sub_nc_u32_e32 v1, v33, v30
	s_delay_alu instid0(VALU_DEP_1)
	v_lshlrev_b32_e32 v1, 3, v1
	ds_store_b64 v1, v[3:4]
.LBB723_120:
	s_or_b32 exec_lo, exec_lo, s1
	s_waitcnt lgkmcnt(0)
	s_barrier
	buffer_gl0_inv
.LBB723_121:
	s_delay_alu instid0(VALU_DEP_2)
	s_and_not1_b32 vcc_lo, exec_lo, s0
	s_barrier
	buffer_gl0_inv
	s_cbranch_vccnz .LBB723_140
; %bb.122:
	s_mov_b32 s0, exec_lo
	v_cmpx_eq_u32_e32 1, v27
	s_cbranch_execz .LBB723_124
; %bb.123:
	v_sub_nc_u32_e32 v1, v51, v30
	s_delay_alu instid0(VALU_DEP_1)
	v_lshlrev_b32_e32 v1, 2, v1
	ds_store_b32 v1, v25
.LBB723_124:
	s_or_b32 exec_lo, exec_lo, s0
	v_and_b32_e32 v1, 1, v39
	s_mov_b32 s0, exec_lo
	s_delay_alu instid0(VALU_DEP_1)
	v_cmpx_eq_u32_e32 1, v1
	s_cbranch_execz .LBB723_126
; %bb.125:
	v_sub_nc_u32_e32 v1, v50, v30
	s_delay_alu instid0(VALU_DEP_1)
	v_lshlrev_b32_e32 v1, 2, v1
	ds_store_b32 v1, v26
.LBB723_126:
	s_or_b32 exec_lo, exec_lo, s0
	v_and_b32_e32 v1, 1, v38
	s_mov_b32 s0, exec_lo
	s_delay_alu instid0(VALU_DEP_1)
	;; [unrolled: 12-line block ×7, first 2 shown]
	v_cmpx_eq_u32_e32 1, v0
	s_cbranch_execz .LBB723_138
; %bb.137:
	v_sub_nc_u32_e32 v0, v33, v30
	s_delay_alu instid0(VALU_DEP_1)
	v_lshlrev_b32_e32 v0, 2, v0
	ds_store_b32 v0, v20
.LBB723_138:
	s_or_b32 exec_lo, exec_lo, s0
	s_waitcnt lgkmcnt(0)
	s_barrier
	buffer_gl0_inv
	s_and_b32 s0, s2, s14
	s_delay_alu instid0(SALU_CYCLE_1)
	s_and_saveexec_b32 s1, s0
	s_cbranch_execnz .LBB723_141
.LBB723_139:
	s_endpgm
.LBB723_140:
	s_and_b32 s0, s2, s14
	s_delay_alu instid0(SALU_CYCLE_1)
	s_and_saveexec_b32 s1, s0
	s_cbranch_execz .LBB723_139
.LBB723_141:
	v_add_co_u32 v0, vcc_lo, v17, v29
	v_add_co_ci_u32_e32 v1, vcc_lo, 0, v18, vcc_lo
	v_mov_b32_e32 v2, 0
	s_delay_alu instid0(VALU_DEP_3) | instskip(NEXT) | instid1(VALU_DEP_3)
	v_add_co_u32 v0, vcc_lo, v0, v30
	v_add_co_ci_u32_e32 v1, vcc_lo, 0, v1, vcc_lo
	global_store_b64 v2, v[0:1], s[12:13]
	s_nop 0
	s_sendmsg sendmsg(MSG_DEALLOC_VGPRS)
	s_endpgm
	.section	.rodata,"a",@progbits
	.p2align	6, 0x0
	.amdhsa_kernel _ZN7rocprim17ROCPRIM_400000_NS6detail17trampoline_kernelINS0_14default_configENS1_25partition_config_selectorILNS1_17partition_subalgoE9EyjbEEZZNS1_14partition_implILS5_9ELb0ES3_jN6thrust23THRUST_200600_302600_NS6detail15normal_iteratorINS9_10device_ptrIyEEEENSB_INSC_IjEEEEPNS0_10empty_typeENS0_5tupleIJNS9_16discard_iteratorINS9_11use_defaultEEESH_EEENSJ_IJSM_SI_EEENS0_18inequality_wrapperINS9_8equal_toIyEEEEPmJSH_EEE10hipError_tPvRmT3_T4_T5_T6_T7_T9_mT8_P12ihipStream_tbDpT10_ENKUlT_T0_E_clISt17integral_constantIbLb0EES1C_IbLb1EEEEDaS18_S19_EUlS18_E_NS1_11comp_targetILNS1_3genE9ELNS1_11target_archE1100ELNS1_3gpuE3ELNS1_3repE0EEENS1_30default_config_static_selectorELNS0_4arch9wavefront6targetE0EEEvT1_
		.amdhsa_group_segment_fixed_size 33800
		.amdhsa_private_segment_fixed_size 0
		.amdhsa_kernarg_size 144
		.amdhsa_user_sgpr_count 15
		.amdhsa_user_sgpr_dispatch_ptr 0
		.amdhsa_user_sgpr_queue_ptr 0
		.amdhsa_user_sgpr_kernarg_segment_ptr 1
		.amdhsa_user_sgpr_dispatch_id 0
		.amdhsa_user_sgpr_private_segment_size 0
		.amdhsa_wavefront_size32 1
		.amdhsa_uses_dynamic_stack 0
		.amdhsa_enable_private_segment 0
		.amdhsa_system_sgpr_workgroup_id_x 1
		.amdhsa_system_sgpr_workgroup_id_y 0
		.amdhsa_system_sgpr_workgroup_id_z 0
		.amdhsa_system_sgpr_workgroup_info 0
		.amdhsa_system_vgpr_workitem_id 0
		.amdhsa_next_free_vgpr 61
		.amdhsa_next_free_sgpr 24
		.amdhsa_reserve_vcc 1
		.amdhsa_float_round_mode_32 0
		.amdhsa_float_round_mode_16_64 0
		.amdhsa_float_denorm_mode_32 3
		.amdhsa_float_denorm_mode_16_64 3
		.amdhsa_dx10_clamp 1
		.amdhsa_ieee_mode 1
		.amdhsa_fp16_overflow 0
		.amdhsa_workgroup_processor_mode 1
		.amdhsa_memory_ordered 1
		.amdhsa_forward_progress 0
		.amdhsa_shared_vgpr_count 0
		.amdhsa_exception_fp_ieee_invalid_op 0
		.amdhsa_exception_fp_denorm_src 0
		.amdhsa_exception_fp_ieee_div_zero 0
		.amdhsa_exception_fp_ieee_overflow 0
		.amdhsa_exception_fp_ieee_underflow 0
		.amdhsa_exception_fp_ieee_inexact 0
		.amdhsa_exception_int_div_zero 0
	.end_amdhsa_kernel
	.section	.text._ZN7rocprim17ROCPRIM_400000_NS6detail17trampoline_kernelINS0_14default_configENS1_25partition_config_selectorILNS1_17partition_subalgoE9EyjbEEZZNS1_14partition_implILS5_9ELb0ES3_jN6thrust23THRUST_200600_302600_NS6detail15normal_iteratorINS9_10device_ptrIyEEEENSB_INSC_IjEEEEPNS0_10empty_typeENS0_5tupleIJNS9_16discard_iteratorINS9_11use_defaultEEESH_EEENSJ_IJSM_SI_EEENS0_18inequality_wrapperINS9_8equal_toIyEEEEPmJSH_EEE10hipError_tPvRmT3_T4_T5_T6_T7_T9_mT8_P12ihipStream_tbDpT10_ENKUlT_T0_E_clISt17integral_constantIbLb0EES1C_IbLb1EEEEDaS18_S19_EUlS18_E_NS1_11comp_targetILNS1_3genE9ELNS1_11target_archE1100ELNS1_3gpuE3ELNS1_3repE0EEENS1_30default_config_static_selectorELNS0_4arch9wavefront6targetE0EEEvT1_,"axG",@progbits,_ZN7rocprim17ROCPRIM_400000_NS6detail17trampoline_kernelINS0_14default_configENS1_25partition_config_selectorILNS1_17partition_subalgoE9EyjbEEZZNS1_14partition_implILS5_9ELb0ES3_jN6thrust23THRUST_200600_302600_NS6detail15normal_iteratorINS9_10device_ptrIyEEEENSB_INSC_IjEEEEPNS0_10empty_typeENS0_5tupleIJNS9_16discard_iteratorINS9_11use_defaultEEESH_EEENSJ_IJSM_SI_EEENS0_18inequality_wrapperINS9_8equal_toIyEEEEPmJSH_EEE10hipError_tPvRmT3_T4_T5_T6_T7_T9_mT8_P12ihipStream_tbDpT10_ENKUlT_T0_E_clISt17integral_constantIbLb0EES1C_IbLb1EEEEDaS18_S19_EUlS18_E_NS1_11comp_targetILNS1_3genE9ELNS1_11target_archE1100ELNS1_3gpuE3ELNS1_3repE0EEENS1_30default_config_static_selectorELNS0_4arch9wavefront6targetE0EEEvT1_,comdat
.Lfunc_end723:
	.size	_ZN7rocprim17ROCPRIM_400000_NS6detail17trampoline_kernelINS0_14default_configENS1_25partition_config_selectorILNS1_17partition_subalgoE9EyjbEEZZNS1_14partition_implILS5_9ELb0ES3_jN6thrust23THRUST_200600_302600_NS6detail15normal_iteratorINS9_10device_ptrIyEEEENSB_INSC_IjEEEEPNS0_10empty_typeENS0_5tupleIJNS9_16discard_iteratorINS9_11use_defaultEEESH_EEENSJ_IJSM_SI_EEENS0_18inequality_wrapperINS9_8equal_toIyEEEEPmJSH_EEE10hipError_tPvRmT3_T4_T5_T6_T7_T9_mT8_P12ihipStream_tbDpT10_ENKUlT_T0_E_clISt17integral_constantIbLb0EES1C_IbLb1EEEEDaS18_S19_EUlS18_E_NS1_11comp_targetILNS1_3genE9ELNS1_11target_archE1100ELNS1_3gpuE3ELNS1_3repE0EEENS1_30default_config_static_selectorELNS0_4arch9wavefront6targetE0EEEvT1_, .Lfunc_end723-_ZN7rocprim17ROCPRIM_400000_NS6detail17trampoline_kernelINS0_14default_configENS1_25partition_config_selectorILNS1_17partition_subalgoE9EyjbEEZZNS1_14partition_implILS5_9ELb0ES3_jN6thrust23THRUST_200600_302600_NS6detail15normal_iteratorINS9_10device_ptrIyEEEENSB_INSC_IjEEEEPNS0_10empty_typeENS0_5tupleIJNS9_16discard_iteratorINS9_11use_defaultEEESH_EEENSJ_IJSM_SI_EEENS0_18inequality_wrapperINS9_8equal_toIyEEEEPmJSH_EEE10hipError_tPvRmT3_T4_T5_T6_T7_T9_mT8_P12ihipStream_tbDpT10_ENKUlT_T0_E_clISt17integral_constantIbLb0EES1C_IbLb1EEEEDaS18_S19_EUlS18_E_NS1_11comp_targetILNS1_3genE9ELNS1_11target_archE1100ELNS1_3gpuE3ELNS1_3repE0EEENS1_30default_config_static_selectorELNS0_4arch9wavefront6targetE0EEEvT1_
                                        ; -- End function
	.section	.AMDGPU.csdata,"",@progbits
; Kernel info:
; codeLenInByte = 7668
; NumSgprs: 26
; NumVgprs: 61
; ScratchSize: 0
; MemoryBound: 0
; FloatMode: 240
; IeeeMode: 1
; LDSByteSize: 33800 bytes/workgroup (compile time only)
; SGPRBlocks: 3
; VGPRBlocks: 7
; NumSGPRsForWavesPerEU: 26
; NumVGPRsForWavesPerEU: 61
; Occupancy: 12
; WaveLimiterHint : 1
; COMPUTE_PGM_RSRC2:SCRATCH_EN: 0
; COMPUTE_PGM_RSRC2:USER_SGPR: 15
; COMPUTE_PGM_RSRC2:TRAP_HANDLER: 0
; COMPUTE_PGM_RSRC2:TGID_X_EN: 1
; COMPUTE_PGM_RSRC2:TGID_Y_EN: 0
; COMPUTE_PGM_RSRC2:TGID_Z_EN: 0
; COMPUTE_PGM_RSRC2:TIDIG_COMP_CNT: 0
	.section	.text._ZN7rocprim17ROCPRIM_400000_NS6detail17trampoline_kernelINS0_14default_configENS1_25partition_config_selectorILNS1_17partition_subalgoE9EyjbEEZZNS1_14partition_implILS5_9ELb0ES3_jN6thrust23THRUST_200600_302600_NS6detail15normal_iteratorINS9_10device_ptrIyEEEENSB_INSC_IjEEEEPNS0_10empty_typeENS0_5tupleIJNS9_16discard_iteratorINS9_11use_defaultEEESH_EEENSJ_IJSM_SI_EEENS0_18inequality_wrapperINS9_8equal_toIyEEEEPmJSH_EEE10hipError_tPvRmT3_T4_T5_T6_T7_T9_mT8_P12ihipStream_tbDpT10_ENKUlT_T0_E_clISt17integral_constantIbLb0EES1C_IbLb1EEEEDaS18_S19_EUlS18_E_NS1_11comp_targetILNS1_3genE8ELNS1_11target_archE1030ELNS1_3gpuE2ELNS1_3repE0EEENS1_30default_config_static_selectorELNS0_4arch9wavefront6targetE0EEEvT1_,"axG",@progbits,_ZN7rocprim17ROCPRIM_400000_NS6detail17trampoline_kernelINS0_14default_configENS1_25partition_config_selectorILNS1_17partition_subalgoE9EyjbEEZZNS1_14partition_implILS5_9ELb0ES3_jN6thrust23THRUST_200600_302600_NS6detail15normal_iteratorINS9_10device_ptrIyEEEENSB_INSC_IjEEEEPNS0_10empty_typeENS0_5tupleIJNS9_16discard_iteratorINS9_11use_defaultEEESH_EEENSJ_IJSM_SI_EEENS0_18inequality_wrapperINS9_8equal_toIyEEEEPmJSH_EEE10hipError_tPvRmT3_T4_T5_T6_T7_T9_mT8_P12ihipStream_tbDpT10_ENKUlT_T0_E_clISt17integral_constantIbLb0EES1C_IbLb1EEEEDaS18_S19_EUlS18_E_NS1_11comp_targetILNS1_3genE8ELNS1_11target_archE1030ELNS1_3gpuE2ELNS1_3repE0EEENS1_30default_config_static_selectorELNS0_4arch9wavefront6targetE0EEEvT1_,comdat
	.protected	_ZN7rocprim17ROCPRIM_400000_NS6detail17trampoline_kernelINS0_14default_configENS1_25partition_config_selectorILNS1_17partition_subalgoE9EyjbEEZZNS1_14partition_implILS5_9ELb0ES3_jN6thrust23THRUST_200600_302600_NS6detail15normal_iteratorINS9_10device_ptrIyEEEENSB_INSC_IjEEEEPNS0_10empty_typeENS0_5tupleIJNS9_16discard_iteratorINS9_11use_defaultEEESH_EEENSJ_IJSM_SI_EEENS0_18inequality_wrapperINS9_8equal_toIyEEEEPmJSH_EEE10hipError_tPvRmT3_T4_T5_T6_T7_T9_mT8_P12ihipStream_tbDpT10_ENKUlT_T0_E_clISt17integral_constantIbLb0EES1C_IbLb1EEEEDaS18_S19_EUlS18_E_NS1_11comp_targetILNS1_3genE8ELNS1_11target_archE1030ELNS1_3gpuE2ELNS1_3repE0EEENS1_30default_config_static_selectorELNS0_4arch9wavefront6targetE0EEEvT1_ ; -- Begin function _ZN7rocprim17ROCPRIM_400000_NS6detail17trampoline_kernelINS0_14default_configENS1_25partition_config_selectorILNS1_17partition_subalgoE9EyjbEEZZNS1_14partition_implILS5_9ELb0ES3_jN6thrust23THRUST_200600_302600_NS6detail15normal_iteratorINS9_10device_ptrIyEEEENSB_INSC_IjEEEEPNS0_10empty_typeENS0_5tupleIJNS9_16discard_iteratorINS9_11use_defaultEEESH_EEENSJ_IJSM_SI_EEENS0_18inequality_wrapperINS9_8equal_toIyEEEEPmJSH_EEE10hipError_tPvRmT3_T4_T5_T6_T7_T9_mT8_P12ihipStream_tbDpT10_ENKUlT_T0_E_clISt17integral_constantIbLb0EES1C_IbLb1EEEEDaS18_S19_EUlS18_E_NS1_11comp_targetILNS1_3genE8ELNS1_11target_archE1030ELNS1_3gpuE2ELNS1_3repE0EEENS1_30default_config_static_selectorELNS0_4arch9wavefront6targetE0EEEvT1_
	.globl	_ZN7rocprim17ROCPRIM_400000_NS6detail17trampoline_kernelINS0_14default_configENS1_25partition_config_selectorILNS1_17partition_subalgoE9EyjbEEZZNS1_14partition_implILS5_9ELb0ES3_jN6thrust23THRUST_200600_302600_NS6detail15normal_iteratorINS9_10device_ptrIyEEEENSB_INSC_IjEEEEPNS0_10empty_typeENS0_5tupleIJNS9_16discard_iteratorINS9_11use_defaultEEESH_EEENSJ_IJSM_SI_EEENS0_18inequality_wrapperINS9_8equal_toIyEEEEPmJSH_EEE10hipError_tPvRmT3_T4_T5_T6_T7_T9_mT8_P12ihipStream_tbDpT10_ENKUlT_T0_E_clISt17integral_constantIbLb0EES1C_IbLb1EEEEDaS18_S19_EUlS18_E_NS1_11comp_targetILNS1_3genE8ELNS1_11target_archE1030ELNS1_3gpuE2ELNS1_3repE0EEENS1_30default_config_static_selectorELNS0_4arch9wavefront6targetE0EEEvT1_
	.p2align	8
	.type	_ZN7rocprim17ROCPRIM_400000_NS6detail17trampoline_kernelINS0_14default_configENS1_25partition_config_selectorILNS1_17partition_subalgoE9EyjbEEZZNS1_14partition_implILS5_9ELb0ES3_jN6thrust23THRUST_200600_302600_NS6detail15normal_iteratorINS9_10device_ptrIyEEEENSB_INSC_IjEEEEPNS0_10empty_typeENS0_5tupleIJNS9_16discard_iteratorINS9_11use_defaultEEESH_EEENSJ_IJSM_SI_EEENS0_18inequality_wrapperINS9_8equal_toIyEEEEPmJSH_EEE10hipError_tPvRmT3_T4_T5_T6_T7_T9_mT8_P12ihipStream_tbDpT10_ENKUlT_T0_E_clISt17integral_constantIbLb0EES1C_IbLb1EEEEDaS18_S19_EUlS18_E_NS1_11comp_targetILNS1_3genE8ELNS1_11target_archE1030ELNS1_3gpuE2ELNS1_3repE0EEENS1_30default_config_static_selectorELNS0_4arch9wavefront6targetE0EEEvT1_,@function
_ZN7rocprim17ROCPRIM_400000_NS6detail17trampoline_kernelINS0_14default_configENS1_25partition_config_selectorILNS1_17partition_subalgoE9EyjbEEZZNS1_14partition_implILS5_9ELb0ES3_jN6thrust23THRUST_200600_302600_NS6detail15normal_iteratorINS9_10device_ptrIyEEEENSB_INSC_IjEEEEPNS0_10empty_typeENS0_5tupleIJNS9_16discard_iteratorINS9_11use_defaultEEESH_EEENSJ_IJSM_SI_EEENS0_18inequality_wrapperINS9_8equal_toIyEEEEPmJSH_EEE10hipError_tPvRmT3_T4_T5_T6_T7_T9_mT8_P12ihipStream_tbDpT10_ENKUlT_T0_E_clISt17integral_constantIbLb0EES1C_IbLb1EEEEDaS18_S19_EUlS18_E_NS1_11comp_targetILNS1_3genE8ELNS1_11target_archE1030ELNS1_3gpuE2ELNS1_3repE0EEENS1_30default_config_static_selectorELNS0_4arch9wavefront6targetE0EEEvT1_: ; @_ZN7rocprim17ROCPRIM_400000_NS6detail17trampoline_kernelINS0_14default_configENS1_25partition_config_selectorILNS1_17partition_subalgoE9EyjbEEZZNS1_14partition_implILS5_9ELb0ES3_jN6thrust23THRUST_200600_302600_NS6detail15normal_iteratorINS9_10device_ptrIyEEEENSB_INSC_IjEEEEPNS0_10empty_typeENS0_5tupleIJNS9_16discard_iteratorINS9_11use_defaultEEESH_EEENSJ_IJSM_SI_EEENS0_18inequality_wrapperINS9_8equal_toIyEEEEPmJSH_EEE10hipError_tPvRmT3_T4_T5_T6_T7_T9_mT8_P12ihipStream_tbDpT10_ENKUlT_T0_E_clISt17integral_constantIbLb0EES1C_IbLb1EEEEDaS18_S19_EUlS18_E_NS1_11comp_targetILNS1_3genE8ELNS1_11target_archE1030ELNS1_3gpuE2ELNS1_3repE0EEENS1_30default_config_static_selectorELNS0_4arch9wavefront6targetE0EEEvT1_
; %bb.0:
	.section	.rodata,"a",@progbits
	.p2align	6, 0x0
	.amdhsa_kernel _ZN7rocprim17ROCPRIM_400000_NS6detail17trampoline_kernelINS0_14default_configENS1_25partition_config_selectorILNS1_17partition_subalgoE9EyjbEEZZNS1_14partition_implILS5_9ELb0ES3_jN6thrust23THRUST_200600_302600_NS6detail15normal_iteratorINS9_10device_ptrIyEEEENSB_INSC_IjEEEEPNS0_10empty_typeENS0_5tupleIJNS9_16discard_iteratorINS9_11use_defaultEEESH_EEENSJ_IJSM_SI_EEENS0_18inequality_wrapperINS9_8equal_toIyEEEEPmJSH_EEE10hipError_tPvRmT3_T4_T5_T6_T7_T9_mT8_P12ihipStream_tbDpT10_ENKUlT_T0_E_clISt17integral_constantIbLb0EES1C_IbLb1EEEEDaS18_S19_EUlS18_E_NS1_11comp_targetILNS1_3genE8ELNS1_11target_archE1030ELNS1_3gpuE2ELNS1_3repE0EEENS1_30default_config_static_selectorELNS0_4arch9wavefront6targetE0EEEvT1_
		.amdhsa_group_segment_fixed_size 0
		.amdhsa_private_segment_fixed_size 0
		.amdhsa_kernarg_size 144
		.amdhsa_user_sgpr_count 15
		.amdhsa_user_sgpr_dispatch_ptr 0
		.amdhsa_user_sgpr_queue_ptr 0
		.amdhsa_user_sgpr_kernarg_segment_ptr 1
		.amdhsa_user_sgpr_dispatch_id 0
		.amdhsa_user_sgpr_private_segment_size 0
		.amdhsa_wavefront_size32 1
		.amdhsa_uses_dynamic_stack 0
		.amdhsa_enable_private_segment 0
		.amdhsa_system_sgpr_workgroup_id_x 1
		.amdhsa_system_sgpr_workgroup_id_y 0
		.amdhsa_system_sgpr_workgroup_id_z 0
		.amdhsa_system_sgpr_workgroup_info 0
		.amdhsa_system_vgpr_workitem_id 0
		.amdhsa_next_free_vgpr 1
		.amdhsa_next_free_sgpr 1
		.amdhsa_reserve_vcc 0
		.amdhsa_float_round_mode_32 0
		.amdhsa_float_round_mode_16_64 0
		.amdhsa_float_denorm_mode_32 3
		.amdhsa_float_denorm_mode_16_64 3
		.amdhsa_dx10_clamp 1
		.amdhsa_ieee_mode 1
		.amdhsa_fp16_overflow 0
		.amdhsa_workgroup_processor_mode 1
		.amdhsa_memory_ordered 1
		.amdhsa_forward_progress 0
		.amdhsa_shared_vgpr_count 0
		.amdhsa_exception_fp_ieee_invalid_op 0
		.amdhsa_exception_fp_denorm_src 0
		.amdhsa_exception_fp_ieee_div_zero 0
		.amdhsa_exception_fp_ieee_overflow 0
		.amdhsa_exception_fp_ieee_underflow 0
		.amdhsa_exception_fp_ieee_inexact 0
		.amdhsa_exception_int_div_zero 0
	.end_amdhsa_kernel
	.section	.text._ZN7rocprim17ROCPRIM_400000_NS6detail17trampoline_kernelINS0_14default_configENS1_25partition_config_selectorILNS1_17partition_subalgoE9EyjbEEZZNS1_14partition_implILS5_9ELb0ES3_jN6thrust23THRUST_200600_302600_NS6detail15normal_iteratorINS9_10device_ptrIyEEEENSB_INSC_IjEEEEPNS0_10empty_typeENS0_5tupleIJNS9_16discard_iteratorINS9_11use_defaultEEESH_EEENSJ_IJSM_SI_EEENS0_18inequality_wrapperINS9_8equal_toIyEEEEPmJSH_EEE10hipError_tPvRmT3_T4_T5_T6_T7_T9_mT8_P12ihipStream_tbDpT10_ENKUlT_T0_E_clISt17integral_constantIbLb0EES1C_IbLb1EEEEDaS18_S19_EUlS18_E_NS1_11comp_targetILNS1_3genE8ELNS1_11target_archE1030ELNS1_3gpuE2ELNS1_3repE0EEENS1_30default_config_static_selectorELNS0_4arch9wavefront6targetE0EEEvT1_,"axG",@progbits,_ZN7rocprim17ROCPRIM_400000_NS6detail17trampoline_kernelINS0_14default_configENS1_25partition_config_selectorILNS1_17partition_subalgoE9EyjbEEZZNS1_14partition_implILS5_9ELb0ES3_jN6thrust23THRUST_200600_302600_NS6detail15normal_iteratorINS9_10device_ptrIyEEEENSB_INSC_IjEEEEPNS0_10empty_typeENS0_5tupleIJNS9_16discard_iteratorINS9_11use_defaultEEESH_EEENSJ_IJSM_SI_EEENS0_18inequality_wrapperINS9_8equal_toIyEEEEPmJSH_EEE10hipError_tPvRmT3_T4_T5_T6_T7_T9_mT8_P12ihipStream_tbDpT10_ENKUlT_T0_E_clISt17integral_constantIbLb0EES1C_IbLb1EEEEDaS18_S19_EUlS18_E_NS1_11comp_targetILNS1_3genE8ELNS1_11target_archE1030ELNS1_3gpuE2ELNS1_3repE0EEENS1_30default_config_static_selectorELNS0_4arch9wavefront6targetE0EEEvT1_,comdat
.Lfunc_end724:
	.size	_ZN7rocprim17ROCPRIM_400000_NS6detail17trampoline_kernelINS0_14default_configENS1_25partition_config_selectorILNS1_17partition_subalgoE9EyjbEEZZNS1_14partition_implILS5_9ELb0ES3_jN6thrust23THRUST_200600_302600_NS6detail15normal_iteratorINS9_10device_ptrIyEEEENSB_INSC_IjEEEEPNS0_10empty_typeENS0_5tupleIJNS9_16discard_iteratorINS9_11use_defaultEEESH_EEENSJ_IJSM_SI_EEENS0_18inequality_wrapperINS9_8equal_toIyEEEEPmJSH_EEE10hipError_tPvRmT3_T4_T5_T6_T7_T9_mT8_P12ihipStream_tbDpT10_ENKUlT_T0_E_clISt17integral_constantIbLb0EES1C_IbLb1EEEEDaS18_S19_EUlS18_E_NS1_11comp_targetILNS1_3genE8ELNS1_11target_archE1030ELNS1_3gpuE2ELNS1_3repE0EEENS1_30default_config_static_selectorELNS0_4arch9wavefront6targetE0EEEvT1_, .Lfunc_end724-_ZN7rocprim17ROCPRIM_400000_NS6detail17trampoline_kernelINS0_14default_configENS1_25partition_config_selectorILNS1_17partition_subalgoE9EyjbEEZZNS1_14partition_implILS5_9ELb0ES3_jN6thrust23THRUST_200600_302600_NS6detail15normal_iteratorINS9_10device_ptrIyEEEENSB_INSC_IjEEEEPNS0_10empty_typeENS0_5tupleIJNS9_16discard_iteratorINS9_11use_defaultEEESH_EEENSJ_IJSM_SI_EEENS0_18inequality_wrapperINS9_8equal_toIyEEEEPmJSH_EEE10hipError_tPvRmT3_T4_T5_T6_T7_T9_mT8_P12ihipStream_tbDpT10_ENKUlT_T0_E_clISt17integral_constantIbLb0EES1C_IbLb1EEEEDaS18_S19_EUlS18_E_NS1_11comp_targetILNS1_3genE8ELNS1_11target_archE1030ELNS1_3gpuE2ELNS1_3repE0EEENS1_30default_config_static_selectorELNS0_4arch9wavefront6targetE0EEEvT1_
                                        ; -- End function
	.section	.AMDGPU.csdata,"",@progbits
; Kernel info:
; codeLenInByte = 0
; NumSgprs: 0
; NumVgprs: 0
; ScratchSize: 0
; MemoryBound: 0
; FloatMode: 240
; IeeeMode: 1
; LDSByteSize: 0 bytes/workgroup (compile time only)
; SGPRBlocks: 0
; VGPRBlocks: 0
; NumSGPRsForWavesPerEU: 1
; NumVGPRsForWavesPerEU: 1
; Occupancy: 16
; WaveLimiterHint : 0
; COMPUTE_PGM_RSRC2:SCRATCH_EN: 0
; COMPUTE_PGM_RSRC2:USER_SGPR: 15
; COMPUTE_PGM_RSRC2:TRAP_HANDLER: 0
; COMPUTE_PGM_RSRC2:TGID_X_EN: 1
; COMPUTE_PGM_RSRC2:TGID_Y_EN: 0
; COMPUTE_PGM_RSRC2:TGID_Z_EN: 0
; COMPUTE_PGM_RSRC2:TIDIG_COMP_CNT: 0
	.section	.text._ZN7rocprim17ROCPRIM_400000_NS6detail17trampoline_kernelINS0_14default_configENS1_25partition_config_selectorILNS1_17partition_subalgoE9EyjbEEZZNS1_14partition_implILS5_9ELb0ES3_jN6thrust23THRUST_200600_302600_NS6detail15normal_iteratorINS9_10device_ptrIyEEEENSB_INSC_IjEEEEPNS0_10empty_typeENS0_5tupleIJSE_SH_EEENSJ_IJNS9_16discard_iteratorINS9_11use_defaultEEESI_EEENS0_18inequality_wrapperINS9_8equal_toIyEEEEPmJSH_EEE10hipError_tPvRmT3_T4_T5_T6_T7_T9_mT8_P12ihipStream_tbDpT10_ENKUlT_T0_E_clISt17integral_constantIbLb0EES1D_EEDaS18_S19_EUlS18_E_NS1_11comp_targetILNS1_3genE0ELNS1_11target_archE4294967295ELNS1_3gpuE0ELNS1_3repE0EEENS1_30default_config_static_selectorELNS0_4arch9wavefront6targetE0EEEvT1_,"axG",@progbits,_ZN7rocprim17ROCPRIM_400000_NS6detail17trampoline_kernelINS0_14default_configENS1_25partition_config_selectorILNS1_17partition_subalgoE9EyjbEEZZNS1_14partition_implILS5_9ELb0ES3_jN6thrust23THRUST_200600_302600_NS6detail15normal_iteratorINS9_10device_ptrIyEEEENSB_INSC_IjEEEEPNS0_10empty_typeENS0_5tupleIJSE_SH_EEENSJ_IJNS9_16discard_iteratorINS9_11use_defaultEEESI_EEENS0_18inequality_wrapperINS9_8equal_toIyEEEEPmJSH_EEE10hipError_tPvRmT3_T4_T5_T6_T7_T9_mT8_P12ihipStream_tbDpT10_ENKUlT_T0_E_clISt17integral_constantIbLb0EES1D_EEDaS18_S19_EUlS18_E_NS1_11comp_targetILNS1_3genE0ELNS1_11target_archE4294967295ELNS1_3gpuE0ELNS1_3repE0EEENS1_30default_config_static_selectorELNS0_4arch9wavefront6targetE0EEEvT1_,comdat
	.protected	_ZN7rocprim17ROCPRIM_400000_NS6detail17trampoline_kernelINS0_14default_configENS1_25partition_config_selectorILNS1_17partition_subalgoE9EyjbEEZZNS1_14partition_implILS5_9ELb0ES3_jN6thrust23THRUST_200600_302600_NS6detail15normal_iteratorINS9_10device_ptrIyEEEENSB_INSC_IjEEEEPNS0_10empty_typeENS0_5tupleIJSE_SH_EEENSJ_IJNS9_16discard_iteratorINS9_11use_defaultEEESI_EEENS0_18inequality_wrapperINS9_8equal_toIyEEEEPmJSH_EEE10hipError_tPvRmT3_T4_T5_T6_T7_T9_mT8_P12ihipStream_tbDpT10_ENKUlT_T0_E_clISt17integral_constantIbLb0EES1D_EEDaS18_S19_EUlS18_E_NS1_11comp_targetILNS1_3genE0ELNS1_11target_archE4294967295ELNS1_3gpuE0ELNS1_3repE0EEENS1_30default_config_static_selectorELNS0_4arch9wavefront6targetE0EEEvT1_ ; -- Begin function _ZN7rocprim17ROCPRIM_400000_NS6detail17trampoline_kernelINS0_14default_configENS1_25partition_config_selectorILNS1_17partition_subalgoE9EyjbEEZZNS1_14partition_implILS5_9ELb0ES3_jN6thrust23THRUST_200600_302600_NS6detail15normal_iteratorINS9_10device_ptrIyEEEENSB_INSC_IjEEEEPNS0_10empty_typeENS0_5tupleIJSE_SH_EEENSJ_IJNS9_16discard_iteratorINS9_11use_defaultEEESI_EEENS0_18inequality_wrapperINS9_8equal_toIyEEEEPmJSH_EEE10hipError_tPvRmT3_T4_T5_T6_T7_T9_mT8_P12ihipStream_tbDpT10_ENKUlT_T0_E_clISt17integral_constantIbLb0EES1D_EEDaS18_S19_EUlS18_E_NS1_11comp_targetILNS1_3genE0ELNS1_11target_archE4294967295ELNS1_3gpuE0ELNS1_3repE0EEENS1_30default_config_static_selectorELNS0_4arch9wavefront6targetE0EEEvT1_
	.globl	_ZN7rocprim17ROCPRIM_400000_NS6detail17trampoline_kernelINS0_14default_configENS1_25partition_config_selectorILNS1_17partition_subalgoE9EyjbEEZZNS1_14partition_implILS5_9ELb0ES3_jN6thrust23THRUST_200600_302600_NS6detail15normal_iteratorINS9_10device_ptrIyEEEENSB_INSC_IjEEEEPNS0_10empty_typeENS0_5tupleIJSE_SH_EEENSJ_IJNS9_16discard_iteratorINS9_11use_defaultEEESI_EEENS0_18inequality_wrapperINS9_8equal_toIyEEEEPmJSH_EEE10hipError_tPvRmT3_T4_T5_T6_T7_T9_mT8_P12ihipStream_tbDpT10_ENKUlT_T0_E_clISt17integral_constantIbLb0EES1D_EEDaS18_S19_EUlS18_E_NS1_11comp_targetILNS1_3genE0ELNS1_11target_archE4294967295ELNS1_3gpuE0ELNS1_3repE0EEENS1_30default_config_static_selectorELNS0_4arch9wavefront6targetE0EEEvT1_
	.p2align	8
	.type	_ZN7rocprim17ROCPRIM_400000_NS6detail17trampoline_kernelINS0_14default_configENS1_25partition_config_selectorILNS1_17partition_subalgoE9EyjbEEZZNS1_14partition_implILS5_9ELb0ES3_jN6thrust23THRUST_200600_302600_NS6detail15normal_iteratorINS9_10device_ptrIyEEEENSB_INSC_IjEEEEPNS0_10empty_typeENS0_5tupleIJSE_SH_EEENSJ_IJNS9_16discard_iteratorINS9_11use_defaultEEESI_EEENS0_18inequality_wrapperINS9_8equal_toIyEEEEPmJSH_EEE10hipError_tPvRmT3_T4_T5_T6_T7_T9_mT8_P12ihipStream_tbDpT10_ENKUlT_T0_E_clISt17integral_constantIbLb0EES1D_EEDaS18_S19_EUlS18_E_NS1_11comp_targetILNS1_3genE0ELNS1_11target_archE4294967295ELNS1_3gpuE0ELNS1_3repE0EEENS1_30default_config_static_selectorELNS0_4arch9wavefront6targetE0EEEvT1_,@function
_ZN7rocprim17ROCPRIM_400000_NS6detail17trampoline_kernelINS0_14default_configENS1_25partition_config_selectorILNS1_17partition_subalgoE9EyjbEEZZNS1_14partition_implILS5_9ELb0ES3_jN6thrust23THRUST_200600_302600_NS6detail15normal_iteratorINS9_10device_ptrIyEEEENSB_INSC_IjEEEEPNS0_10empty_typeENS0_5tupleIJSE_SH_EEENSJ_IJNS9_16discard_iteratorINS9_11use_defaultEEESI_EEENS0_18inequality_wrapperINS9_8equal_toIyEEEEPmJSH_EEE10hipError_tPvRmT3_T4_T5_T6_T7_T9_mT8_P12ihipStream_tbDpT10_ENKUlT_T0_E_clISt17integral_constantIbLb0EES1D_EEDaS18_S19_EUlS18_E_NS1_11comp_targetILNS1_3genE0ELNS1_11target_archE4294967295ELNS1_3gpuE0ELNS1_3repE0EEENS1_30default_config_static_selectorELNS0_4arch9wavefront6targetE0EEEvT1_: ; @_ZN7rocprim17ROCPRIM_400000_NS6detail17trampoline_kernelINS0_14default_configENS1_25partition_config_selectorILNS1_17partition_subalgoE9EyjbEEZZNS1_14partition_implILS5_9ELb0ES3_jN6thrust23THRUST_200600_302600_NS6detail15normal_iteratorINS9_10device_ptrIyEEEENSB_INSC_IjEEEEPNS0_10empty_typeENS0_5tupleIJSE_SH_EEENSJ_IJNS9_16discard_iteratorINS9_11use_defaultEEESI_EEENS0_18inequality_wrapperINS9_8equal_toIyEEEEPmJSH_EEE10hipError_tPvRmT3_T4_T5_T6_T7_T9_mT8_P12ihipStream_tbDpT10_ENKUlT_T0_E_clISt17integral_constantIbLb0EES1D_EEDaS18_S19_EUlS18_E_NS1_11comp_targetILNS1_3genE0ELNS1_11target_archE4294967295ELNS1_3gpuE0ELNS1_3repE0EEENS1_30default_config_static_selectorELNS0_4arch9wavefront6targetE0EEEvT1_
; %bb.0:
	.section	.rodata,"a",@progbits
	.p2align	6, 0x0
	.amdhsa_kernel _ZN7rocprim17ROCPRIM_400000_NS6detail17trampoline_kernelINS0_14default_configENS1_25partition_config_selectorILNS1_17partition_subalgoE9EyjbEEZZNS1_14partition_implILS5_9ELb0ES3_jN6thrust23THRUST_200600_302600_NS6detail15normal_iteratorINS9_10device_ptrIyEEEENSB_INSC_IjEEEEPNS0_10empty_typeENS0_5tupleIJSE_SH_EEENSJ_IJNS9_16discard_iteratorINS9_11use_defaultEEESI_EEENS0_18inequality_wrapperINS9_8equal_toIyEEEEPmJSH_EEE10hipError_tPvRmT3_T4_T5_T6_T7_T9_mT8_P12ihipStream_tbDpT10_ENKUlT_T0_E_clISt17integral_constantIbLb0EES1D_EEDaS18_S19_EUlS18_E_NS1_11comp_targetILNS1_3genE0ELNS1_11target_archE4294967295ELNS1_3gpuE0ELNS1_3repE0EEENS1_30default_config_static_selectorELNS0_4arch9wavefront6targetE0EEEvT1_
		.amdhsa_group_segment_fixed_size 0
		.amdhsa_private_segment_fixed_size 0
		.amdhsa_kernarg_size 120
		.amdhsa_user_sgpr_count 15
		.amdhsa_user_sgpr_dispatch_ptr 0
		.amdhsa_user_sgpr_queue_ptr 0
		.amdhsa_user_sgpr_kernarg_segment_ptr 1
		.amdhsa_user_sgpr_dispatch_id 0
		.amdhsa_user_sgpr_private_segment_size 0
		.amdhsa_wavefront_size32 1
		.amdhsa_uses_dynamic_stack 0
		.amdhsa_enable_private_segment 0
		.amdhsa_system_sgpr_workgroup_id_x 1
		.amdhsa_system_sgpr_workgroup_id_y 0
		.amdhsa_system_sgpr_workgroup_id_z 0
		.amdhsa_system_sgpr_workgroup_info 0
		.amdhsa_system_vgpr_workitem_id 0
		.amdhsa_next_free_vgpr 1
		.amdhsa_next_free_sgpr 1
		.amdhsa_reserve_vcc 0
		.amdhsa_float_round_mode_32 0
		.amdhsa_float_round_mode_16_64 0
		.amdhsa_float_denorm_mode_32 3
		.amdhsa_float_denorm_mode_16_64 3
		.amdhsa_dx10_clamp 1
		.amdhsa_ieee_mode 1
		.amdhsa_fp16_overflow 0
		.amdhsa_workgroup_processor_mode 1
		.amdhsa_memory_ordered 1
		.amdhsa_forward_progress 0
		.amdhsa_shared_vgpr_count 0
		.amdhsa_exception_fp_ieee_invalid_op 0
		.amdhsa_exception_fp_denorm_src 0
		.amdhsa_exception_fp_ieee_div_zero 0
		.amdhsa_exception_fp_ieee_overflow 0
		.amdhsa_exception_fp_ieee_underflow 0
		.amdhsa_exception_fp_ieee_inexact 0
		.amdhsa_exception_int_div_zero 0
	.end_amdhsa_kernel
	.section	.text._ZN7rocprim17ROCPRIM_400000_NS6detail17trampoline_kernelINS0_14default_configENS1_25partition_config_selectorILNS1_17partition_subalgoE9EyjbEEZZNS1_14partition_implILS5_9ELb0ES3_jN6thrust23THRUST_200600_302600_NS6detail15normal_iteratorINS9_10device_ptrIyEEEENSB_INSC_IjEEEEPNS0_10empty_typeENS0_5tupleIJSE_SH_EEENSJ_IJNS9_16discard_iteratorINS9_11use_defaultEEESI_EEENS0_18inequality_wrapperINS9_8equal_toIyEEEEPmJSH_EEE10hipError_tPvRmT3_T4_T5_T6_T7_T9_mT8_P12ihipStream_tbDpT10_ENKUlT_T0_E_clISt17integral_constantIbLb0EES1D_EEDaS18_S19_EUlS18_E_NS1_11comp_targetILNS1_3genE0ELNS1_11target_archE4294967295ELNS1_3gpuE0ELNS1_3repE0EEENS1_30default_config_static_selectorELNS0_4arch9wavefront6targetE0EEEvT1_,"axG",@progbits,_ZN7rocprim17ROCPRIM_400000_NS6detail17trampoline_kernelINS0_14default_configENS1_25partition_config_selectorILNS1_17partition_subalgoE9EyjbEEZZNS1_14partition_implILS5_9ELb0ES3_jN6thrust23THRUST_200600_302600_NS6detail15normal_iteratorINS9_10device_ptrIyEEEENSB_INSC_IjEEEEPNS0_10empty_typeENS0_5tupleIJSE_SH_EEENSJ_IJNS9_16discard_iteratorINS9_11use_defaultEEESI_EEENS0_18inequality_wrapperINS9_8equal_toIyEEEEPmJSH_EEE10hipError_tPvRmT3_T4_T5_T6_T7_T9_mT8_P12ihipStream_tbDpT10_ENKUlT_T0_E_clISt17integral_constantIbLb0EES1D_EEDaS18_S19_EUlS18_E_NS1_11comp_targetILNS1_3genE0ELNS1_11target_archE4294967295ELNS1_3gpuE0ELNS1_3repE0EEENS1_30default_config_static_selectorELNS0_4arch9wavefront6targetE0EEEvT1_,comdat
.Lfunc_end725:
	.size	_ZN7rocprim17ROCPRIM_400000_NS6detail17trampoline_kernelINS0_14default_configENS1_25partition_config_selectorILNS1_17partition_subalgoE9EyjbEEZZNS1_14partition_implILS5_9ELb0ES3_jN6thrust23THRUST_200600_302600_NS6detail15normal_iteratorINS9_10device_ptrIyEEEENSB_INSC_IjEEEEPNS0_10empty_typeENS0_5tupleIJSE_SH_EEENSJ_IJNS9_16discard_iteratorINS9_11use_defaultEEESI_EEENS0_18inequality_wrapperINS9_8equal_toIyEEEEPmJSH_EEE10hipError_tPvRmT3_T4_T5_T6_T7_T9_mT8_P12ihipStream_tbDpT10_ENKUlT_T0_E_clISt17integral_constantIbLb0EES1D_EEDaS18_S19_EUlS18_E_NS1_11comp_targetILNS1_3genE0ELNS1_11target_archE4294967295ELNS1_3gpuE0ELNS1_3repE0EEENS1_30default_config_static_selectorELNS0_4arch9wavefront6targetE0EEEvT1_, .Lfunc_end725-_ZN7rocprim17ROCPRIM_400000_NS6detail17trampoline_kernelINS0_14default_configENS1_25partition_config_selectorILNS1_17partition_subalgoE9EyjbEEZZNS1_14partition_implILS5_9ELb0ES3_jN6thrust23THRUST_200600_302600_NS6detail15normal_iteratorINS9_10device_ptrIyEEEENSB_INSC_IjEEEEPNS0_10empty_typeENS0_5tupleIJSE_SH_EEENSJ_IJNS9_16discard_iteratorINS9_11use_defaultEEESI_EEENS0_18inequality_wrapperINS9_8equal_toIyEEEEPmJSH_EEE10hipError_tPvRmT3_T4_T5_T6_T7_T9_mT8_P12ihipStream_tbDpT10_ENKUlT_T0_E_clISt17integral_constantIbLb0EES1D_EEDaS18_S19_EUlS18_E_NS1_11comp_targetILNS1_3genE0ELNS1_11target_archE4294967295ELNS1_3gpuE0ELNS1_3repE0EEENS1_30default_config_static_selectorELNS0_4arch9wavefront6targetE0EEEvT1_
                                        ; -- End function
	.section	.AMDGPU.csdata,"",@progbits
; Kernel info:
; codeLenInByte = 0
; NumSgprs: 0
; NumVgprs: 0
; ScratchSize: 0
; MemoryBound: 0
; FloatMode: 240
; IeeeMode: 1
; LDSByteSize: 0 bytes/workgroup (compile time only)
; SGPRBlocks: 0
; VGPRBlocks: 0
; NumSGPRsForWavesPerEU: 1
; NumVGPRsForWavesPerEU: 1
; Occupancy: 16
; WaveLimiterHint : 0
; COMPUTE_PGM_RSRC2:SCRATCH_EN: 0
; COMPUTE_PGM_RSRC2:USER_SGPR: 15
; COMPUTE_PGM_RSRC2:TRAP_HANDLER: 0
; COMPUTE_PGM_RSRC2:TGID_X_EN: 1
; COMPUTE_PGM_RSRC2:TGID_Y_EN: 0
; COMPUTE_PGM_RSRC2:TGID_Z_EN: 0
; COMPUTE_PGM_RSRC2:TIDIG_COMP_CNT: 0
	.section	.text._ZN7rocprim17ROCPRIM_400000_NS6detail17trampoline_kernelINS0_14default_configENS1_25partition_config_selectorILNS1_17partition_subalgoE9EyjbEEZZNS1_14partition_implILS5_9ELb0ES3_jN6thrust23THRUST_200600_302600_NS6detail15normal_iteratorINS9_10device_ptrIyEEEENSB_INSC_IjEEEEPNS0_10empty_typeENS0_5tupleIJSE_SH_EEENSJ_IJNS9_16discard_iteratorINS9_11use_defaultEEESI_EEENS0_18inequality_wrapperINS9_8equal_toIyEEEEPmJSH_EEE10hipError_tPvRmT3_T4_T5_T6_T7_T9_mT8_P12ihipStream_tbDpT10_ENKUlT_T0_E_clISt17integral_constantIbLb0EES1D_EEDaS18_S19_EUlS18_E_NS1_11comp_targetILNS1_3genE5ELNS1_11target_archE942ELNS1_3gpuE9ELNS1_3repE0EEENS1_30default_config_static_selectorELNS0_4arch9wavefront6targetE0EEEvT1_,"axG",@progbits,_ZN7rocprim17ROCPRIM_400000_NS6detail17trampoline_kernelINS0_14default_configENS1_25partition_config_selectorILNS1_17partition_subalgoE9EyjbEEZZNS1_14partition_implILS5_9ELb0ES3_jN6thrust23THRUST_200600_302600_NS6detail15normal_iteratorINS9_10device_ptrIyEEEENSB_INSC_IjEEEEPNS0_10empty_typeENS0_5tupleIJSE_SH_EEENSJ_IJNS9_16discard_iteratorINS9_11use_defaultEEESI_EEENS0_18inequality_wrapperINS9_8equal_toIyEEEEPmJSH_EEE10hipError_tPvRmT3_T4_T5_T6_T7_T9_mT8_P12ihipStream_tbDpT10_ENKUlT_T0_E_clISt17integral_constantIbLb0EES1D_EEDaS18_S19_EUlS18_E_NS1_11comp_targetILNS1_3genE5ELNS1_11target_archE942ELNS1_3gpuE9ELNS1_3repE0EEENS1_30default_config_static_selectorELNS0_4arch9wavefront6targetE0EEEvT1_,comdat
	.protected	_ZN7rocprim17ROCPRIM_400000_NS6detail17trampoline_kernelINS0_14default_configENS1_25partition_config_selectorILNS1_17partition_subalgoE9EyjbEEZZNS1_14partition_implILS5_9ELb0ES3_jN6thrust23THRUST_200600_302600_NS6detail15normal_iteratorINS9_10device_ptrIyEEEENSB_INSC_IjEEEEPNS0_10empty_typeENS0_5tupleIJSE_SH_EEENSJ_IJNS9_16discard_iteratorINS9_11use_defaultEEESI_EEENS0_18inequality_wrapperINS9_8equal_toIyEEEEPmJSH_EEE10hipError_tPvRmT3_T4_T5_T6_T7_T9_mT8_P12ihipStream_tbDpT10_ENKUlT_T0_E_clISt17integral_constantIbLb0EES1D_EEDaS18_S19_EUlS18_E_NS1_11comp_targetILNS1_3genE5ELNS1_11target_archE942ELNS1_3gpuE9ELNS1_3repE0EEENS1_30default_config_static_selectorELNS0_4arch9wavefront6targetE0EEEvT1_ ; -- Begin function _ZN7rocprim17ROCPRIM_400000_NS6detail17trampoline_kernelINS0_14default_configENS1_25partition_config_selectorILNS1_17partition_subalgoE9EyjbEEZZNS1_14partition_implILS5_9ELb0ES3_jN6thrust23THRUST_200600_302600_NS6detail15normal_iteratorINS9_10device_ptrIyEEEENSB_INSC_IjEEEEPNS0_10empty_typeENS0_5tupleIJSE_SH_EEENSJ_IJNS9_16discard_iteratorINS9_11use_defaultEEESI_EEENS0_18inequality_wrapperINS9_8equal_toIyEEEEPmJSH_EEE10hipError_tPvRmT3_T4_T5_T6_T7_T9_mT8_P12ihipStream_tbDpT10_ENKUlT_T0_E_clISt17integral_constantIbLb0EES1D_EEDaS18_S19_EUlS18_E_NS1_11comp_targetILNS1_3genE5ELNS1_11target_archE942ELNS1_3gpuE9ELNS1_3repE0EEENS1_30default_config_static_selectorELNS0_4arch9wavefront6targetE0EEEvT1_
	.globl	_ZN7rocprim17ROCPRIM_400000_NS6detail17trampoline_kernelINS0_14default_configENS1_25partition_config_selectorILNS1_17partition_subalgoE9EyjbEEZZNS1_14partition_implILS5_9ELb0ES3_jN6thrust23THRUST_200600_302600_NS6detail15normal_iteratorINS9_10device_ptrIyEEEENSB_INSC_IjEEEEPNS0_10empty_typeENS0_5tupleIJSE_SH_EEENSJ_IJNS9_16discard_iteratorINS9_11use_defaultEEESI_EEENS0_18inequality_wrapperINS9_8equal_toIyEEEEPmJSH_EEE10hipError_tPvRmT3_T4_T5_T6_T7_T9_mT8_P12ihipStream_tbDpT10_ENKUlT_T0_E_clISt17integral_constantIbLb0EES1D_EEDaS18_S19_EUlS18_E_NS1_11comp_targetILNS1_3genE5ELNS1_11target_archE942ELNS1_3gpuE9ELNS1_3repE0EEENS1_30default_config_static_selectorELNS0_4arch9wavefront6targetE0EEEvT1_
	.p2align	8
	.type	_ZN7rocprim17ROCPRIM_400000_NS6detail17trampoline_kernelINS0_14default_configENS1_25partition_config_selectorILNS1_17partition_subalgoE9EyjbEEZZNS1_14partition_implILS5_9ELb0ES3_jN6thrust23THRUST_200600_302600_NS6detail15normal_iteratorINS9_10device_ptrIyEEEENSB_INSC_IjEEEEPNS0_10empty_typeENS0_5tupleIJSE_SH_EEENSJ_IJNS9_16discard_iteratorINS9_11use_defaultEEESI_EEENS0_18inequality_wrapperINS9_8equal_toIyEEEEPmJSH_EEE10hipError_tPvRmT3_T4_T5_T6_T7_T9_mT8_P12ihipStream_tbDpT10_ENKUlT_T0_E_clISt17integral_constantIbLb0EES1D_EEDaS18_S19_EUlS18_E_NS1_11comp_targetILNS1_3genE5ELNS1_11target_archE942ELNS1_3gpuE9ELNS1_3repE0EEENS1_30default_config_static_selectorELNS0_4arch9wavefront6targetE0EEEvT1_,@function
_ZN7rocprim17ROCPRIM_400000_NS6detail17trampoline_kernelINS0_14default_configENS1_25partition_config_selectorILNS1_17partition_subalgoE9EyjbEEZZNS1_14partition_implILS5_9ELb0ES3_jN6thrust23THRUST_200600_302600_NS6detail15normal_iteratorINS9_10device_ptrIyEEEENSB_INSC_IjEEEEPNS0_10empty_typeENS0_5tupleIJSE_SH_EEENSJ_IJNS9_16discard_iteratorINS9_11use_defaultEEESI_EEENS0_18inequality_wrapperINS9_8equal_toIyEEEEPmJSH_EEE10hipError_tPvRmT3_T4_T5_T6_T7_T9_mT8_P12ihipStream_tbDpT10_ENKUlT_T0_E_clISt17integral_constantIbLb0EES1D_EEDaS18_S19_EUlS18_E_NS1_11comp_targetILNS1_3genE5ELNS1_11target_archE942ELNS1_3gpuE9ELNS1_3repE0EEENS1_30default_config_static_selectorELNS0_4arch9wavefront6targetE0EEEvT1_: ; @_ZN7rocprim17ROCPRIM_400000_NS6detail17trampoline_kernelINS0_14default_configENS1_25partition_config_selectorILNS1_17partition_subalgoE9EyjbEEZZNS1_14partition_implILS5_9ELb0ES3_jN6thrust23THRUST_200600_302600_NS6detail15normal_iteratorINS9_10device_ptrIyEEEENSB_INSC_IjEEEEPNS0_10empty_typeENS0_5tupleIJSE_SH_EEENSJ_IJNS9_16discard_iteratorINS9_11use_defaultEEESI_EEENS0_18inequality_wrapperINS9_8equal_toIyEEEEPmJSH_EEE10hipError_tPvRmT3_T4_T5_T6_T7_T9_mT8_P12ihipStream_tbDpT10_ENKUlT_T0_E_clISt17integral_constantIbLb0EES1D_EEDaS18_S19_EUlS18_E_NS1_11comp_targetILNS1_3genE5ELNS1_11target_archE942ELNS1_3gpuE9ELNS1_3repE0EEENS1_30default_config_static_selectorELNS0_4arch9wavefront6targetE0EEEvT1_
; %bb.0:
	.section	.rodata,"a",@progbits
	.p2align	6, 0x0
	.amdhsa_kernel _ZN7rocprim17ROCPRIM_400000_NS6detail17trampoline_kernelINS0_14default_configENS1_25partition_config_selectorILNS1_17partition_subalgoE9EyjbEEZZNS1_14partition_implILS5_9ELb0ES3_jN6thrust23THRUST_200600_302600_NS6detail15normal_iteratorINS9_10device_ptrIyEEEENSB_INSC_IjEEEEPNS0_10empty_typeENS0_5tupleIJSE_SH_EEENSJ_IJNS9_16discard_iteratorINS9_11use_defaultEEESI_EEENS0_18inequality_wrapperINS9_8equal_toIyEEEEPmJSH_EEE10hipError_tPvRmT3_T4_T5_T6_T7_T9_mT8_P12ihipStream_tbDpT10_ENKUlT_T0_E_clISt17integral_constantIbLb0EES1D_EEDaS18_S19_EUlS18_E_NS1_11comp_targetILNS1_3genE5ELNS1_11target_archE942ELNS1_3gpuE9ELNS1_3repE0EEENS1_30default_config_static_selectorELNS0_4arch9wavefront6targetE0EEEvT1_
		.amdhsa_group_segment_fixed_size 0
		.amdhsa_private_segment_fixed_size 0
		.amdhsa_kernarg_size 120
		.amdhsa_user_sgpr_count 15
		.amdhsa_user_sgpr_dispatch_ptr 0
		.amdhsa_user_sgpr_queue_ptr 0
		.amdhsa_user_sgpr_kernarg_segment_ptr 1
		.amdhsa_user_sgpr_dispatch_id 0
		.amdhsa_user_sgpr_private_segment_size 0
		.amdhsa_wavefront_size32 1
		.amdhsa_uses_dynamic_stack 0
		.amdhsa_enable_private_segment 0
		.amdhsa_system_sgpr_workgroup_id_x 1
		.amdhsa_system_sgpr_workgroup_id_y 0
		.amdhsa_system_sgpr_workgroup_id_z 0
		.amdhsa_system_sgpr_workgroup_info 0
		.amdhsa_system_vgpr_workitem_id 0
		.amdhsa_next_free_vgpr 1
		.amdhsa_next_free_sgpr 1
		.amdhsa_reserve_vcc 0
		.amdhsa_float_round_mode_32 0
		.amdhsa_float_round_mode_16_64 0
		.amdhsa_float_denorm_mode_32 3
		.amdhsa_float_denorm_mode_16_64 3
		.amdhsa_dx10_clamp 1
		.amdhsa_ieee_mode 1
		.amdhsa_fp16_overflow 0
		.amdhsa_workgroup_processor_mode 1
		.amdhsa_memory_ordered 1
		.amdhsa_forward_progress 0
		.amdhsa_shared_vgpr_count 0
		.amdhsa_exception_fp_ieee_invalid_op 0
		.amdhsa_exception_fp_denorm_src 0
		.amdhsa_exception_fp_ieee_div_zero 0
		.amdhsa_exception_fp_ieee_overflow 0
		.amdhsa_exception_fp_ieee_underflow 0
		.amdhsa_exception_fp_ieee_inexact 0
		.amdhsa_exception_int_div_zero 0
	.end_amdhsa_kernel
	.section	.text._ZN7rocprim17ROCPRIM_400000_NS6detail17trampoline_kernelINS0_14default_configENS1_25partition_config_selectorILNS1_17partition_subalgoE9EyjbEEZZNS1_14partition_implILS5_9ELb0ES3_jN6thrust23THRUST_200600_302600_NS6detail15normal_iteratorINS9_10device_ptrIyEEEENSB_INSC_IjEEEEPNS0_10empty_typeENS0_5tupleIJSE_SH_EEENSJ_IJNS9_16discard_iteratorINS9_11use_defaultEEESI_EEENS0_18inequality_wrapperINS9_8equal_toIyEEEEPmJSH_EEE10hipError_tPvRmT3_T4_T5_T6_T7_T9_mT8_P12ihipStream_tbDpT10_ENKUlT_T0_E_clISt17integral_constantIbLb0EES1D_EEDaS18_S19_EUlS18_E_NS1_11comp_targetILNS1_3genE5ELNS1_11target_archE942ELNS1_3gpuE9ELNS1_3repE0EEENS1_30default_config_static_selectorELNS0_4arch9wavefront6targetE0EEEvT1_,"axG",@progbits,_ZN7rocprim17ROCPRIM_400000_NS6detail17trampoline_kernelINS0_14default_configENS1_25partition_config_selectorILNS1_17partition_subalgoE9EyjbEEZZNS1_14partition_implILS5_9ELb0ES3_jN6thrust23THRUST_200600_302600_NS6detail15normal_iteratorINS9_10device_ptrIyEEEENSB_INSC_IjEEEEPNS0_10empty_typeENS0_5tupleIJSE_SH_EEENSJ_IJNS9_16discard_iteratorINS9_11use_defaultEEESI_EEENS0_18inequality_wrapperINS9_8equal_toIyEEEEPmJSH_EEE10hipError_tPvRmT3_T4_T5_T6_T7_T9_mT8_P12ihipStream_tbDpT10_ENKUlT_T0_E_clISt17integral_constantIbLb0EES1D_EEDaS18_S19_EUlS18_E_NS1_11comp_targetILNS1_3genE5ELNS1_11target_archE942ELNS1_3gpuE9ELNS1_3repE0EEENS1_30default_config_static_selectorELNS0_4arch9wavefront6targetE0EEEvT1_,comdat
.Lfunc_end726:
	.size	_ZN7rocprim17ROCPRIM_400000_NS6detail17trampoline_kernelINS0_14default_configENS1_25partition_config_selectorILNS1_17partition_subalgoE9EyjbEEZZNS1_14partition_implILS5_9ELb0ES3_jN6thrust23THRUST_200600_302600_NS6detail15normal_iteratorINS9_10device_ptrIyEEEENSB_INSC_IjEEEEPNS0_10empty_typeENS0_5tupleIJSE_SH_EEENSJ_IJNS9_16discard_iteratorINS9_11use_defaultEEESI_EEENS0_18inequality_wrapperINS9_8equal_toIyEEEEPmJSH_EEE10hipError_tPvRmT3_T4_T5_T6_T7_T9_mT8_P12ihipStream_tbDpT10_ENKUlT_T0_E_clISt17integral_constantIbLb0EES1D_EEDaS18_S19_EUlS18_E_NS1_11comp_targetILNS1_3genE5ELNS1_11target_archE942ELNS1_3gpuE9ELNS1_3repE0EEENS1_30default_config_static_selectorELNS0_4arch9wavefront6targetE0EEEvT1_, .Lfunc_end726-_ZN7rocprim17ROCPRIM_400000_NS6detail17trampoline_kernelINS0_14default_configENS1_25partition_config_selectorILNS1_17partition_subalgoE9EyjbEEZZNS1_14partition_implILS5_9ELb0ES3_jN6thrust23THRUST_200600_302600_NS6detail15normal_iteratorINS9_10device_ptrIyEEEENSB_INSC_IjEEEEPNS0_10empty_typeENS0_5tupleIJSE_SH_EEENSJ_IJNS9_16discard_iteratorINS9_11use_defaultEEESI_EEENS0_18inequality_wrapperINS9_8equal_toIyEEEEPmJSH_EEE10hipError_tPvRmT3_T4_T5_T6_T7_T9_mT8_P12ihipStream_tbDpT10_ENKUlT_T0_E_clISt17integral_constantIbLb0EES1D_EEDaS18_S19_EUlS18_E_NS1_11comp_targetILNS1_3genE5ELNS1_11target_archE942ELNS1_3gpuE9ELNS1_3repE0EEENS1_30default_config_static_selectorELNS0_4arch9wavefront6targetE0EEEvT1_
                                        ; -- End function
	.section	.AMDGPU.csdata,"",@progbits
; Kernel info:
; codeLenInByte = 0
; NumSgprs: 0
; NumVgprs: 0
; ScratchSize: 0
; MemoryBound: 0
; FloatMode: 240
; IeeeMode: 1
; LDSByteSize: 0 bytes/workgroup (compile time only)
; SGPRBlocks: 0
; VGPRBlocks: 0
; NumSGPRsForWavesPerEU: 1
; NumVGPRsForWavesPerEU: 1
; Occupancy: 16
; WaveLimiterHint : 0
; COMPUTE_PGM_RSRC2:SCRATCH_EN: 0
; COMPUTE_PGM_RSRC2:USER_SGPR: 15
; COMPUTE_PGM_RSRC2:TRAP_HANDLER: 0
; COMPUTE_PGM_RSRC2:TGID_X_EN: 1
; COMPUTE_PGM_RSRC2:TGID_Y_EN: 0
; COMPUTE_PGM_RSRC2:TGID_Z_EN: 0
; COMPUTE_PGM_RSRC2:TIDIG_COMP_CNT: 0
	.section	.text._ZN7rocprim17ROCPRIM_400000_NS6detail17trampoline_kernelINS0_14default_configENS1_25partition_config_selectorILNS1_17partition_subalgoE9EyjbEEZZNS1_14partition_implILS5_9ELb0ES3_jN6thrust23THRUST_200600_302600_NS6detail15normal_iteratorINS9_10device_ptrIyEEEENSB_INSC_IjEEEEPNS0_10empty_typeENS0_5tupleIJSE_SH_EEENSJ_IJNS9_16discard_iteratorINS9_11use_defaultEEESI_EEENS0_18inequality_wrapperINS9_8equal_toIyEEEEPmJSH_EEE10hipError_tPvRmT3_T4_T5_T6_T7_T9_mT8_P12ihipStream_tbDpT10_ENKUlT_T0_E_clISt17integral_constantIbLb0EES1D_EEDaS18_S19_EUlS18_E_NS1_11comp_targetILNS1_3genE4ELNS1_11target_archE910ELNS1_3gpuE8ELNS1_3repE0EEENS1_30default_config_static_selectorELNS0_4arch9wavefront6targetE0EEEvT1_,"axG",@progbits,_ZN7rocprim17ROCPRIM_400000_NS6detail17trampoline_kernelINS0_14default_configENS1_25partition_config_selectorILNS1_17partition_subalgoE9EyjbEEZZNS1_14partition_implILS5_9ELb0ES3_jN6thrust23THRUST_200600_302600_NS6detail15normal_iteratorINS9_10device_ptrIyEEEENSB_INSC_IjEEEEPNS0_10empty_typeENS0_5tupleIJSE_SH_EEENSJ_IJNS9_16discard_iteratorINS9_11use_defaultEEESI_EEENS0_18inequality_wrapperINS9_8equal_toIyEEEEPmJSH_EEE10hipError_tPvRmT3_T4_T5_T6_T7_T9_mT8_P12ihipStream_tbDpT10_ENKUlT_T0_E_clISt17integral_constantIbLb0EES1D_EEDaS18_S19_EUlS18_E_NS1_11comp_targetILNS1_3genE4ELNS1_11target_archE910ELNS1_3gpuE8ELNS1_3repE0EEENS1_30default_config_static_selectorELNS0_4arch9wavefront6targetE0EEEvT1_,comdat
	.protected	_ZN7rocprim17ROCPRIM_400000_NS6detail17trampoline_kernelINS0_14default_configENS1_25partition_config_selectorILNS1_17partition_subalgoE9EyjbEEZZNS1_14partition_implILS5_9ELb0ES3_jN6thrust23THRUST_200600_302600_NS6detail15normal_iteratorINS9_10device_ptrIyEEEENSB_INSC_IjEEEEPNS0_10empty_typeENS0_5tupleIJSE_SH_EEENSJ_IJNS9_16discard_iteratorINS9_11use_defaultEEESI_EEENS0_18inequality_wrapperINS9_8equal_toIyEEEEPmJSH_EEE10hipError_tPvRmT3_T4_T5_T6_T7_T9_mT8_P12ihipStream_tbDpT10_ENKUlT_T0_E_clISt17integral_constantIbLb0EES1D_EEDaS18_S19_EUlS18_E_NS1_11comp_targetILNS1_3genE4ELNS1_11target_archE910ELNS1_3gpuE8ELNS1_3repE0EEENS1_30default_config_static_selectorELNS0_4arch9wavefront6targetE0EEEvT1_ ; -- Begin function _ZN7rocprim17ROCPRIM_400000_NS6detail17trampoline_kernelINS0_14default_configENS1_25partition_config_selectorILNS1_17partition_subalgoE9EyjbEEZZNS1_14partition_implILS5_9ELb0ES3_jN6thrust23THRUST_200600_302600_NS6detail15normal_iteratorINS9_10device_ptrIyEEEENSB_INSC_IjEEEEPNS0_10empty_typeENS0_5tupleIJSE_SH_EEENSJ_IJNS9_16discard_iteratorINS9_11use_defaultEEESI_EEENS0_18inequality_wrapperINS9_8equal_toIyEEEEPmJSH_EEE10hipError_tPvRmT3_T4_T5_T6_T7_T9_mT8_P12ihipStream_tbDpT10_ENKUlT_T0_E_clISt17integral_constantIbLb0EES1D_EEDaS18_S19_EUlS18_E_NS1_11comp_targetILNS1_3genE4ELNS1_11target_archE910ELNS1_3gpuE8ELNS1_3repE0EEENS1_30default_config_static_selectorELNS0_4arch9wavefront6targetE0EEEvT1_
	.globl	_ZN7rocprim17ROCPRIM_400000_NS6detail17trampoline_kernelINS0_14default_configENS1_25partition_config_selectorILNS1_17partition_subalgoE9EyjbEEZZNS1_14partition_implILS5_9ELb0ES3_jN6thrust23THRUST_200600_302600_NS6detail15normal_iteratorINS9_10device_ptrIyEEEENSB_INSC_IjEEEEPNS0_10empty_typeENS0_5tupleIJSE_SH_EEENSJ_IJNS9_16discard_iteratorINS9_11use_defaultEEESI_EEENS0_18inequality_wrapperINS9_8equal_toIyEEEEPmJSH_EEE10hipError_tPvRmT3_T4_T5_T6_T7_T9_mT8_P12ihipStream_tbDpT10_ENKUlT_T0_E_clISt17integral_constantIbLb0EES1D_EEDaS18_S19_EUlS18_E_NS1_11comp_targetILNS1_3genE4ELNS1_11target_archE910ELNS1_3gpuE8ELNS1_3repE0EEENS1_30default_config_static_selectorELNS0_4arch9wavefront6targetE0EEEvT1_
	.p2align	8
	.type	_ZN7rocprim17ROCPRIM_400000_NS6detail17trampoline_kernelINS0_14default_configENS1_25partition_config_selectorILNS1_17partition_subalgoE9EyjbEEZZNS1_14partition_implILS5_9ELb0ES3_jN6thrust23THRUST_200600_302600_NS6detail15normal_iteratorINS9_10device_ptrIyEEEENSB_INSC_IjEEEEPNS0_10empty_typeENS0_5tupleIJSE_SH_EEENSJ_IJNS9_16discard_iteratorINS9_11use_defaultEEESI_EEENS0_18inequality_wrapperINS9_8equal_toIyEEEEPmJSH_EEE10hipError_tPvRmT3_T4_T5_T6_T7_T9_mT8_P12ihipStream_tbDpT10_ENKUlT_T0_E_clISt17integral_constantIbLb0EES1D_EEDaS18_S19_EUlS18_E_NS1_11comp_targetILNS1_3genE4ELNS1_11target_archE910ELNS1_3gpuE8ELNS1_3repE0EEENS1_30default_config_static_selectorELNS0_4arch9wavefront6targetE0EEEvT1_,@function
_ZN7rocprim17ROCPRIM_400000_NS6detail17trampoline_kernelINS0_14default_configENS1_25partition_config_selectorILNS1_17partition_subalgoE9EyjbEEZZNS1_14partition_implILS5_9ELb0ES3_jN6thrust23THRUST_200600_302600_NS6detail15normal_iteratorINS9_10device_ptrIyEEEENSB_INSC_IjEEEEPNS0_10empty_typeENS0_5tupleIJSE_SH_EEENSJ_IJNS9_16discard_iteratorINS9_11use_defaultEEESI_EEENS0_18inequality_wrapperINS9_8equal_toIyEEEEPmJSH_EEE10hipError_tPvRmT3_T4_T5_T6_T7_T9_mT8_P12ihipStream_tbDpT10_ENKUlT_T0_E_clISt17integral_constantIbLb0EES1D_EEDaS18_S19_EUlS18_E_NS1_11comp_targetILNS1_3genE4ELNS1_11target_archE910ELNS1_3gpuE8ELNS1_3repE0EEENS1_30default_config_static_selectorELNS0_4arch9wavefront6targetE0EEEvT1_: ; @_ZN7rocprim17ROCPRIM_400000_NS6detail17trampoline_kernelINS0_14default_configENS1_25partition_config_selectorILNS1_17partition_subalgoE9EyjbEEZZNS1_14partition_implILS5_9ELb0ES3_jN6thrust23THRUST_200600_302600_NS6detail15normal_iteratorINS9_10device_ptrIyEEEENSB_INSC_IjEEEEPNS0_10empty_typeENS0_5tupleIJSE_SH_EEENSJ_IJNS9_16discard_iteratorINS9_11use_defaultEEESI_EEENS0_18inequality_wrapperINS9_8equal_toIyEEEEPmJSH_EEE10hipError_tPvRmT3_T4_T5_T6_T7_T9_mT8_P12ihipStream_tbDpT10_ENKUlT_T0_E_clISt17integral_constantIbLb0EES1D_EEDaS18_S19_EUlS18_E_NS1_11comp_targetILNS1_3genE4ELNS1_11target_archE910ELNS1_3gpuE8ELNS1_3repE0EEENS1_30default_config_static_selectorELNS0_4arch9wavefront6targetE0EEEvT1_
; %bb.0:
	.section	.rodata,"a",@progbits
	.p2align	6, 0x0
	.amdhsa_kernel _ZN7rocprim17ROCPRIM_400000_NS6detail17trampoline_kernelINS0_14default_configENS1_25partition_config_selectorILNS1_17partition_subalgoE9EyjbEEZZNS1_14partition_implILS5_9ELb0ES3_jN6thrust23THRUST_200600_302600_NS6detail15normal_iteratorINS9_10device_ptrIyEEEENSB_INSC_IjEEEEPNS0_10empty_typeENS0_5tupleIJSE_SH_EEENSJ_IJNS9_16discard_iteratorINS9_11use_defaultEEESI_EEENS0_18inequality_wrapperINS9_8equal_toIyEEEEPmJSH_EEE10hipError_tPvRmT3_T4_T5_T6_T7_T9_mT8_P12ihipStream_tbDpT10_ENKUlT_T0_E_clISt17integral_constantIbLb0EES1D_EEDaS18_S19_EUlS18_E_NS1_11comp_targetILNS1_3genE4ELNS1_11target_archE910ELNS1_3gpuE8ELNS1_3repE0EEENS1_30default_config_static_selectorELNS0_4arch9wavefront6targetE0EEEvT1_
		.amdhsa_group_segment_fixed_size 0
		.amdhsa_private_segment_fixed_size 0
		.amdhsa_kernarg_size 120
		.amdhsa_user_sgpr_count 15
		.amdhsa_user_sgpr_dispatch_ptr 0
		.amdhsa_user_sgpr_queue_ptr 0
		.amdhsa_user_sgpr_kernarg_segment_ptr 1
		.amdhsa_user_sgpr_dispatch_id 0
		.amdhsa_user_sgpr_private_segment_size 0
		.amdhsa_wavefront_size32 1
		.amdhsa_uses_dynamic_stack 0
		.amdhsa_enable_private_segment 0
		.amdhsa_system_sgpr_workgroup_id_x 1
		.amdhsa_system_sgpr_workgroup_id_y 0
		.amdhsa_system_sgpr_workgroup_id_z 0
		.amdhsa_system_sgpr_workgroup_info 0
		.amdhsa_system_vgpr_workitem_id 0
		.amdhsa_next_free_vgpr 1
		.amdhsa_next_free_sgpr 1
		.amdhsa_reserve_vcc 0
		.amdhsa_float_round_mode_32 0
		.amdhsa_float_round_mode_16_64 0
		.amdhsa_float_denorm_mode_32 3
		.amdhsa_float_denorm_mode_16_64 3
		.amdhsa_dx10_clamp 1
		.amdhsa_ieee_mode 1
		.amdhsa_fp16_overflow 0
		.amdhsa_workgroup_processor_mode 1
		.amdhsa_memory_ordered 1
		.amdhsa_forward_progress 0
		.amdhsa_shared_vgpr_count 0
		.amdhsa_exception_fp_ieee_invalid_op 0
		.amdhsa_exception_fp_denorm_src 0
		.amdhsa_exception_fp_ieee_div_zero 0
		.amdhsa_exception_fp_ieee_overflow 0
		.amdhsa_exception_fp_ieee_underflow 0
		.amdhsa_exception_fp_ieee_inexact 0
		.amdhsa_exception_int_div_zero 0
	.end_amdhsa_kernel
	.section	.text._ZN7rocprim17ROCPRIM_400000_NS6detail17trampoline_kernelINS0_14default_configENS1_25partition_config_selectorILNS1_17partition_subalgoE9EyjbEEZZNS1_14partition_implILS5_9ELb0ES3_jN6thrust23THRUST_200600_302600_NS6detail15normal_iteratorINS9_10device_ptrIyEEEENSB_INSC_IjEEEEPNS0_10empty_typeENS0_5tupleIJSE_SH_EEENSJ_IJNS9_16discard_iteratorINS9_11use_defaultEEESI_EEENS0_18inequality_wrapperINS9_8equal_toIyEEEEPmJSH_EEE10hipError_tPvRmT3_T4_T5_T6_T7_T9_mT8_P12ihipStream_tbDpT10_ENKUlT_T0_E_clISt17integral_constantIbLb0EES1D_EEDaS18_S19_EUlS18_E_NS1_11comp_targetILNS1_3genE4ELNS1_11target_archE910ELNS1_3gpuE8ELNS1_3repE0EEENS1_30default_config_static_selectorELNS0_4arch9wavefront6targetE0EEEvT1_,"axG",@progbits,_ZN7rocprim17ROCPRIM_400000_NS6detail17trampoline_kernelINS0_14default_configENS1_25partition_config_selectorILNS1_17partition_subalgoE9EyjbEEZZNS1_14partition_implILS5_9ELb0ES3_jN6thrust23THRUST_200600_302600_NS6detail15normal_iteratorINS9_10device_ptrIyEEEENSB_INSC_IjEEEEPNS0_10empty_typeENS0_5tupleIJSE_SH_EEENSJ_IJNS9_16discard_iteratorINS9_11use_defaultEEESI_EEENS0_18inequality_wrapperINS9_8equal_toIyEEEEPmJSH_EEE10hipError_tPvRmT3_T4_T5_T6_T7_T9_mT8_P12ihipStream_tbDpT10_ENKUlT_T0_E_clISt17integral_constantIbLb0EES1D_EEDaS18_S19_EUlS18_E_NS1_11comp_targetILNS1_3genE4ELNS1_11target_archE910ELNS1_3gpuE8ELNS1_3repE0EEENS1_30default_config_static_selectorELNS0_4arch9wavefront6targetE0EEEvT1_,comdat
.Lfunc_end727:
	.size	_ZN7rocprim17ROCPRIM_400000_NS6detail17trampoline_kernelINS0_14default_configENS1_25partition_config_selectorILNS1_17partition_subalgoE9EyjbEEZZNS1_14partition_implILS5_9ELb0ES3_jN6thrust23THRUST_200600_302600_NS6detail15normal_iteratorINS9_10device_ptrIyEEEENSB_INSC_IjEEEEPNS0_10empty_typeENS0_5tupleIJSE_SH_EEENSJ_IJNS9_16discard_iteratorINS9_11use_defaultEEESI_EEENS0_18inequality_wrapperINS9_8equal_toIyEEEEPmJSH_EEE10hipError_tPvRmT3_T4_T5_T6_T7_T9_mT8_P12ihipStream_tbDpT10_ENKUlT_T0_E_clISt17integral_constantIbLb0EES1D_EEDaS18_S19_EUlS18_E_NS1_11comp_targetILNS1_3genE4ELNS1_11target_archE910ELNS1_3gpuE8ELNS1_3repE0EEENS1_30default_config_static_selectorELNS0_4arch9wavefront6targetE0EEEvT1_, .Lfunc_end727-_ZN7rocprim17ROCPRIM_400000_NS6detail17trampoline_kernelINS0_14default_configENS1_25partition_config_selectorILNS1_17partition_subalgoE9EyjbEEZZNS1_14partition_implILS5_9ELb0ES3_jN6thrust23THRUST_200600_302600_NS6detail15normal_iteratorINS9_10device_ptrIyEEEENSB_INSC_IjEEEEPNS0_10empty_typeENS0_5tupleIJSE_SH_EEENSJ_IJNS9_16discard_iteratorINS9_11use_defaultEEESI_EEENS0_18inequality_wrapperINS9_8equal_toIyEEEEPmJSH_EEE10hipError_tPvRmT3_T4_T5_T6_T7_T9_mT8_P12ihipStream_tbDpT10_ENKUlT_T0_E_clISt17integral_constantIbLb0EES1D_EEDaS18_S19_EUlS18_E_NS1_11comp_targetILNS1_3genE4ELNS1_11target_archE910ELNS1_3gpuE8ELNS1_3repE0EEENS1_30default_config_static_selectorELNS0_4arch9wavefront6targetE0EEEvT1_
                                        ; -- End function
	.section	.AMDGPU.csdata,"",@progbits
; Kernel info:
; codeLenInByte = 0
; NumSgprs: 0
; NumVgprs: 0
; ScratchSize: 0
; MemoryBound: 0
; FloatMode: 240
; IeeeMode: 1
; LDSByteSize: 0 bytes/workgroup (compile time only)
; SGPRBlocks: 0
; VGPRBlocks: 0
; NumSGPRsForWavesPerEU: 1
; NumVGPRsForWavesPerEU: 1
; Occupancy: 15
; WaveLimiterHint : 0
; COMPUTE_PGM_RSRC2:SCRATCH_EN: 0
; COMPUTE_PGM_RSRC2:USER_SGPR: 15
; COMPUTE_PGM_RSRC2:TRAP_HANDLER: 0
; COMPUTE_PGM_RSRC2:TGID_X_EN: 1
; COMPUTE_PGM_RSRC2:TGID_Y_EN: 0
; COMPUTE_PGM_RSRC2:TGID_Z_EN: 0
; COMPUTE_PGM_RSRC2:TIDIG_COMP_CNT: 0
	.section	.text._ZN7rocprim17ROCPRIM_400000_NS6detail17trampoline_kernelINS0_14default_configENS1_25partition_config_selectorILNS1_17partition_subalgoE9EyjbEEZZNS1_14partition_implILS5_9ELb0ES3_jN6thrust23THRUST_200600_302600_NS6detail15normal_iteratorINS9_10device_ptrIyEEEENSB_INSC_IjEEEEPNS0_10empty_typeENS0_5tupleIJSE_SH_EEENSJ_IJNS9_16discard_iteratorINS9_11use_defaultEEESI_EEENS0_18inequality_wrapperINS9_8equal_toIyEEEEPmJSH_EEE10hipError_tPvRmT3_T4_T5_T6_T7_T9_mT8_P12ihipStream_tbDpT10_ENKUlT_T0_E_clISt17integral_constantIbLb0EES1D_EEDaS18_S19_EUlS18_E_NS1_11comp_targetILNS1_3genE3ELNS1_11target_archE908ELNS1_3gpuE7ELNS1_3repE0EEENS1_30default_config_static_selectorELNS0_4arch9wavefront6targetE0EEEvT1_,"axG",@progbits,_ZN7rocprim17ROCPRIM_400000_NS6detail17trampoline_kernelINS0_14default_configENS1_25partition_config_selectorILNS1_17partition_subalgoE9EyjbEEZZNS1_14partition_implILS5_9ELb0ES3_jN6thrust23THRUST_200600_302600_NS6detail15normal_iteratorINS9_10device_ptrIyEEEENSB_INSC_IjEEEEPNS0_10empty_typeENS0_5tupleIJSE_SH_EEENSJ_IJNS9_16discard_iteratorINS9_11use_defaultEEESI_EEENS0_18inequality_wrapperINS9_8equal_toIyEEEEPmJSH_EEE10hipError_tPvRmT3_T4_T5_T6_T7_T9_mT8_P12ihipStream_tbDpT10_ENKUlT_T0_E_clISt17integral_constantIbLb0EES1D_EEDaS18_S19_EUlS18_E_NS1_11comp_targetILNS1_3genE3ELNS1_11target_archE908ELNS1_3gpuE7ELNS1_3repE0EEENS1_30default_config_static_selectorELNS0_4arch9wavefront6targetE0EEEvT1_,comdat
	.protected	_ZN7rocprim17ROCPRIM_400000_NS6detail17trampoline_kernelINS0_14default_configENS1_25partition_config_selectorILNS1_17partition_subalgoE9EyjbEEZZNS1_14partition_implILS5_9ELb0ES3_jN6thrust23THRUST_200600_302600_NS6detail15normal_iteratorINS9_10device_ptrIyEEEENSB_INSC_IjEEEEPNS0_10empty_typeENS0_5tupleIJSE_SH_EEENSJ_IJNS9_16discard_iteratorINS9_11use_defaultEEESI_EEENS0_18inequality_wrapperINS9_8equal_toIyEEEEPmJSH_EEE10hipError_tPvRmT3_T4_T5_T6_T7_T9_mT8_P12ihipStream_tbDpT10_ENKUlT_T0_E_clISt17integral_constantIbLb0EES1D_EEDaS18_S19_EUlS18_E_NS1_11comp_targetILNS1_3genE3ELNS1_11target_archE908ELNS1_3gpuE7ELNS1_3repE0EEENS1_30default_config_static_selectorELNS0_4arch9wavefront6targetE0EEEvT1_ ; -- Begin function _ZN7rocprim17ROCPRIM_400000_NS6detail17trampoline_kernelINS0_14default_configENS1_25partition_config_selectorILNS1_17partition_subalgoE9EyjbEEZZNS1_14partition_implILS5_9ELb0ES3_jN6thrust23THRUST_200600_302600_NS6detail15normal_iteratorINS9_10device_ptrIyEEEENSB_INSC_IjEEEEPNS0_10empty_typeENS0_5tupleIJSE_SH_EEENSJ_IJNS9_16discard_iteratorINS9_11use_defaultEEESI_EEENS0_18inequality_wrapperINS9_8equal_toIyEEEEPmJSH_EEE10hipError_tPvRmT3_T4_T5_T6_T7_T9_mT8_P12ihipStream_tbDpT10_ENKUlT_T0_E_clISt17integral_constantIbLb0EES1D_EEDaS18_S19_EUlS18_E_NS1_11comp_targetILNS1_3genE3ELNS1_11target_archE908ELNS1_3gpuE7ELNS1_3repE0EEENS1_30default_config_static_selectorELNS0_4arch9wavefront6targetE0EEEvT1_
	.globl	_ZN7rocprim17ROCPRIM_400000_NS6detail17trampoline_kernelINS0_14default_configENS1_25partition_config_selectorILNS1_17partition_subalgoE9EyjbEEZZNS1_14partition_implILS5_9ELb0ES3_jN6thrust23THRUST_200600_302600_NS6detail15normal_iteratorINS9_10device_ptrIyEEEENSB_INSC_IjEEEEPNS0_10empty_typeENS0_5tupleIJSE_SH_EEENSJ_IJNS9_16discard_iteratorINS9_11use_defaultEEESI_EEENS0_18inequality_wrapperINS9_8equal_toIyEEEEPmJSH_EEE10hipError_tPvRmT3_T4_T5_T6_T7_T9_mT8_P12ihipStream_tbDpT10_ENKUlT_T0_E_clISt17integral_constantIbLb0EES1D_EEDaS18_S19_EUlS18_E_NS1_11comp_targetILNS1_3genE3ELNS1_11target_archE908ELNS1_3gpuE7ELNS1_3repE0EEENS1_30default_config_static_selectorELNS0_4arch9wavefront6targetE0EEEvT1_
	.p2align	8
	.type	_ZN7rocprim17ROCPRIM_400000_NS6detail17trampoline_kernelINS0_14default_configENS1_25partition_config_selectorILNS1_17partition_subalgoE9EyjbEEZZNS1_14partition_implILS5_9ELb0ES3_jN6thrust23THRUST_200600_302600_NS6detail15normal_iteratorINS9_10device_ptrIyEEEENSB_INSC_IjEEEEPNS0_10empty_typeENS0_5tupleIJSE_SH_EEENSJ_IJNS9_16discard_iteratorINS9_11use_defaultEEESI_EEENS0_18inequality_wrapperINS9_8equal_toIyEEEEPmJSH_EEE10hipError_tPvRmT3_T4_T5_T6_T7_T9_mT8_P12ihipStream_tbDpT10_ENKUlT_T0_E_clISt17integral_constantIbLb0EES1D_EEDaS18_S19_EUlS18_E_NS1_11comp_targetILNS1_3genE3ELNS1_11target_archE908ELNS1_3gpuE7ELNS1_3repE0EEENS1_30default_config_static_selectorELNS0_4arch9wavefront6targetE0EEEvT1_,@function
_ZN7rocprim17ROCPRIM_400000_NS6detail17trampoline_kernelINS0_14default_configENS1_25partition_config_selectorILNS1_17partition_subalgoE9EyjbEEZZNS1_14partition_implILS5_9ELb0ES3_jN6thrust23THRUST_200600_302600_NS6detail15normal_iteratorINS9_10device_ptrIyEEEENSB_INSC_IjEEEEPNS0_10empty_typeENS0_5tupleIJSE_SH_EEENSJ_IJNS9_16discard_iteratorINS9_11use_defaultEEESI_EEENS0_18inequality_wrapperINS9_8equal_toIyEEEEPmJSH_EEE10hipError_tPvRmT3_T4_T5_T6_T7_T9_mT8_P12ihipStream_tbDpT10_ENKUlT_T0_E_clISt17integral_constantIbLb0EES1D_EEDaS18_S19_EUlS18_E_NS1_11comp_targetILNS1_3genE3ELNS1_11target_archE908ELNS1_3gpuE7ELNS1_3repE0EEENS1_30default_config_static_selectorELNS0_4arch9wavefront6targetE0EEEvT1_: ; @_ZN7rocprim17ROCPRIM_400000_NS6detail17trampoline_kernelINS0_14default_configENS1_25partition_config_selectorILNS1_17partition_subalgoE9EyjbEEZZNS1_14partition_implILS5_9ELb0ES3_jN6thrust23THRUST_200600_302600_NS6detail15normal_iteratorINS9_10device_ptrIyEEEENSB_INSC_IjEEEEPNS0_10empty_typeENS0_5tupleIJSE_SH_EEENSJ_IJNS9_16discard_iteratorINS9_11use_defaultEEESI_EEENS0_18inequality_wrapperINS9_8equal_toIyEEEEPmJSH_EEE10hipError_tPvRmT3_T4_T5_T6_T7_T9_mT8_P12ihipStream_tbDpT10_ENKUlT_T0_E_clISt17integral_constantIbLb0EES1D_EEDaS18_S19_EUlS18_E_NS1_11comp_targetILNS1_3genE3ELNS1_11target_archE908ELNS1_3gpuE7ELNS1_3repE0EEENS1_30default_config_static_selectorELNS0_4arch9wavefront6targetE0EEEvT1_
; %bb.0:
	.section	.rodata,"a",@progbits
	.p2align	6, 0x0
	.amdhsa_kernel _ZN7rocprim17ROCPRIM_400000_NS6detail17trampoline_kernelINS0_14default_configENS1_25partition_config_selectorILNS1_17partition_subalgoE9EyjbEEZZNS1_14partition_implILS5_9ELb0ES3_jN6thrust23THRUST_200600_302600_NS6detail15normal_iteratorINS9_10device_ptrIyEEEENSB_INSC_IjEEEEPNS0_10empty_typeENS0_5tupleIJSE_SH_EEENSJ_IJNS9_16discard_iteratorINS9_11use_defaultEEESI_EEENS0_18inequality_wrapperINS9_8equal_toIyEEEEPmJSH_EEE10hipError_tPvRmT3_T4_T5_T6_T7_T9_mT8_P12ihipStream_tbDpT10_ENKUlT_T0_E_clISt17integral_constantIbLb0EES1D_EEDaS18_S19_EUlS18_E_NS1_11comp_targetILNS1_3genE3ELNS1_11target_archE908ELNS1_3gpuE7ELNS1_3repE0EEENS1_30default_config_static_selectorELNS0_4arch9wavefront6targetE0EEEvT1_
		.amdhsa_group_segment_fixed_size 0
		.amdhsa_private_segment_fixed_size 0
		.amdhsa_kernarg_size 120
		.amdhsa_user_sgpr_count 15
		.amdhsa_user_sgpr_dispatch_ptr 0
		.amdhsa_user_sgpr_queue_ptr 0
		.amdhsa_user_sgpr_kernarg_segment_ptr 1
		.amdhsa_user_sgpr_dispatch_id 0
		.amdhsa_user_sgpr_private_segment_size 0
		.amdhsa_wavefront_size32 1
		.amdhsa_uses_dynamic_stack 0
		.amdhsa_enable_private_segment 0
		.amdhsa_system_sgpr_workgroup_id_x 1
		.amdhsa_system_sgpr_workgroup_id_y 0
		.amdhsa_system_sgpr_workgroup_id_z 0
		.amdhsa_system_sgpr_workgroup_info 0
		.amdhsa_system_vgpr_workitem_id 0
		.amdhsa_next_free_vgpr 1
		.amdhsa_next_free_sgpr 1
		.amdhsa_reserve_vcc 0
		.amdhsa_float_round_mode_32 0
		.amdhsa_float_round_mode_16_64 0
		.amdhsa_float_denorm_mode_32 3
		.amdhsa_float_denorm_mode_16_64 3
		.amdhsa_dx10_clamp 1
		.amdhsa_ieee_mode 1
		.amdhsa_fp16_overflow 0
		.amdhsa_workgroup_processor_mode 1
		.amdhsa_memory_ordered 1
		.amdhsa_forward_progress 0
		.amdhsa_shared_vgpr_count 0
		.amdhsa_exception_fp_ieee_invalid_op 0
		.amdhsa_exception_fp_denorm_src 0
		.amdhsa_exception_fp_ieee_div_zero 0
		.amdhsa_exception_fp_ieee_overflow 0
		.amdhsa_exception_fp_ieee_underflow 0
		.amdhsa_exception_fp_ieee_inexact 0
		.amdhsa_exception_int_div_zero 0
	.end_amdhsa_kernel
	.section	.text._ZN7rocprim17ROCPRIM_400000_NS6detail17trampoline_kernelINS0_14default_configENS1_25partition_config_selectorILNS1_17partition_subalgoE9EyjbEEZZNS1_14partition_implILS5_9ELb0ES3_jN6thrust23THRUST_200600_302600_NS6detail15normal_iteratorINS9_10device_ptrIyEEEENSB_INSC_IjEEEEPNS0_10empty_typeENS0_5tupleIJSE_SH_EEENSJ_IJNS9_16discard_iteratorINS9_11use_defaultEEESI_EEENS0_18inequality_wrapperINS9_8equal_toIyEEEEPmJSH_EEE10hipError_tPvRmT3_T4_T5_T6_T7_T9_mT8_P12ihipStream_tbDpT10_ENKUlT_T0_E_clISt17integral_constantIbLb0EES1D_EEDaS18_S19_EUlS18_E_NS1_11comp_targetILNS1_3genE3ELNS1_11target_archE908ELNS1_3gpuE7ELNS1_3repE0EEENS1_30default_config_static_selectorELNS0_4arch9wavefront6targetE0EEEvT1_,"axG",@progbits,_ZN7rocprim17ROCPRIM_400000_NS6detail17trampoline_kernelINS0_14default_configENS1_25partition_config_selectorILNS1_17partition_subalgoE9EyjbEEZZNS1_14partition_implILS5_9ELb0ES3_jN6thrust23THRUST_200600_302600_NS6detail15normal_iteratorINS9_10device_ptrIyEEEENSB_INSC_IjEEEEPNS0_10empty_typeENS0_5tupleIJSE_SH_EEENSJ_IJNS9_16discard_iteratorINS9_11use_defaultEEESI_EEENS0_18inequality_wrapperINS9_8equal_toIyEEEEPmJSH_EEE10hipError_tPvRmT3_T4_T5_T6_T7_T9_mT8_P12ihipStream_tbDpT10_ENKUlT_T0_E_clISt17integral_constantIbLb0EES1D_EEDaS18_S19_EUlS18_E_NS1_11comp_targetILNS1_3genE3ELNS1_11target_archE908ELNS1_3gpuE7ELNS1_3repE0EEENS1_30default_config_static_selectorELNS0_4arch9wavefront6targetE0EEEvT1_,comdat
.Lfunc_end728:
	.size	_ZN7rocprim17ROCPRIM_400000_NS6detail17trampoline_kernelINS0_14default_configENS1_25partition_config_selectorILNS1_17partition_subalgoE9EyjbEEZZNS1_14partition_implILS5_9ELb0ES3_jN6thrust23THRUST_200600_302600_NS6detail15normal_iteratorINS9_10device_ptrIyEEEENSB_INSC_IjEEEEPNS0_10empty_typeENS0_5tupleIJSE_SH_EEENSJ_IJNS9_16discard_iteratorINS9_11use_defaultEEESI_EEENS0_18inequality_wrapperINS9_8equal_toIyEEEEPmJSH_EEE10hipError_tPvRmT3_T4_T5_T6_T7_T9_mT8_P12ihipStream_tbDpT10_ENKUlT_T0_E_clISt17integral_constantIbLb0EES1D_EEDaS18_S19_EUlS18_E_NS1_11comp_targetILNS1_3genE3ELNS1_11target_archE908ELNS1_3gpuE7ELNS1_3repE0EEENS1_30default_config_static_selectorELNS0_4arch9wavefront6targetE0EEEvT1_, .Lfunc_end728-_ZN7rocprim17ROCPRIM_400000_NS6detail17trampoline_kernelINS0_14default_configENS1_25partition_config_selectorILNS1_17partition_subalgoE9EyjbEEZZNS1_14partition_implILS5_9ELb0ES3_jN6thrust23THRUST_200600_302600_NS6detail15normal_iteratorINS9_10device_ptrIyEEEENSB_INSC_IjEEEEPNS0_10empty_typeENS0_5tupleIJSE_SH_EEENSJ_IJNS9_16discard_iteratorINS9_11use_defaultEEESI_EEENS0_18inequality_wrapperINS9_8equal_toIyEEEEPmJSH_EEE10hipError_tPvRmT3_T4_T5_T6_T7_T9_mT8_P12ihipStream_tbDpT10_ENKUlT_T0_E_clISt17integral_constantIbLb0EES1D_EEDaS18_S19_EUlS18_E_NS1_11comp_targetILNS1_3genE3ELNS1_11target_archE908ELNS1_3gpuE7ELNS1_3repE0EEENS1_30default_config_static_selectorELNS0_4arch9wavefront6targetE0EEEvT1_
                                        ; -- End function
	.section	.AMDGPU.csdata,"",@progbits
; Kernel info:
; codeLenInByte = 0
; NumSgprs: 0
; NumVgprs: 0
; ScratchSize: 0
; MemoryBound: 0
; FloatMode: 240
; IeeeMode: 1
; LDSByteSize: 0 bytes/workgroup (compile time only)
; SGPRBlocks: 0
; VGPRBlocks: 0
; NumSGPRsForWavesPerEU: 1
; NumVGPRsForWavesPerEU: 1
; Occupancy: 16
; WaveLimiterHint : 0
; COMPUTE_PGM_RSRC2:SCRATCH_EN: 0
; COMPUTE_PGM_RSRC2:USER_SGPR: 15
; COMPUTE_PGM_RSRC2:TRAP_HANDLER: 0
; COMPUTE_PGM_RSRC2:TGID_X_EN: 1
; COMPUTE_PGM_RSRC2:TGID_Y_EN: 0
; COMPUTE_PGM_RSRC2:TGID_Z_EN: 0
; COMPUTE_PGM_RSRC2:TIDIG_COMP_CNT: 0
	.section	.text._ZN7rocprim17ROCPRIM_400000_NS6detail17trampoline_kernelINS0_14default_configENS1_25partition_config_selectorILNS1_17partition_subalgoE9EyjbEEZZNS1_14partition_implILS5_9ELb0ES3_jN6thrust23THRUST_200600_302600_NS6detail15normal_iteratorINS9_10device_ptrIyEEEENSB_INSC_IjEEEEPNS0_10empty_typeENS0_5tupleIJSE_SH_EEENSJ_IJNS9_16discard_iteratorINS9_11use_defaultEEESI_EEENS0_18inequality_wrapperINS9_8equal_toIyEEEEPmJSH_EEE10hipError_tPvRmT3_T4_T5_T6_T7_T9_mT8_P12ihipStream_tbDpT10_ENKUlT_T0_E_clISt17integral_constantIbLb0EES1D_EEDaS18_S19_EUlS18_E_NS1_11comp_targetILNS1_3genE2ELNS1_11target_archE906ELNS1_3gpuE6ELNS1_3repE0EEENS1_30default_config_static_selectorELNS0_4arch9wavefront6targetE0EEEvT1_,"axG",@progbits,_ZN7rocprim17ROCPRIM_400000_NS6detail17trampoline_kernelINS0_14default_configENS1_25partition_config_selectorILNS1_17partition_subalgoE9EyjbEEZZNS1_14partition_implILS5_9ELb0ES3_jN6thrust23THRUST_200600_302600_NS6detail15normal_iteratorINS9_10device_ptrIyEEEENSB_INSC_IjEEEEPNS0_10empty_typeENS0_5tupleIJSE_SH_EEENSJ_IJNS9_16discard_iteratorINS9_11use_defaultEEESI_EEENS0_18inequality_wrapperINS9_8equal_toIyEEEEPmJSH_EEE10hipError_tPvRmT3_T4_T5_T6_T7_T9_mT8_P12ihipStream_tbDpT10_ENKUlT_T0_E_clISt17integral_constantIbLb0EES1D_EEDaS18_S19_EUlS18_E_NS1_11comp_targetILNS1_3genE2ELNS1_11target_archE906ELNS1_3gpuE6ELNS1_3repE0EEENS1_30default_config_static_selectorELNS0_4arch9wavefront6targetE0EEEvT1_,comdat
	.protected	_ZN7rocprim17ROCPRIM_400000_NS6detail17trampoline_kernelINS0_14default_configENS1_25partition_config_selectorILNS1_17partition_subalgoE9EyjbEEZZNS1_14partition_implILS5_9ELb0ES3_jN6thrust23THRUST_200600_302600_NS6detail15normal_iteratorINS9_10device_ptrIyEEEENSB_INSC_IjEEEEPNS0_10empty_typeENS0_5tupleIJSE_SH_EEENSJ_IJNS9_16discard_iteratorINS9_11use_defaultEEESI_EEENS0_18inequality_wrapperINS9_8equal_toIyEEEEPmJSH_EEE10hipError_tPvRmT3_T4_T5_T6_T7_T9_mT8_P12ihipStream_tbDpT10_ENKUlT_T0_E_clISt17integral_constantIbLb0EES1D_EEDaS18_S19_EUlS18_E_NS1_11comp_targetILNS1_3genE2ELNS1_11target_archE906ELNS1_3gpuE6ELNS1_3repE0EEENS1_30default_config_static_selectorELNS0_4arch9wavefront6targetE0EEEvT1_ ; -- Begin function _ZN7rocprim17ROCPRIM_400000_NS6detail17trampoline_kernelINS0_14default_configENS1_25partition_config_selectorILNS1_17partition_subalgoE9EyjbEEZZNS1_14partition_implILS5_9ELb0ES3_jN6thrust23THRUST_200600_302600_NS6detail15normal_iteratorINS9_10device_ptrIyEEEENSB_INSC_IjEEEEPNS0_10empty_typeENS0_5tupleIJSE_SH_EEENSJ_IJNS9_16discard_iteratorINS9_11use_defaultEEESI_EEENS0_18inequality_wrapperINS9_8equal_toIyEEEEPmJSH_EEE10hipError_tPvRmT3_T4_T5_T6_T7_T9_mT8_P12ihipStream_tbDpT10_ENKUlT_T0_E_clISt17integral_constantIbLb0EES1D_EEDaS18_S19_EUlS18_E_NS1_11comp_targetILNS1_3genE2ELNS1_11target_archE906ELNS1_3gpuE6ELNS1_3repE0EEENS1_30default_config_static_selectorELNS0_4arch9wavefront6targetE0EEEvT1_
	.globl	_ZN7rocprim17ROCPRIM_400000_NS6detail17trampoline_kernelINS0_14default_configENS1_25partition_config_selectorILNS1_17partition_subalgoE9EyjbEEZZNS1_14partition_implILS5_9ELb0ES3_jN6thrust23THRUST_200600_302600_NS6detail15normal_iteratorINS9_10device_ptrIyEEEENSB_INSC_IjEEEEPNS0_10empty_typeENS0_5tupleIJSE_SH_EEENSJ_IJNS9_16discard_iteratorINS9_11use_defaultEEESI_EEENS0_18inequality_wrapperINS9_8equal_toIyEEEEPmJSH_EEE10hipError_tPvRmT3_T4_T5_T6_T7_T9_mT8_P12ihipStream_tbDpT10_ENKUlT_T0_E_clISt17integral_constantIbLb0EES1D_EEDaS18_S19_EUlS18_E_NS1_11comp_targetILNS1_3genE2ELNS1_11target_archE906ELNS1_3gpuE6ELNS1_3repE0EEENS1_30default_config_static_selectorELNS0_4arch9wavefront6targetE0EEEvT1_
	.p2align	8
	.type	_ZN7rocprim17ROCPRIM_400000_NS6detail17trampoline_kernelINS0_14default_configENS1_25partition_config_selectorILNS1_17partition_subalgoE9EyjbEEZZNS1_14partition_implILS5_9ELb0ES3_jN6thrust23THRUST_200600_302600_NS6detail15normal_iteratorINS9_10device_ptrIyEEEENSB_INSC_IjEEEEPNS0_10empty_typeENS0_5tupleIJSE_SH_EEENSJ_IJNS9_16discard_iteratorINS9_11use_defaultEEESI_EEENS0_18inequality_wrapperINS9_8equal_toIyEEEEPmJSH_EEE10hipError_tPvRmT3_T4_T5_T6_T7_T9_mT8_P12ihipStream_tbDpT10_ENKUlT_T0_E_clISt17integral_constantIbLb0EES1D_EEDaS18_S19_EUlS18_E_NS1_11comp_targetILNS1_3genE2ELNS1_11target_archE906ELNS1_3gpuE6ELNS1_3repE0EEENS1_30default_config_static_selectorELNS0_4arch9wavefront6targetE0EEEvT1_,@function
_ZN7rocprim17ROCPRIM_400000_NS6detail17trampoline_kernelINS0_14default_configENS1_25partition_config_selectorILNS1_17partition_subalgoE9EyjbEEZZNS1_14partition_implILS5_9ELb0ES3_jN6thrust23THRUST_200600_302600_NS6detail15normal_iteratorINS9_10device_ptrIyEEEENSB_INSC_IjEEEEPNS0_10empty_typeENS0_5tupleIJSE_SH_EEENSJ_IJNS9_16discard_iteratorINS9_11use_defaultEEESI_EEENS0_18inequality_wrapperINS9_8equal_toIyEEEEPmJSH_EEE10hipError_tPvRmT3_T4_T5_T6_T7_T9_mT8_P12ihipStream_tbDpT10_ENKUlT_T0_E_clISt17integral_constantIbLb0EES1D_EEDaS18_S19_EUlS18_E_NS1_11comp_targetILNS1_3genE2ELNS1_11target_archE906ELNS1_3gpuE6ELNS1_3repE0EEENS1_30default_config_static_selectorELNS0_4arch9wavefront6targetE0EEEvT1_: ; @_ZN7rocprim17ROCPRIM_400000_NS6detail17trampoline_kernelINS0_14default_configENS1_25partition_config_selectorILNS1_17partition_subalgoE9EyjbEEZZNS1_14partition_implILS5_9ELb0ES3_jN6thrust23THRUST_200600_302600_NS6detail15normal_iteratorINS9_10device_ptrIyEEEENSB_INSC_IjEEEEPNS0_10empty_typeENS0_5tupleIJSE_SH_EEENSJ_IJNS9_16discard_iteratorINS9_11use_defaultEEESI_EEENS0_18inequality_wrapperINS9_8equal_toIyEEEEPmJSH_EEE10hipError_tPvRmT3_T4_T5_T6_T7_T9_mT8_P12ihipStream_tbDpT10_ENKUlT_T0_E_clISt17integral_constantIbLb0EES1D_EEDaS18_S19_EUlS18_E_NS1_11comp_targetILNS1_3genE2ELNS1_11target_archE906ELNS1_3gpuE6ELNS1_3repE0EEENS1_30default_config_static_selectorELNS0_4arch9wavefront6targetE0EEEvT1_
; %bb.0:
	.section	.rodata,"a",@progbits
	.p2align	6, 0x0
	.amdhsa_kernel _ZN7rocprim17ROCPRIM_400000_NS6detail17trampoline_kernelINS0_14default_configENS1_25partition_config_selectorILNS1_17partition_subalgoE9EyjbEEZZNS1_14partition_implILS5_9ELb0ES3_jN6thrust23THRUST_200600_302600_NS6detail15normal_iteratorINS9_10device_ptrIyEEEENSB_INSC_IjEEEEPNS0_10empty_typeENS0_5tupleIJSE_SH_EEENSJ_IJNS9_16discard_iteratorINS9_11use_defaultEEESI_EEENS0_18inequality_wrapperINS9_8equal_toIyEEEEPmJSH_EEE10hipError_tPvRmT3_T4_T5_T6_T7_T9_mT8_P12ihipStream_tbDpT10_ENKUlT_T0_E_clISt17integral_constantIbLb0EES1D_EEDaS18_S19_EUlS18_E_NS1_11comp_targetILNS1_3genE2ELNS1_11target_archE906ELNS1_3gpuE6ELNS1_3repE0EEENS1_30default_config_static_selectorELNS0_4arch9wavefront6targetE0EEEvT1_
		.amdhsa_group_segment_fixed_size 0
		.amdhsa_private_segment_fixed_size 0
		.amdhsa_kernarg_size 120
		.amdhsa_user_sgpr_count 15
		.amdhsa_user_sgpr_dispatch_ptr 0
		.amdhsa_user_sgpr_queue_ptr 0
		.amdhsa_user_sgpr_kernarg_segment_ptr 1
		.amdhsa_user_sgpr_dispatch_id 0
		.amdhsa_user_sgpr_private_segment_size 0
		.amdhsa_wavefront_size32 1
		.amdhsa_uses_dynamic_stack 0
		.amdhsa_enable_private_segment 0
		.amdhsa_system_sgpr_workgroup_id_x 1
		.amdhsa_system_sgpr_workgroup_id_y 0
		.amdhsa_system_sgpr_workgroup_id_z 0
		.amdhsa_system_sgpr_workgroup_info 0
		.amdhsa_system_vgpr_workitem_id 0
		.amdhsa_next_free_vgpr 1
		.amdhsa_next_free_sgpr 1
		.amdhsa_reserve_vcc 0
		.amdhsa_float_round_mode_32 0
		.amdhsa_float_round_mode_16_64 0
		.amdhsa_float_denorm_mode_32 3
		.amdhsa_float_denorm_mode_16_64 3
		.amdhsa_dx10_clamp 1
		.amdhsa_ieee_mode 1
		.amdhsa_fp16_overflow 0
		.amdhsa_workgroup_processor_mode 1
		.amdhsa_memory_ordered 1
		.amdhsa_forward_progress 0
		.amdhsa_shared_vgpr_count 0
		.amdhsa_exception_fp_ieee_invalid_op 0
		.amdhsa_exception_fp_denorm_src 0
		.amdhsa_exception_fp_ieee_div_zero 0
		.amdhsa_exception_fp_ieee_overflow 0
		.amdhsa_exception_fp_ieee_underflow 0
		.amdhsa_exception_fp_ieee_inexact 0
		.amdhsa_exception_int_div_zero 0
	.end_amdhsa_kernel
	.section	.text._ZN7rocprim17ROCPRIM_400000_NS6detail17trampoline_kernelINS0_14default_configENS1_25partition_config_selectorILNS1_17partition_subalgoE9EyjbEEZZNS1_14partition_implILS5_9ELb0ES3_jN6thrust23THRUST_200600_302600_NS6detail15normal_iteratorINS9_10device_ptrIyEEEENSB_INSC_IjEEEEPNS0_10empty_typeENS0_5tupleIJSE_SH_EEENSJ_IJNS9_16discard_iteratorINS9_11use_defaultEEESI_EEENS0_18inequality_wrapperINS9_8equal_toIyEEEEPmJSH_EEE10hipError_tPvRmT3_T4_T5_T6_T7_T9_mT8_P12ihipStream_tbDpT10_ENKUlT_T0_E_clISt17integral_constantIbLb0EES1D_EEDaS18_S19_EUlS18_E_NS1_11comp_targetILNS1_3genE2ELNS1_11target_archE906ELNS1_3gpuE6ELNS1_3repE0EEENS1_30default_config_static_selectorELNS0_4arch9wavefront6targetE0EEEvT1_,"axG",@progbits,_ZN7rocprim17ROCPRIM_400000_NS6detail17trampoline_kernelINS0_14default_configENS1_25partition_config_selectorILNS1_17partition_subalgoE9EyjbEEZZNS1_14partition_implILS5_9ELb0ES3_jN6thrust23THRUST_200600_302600_NS6detail15normal_iteratorINS9_10device_ptrIyEEEENSB_INSC_IjEEEEPNS0_10empty_typeENS0_5tupleIJSE_SH_EEENSJ_IJNS9_16discard_iteratorINS9_11use_defaultEEESI_EEENS0_18inequality_wrapperINS9_8equal_toIyEEEEPmJSH_EEE10hipError_tPvRmT3_T4_T5_T6_T7_T9_mT8_P12ihipStream_tbDpT10_ENKUlT_T0_E_clISt17integral_constantIbLb0EES1D_EEDaS18_S19_EUlS18_E_NS1_11comp_targetILNS1_3genE2ELNS1_11target_archE906ELNS1_3gpuE6ELNS1_3repE0EEENS1_30default_config_static_selectorELNS0_4arch9wavefront6targetE0EEEvT1_,comdat
.Lfunc_end729:
	.size	_ZN7rocprim17ROCPRIM_400000_NS6detail17trampoline_kernelINS0_14default_configENS1_25partition_config_selectorILNS1_17partition_subalgoE9EyjbEEZZNS1_14partition_implILS5_9ELb0ES3_jN6thrust23THRUST_200600_302600_NS6detail15normal_iteratorINS9_10device_ptrIyEEEENSB_INSC_IjEEEEPNS0_10empty_typeENS0_5tupleIJSE_SH_EEENSJ_IJNS9_16discard_iteratorINS9_11use_defaultEEESI_EEENS0_18inequality_wrapperINS9_8equal_toIyEEEEPmJSH_EEE10hipError_tPvRmT3_T4_T5_T6_T7_T9_mT8_P12ihipStream_tbDpT10_ENKUlT_T0_E_clISt17integral_constantIbLb0EES1D_EEDaS18_S19_EUlS18_E_NS1_11comp_targetILNS1_3genE2ELNS1_11target_archE906ELNS1_3gpuE6ELNS1_3repE0EEENS1_30default_config_static_selectorELNS0_4arch9wavefront6targetE0EEEvT1_, .Lfunc_end729-_ZN7rocprim17ROCPRIM_400000_NS6detail17trampoline_kernelINS0_14default_configENS1_25partition_config_selectorILNS1_17partition_subalgoE9EyjbEEZZNS1_14partition_implILS5_9ELb0ES3_jN6thrust23THRUST_200600_302600_NS6detail15normal_iteratorINS9_10device_ptrIyEEEENSB_INSC_IjEEEEPNS0_10empty_typeENS0_5tupleIJSE_SH_EEENSJ_IJNS9_16discard_iteratorINS9_11use_defaultEEESI_EEENS0_18inequality_wrapperINS9_8equal_toIyEEEEPmJSH_EEE10hipError_tPvRmT3_T4_T5_T6_T7_T9_mT8_P12ihipStream_tbDpT10_ENKUlT_T0_E_clISt17integral_constantIbLb0EES1D_EEDaS18_S19_EUlS18_E_NS1_11comp_targetILNS1_3genE2ELNS1_11target_archE906ELNS1_3gpuE6ELNS1_3repE0EEENS1_30default_config_static_selectorELNS0_4arch9wavefront6targetE0EEEvT1_
                                        ; -- End function
	.section	.AMDGPU.csdata,"",@progbits
; Kernel info:
; codeLenInByte = 0
; NumSgprs: 0
; NumVgprs: 0
; ScratchSize: 0
; MemoryBound: 0
; FloatMode: 240
; IeeeMode: 1
; LDSByteSize: 0 bytes/workgroup (compile time only)
; SGPRBlocks: 0
; VGPRBlocks: 0
; NumSGPRsForWavesPerEU: 1
; NumVGPRsForWavesPerEU: 1
; Occupancy: 16
; WaveLimiterHint : 0
; COMPUTE_PGM_RSRC2:SCRATCH_EN: 0
; COMPUTE_PGM_RSRC2:USER_SGPR: 15
; COMPUTE_PGM_RSRC2:TRAP_HANDLER: 0
; COMPUTE_PGM_RSRC2:TGID_X_EN: 1
; COMPUTE_PGM_RSRC2:TGID_Y_EN: 0
; COMPUTE_PGM_RSRC2:TGID_Z_EN: 0
; COMPUTE_PGM_RSRC2:TIDIG_COMP_CNT: 0
	.section	.text._ZN7rocprim17ROCPRIM_400000_NS6detail17trampoline_kernelINS0_14default_configENS1_25partition_config_selectorILNS1_17partition_subalgoE9EyjbEEZZNS1_14partition_implILS5_9ELb0ES3_jN6thrust23THRUST_200600_302600_NS6detail15normal_iteratorINS9_10device_ptrIyEEEENSB_INSC_IjEEEEPNS0_10empty_typeENS0_5tupleIJSE_SH_EEENSJ_IJNS9_16discard_iteratorINS9_11use_defaultEEESI_EEENS0_18inequality_wrapperINS9_8equal_toIyEEEEPmJSH_EEE10hipError_tPvRmT3_T4_T5_T6_T7_T9_mT8_P12ihipStream_tbDpT10_ENKUlT_T0_E_clISt17integral_constantIbLb0EES1D_EEDaS18_S19_EUlS18_E_NS1_11comp_targetILNS1_3genE10ELNS1_11target_archE1200ELNS1_3gpuE4ELNS1_3repE0EEENS1_30default_config_static_selectorELNS0_4arch9wavefront6targetE0EEEvT1_,"axG",@progbits,_ZN7rocprim17ROCPRIM_400000_NS6detail17trampoline_kernelINS0_14default_configENS1_25partition_config_selectorILNS1_17partition_subalgoE9EyjbEEZZNS1_14partition_implILS5_9ELb0ES3_jN6thrust23THRUST_200600_302600_NS6detail15normal_iteratorINS9_10device_ptrIyEEEENSB_INSC_IjEEEEPNS0_10empty_typeENS0_5tupleIJSE_SH_EEENSJ_IJNS9_16discard_iteratorINS9_11use_defaultEEESI_EEENS0_18inequality_wrapperINS9_8equal_toIyEEEEPmJSH_EEE10hipError_tPvRmT3_T4_T5_T6_T7_T9_mT8_P12ihipStream_tbDpT10_ENKUlT_T0_E_clISt17integral_constantIbLb0EES1D_EEDaS18_S19_EUlS18_E_NS1_11comp_targetILNS1_3genE10ELNS1_11target_archE1200ELNS1_3gpuE4ELNS1_3repE0EEENS1_30default_config_static_selectorELNS0_4arch9wavefront6targetE0EEEvT1_,comdat
	.protected	_ZN7rocprim17ROCPRIM_400000_NS6detail17trampoline_kernelINS0_14default_configENS1_25partition_config_selectorILNS1_17partition_subalgoE9EyjbEEZZNS1_14partition_implILS5_9ELb0ES3_jN6thrust23THRUST_200600_302600_NS6detail15normal_iteratorINS9_10device_ptrIyEEEENSB_INSC_IjEEEEPNS0_10empty_typeENS0_5tupleIJSE_SH_EEENSJ_IJNS9_16discard_iteratorINS9_11use_defaultEEESI_EEENS0_18inequality_wrapperINS9_8equal_toIyEEEEPmJSH_EEE10hipError_tPvRmT3_T4_T5_T6_T7_T9_mT8_P12ihipStream_tbDpT10_ENKUlT_T0_E_clISt17integral_constantIbLb0EES1D_EEDaS18_S19_EUlS18_E_NS1_11comp_targetILNS1_3genE10ELNS1_11target_archE1200ELNS1_3gpuE4ELNS1_3repE0EEENS1_30default_config_static_selectorELNS0_4arch9wavefront6targetE0EEEvT1_ ; -- Begin function _ZN7rocprim17ROCPRIM_400000_NS6detail17trampoline_kernelINS0_14default_configENS1_25partition_config_selectorILNS1_17partition_subalgoE9EyjbEEZZNS1_14partition_implILS5_9ELb0ES3_jN6thrust23THRUST_200600_302600_NS6detail15normal_iteratorINS9_10device_ptrIyEEEENSB_INSC_IjEEEEPNS0_10empty_typeENS0_5tupleIJSE_SH_EEENSJ_IJNS9_16discard_iteratorINS9_11use_defaultEEESI_EEENS0_18inequality_wrapperINS9_8equal_toIyEEEEPmJSH_EEE10hipError_tPvRmT3_T4_T5_T6_T7_T9_mT8_P12ihipStream_tbDpT10_ENKUlT_T0_E_clISt17integral_constantIbLb0EES1D_EEDaS18_S19_EUlS18_E_NS1_11comp_targetILNS1_3genE10ELNS1_11target_archE1200ELNS1_3gpuE4ELNS1_3repE0EEENS1_30default_config_static_selectorELNS0_4arch9wavefront6targetE0EEEvT1_
	.globl	_ZN7rocprim17ROCPRIM_400000_NS6detail17trampoline_kernelINS0_14default_configENS1_25partition_config_selectorILNS1_17partition_subalgoE9EyjbEEZZNS1_14partition_implILS5_9ELb0ES3_jN6thrust23THRUST_200600_302600_NS6detail15normal_iteratorINS9_10device_ptrIyEEEENSB_INSC_IjEEEEPNS0_10empty_typeENS0_5tupleIJSE_SH_EEENSJ_IJNS9_16discard_iteratorINS9_11use_defaultEEESI_EEENS0_18inequality_wrapperINS9_8equal_toIyEEEEPmJSH_EEE10hipError_tPvRmT3_T4_T5_T6_T7_T9_mT8_P12ihipStream_tbDpT10_ENKUlT_T0_E_clISt17integral_constantIbLb0EES1D_EEDaS18_S19_EUlS18_E_NS1_11comp_targetILNS1_3genE10ELNS1_11target_archE1200ELNS1_3gpuE4ELNS1_3repE0EEENS1_30default_config_static_selectorELNS0_4arch9wavefront6targetE0EEEvT1_
	.p2align	8
	.type	_ZN7rocprim17ROCPRIM_400000_NS6detail17trampoline_kernelINS0_14default_configENS1_25partition_config_selectorILNS1_17partition_subalgoE9EyjbEEZZNS1_14partition_implILS5_9ELb0ES3_jN6thrust23THRUST_200600_302600_NS6detail15normal_iteratorINS9_10device_ptrIyEEEENSB_INSC_IjEEEEPNS0_10empty_typeENS0_5tupleIJSE_SH_EEENSJ_IJNS9_16discard_iteratorINS9_11use_defaultEEESI_EEENS0_18inequality_wrapperINS9_8equal_toIyEEEEPmJSH_EEE10hipError_tPvRmT3_T4_T5_T6_T7_T9_mT8_P12ihipStream_tbDpT10_ENKUlT_T0_E_clISt17integral_constantIbLb0EES1D_EEDaS18_S19_EUlS18_E_NS1_11comp_targetILNS1_3genE10ELNS1_11target_archE1200ELNS1_3gpuE4ELNS1_3repE0EEENS1_30default_config_static_selectorELNS0_4arch9wavefront6targetE0EEEvT1_,@function
_ZN7rocprim17ROCPRIM_400000_NS6detail17trampoline_kernelINS0_14default_configENS1_25partition_config_selectorILNS1_17partition_subalgoE9EyjbEEZZNS1_14partition_implILS5_9ELb0ES3_jN6thrust23THRUST_200600_302600_NS6detail15normal_iteratorINS9_10device_ptrIyEEEENSB_INSC_IjEEEEPNS0_10empty_typeENS0_5tupleIJSE_SH_EEENSJ_IJNS9_16discard_iteratorINS9_11use_defaultEEESI_EEENS0_18inequality_wrapperINS9_8equal_toIyEEEEPmJSH_EEE10hipError_tPvRmT3_T4_T5_T6_T7_T9_mT8_P12ihipStream_tbDpT10_ENKUlT_T0_E_clISt17integral_constantIbLb0EES1D_EEDaS18_S19_EUlS18_E_NS1_11comp_targetILNS1_3genE10ELNS1_11target_archE1200ELNS1_3gpuE4ELNS1_3repE0EEENS1_30default_config_static_selectorELNS0_4arch9wavefront6targetE0EEEvT1_: ; @_ZN7rocprim17ROCPRIM_400000_NS6detail17trampoline_kernelINS0_14default_configENS1_25partition_config_selectorILNS1_17partition_subalgoE9EyjbEEZZNS1_14partition_implILS5_9ELb0ES3_jN6thrust23THRUST_200600_302600_NS6detail15normal_iteratorINS9_10device_ptrIyEEEENSB_INSC_IjEEEEPNS0_10empty_typeENS0_5tupleIJSE_SH_EEENSJ_IJNS9_16discard_iteratorINS9_11use_defaultEEESI_EEENS0_18inequality_wrapperINS9_8equal_toIyEEEEPmJSH_EEE10hipError_tPvRmT3_T4_T5_T6_T7_T9_mT8_P12ihipStream_tbDpT10_ENKUlT_T0_E_clISt17integral_constantIbLb0EES1D_EEDaS18_S19_EUlS18_E_NS1_11comp_targetILNS1_3genE10ELNS1_11target_archE1200ELNS1_3gpuE4ELNS1_3repE0EEENS1_30default_config_static_selectorELNS0_4arch9wavefront6targetE0EEEvT1_
; %bb.0:
	.section	.rodata,"a",@progbits
	.p2align	6, 0x0
	.amdhsa_kernel _ZN7rocprim17ROCPRIM_400000_NS6detail17trampoline_kernelINS0_14default_configENS1_25partition_config_selectorILNS1_17partition_subalgoE9EyjbEEZZNS1_14partition_implILS5_9ELb0ES3_jN6thrust23THRUST_200600_302600_NS6detail15normal_iteratorINS9_10device_ptrIyEEEENSB_INSC_IjEEEEPNS0_10empty_typeENS0_5tupleIJSE_SH_EEENSJ_IJNS9_16discard_iteratorINS9_11use_defaultEEESI_EEENS0_18inequality_wrapperINS9_8equal_toIyEEEEPmJSH_EEE10hipError_tPvRmT3_T4_T5_T6_T7_T9_mT8_P12ihipStream_tbDpT10_ENKUlT_T0_E_clISt17integral_constantIbLb0EES1D_EEDaS18_S19_EUlS18_E_NS1_11comp_targetILNS1_3genE10ELNS1_11target_archE1200ELNS1_3gpuE4ELNS1_3repE0EEENS1_30default_config_static_selectorELNS0_4arch9wavefront6targetE0EEEvT1_
		.amdhsa_group_segment_fixed_size 0
		.amdhsa_private_segment_fixed_size 0
		.amdhsa_kernarg_size 120
		.amdhsa_user_sgpr_count 15
		.amdhsa_user_sgpr_dispatch_ptr 0
		.amdhsa_user_sgpr_queue_ptr 0
		.amdhsa_user_sgpr_kernarg_segment_ptr 1
		.amdhsa_user_sgpr_dispatch_id 0
		.amdhsa_user_sgpr_private_segment_size 0
		.amdhsa_wavefront_size32 1
		.amdhsa_uses_dynamic_stack 0
		.amdhsa_enable_private_segment 0
		.amdhsa_system_sgpr_workgroup_id_x 1
		.amdhsa_system_sgpr_workgroup_id_y 0
		.amdhsa_system_sgpr_workgroup_id_z 0
		.amdhsa_system_sgpr_workgroup_info 0
		.amdhsa_system_vgpr_workitem_id 0
		.amdhsa_next_free_vgpr 1
		.amdhsa_next_free_sgpr 1
		.amdhsa_reserve_vcc 0
		.amdhsa_float_round_mode_32 0
		.amdhsa_float_round_mode_16_64 0
		.amdhsa_float_denorm_mode_32 3
		.amdhsa_float_denorm_mode_16_64 3
		.amdhsa_dx10_clamp 1
		.amdhsa_ieee_mode 1
		.amdhsa_fp16_overflow 0
		.amdhsa_workgroup_processor_mode 1
		.amdhsa_memory_ordered 1
		.amdhsa_forward_progress 0
		.amdhsa_shared_vgpr_count 0
		.amdhsa_exception_fp_ieee_invalid_op 0
		.amdhsa_exception_fp_denorm_src 0
		.amdhsa_exception_fp_ieee_div_zero 0
		.amdhsa_exception_fp_ieee_overflow 0
		.amdhsa_exception_fp_ieee_underflow 0
		.amdhsa_exception_fp_ieee_inexact 0
		.amdhsa_exception_int_div_zero 0
	.end_amdhsa_kernel
	.section	.text._ZN7rocprim17ROCPRIM_400000_NS6detail17trampoline_kernelINS0_14default_configENS1_25partition_config_selectorILNS1_17partition_subalgoE9EyjbEEZZNS1_14partition_implILS5_9ELb0ES3_jN6thrust23THRUST_200600_302600_NS6detail15normal_iteratorINS9_10device_ptrIyEEEENSB_INSC_IjEEEEPNS0_10empty_typeENS0_5tupleIJSE_SH_EEENSJ_IJNS9_16discard_iteratorINS9_11use_defaultEEESI_EEENS0_18inequality_wrapperINS9_8equal_toIyEEEEPmJSH_EEE10hipError_tPvRmT3_T4_T5_T6_T7_T9_mT8_P12ihipStream_tbDpT10_ENKUlT_T0_E_clISt17integral_constantIbLb0EES1D_EEDaS18_S19_EUlS18_E_NS1_11comp_targetILNS1_3genE10ELNS1_11target_archE1200ELNS1_3gpuE4ELNS1_3repE0EEENS1_30default_config_static_selectorELNS0_4arch9wavefront6targetE0EEEvT1_,"axG",@progbits,_ZN7rocprim17ROCPRIM_400000_NS6detail17trampoline_kernelINS0_14default_configENS1_25partition_config_selectorILNS1_17partition_subalgoE9EyjbEEZZNS1_14partition_implILS5_9ELb0ES3_jN6thrust23THRUST_200600_302600_NS6detail15normal_iteratorINS9_10device_ptrIyEEEENSB_INSC_IjEEEEPNS0_10empty_typeENS0_5tupleIJSE_SH_EEENSJ_IJNS9_16discard_iteratorINS9_11use_defaultEEESI_EEENS0_18inequality_wrapperINS9_8equal_toIyEEEEPmJSH_EEE10hipError_tPvRmT3_T4_T5_T6_T7_T9_mT8_P12ihipStream_tbDpT10_ENKUlT_T0_E_clISt17integral_constantIbLb0EES1D_EEDaS18_S19_EUlS18_E_NS1_11comp_targetILNS1_3genE10ELNS1_11target_archE1200ELNS1_3gpuE4ELNS1_3repE0EEENS1_30default_config_static_selectorELNS0_4arch9wavefront6targetE0EEEvT1_,comdat
.Lfunc_end730:
	.size	_ZN7rocprim17ROCPRIM_400000_NS6detail17trampoline_kernelINS0_14default_configENS1_25partition_config_selectorILNS1_17partition_subalgoE9EyjbEEZZNS1_14partition_implILS5_9ELb0ES3_jN6thrust23THRUST_200600_302600_NS6detail15normal_iteratorINS9_10device_ptrIyEEEENSB_INSC_IjEEEEPNS0_10empty_typeENS0_5tupleIJSE_SH_EEENSJ_IJNS9_16discard_iteratorINS9_11use_defaultEEESI_EEENS0_18inequality_wrapperINS9_8equal_toIyEEEEPmJSH_EEE10hipError_tPvRmT3_T4_T5_T6_T7_T9_mT8_P12ihipStream_tbDpT10_ENKUlT_T0_E_clISt17integral_constantIbLb0EES1D_EEDaS18_S19_EUlS18_E_NS1_11comp_targetILNS1_3genE10ELNS1_11target_archE1200ELNS1_3gpuE4ELNS1_3repE0EEENS1_30default_config_static_selectorELNS0_4arch9wavefront6targetE0EEEvT1_, .Lfunc_end730-_ZN7rocprim17ROCPRIM_400000_NS6detail17trampoline_kernelINS0_14default_configENS1_25partition_config_selectorILNS1_17partition_subalgoE9EyjbEEZZNS1_14partition_implILS5_9ELb0ES3_jN6thrust23THRUST_200600_302600_NS6detail15normal_iteratorINS9_10device_ptrIyEEEENSB_INSC_IjEEEEPNS0_10empty_typeENS0_5tupleIJSE_SH_EEENSJ_IJNS9_16discard_iteratorINS9_11use_defaultEEESI_EEENS0_18inequality_wrapperINS9_8equal_toIyEEEEPmJSH_EEE10hipError_tPvRmT3_T4_T5_T6_T7_T9_mT8_P12ihipStream_tbDpT10_ENKUlT_T0_E_clISt17integral_constantIbLb0EES1D_EEDaS18_S19_EUlS18_E_NS1_11comp_targetILNS1_3genE10ELNS1_11target_archE1200ELNS1_3gpuE4ELNS1_3repE0EEENS1_30default_config_static_selectorELNS0_4arch9wavefront6targetE0EEEvT1_
                                        ; -- End function
	.section	.AMDGPU.csdata,"",@progbits
; Kernel info:
; codeLenInByte = 0
; NumSgprs: 0
; NumVgprs: 0
; ScratchSize: 0
; MemoryBound: 0
; FloatMode: 240
; IeeeMode: 1
; LDSByteSize: 0 bytes/workgroup (compile time only)
; SGPRBlocks: 0
; VGPRBlocks: 0
; NumSGPRsForWavesPerEU: 1
; NumVGPRsForWavesPerEU: 1
; Occupancy: 15
; WaveLimiterHint : 0
; COMPUTE_PGM_RSRC2:SCRATCH_EN: 0
; COMPUTE_PGM_RSRC2:USER_SGPR: 15
; COMPUTE_PGM_RSRC2:TRAP_HANDLER: 0
; COMPUTE_PGM_RSRC2:TGID_X_EN: 1
; COMPUTE_PGM_RSRC2:TGID_Y_EN: 0
; COMPUTE_PGM_RSRC2:TGID_Z_EN: 0
; COMPUTE_PGM_RSRC2:TIDIG_COMP_CNT: 0
	.section	.text._ZN7rocprim17ROCPRIM_400000_NS6detail17trampoline_kernelINS0_14default_configENS1_25partition_config_selectorILNS1_17partition_subalgoE9EyjbEEZZNS1_14partition_implILS5_9ELb0ES3_jN6thrust23THRUST_200600_302600_NS6detail15normal_iteratorINS9_10device_ptrIyEEEENSB_INSC_IjEEEEPNS0_10empty_typeENS0_5tupleIJSE_SH_EEENSJ_IJNS9_16discard_iteratorINS9_11use_defaultEEESI_EEENS0_18inequality_wrapperINS9_8equal_toIyEEEEPmJSH_EEE10hipError_tPvRmT3_T4_T5_T6_T7_T9_mT8_P12ihipStream_tbDpT10_ENKUlT_T0_E_clISt17integral_constantIbLb0EES1D_EEDaS18_S19_EUlS18_E_NS1_11comp_targetILNS1_3genE9ELNS1_11target_archE1100ELNS1_3gpuE3ELNS1_3repE0EEENS1_30default_config_static_selectorELNS0_4arch9wavefront6targetE0EEEvT1_,"axG",@progbits,_ZN7rocprim17ROCPRIM_400000_NS6detail17trampoline_kernelINS0_14default_configENS1_25partition_config_selectorILNS1_17partition_subalgoE9EyjbEEZZNS1_14partition_implILS5_9ELb0ES3_jN6thrust23THRUST_200600_302600_NS6detail15normal_iteratorINS9_10device_ptrIyEEEENSB_INSC_IjEEEEPNS0_10empty_typeENS0_5tupleIJSE_SH_EEENSJ_IJNS9_16discard_iteratorINS9_11use_defaultEEESI_EEENS0_18inequality_wrapperINS9_8equal_toIyEEEEPmJSH_EEE10hipError_tPvRmT3_T4_T5_T6_T7_T9_mT8_P12ihipStream_tbDpT10_ENKUlT_T0_E_clISt17integral_constantIbLb0EES1D_EEDaS18_S19_EUlS18_E_NS1_11comp_targetILNS1_3genE9ELNS1_11target_archE1100ELNS1_3gpuE3ELNS1_3repE0EEENS1_30default_config_static_selectorELNS0_4arch9wavefront6targetE0EEEvT1_,comdat
	.protected	_ZN7rocprim17ROCPRIM_400000_NS6detail17trampoline_kernelINS0_14default_configENS1_25partition_config_selectorILNS1_17partition_subalgoE9EyjbEEZZNS1_14partition_implILS5_9ELb0ES3_jN6thrust23THRUST_200600_302600_NS6detail15normal_iteratorINS9_10device_ptrIyEEEENSB_INSC_IjEEEEPNS0_10empty_typeENS0_5tupleIJSE_SH_EEENSJ_IJNS9_16discard_iteratorINS9_11use_defaultEEESI_EEENS0_18inequality_wrapperINS9_8equal_toIyEEEEPmJSH_EEE10hipError_tPvRmT3_T4_T5_T6_T7_T9_mT8_P12ihipStream_tbDpT10_ENKUlT_T0_E_clISt17integral_constantIbLb0EES1D_EEDaS18_S19_EUlS18_E_NS1_11comp_targetILNS1_3genE9ELNS1_11target_archE1100ELNS1_3gpuE3ELNS1_3repE0EEENS1_30default_config_static_selectorELNS0_4arch9wavefront6targetE0EEEvT1_ ; -- Begin function _ZN7rocprim17ROCPRIM_400000_NS6detail17trampoline_kernelINS0_14default_configENS1_25partition_config_selectorILNS1_17partition_subalgoE9EyjbEEZZNS1_14partition_implILS5_9ELb0ES3_jN6thrust23THRUST_200600_302600_NS6detail15normal_iteratorINS9_10device_ptrIyEEEENSB_INSC_IjEEEEPNS0_10empty_typeENS0_5tupleIJSE_SH_EEENSJ_IJNS9_16discard_iteratorINS9_11use_defaultEEESI_EEENS0_18inequality_wrapperINS9_8equal_toIyEEEEPmJSH_EEE10hipError_tPvRmT3_T4_T5_T6_T7_T9_mT8_P12ihipStream_tbDpT10_ENKUlT_T0_E_clISt17integral_constantIbLb0EES1D_EEDaS18_S19_EUlS18_E_NS1_11comp_targetILNS1_3genE9ELNS1_11target_archE1100ELNS1_3gpuE3ELNS1_3repE0EEENS1_30default_config_static_selectorELNS0_4arch9wavefront6targetE0EEEvT1_
	.globl	_ZN7rocprim17ROCPRIM_400000_NS6detail17trampoline_kernelINS0_14default_configENS1_25partition_config_selectorILNS1_17partition_subalgoE9EyjbEEZZNS1_14partition_implILS5_9ELb0ES3_jN6thrust23THRUST_200600_302600_NS6detail15normal_iteratorINS9_10device_ptrIyEEEENSB_INSC_IjEEEEPNS0_10empty_typeENS0_5tupleIJSE_SH_EEENSJ_IJNS9_16discard_iteratorINS9_11use_defaultEEESI_EEENS0_18inequality_wrapperINS9_8equal_toIyEEEEPmJSH_EEE10hipError_tPvRmT3_T4_T5_T6_T7_T9_mT8_P12ihipStream_tbDpT10_ENKUlT_T0_E_clISt17integral_constantIbLb0EES1D_EEDaS18_S19_EUlS18_E_NS1_11comp_targetILNS1_3genE9ELNS1_11target_archE1100ELNS1_3gpuE3ELNS1_3repE0EEENS1_30default_config_static_selectorELNS0_4arch9wavefront6targetE0EEEvT1_
	.p2align	8
	.type	_ZN7rocprim17ROCPRIM_400000_NS6detail17trampoline_kernelINS0_14default_configENS1_25partition_config_selectorILNS1_17partition_subalgoE9EyjbEEZZNS1_14partition_implILS5_9ELb0ES3_jN6thrust23THRUST_200600_302600_NS6detail15normal_iteratorINS9_10device_ptrIyEEEENSB_INSC_IjEEEEPNS0_10empty_typeENS0_5tupleIJSE_SH_EEENSJ_IJNS9_16discard_iteratorINS9_11use_defaultEEESI_EEENS0_18inequality_wrapperINS9_8equal_toIyEEEEPmJSH_EEE10hipError_tPvRmT3_T4_T5_T6_T7_T9_mT8_P12ihipStream_tbDpT10_ENKUlT_T0_E_clISt17integral_constantIbLb0EES1D_EEDaS18_S19_EUlS18_E_NS1_11comp_targetILNS1_3genE9ELNS1_11target_archE1100ELNS1_3gpuE3ELNS1_3repE0EEENS1_30default_config_static_selectorELNS0_4arch9wavefront6targetE0EEEvT1_,@function
_ZN7rocprim17ROCPRIM_400000_NS6detail17trampoline_kernelINS0_14default_configENS1_25partition_config_selectorILNS1_17partition_subalgoE9EyjbEEZZNS1_14partition_implILS5_9ELb0ES3_jN6thrust23THRUST_200600_302600_NS6detail15normal_iteratorINS9_10device_ptrIyEEEENSB_INSC_IjEEEEPNS0_10empty_typeENS0_5tupleIJSE_SH_EEENSJ_IJNS9_16discard_iteratorINS9_11use_defaultEEESI_EEENS0_18inequality_wrapperINS9_8equal_toIyEEEEPmJSH_EEE10hipError_tPvRmT3_T4_T5_T6_T7_T9_mT8_P12ihipStream_tbDpT10_ENKUlT_T0_E_clISt17integral_constantIbLb0EES1D_EEDaS18_S19_EUlS18_E_NS1_11comp_targetILNS1_3genE9ELNS1_11target_archE1100ELNS1_3gpuE3ELNS1_3repE0EEENS1_30default_config_static_selectorELNS0_4arch9wavefront6targetE0EEEvT1_: ; @_ZN7rocprim17ROCPRIM_400000_NS6detail17trampoline_kernelINS0_14default_configENS1_25partition_config_selectorILNS1_17partition_subalgoE9EyjbEEZZNS1_14partition_implILS5_9ELb0ES3_jN6thrust23THRUST_200600_302600_NS6detail15normal_iteratorINS9_10device_ptrIyEEEENSB_INSC_IjEEEEPNS0_10empty_typeENS0_5tupleIJSE_SH_EEENSJ_IJNS9_16discard_iteratorINS9_11use_defaultEEESI_EEENS0_18inequality_wrapperINS9_8equal_toIyEEEEPmJSH_EEE10hipError_tPvRmT3_T4_T5_T6_T7_T9_mT8_P12ihipStream_tbDpT10_ENKUlT_T0_E_clISt17integral_constantIbLb0EES1D_EEDaS18_S19_EUlS18_E_NS1_11comp_targetILNS1_3genE9ELNS1_11target_archE1100ELNS1_3gpuE3ELNS1_3repE0EEENS1_30default_config_static_selectorELNS0_4arch9wavefront6targetE0EEEvT1_
; %bb.0:
	s_clause 0x4
	s_load_b128 s[4:7], s[0:1], 0x8
	s_load_b32 s14, s[0:1], 0x70
	s_load_b128 s[16:19], s[0:1], 0x48
	s_load_b64 s[2:3], s[0:1], 0x58
	s_load_b64 s[12:13], s[0:1], 0x18
	s_mov_b32 s9, 0
	v_lshlrev_b32_e32 v47, 3, v0
	v_lshrrev_b32_e32 v24, 2, v0
	v_or_b32_e32 v21, 0x200, v0
	v_or_b32_e32 v20, 0x400, v0
	;; [unrolled: 1-line block ×7, first 2 shown]
	s_waitcnt lgkmcnt(0)
	s_lshl_b64 s[10:11], s[6:7], 3
	s_delay_alu instid0(SALU_CYCLE_1)
	s_add_u32 s21, s4, s10
	s_addc_u32 s22, s5, s11
	s_add_i32 s20, s14, -1
	s_load_b64 s[10:11], s[18:19], 0x0
	s_lshl_b32 s4, s20, 12
	s_lshl_b32 s5, s14, 12
	s_add_i32 s4, s6, s4
	s_lshl_b32 s8, s15, 12
	s_sub_i32 s19, s2, s4
	s_add_u32 s4, s6, s5
	s_addc_u32 s5, s7, 0
	s_cmp_eq_u32 s15, s20
	v_cmp_ge_u64_e64 s2, s[4:5], s[2:3]
	s_cselect_b32 s14, -1, 0
	s_mov_b32 s5, -1
	s_delay_alu instid0(VALU_DEP_1)
	s_and_b32 s20, s14, s2
	s_lshl_b64 s[2:3], s[8:9], 3
	s_xor_b32 s18, s20, -1
	s_add_u32 s4, s21, s2
	s_addc_u32 s3, s22, s3
	s_and_b32 vcc_lo, exec_lo, s18
	s_cbranch_vccz .LBB731_2
; %bb.1:
	v_add_co_u32 v1, s2, s4, v47
	s_delay_alu instid0(VALU_DEP_1) | instskip(SKIP_1) | instid1(VALU_DEP_3)
	v_add_co_ci_u32_e64 v2, null, s3, 0, s2
	v_lshrrev_b32_e32 v26, 2, v21
	v_add_co_u32 v3, vcc_lo, 0x1000, v1
	s_delay_alu instid0(VALU_DEP_3)
	v_add_co_ci_u32_e32 v4, vcc_lo, 0, v2, vcc_lo
	v_add_co_u32 v5, vcc_lo, 0x2000, v1
	v_add_co_ci_u32_e32 v6, vcc_lo, 0, v2, vcc_lo
	v_add_co_u32 v7, vcc_lo, 0x3000, v1
	v_add_co_ci_u32_e32 v8, vcc_lo, 0, v2, vcc_lo
	v_add_co_u32 v9, vcc_lo, 0x4000, v1
	v_add_co_ci_u32_e32 v10, vcc_lo, 0, v2, vcc_lo
	v_add_co_u32 v11, vcc_lo, 0x5000, v1
	v_add_co_ci_u32_e32 v12, vcc_lo, 0, v2, vcc_lo
	v_add_co_u32 v13, vcc_lo, 0x6000, v1
	v_add_co_ci_u32_e32 v14, vcc_lo, 0, v2, vcc_lo
	v_add_co_u32 v15, vcc_lo, 0x7000, v1
	v_add_co_ci_u32_e32 v16, vcc_lo, 0, v2, vcc_lo
	s_clause 0x7
	flat_load_b64 v[1:2], v[1:2]
	flat_load_b64 v[3:4], v[3:4]
	;; [unrolled: 1-line block ×8, first 2 shown]
	v_lshrrev_b32_e32 v27, 2, v20
	v_lshrrev_b32_e32 v28, 2, v23
	;; [unrolled: 1-line block ×3, first 2 shown]
	v_and_b32_e32 v25, 0x78, v24
	v_lshrrev_b32_e32 v30, 2, v18
	v_lshrrev_b32_e32 v31, 2, v17
	;; [unrolled: 1-line block ×3, first 2 shown]
	v_and_b32_e32 v26, 0xf8, v26
	v_and_b32_e32 v27, 0x178, v27
	;; [unrolled: 1-line block ×4, first 2 shown]
	v_add_nc_u32_e32 v25, v25, v47
	v_and_b32_e32 v30, 0x2f8, v30
	v_and_b32_e32 v31, 0x378, v31
	v_and_b32_e32 v32, 0x3f8, v32
	v_add_nc_u32_e32 v26, v26, v47
	v_add_nc_u32_e32 v27, v27, v47
	;; [unrolled: 1-line block ×4, first 2 shown]
	s_mov_b32 s5, s9
	v_add_nc_u32_e32 v30, v30, v47
	v_add_nc_u32_e32 v31, v31, v47
	;; [unrolled: 1-line block ×3, first 2 shown]
	s_waitcnt vmcnt(7) lgkmcnt(0)
	ds_store_b64 v25, v[1:2]
	s_waitcnt vmcnt(6)
	ds_store_b64 v26, v[3:4] offset:4096
	s_waitcnt vmcnt(5)
	ds_store_b64 v27, v[5:6] offset:8192
	;; [unrolled: 2-line block ×7, first 2 shown]
	s_waitcnt lgkmcnt(0)
	s_barrier
.LBB731_2:
	v_cmp_gt_u32_e64 s2, s19, v0
	s_and_not1_b32 vcc_lo, exec_lo, s5
	s_cbranch_vccnz .LBB731_20
; %bb.3:
                                        ; implicit-def: $vgpr1_vgpr2_vgpr3_vgpr4_vgpr5_vgpr6_vgpr7_vgpr8_vgpr9_vgpr10_vgpr11_vgpr12_vgpr13_vgpr14_vgpr15_vgpr16
	s_delay_alu instid0(VALU_DEP_1)
	s_and_saveexec_b32 s5, s2
	s_cbranch_execz .LBB731_11
; %bb.4:
	v_add_co_u32 v1, s2, s4, v47
	s_delay_alu instid0(VALU_DEP_1) | instskip(SKIP_2) | instid1(SALU_CYCLE_1)
	v_add_co_ci_u32_e64 v2, null, s3, 0, s2
	flat_load_b64 v[1:2], v[1:2]
	s_or_b32 exec_lo, exec_lo, s5
	s_mov_b32 s2, exec_lo
	v_cmpx_gt_u32_e64 s19, v21
	s_cbranch_execnz .LBB731_12
.LBB731_5:
	s_or_b32 exec_lo, exec_lo, s2
	s_delay_alu instid0(SALU_CYCLE_1)
	s_mov_b32 s2, exec_lo
	v_cmpx_gt_u32_e64 s19, v20
	s_cbranch_execz .LBB731_13
.LBB731_6:
	v_lshlrev_b32_e32 v5, 3, v20
	s_delay_alu instid0(VALU_DEP_1) | instskip(NEXT) | instid1(VALU_DEP_1)
	v_add_co_u32 v5, s5, s4, v5
	v_add_co_ci_u32_e64 v6, null, s3, 0, s5
	flat_load_b64 v[5:6], v[5:6]
	s_or_b32 exec_lo, exec_lo, s2
	s_delay_alu instid0(SALU_CYCLE_1)
	s_mov_b32 s2, exec_lo
	v_cmpx_gt_u32_e64 s19, v23
	s_cbranch_execnz .LBB731_14
.LBB731_7:
	s_or_b32 exec_lo, exec_lo, s2
	s_delay_alu instid0(SALU_CYCLE_1)
	s_mov_b32 s2, exec_lo
	v_cmpx_gt_u32_e64 s19, v22
	s_cbranch_execz .LBB731_15
.LBB731_8:
	v_lshlrev_b32_e32 v9, 3, v22
	s_delay_alu instid0(VALU_DEP_1) | instskip(NEXT) | instid1(VALU_DEP_1)
	v_add_co_u32 v9, s5, s4, v9
	v_add_co_ci_u32_e64 v10, null, s3, 0, s5
	flat_load_b64 v[9:10], v[9:10]
	s_or_b32 exec_lo, exec_lo, s2
	s_delay_alu instid0(SALU_CYCLE_1)
	s_mov_b32 s2, exec_lo
	v_cmpx_gt_u32_e64 s19, v18
	s_cbranch_execnz .LBB731_16
.LBB731_9:
	s_or_b32 exec_lo, exec_lo, s2
	s_delay_alu instid0(SALU_CYCLE_1)
	s_mov_b32 s2, exec_lo
	v_cmpx_gt_u32_e64 s19, v17
	s_cbranch_execz .LBB731_17
.LBB731_10:
	v_lshlrev_b32_e32 v13, 3, v17
	s_delay_alu instid0(VALU_DEP_1) | instskip(NEXT) | instid1(VALU_DEP_1)
	v_add_co_u32 v13, s5, s4, v13
	v_add_co_ci_u32_e64 v14, null, s3, 0, s5
	flat_load_b64 v[13:14], v[13:14]
	s_or_b32 exec_lo, exec_lo, s2
	s_delay_alu instid0(SALU_CYCLE_1)
	s_mov_b32 s2, exec_lo
	v_cmpx_gt_u32_e64 s19, v19
	s_cbranch_execnz .LBB731_18
	s_branch .LBB731_19
.LBB731_11:
	s_or_b32 exec_lo, exec_lo, s5
	s_delay_alu instid0(SALU_CYCLE_1)
	s_mov_b32 s2, exec_lo
	v_cmpx_gt_u32_e64 s19, v21
	s_cbranch_execz .LBB731_5
.LBB731_12:
	v_lshlrev_b32_e32 v3, 3, v21
	s_delay_alu instid0(VALU_DEP_1) | instskip(NEXT) | instid1(VALU_DEP_1)
	v_add_co_u32 v3, s5, s4, v3
	v_add_co_ci_u32_e64 v4, null, s3, 0, s5
	flat_load_b64 v[3:4], v[3:4]
	s_or_b32 exec_lo, exec_lo, s2
	s_delay_alu instid0(SALU_CYCLE_1)
	s_mov_b32 s2, exec_lo
	v_cmpx_gt_u32_e64 s19, v20
	s_cbranch_execnz .LBB731_6
.LBB731_13:
	s_or_b32 exec_lo, exec_lo, s2
	s_delay_alu instid0(SALU_CYCLE_1)
	s_mov_b32 s2, exec_lo
	v_cmpx_gt_u32_e64 s19, v23
	s_cbranch_execz .LBB731_7
.LBB731_14:
	v_lshlrev_b32_e32 v7, 3, v23
	s_delay_alu instid0(VALU_DEP_1) | instskip(NEXT) | instid1(VALU_DEP_1)
	v_add_co_u32 v7, s5, s4, v7
	v_add_co_ci_u32_e64 v8, null, s3, 0, s5
	flat_load_b64 v[7:8], v[7:8]
	s_or_b32 exec_lo, exec_lo, s2
	s_delay_alu instid0(SALU_CYCLE_1)
	s_mov_b32 s2, exec_lo
	v_cmpx_gt_u32_e64 s19, v22
	s_cbranch_execnz .LBB731_8
.LBB731_15:
	s_or_b32 exec_lo, exec_lo, s2
	s_delay_alu instid0(SALU_CYCLE_1)
	s_mov_b32 s2, exec_lo
	v_cmpx_gt_u32_e64 s19, v18
	s_cbranch_execz .LBB731_9
.LBB731_16:
	v_lshlrev_b32_e32 v11, 3, v18
	s_delay_alu instid0(VALU_DEP_1) | instskip(NEXT) | instid1(VALU_DEP_1)
	v_add_co_u32 v11, s5, s4, v11
	v_add_co_ci_u32_e64 v12, null, s3, 0, s5
	flat_load_b64 v[11:12], v[11:12]
	s_or_b32 exec_lo, exec_lo, s2
	s_delay_alu instid0(SALU_CYCLE_1)
	s_mov_b32 s2, exec_lo
	v_cmpx_gt_u32_e64 s19, v17
	s_cbranch_execnz .LBB731_10
.LBB731_17:
	s_or_b32 exec_lo, exec_lo, s2
	s_delay_alu instid0(SALU_CYCLE_1)
	s_mov_b32 s2, exec_lo
	v_cmpx_gt_u32_e64 s19, v19
	s_cbranch_execz .LBB731_19
.LBB731_18:
	v_lshlrev_b32_e32 v15, 3, v19
	s_delay_alu instid0(VALU_DEP_1) | instskip(NEXT) | instid1(VALU_DEP_1)
	v_add_co_u32 v15, s5, s4, v15
	v_add_co_ci_u32_e64 v16, null, s3, 0, s5
	flat_load_b64 v[15:16], v[15:16]
.LBB731_19:
	s_or_b32 exec_lo, exec_lo, s2
	v_lshrrev_b32_e32 v25, 2, v21
	v_lshrrev_b32_e32 v26, 2, v20
	;; [unrolled: 1-line block ×4, first 2 shown]
	v_and_b32_e32 v27, 0x78, v24
	v_lshrrev_b32_e32 v30, 2, v18
	v_lshrrev_b32_e32 v31, 2, v17
	v_lshrrev_b32_e32 v32, 2, v19
	v_and_b32_e32 v25, 0xf8, v25
	v_and_b32_e32 v26, 0x1f8, v26
	;; [unrolled: 1-line block ×4, first 2 shown]
	v_add_nc_u32_e32 v27, v27, v47
	v_and_b32_e32 v30, 0x3f8, v30
	v_and_b32_e32 v31, 0x3f8, v31
	;; [unrolled: 1-line block ×3, first 2 shown]
	v_add_nc_u32_e32 v25, v25, v47
	v_add_nc_u32_e32 v26, v26, v47
	;; [unrolled: 1-line block ×7, first 2 shown]
	s_waitcnt vmcnt(0) lgkmcnt(0)
	ds_store_b64 v27, v[1:2]
	ds_store_b64 v25, v[3:4] offset:4096
	ds_store_b64 v26, v[5:6] offset:8192
	;; [unrolled: 1-line block ×7, first 2 shown]
	s_waitcnt lgkmcnt(0)
	s_barrier
.LBB731_20:
	v_add_nc_u32_e32 v24, v24, v47
	s_waitcnt lgkmcnt(0)
	buffer_gl0_inv
	s_lshl_b64 s[22:23], s[6:7], 2
	v_lshrrev_b32_e32 v26, 3, v0
	s_add_u32 s2, s12, s22
	v_lshlrev_b32_e32 v25, 3, v24
	s_addc_u32 s5, s13, s23
	s_lshl_b64 s[8:9], s[8:9], 2
	ds_load_2addr_b64 v[13:16], v25 offset1:1
	ds_load_2addr_b64 v[9:12], v25 offset0:2 offset1:3
	ds_load_2addr_b64 v[5:8], v25 offset0:4 offset1:5
	;; [unrolled: 1-line block ×3, first 2 shown]
	s_add_u32 s2, s2, s8
	s_addc_u32 s5, s5, s9
	s_and_b32 vcc_lo, exec_lo, s18
	s_mov_b32 s8, -1
	s_waitcnt lgkmcnt(0)
	s_barrier
	buffer_gl0_inv
	s_cbranch_vccz .LBB731_22
; %bb.21:
	v_lshlrev_b32_e32 v35, 2, v0
	v_lshrrev_b32_e32 v37, 3, v21
	v_lshrrev_b32_e32 v38, 3, v20
	;; [unrolled: 1-line block ×4, first 2 shown]
	v_add_co_u32 v27, s8, s2, v35
	s_delay_alu instid0(VALU_DEP_1) | instskip(SKIP_1) | instid1(VALU_DEP_3)
	v_add_co_ci_u32_e64 v28, null, s5, 0, s8
	v_lshrrev_b32_e32 v41, 3, v18
	v_add_co_u32 v29, vcc_lo, 0x1000, v27
	s_delay_alu instid0(VALU_DEP_3)
	v_add_co_ci_u32_e32 v30, vcc_lo, 0, v28, vcc_lo
	v_add_co_u32 v31, vcc_lo, 0x2000, v27
	v_add_co_ci_u32_e32 v32, vcc_lo, 0, v28, vcc_lo
	v_add_co_u32 v33, vcc_lo, 0x3000, v27
	v_add_co_ci_u32_e32 v34, vcc_lo, 0, v28, vcc_lo
	s_clause 0x7
	flat_load_b32 v36, v[27:28]
	flat_load_b32 v27, v[27:28] offset:2048
	flat_load_b32 v28, v[29:30]
	flat_load_b32 v29, v[29:30] offset:2048
	;; [unrolled: 2-line block ×4, first 2 shown]
	v_and_b32_e32 v34, 60, v26
	v_lshrrev_b32_e32 v42, 3, v17
	v_lshrrev_b32_e32 v43, 3, v19
	v_and_b32_e32 v37, 0x7c, v37
	v_and_b32_e32 v38, 0xbc, v38
	;; [unrolled: 1-line block ×4, first 2 shown]
	v_add_nc_u32_e32 v34, v34, v35
	v_and_b32_e32 v41, 0x17c, v41
	v_and_b32_e32 v42, 0x1bc, v42
	;; [unrolled: 1-line block ×3, first 2 shown]
	v_add_nc_u32_e32 v37, v37, v35
	v_add_nc_u32_e32 v38, v38, v35
	;; [unrolled: 1-line block ×4, first 2 shown]
	s_mov_b32 s8, 0
	v_add_nc_u32_e32 v41, v41, v35
	v_add_nc_u32_e32 v42, v42, v35
	;; [unrolled: 1-line block ×3, first 2 shown]
	s_waitcnt vmcnt(7) lgkmcnt(7)
	ds_store_b32 v34, v36
	s_waitcnt vmcnt(6) lgkmcnt(7)
	ds_store_b32 v37, v27 offset:2048
	s_waitcnt vmcnt(5) lgkmcnt(7)
	ds_store_b32 v38, v28 offset:4096
	;; [unrolled: 2-line block ×7, first 2 shown]
	s_waitcnt lgkmcnt(0)
	s_barrier
.LBB731_22:
	s_and_not1_b32 vcc_lo, exec_lo, s8
	s_cbranch_vccnz .LBB731_40
; %bb.23:
	s_mov_b32 s8, exec_lo
                                        ; implicit-def: $vgpr27
	v_cmpx_gt_u32_e64 s19, v0
	s_cbranch_execz .LBB731_25
; %bb.24:
	v_lshlrev_b32_e32 v27, 2, v0
	s_delay_alu instid0(VALU_DEP_1) | instskip(NEXT) | instid1(VALU_DEP_1)
	v_add_co_u32 v27, s9, s2, v27
	v_add_co_ci_u32_e64 v28, null, s5, 0, s9
	flat_load_b32 v27, v[27:28]
.LBB731_25:
	s_or_b32 exec_lo, exec_lo, s8
	s_delay_alu instid0(SALU_CYCLE_1)
	s_mov_b32 s8, exec_lo
                                        ; implicit-def: $vgpr28
	v_cmpx_gt_u32_e64 s19, v21
	s_cbranch_execz .LBB731_27
; %bb.26:
	v_lshlrev_b32_e32 v28, 2, v0
	s_delay_alu instid0(VALU_DEP_1) | instskip(NEXT) | instid1(VALU_DEP_1)
	v_add_co_u32 v28, s9, s2, v28
	v_add_co_ci_u32_e64 v29, null, s5, 0, s9
	flat_load_b32 v28, v[28:29] offset:2048
.LBB731_27:
	s_or_b32 exec_lo, exec_lo, s8
	s_delay_alu instid0(SALU_CYCLE_1)
	s_mov_b32 s8, exec_lo
                                        ; implicit-def: $vgpr29
	v_cmpx_gt_u32_e64 s19, v20
	s_cbranch_execz .LBB731_29
; %bb.28:
	v_lshlrev_b32_e32 v29, 2, v20
	s_delay_alu instid0(VALU_DEP_1) | instskip(NEXT) | instid1(VALU_DEP_1)
	v_add_co_u32 v29, s9, s2, v29
	v_add_co_ci_u32_e64 v30, null, s5, 0, s9
	flat_load_b32 v29, v[29:30]
.LBB731_29:
	s_or_b32 exec_lo, exec_lo, s8
	s_delay_alu instid0(SALU_CYCLE_1)
	s_mov_b32 s8, exec_lo
                                        ; implicit-def: $vgpr30
	v_cmpx_gt_u32_e64 s19, v23
	s_cbranch_execz .LBB731_31
; %bb.30:
	v_lshlrev_b32_e32 v30, 2, v23
	s_delay_alu instid0(VALU_DEP_1) | instskip(NEXT) | instid1(VALU_DEP_1)
	v_add_co_u32 v30, s9, s2, v30
	v_add_co_ci_u32_e64 v31, null, s5, 0, s9
	flat_load_b32 v30, v[30:31]
.LBB731_31:
	s_or_b32 exec_lo, exec_lo, s8
	s_delay_alu instid0(SALU_CYCLE_1)
	s_mov_b32 s8, exec_lo
                                        ; implicit-def: $vgpr31
	v_cmpx_gt_u32_e64 s19, v22
	s_cbranch_execz .LBB731_33
; %bb.32:
	v_lshlrev_b32_e32 v31, 2, v22
	s_delay_alu instid0(VALU_DEP_1) | instskip(NEXT) | instid1(VALU_DEP_1)
	v_add_co_u32 v31, s9, s2, v31
	v_add_co_ci_u32_e64 v32, null, s5, 0, s9
	flat_load_b32 v31, v[31:32]
.LBB731_33:
	s_or_b32 exec_lo, exec_lo, s8
	s_delay_alu instid0(SALU_CYCLE_1)
	s_mov_b32 s8, exec_lo
                                        ; implicit-def: $vgpr32
	v_cmpx_gt_u32_e64 s19, v18
	s_cbranch_execz .LBB731_35
; %bb.34:
	v_lshlrev_b32_e32 v32, 2, v18
	s_delay_alu instid0(VALU_DEP_1) | instskip(NEXT) | instid1(VALU_DEP_1)
	v_add_co_u32 v32, s9, s2, v32
	v_add_co_ci_u32_e64 v33, null, s5, 0, s9
	flat_load_b32 v32, v[32:33]
.LBB731_35:
	s_or_b32 exec_lo, exec_lo, s8
	s_delay_alu instid0(SALU_CYCLE_1)
	s_mov_b32 s8, exec_lo
                                        ; implicit-def: $vgpr33
	v_cmpx_gt_u32_e64 s19, v17
	s_cbranch_execz .LBB731_37
; %bb.36:
	v_lshlrev_b32_e32 v33, 2, v17
	s_delay_alu instid0(VALU_DEP_1) | instskip(NEXT) | instid1(VALU_DEP_1)
	v_add_co_u32 v33, s9, s2, v33
	v_add_co_ci_u32_e64 v34, null, s5, 0, s9
	flat_load_b32 v33, v[33:34]
.LBB731_37:
	s_or_b32 exec_lo, exec_lo, s8
	s_delay_alu instid0(SALU_CYCLE_1)
	s_mov_b32 s8, exec_lo
                                        ; implicit-def: $vgpr34
	v_cmpx_gt_u32_e64 s19, v19
	s_cbranch_execz .LBB731_39
; %bb.38:
	v_lshlrev_b32_e32 v34, 2, v19
	s_delay_alu instid0(VALU_DEP_1) | instskip(NEXT) | instid1(VALU_DEP_1)
	v_add_co_u32 v34, s2, s2, v34
	v_add_co_ci_u32_e64 v35, null, s5, 0, s2
	flat_load_b32 v34, v[34:35]
.LBB731_39:
	s_or_b32 exec_lo, exec_lo, s8
	v_lshrrev_b32_e32 v21, 3, v21
	v_lshrrev_b32_e32 v20, 3, v20
	;; [unrolled: 1-line block ×4, first 2 shown]
	v_and_b32_e32 v26, 60, v26
	v_lshlrev_b32_e32 v35, 2, v0
	v_lshrrev_b32_e32 v18, 3, v18
	v_lshrrev_b32_e32 v17, 3, v17
	v_lshrrev_b32_e32 v19, 3, v19
	v_and_b32_e32 v21, 0x7c, v21
	v_and_b32_e32 v20, 0xfc, v20
	;; [unrolled: 1-line block ×4, first 2 shown]
	v_add_nc_u32_e32 v26, v26, v35
	v_and_b32_e32 v18, 0x1fc, v18
	v_and_b32_e32 v17, 0x1fc, v17
	;; [unrolled: 1-line block ×3, first 2 shown]
	v_add_nc_u32_e32 v21, v21, v35
	v_add_nc_u32_e32 v20, v20, v35
	;; [unrolled: 1-line block ×7, first 2 shown]
	s_waitcnt vmcnt(0) lgkmcnt(0)
	ds_store_b32 v26, v27
	ds_store_b32 v21, v28 offset:2048
	ds_store_b32 v20, v29 offset:4096
	;; [unrolled: 1-line block ×7, first 2 shown]
	s_waitcnt lgkmcnt(0)
	s_barrier
.LBB731_40:
	v_lshlrev_b32_e32 v17, 2, v24
	buffer_gl0_inv
	s_cmp_lg_u32 s15, 0
	s_mov_b32 s12, 0
	s_cselect_b32 s9, -1, 0
	v_sub_nc_u32_e32 v17, v25, v17
	s_cmp_lg_u64 s[6:7], 0
	ds_load_2addr_b32 v[23:24], v17 offset1:1
	ds_load_2addr_b32 v[21:22], v17 offset0:2 offset1:3
	ds_load_2addr_b32 v[19:20], v17 offset0:4 offset1:5
	;; [unrolled: 1-line block ×3, first 2 shown]
	s_cselect_b32 s2, -1, 0
	s_waitcnt lgkmcnt(0)
	s_or_b32 s2, s9, s2
	s_barrier
	s_and_b32 vcc_lo, exec_lo, s2
	buffer_gl0_inv
	s_cbranch_vccz .LBB731_45
; %bb.41:
	v_add_co_u32 v25, s2, -8, s4
	s_delay_alu instid0(VALU_DEP_1)
	v_add_co_ci_u32_e64 v26, null, -1, s3, s2
	s_mov_b32 s3, -1
	s_and_b32 vcc_lo, exec_lo, s18
	flat_load_b64 v[27:28], v[25:26]
	ds_store_b64 v47, v[3:4]
	s_cbranch_vccz .LBB731_46
; %bb.42:
	s_waitcnt vmcnt(0) lgkmcnt(1)
	v_dual_mov_b32 v25, v27 :: v_dual_mov_b32 v26, v28
	s_mov_b32 s3, 0
	s_mov_b32 s2, exec_lo
	s_waitcnt lgkmcnt(0)
	s_barrier
	buffer_gl0_inv
	v_cmpx_ne_u32_e32 0, v0
	s_cbranch_execz .LBB731_44
; %bb.43:
	v_add_nc_u32_e32 v25, -8, v47
	ds_load_b64 v[25:26], v25
.LBB731_44:
	s_or_b32 exec_lo, exec_lo, s2
	v_cmp_ne_u64_e32 vcc_lo, v[1:2], v[3:4]
	s_waitcnt lgkmcnt(0)
	v_cmp_ne_u64_e64 s2, v[25:26], v[13:14]
	v_cndmask_b32_e64 v29, 0, 1, vcc_lo
	v_cmp_ne_u64_e32 vcc_lo, v[7:8], v[1:2]
	s_delay_alu instid0(VALU_DEP_2) | instskip(SKIP_2) | instid1(VALU_DEP_2)
	v_lshlrev_b16 v29, 8, v29
	v_cndmask_b32_e64 v30, 0, 1, vcc_lo
	v_cmp_ne_u64_e32 vcc_lo, v[5:6], v[7:8]
	v_or_b32_e32 v29, v30, v29
	v_cndmask_b32_e64 v31, 0, 1, vcc_lo
	v_cmp_ne_u64_e32 vcc_lo, v[9:10], v[11:12]
	s_delay_alu instid0(VALU_DEP_3) | instskip(NEXT) | instid1(VALU_DEP_3)
	v_lshlrev_b32_e32 v29, 16, v29
	v_lshlrev_b16 v31, 8, v31
	v_cndmask_b32_e64 v32, 0, 1, vcc_lo
	v_cmp_ne_u64_e32 vcc_lo, v[11:12], v[5:6]
	s_delay_alu instid0(VALU_DEP_2) | instskip(SKIP_2) | instid1(VALU_DEP_2)
	v_lshlrev_b16 v32, 8, v32
	v_cndmask_b32_e64 v33, 0, 1, vcc_lo
	v_cmp_ne_u64_e32 vcc_lo, v[15:16], v[9:10]
	v_or_b32_e32 v31, v33, v31
	v_cndmask_b32_e64 v34, 0, 1, vcc_lo
	v_cmp_ne_u64_e32 vcc_lo, v[13:14], v[15:16]
	s_delay_alu instid0(VALU_DEP_3) | instskip(NEXT) | instid1(VALU_DEP_3)
	v_and_b32_e32 v31, 0xffff, v31
	v_or_b32_e32 v32, v34, v32
	v_cndmask_b32_e64 v35, 0, 1, vcc_lo
	s_delay_alu instid0(VALU_DEP_3) | instskip(NEXT) | instid1(VALU_DEP_3)
	v_or_b32_e32 v26, v31, v29
	v_lshlrev_b32_e32 v30, 16, v32
	s_delay_alu instid0(VALU_DEP_3) | instskip(NEXT) | instid1(VALU_DEP_1)
	v_lshlrev_b16 v34, 8, v35
	v_and_b32_e32 v32, 0xffff, v34
	s_delay_alu instid0(VALU_DEP_1)
	v_or_b32_e32 v25, v32, v30
	s_and_b32 vcc_lo, exec_lo, s3
	s_cbranch_vccnz .LBB731_47
	s_branch .LBB731_50
.LBB731_45:
                                        ; implicit-def: $sgpr2
                                        ; implicit-def: $vgpr26
	s_branch .LBB731_51
.LBB731_46:
                                        ; implicit-def: $sgpr2
                                        ; implicit-def: $vgpr26
	s_and_b32 vcc_lo, exec_lo, s3
	s_cbranch_vccz .LBB731_50
.LBB731_47:
	s_mov_b32 s2, exec_lo
	s_waitcnt vmcnt(0) lgkmcnt(0)
	s_barrier
	buffer_gl0_inv
	v_cmpx_ne_u32_e32 0, v0
	s_cbranch_execz .LBB731_49
; %bb.48:
	v_add_nc_u32_e32 v25, -8, v47
	ds_load_b64 v[27:28], v25
.LBB731_49:
	s_or_b32 exec_lo, exec_lo, s2
	v_or_b32_e32 v25, 7, v47
	v_or_b32_e32 v26, 6, v47
	v_cmp_ne_u64_e32 vcc_lo, v[1:2], v[3:4]
	v_or_b32_e32 v29, 5, v47
	v_cmp_ne_u64_e64 s3, v[7:8], v[1:2]
	v_cmp_gt_u32_e64 s2, s19, v25
	v_cmp_gt_u32_e64 s4, s19, v26
	v_cmp_ne_u64_e64 s5, v[5:6], v[7:8]
	v_cmp_gt_u32_e64 s6, s19, v29
	v_or_b32_e32 v29, 3, v47
	s_and_b32 s2, s2, vcc_lo
	v_or_b32_e32 v30, 4, v47
	v_cndmask_b32_e64 v25, 0, 1, s2
	s_and_b32 s2, s4, s3
	v_cmp_ne_u64_e32 vcc_lo, v[9:10], v[11:12]
	v_cndmask_b32_e64 v26, 0, 1, s2
	s_and_b32 s2, s6, s5
	v_cmp_gt_u32_e64 s3, s19, v30
	v_cndmask_b32_e64 v31, 0, 1, s2
	v_cmp_gt_u32_e64 s2, s19, v29
	v_or_b32_e32 v29, 2, v47
	v_or_b32_e32 v30, 1, v47
	v_cmp_ne_u64_e64 s4, v[11:12], v[5:6]
	v_cmp_ne_u64_e64 s6, v[13:14], v[15:16]
	s_and_b32 s2, s2, vcc_lo
	v_cmp_ne_u64_e32 vcc_lo, v[15:16], v[9:10]
	v_cndmask_b32_e64 v32, 0, 1, s2
	v_cmp_gt_u32_e64 s2, s19, v29
	v_cmp_gt_u32_e64 s5, s19, v30
	s_and_b32 s3, s3, s4
	v_lshlrev_b16 v31, 8, v31
	v_cndmask_b32_e64 v29, 0, 1, s3
	s_and_b32 s2, s2, vcc_lo
	v_lshlrev_b16 v32, 8, v32
	v_cndmask_b32_e64 v30, 0, 1, s2
	s_and_b32 s2, s5, s6
	v_lshlrev_b16 v25, 8, v25
	v_cndmask_b32_e64 v33, 0, 1, s2
	v_or_b32_e32 v29, v29, v31
	v_or_b32_e32 v30, v30, v32
	s_waitcnt lgkmcnt(0)
	v_cmp_ne_u64_e32 vcc_lo, v[27:28], v[13:14]
	v_or_b32_e32 v25, v26, v25
	v_lshlrev_b16 v32, 8, v33
	v_and_b32_e32 v29, 0xffff, v29
	v_lshlrev_b32_e32 v26, 16, v30
	v_cmp_gt_u32_e64 s2, s19, v47
	v_lshlrev_b32_e32 v31, 16, v25
	v_and_b32_e32 v30, 0xffff, v32
	s_delay_alu instid0(VALU_DEP_3) | instskip(NEXT) | instid1(VALU_DEP_1)
	s_and_b32 s2, s2, vcc_lo
	v_or_b32_e32 v25, v30, v26
	s_delay_alu instid0(VALU_DEP_3)
	v_or_b32_e32 v26, v29, v31
.LBB731_50:
	s_mov_b32 s12, -1
	s_cbranch_execnz .LBB731_59
.LBB731_51:
	v_cmp_ne_u64_e64 s3, v[1:2], v[3:4]
	v_cmp_ne_u64_e64 s4, v[7:8], v[1:2]
	v_cmp_ne_u64_e64 s5, v[5:6], v[7:8]
	v_cmp_ne_u64_e64 s6, v[11:12], v[5:6]
	v_cmp_ne_u64_e64 s7, v[9:10], v[11:12]
	v_cmp_ne_u64_e64 s2, v[15:16], v[9:10]
	v_cmp_ne_u64_e64 s8, v[13:14], v[15:16]
	s_and_b32 vcc_lo, exec_lo, s18
	ds_store_b64 v47, v[3:4]
	s_cbranch_vccz .LBB731_55
; %bb.52:
	v_cndmask_b32_e64 v25, 0, 1, s3
	s_waitcnt vmcnt(0) lgkmcnt(2)
	v_cndmask_b32_e64 v27, 0, 1, s5
	v_cndmask_b32_e64 v29, 0, 1, s7
	v_cndmask_b32_e64 v30, 0, 1, s8
	v_cndmask_b32_e64 v26, 0, 1, s4
	v_cndmask_b32_e64 v28, 0, 1, s6
	v_cndmask_b32_e64 v31, 0, 1, s2
	v_lshlrev_b16 v27, 8, v27
	v_lshlrev_b16 v25, 8, v25
	;; [unrolled: 1-line block ×4, first 2 shown]
	s_mov_b32 s3, 0
	v_or_b32_e32 v27, v28, v27
	v_or_b32_e32 v25, v26, v25
	;; [unrolled: 1-line block ×4, first 2 shown]
	s_mov_b32 s4, exec_lo
	v_and_b32_e32 v27, 0xffff, v27
	v_lshlrev_b32_e32 v25, 16, v25
	v_lshlrev_b32_e32 v29, 16, v26
	v_and_b32_e32 v28, 0xffff, v28
	s_waitcnt lgkmcnt(0)
	s_barrier
	v_or_b32_e32 v26, v27, v25
	buffer_gl0_inv
	v_or_b32_e32 v25, v28, v29
                                        ; implicit-def: $sgpr2
	v_cmpx_ne_u32_e32 0, v0
	s_xor_b32 s4, exec_lo, s4
	s_cbranch_execz .LBB731_54
; %bb.53:
	v_add_nc_u32_e32 v27, -8, v47
	s_or_b32 s12, s12, exec_lo
	ds_load_b64 v[27:28], v27
	s_waitcnt lgkmcnt(0)
	v_cmp_ne_u64_e32 vcc_lo, v[27:28], v[13:14]
	s_and_b32 s2, vcc_lo, exec_lo
.LBB731_54:
	s_or_b32 exec_lo, exec_lo, s4
	s_delay_alu instid0(SALU_CYCLE_1)
	s_and_b32 vcc_lo, exec_lo, s3
	s_cbranch_vccnz .LBB731_56
	s_branch .LBB731_59
.LBB731_55:
                                        ; implicit-def: $sgpr2
                                        ; implicit-def: $vgpr26
	s_cbranch_execz .LBB731_59
.LBB731_56:
	v_or_b32_e32 v25, 7, v47
	v_or_b32_e32 v26, 6, v47
	v_cmp_ne_u64_e32 vcc_lo, v[1:2], v[3:4]
	v_cmp_ne_u64_e64 s2, v[7:8], v[1:2]
	s_waitcnt vmcnt(0) lgkmcnt(2)
	v_or_b32_e32 v27, 4, v47
	v_cmp_gt_u32_e64 s3, s19, v25
	v_or_b32_e32 v25, 5, v47
	v_cmp_gt_u32_e64 s5, s19, v26
	v_cmp_ne_u64_e64 s4, v[5:6], v[7:8]
	v_cmp_ne_u64_e64 s6, v[11:12], v[5:6]
	s_and_b32 s3, s3, vcc_lo
	v_cmp_gt_u32_e32 vcc_lo, s19, v25
	v_cndmask_b32_e64 v26, 0, 1, s3
	v_cmp_gt_u32_e64 s3, s19, v27
	s_and_b32 s2, s5, s2
	v_or_b32_e32 v28, 3, v47
	v_cndmask_b32_e64 v25, 0, 1, s2
	s_and_b32 s2, vcc_lo, s4
	v_or_b32_e32 v30, 1, v47
	v_cndmask_b32_e64 v27, 0, 1, s2
	s_and_b32 s2, s3, s6
	v_cmp_ne_u64_e32 vcc_lo, v[9:10], v[11:12]
	v_cndmask_b32_e64 v29, 0, 1, s2
	v_cmp_gt_u32_e64 s2, s19, v28
	v_cmp_ne_u64_e64 s3, v[13:14], v[15:16]
	v_or_b32_e32 v31, 2, v47
	v_cmp_gt_u32_e64 s4, s19, v30
	v_cmp_ne_u64_e64 s5, v[15:16], v[9:10]
	s_and_b32 s2, s2, vcc_lo
	v_lshlrev_b16 v27, 8, v27
	v_cmp_gt_u32_e64 s6, s19, v31
	v_cndmask_b32_e64 v28, 0, 1, s2
	s_and_b32 s2, s4, s3
	v_lshlrev_b16 v26, 8, v26
	v_cndmask_b32_e64 v30, 0, 1, s2
	s_and_b32 s2, s6, s5
	v_lshlrev_b16 v28, 8, v28
	v_cndmask_b32_e64 v31, 0, 1, s2
	v_or_b32_e32 v27, v29, v27
	v_lshlrev_b16 v30, 8, v30
	v_or_b32_e32 v25, v25, v26
	s_mov_b32 s3, exec_lo
	v_or_b32_e32 v26, v31, v28
	v_and_b32_e32 v27, 0xffff, v27
	v_or_b32_e32 v28, 1, v30
	v_lshlrev_b32_e32 v25, 16, v25
	s_waitcnt lgkmcnt(0)
	v_lshlrev_b32_e32 v29, 16, v26
	s_barrier
	v_and_b32_e32 v28, 0xffff, v28
	v_or_b32_e32 v26, v27, v25
	buffer_gl0_inv
                                        ; implicit-def: $sgpr2
	v_or_b32_e32 v25, v28, v29
	v_cmpx_ne_u32_e32 0, v0
	s_cbranch_execz .LBB731_58
; %bb.57:
	v_add_nc_u32_e32 v27, -8, v47
	v_cmp_gt_u32_e64 s2, s19, v47
	s_or_b32 s12, s12, exec_lo
	ds_load_b64 v[27:28], v27
	s_waitcnt lgkmcnt(0)
	v_cmp_ne_u64_e32 vcc_lo, v[27:28], v[13:14]
	s_and_b32 s2, s2, vcc_lo
	s_delay_alu instid0(SALU_CYCLE_1)
	s_and_b32 s2, s2, exec_lo
.LBB731_58:
	s_or_b32 exec_lo, exec_lo, s3
.LBB731_59:
	s_and_saveexec_b32 s3, s12
	s_cbranch_execz .LBB731_61
; %bb.60:
	s_waitcnt vmcnt(0) lgkmcnt(1)
	v_and_b32_e32 v27, 0xffffff00, v25
	v_cndmask_b32_e64 v28, 0, 1, s2
	s_delay_alu instid0(VALU_DEP_1) | instskip(NEXT) | instid1(VALU_DEP_1)
	v_or_b32_e32 v27, v28, v27
	v_and_b32_e32 v27, 0xffff, v27
	s_delay_alu instid0(VALU_DEP_1)
	v_and_or_b32 v25, 0xffff0000, v25, v27
.LBB731_61:
	s_or_b32 exec_lo, exec_lo, s3
	s_load_b64 s[12:13], s[0:1], 0x68
	s_and_not1_b32 vcc_lo, exec_lo, s20
	s_cbranch_vccnz .LBB731_63
; %bb.62:
	v_cmp_gt_u32_e32 vcc_lo, s19, v47
	s_waitcnt vmcnt(0) lgkmcnt(0)
	v_or_b32_e32 v28, 1, v47
	v_and_b32_e32 v29, 0xffffff00, v26
	v_or_b32_e32 v30, 2, v47
	v_cndmask_b32_e32 v27, 0, v25, vcc_lo
	s_delay_alu instid0(VALU_DEP_4) | instskip(SKIP_1) | instid1(VALU_DEP_4)
	v_cmp_gt_u32_e32 vcc_lo, s19, v28
	v_or_b32_e32 v28, 4, v47
	v_cmp_gt_u32_e64 s2, s19, v30
	v_or_b32_e32 v30, 3, v47
	v_and_b32_e32 v27, 0xff, v27
	s_delay_alu instid0(VALU_DEP_2) | instskip(NEXT) | instid1(VALU_DEP_2)
	v_cmp_gt_u32_e64 s3, s19, v30
	v_cndmask_b32_e32 v27, v27, v25, vcc_lo
	v_cmp_gt_u32_e32 vcc_lo, s19, v28
	v_cndmask_b32_e32 v28, v29, v26, vcc_lo
	v_or_b32_e32 v29, 5, v47
	s_delay_alu instid0(VALU_DEP_2) | instskip(SKIP_1) | instid1(VALU_DEP_1)
	v_and_b32_e32 v28, 0xffff00ff, v28
	v_and_b32_e32 v27, 0xffff, v27
	v_cndmask_b32_e64 v27, v27, v25, s2
	s_delay_alu instid0(VALU_DEP_4) | instskip(SKIP_1) | instid1(VALU_DEP_3)
	v_cmp_gt_u32_e64 s2, s19, v29
	v_or_b32_e32 v29, 6, v47
	v_and_b32_e32 v27, 0xffffff, v27
	s_delay_alu instid0(VALU_DEP_3) | instskip(NEXT) | instid1(VALU_DEP_2)
	v_cndmask_b32_e64 v28, v28, v26, s2
	v_cndmask_b32_e64 v27, v27, v25, s3
	s_delay_alu instid0(VALU_DEP_1) | instskip(SKIP_2) | instid1(VALU_DEP_3)
	v_dual_cndmask_b32 v27, v27, v25 :: v_dual_and_b32 v28, 0xff00ffff, v28
	v_cmp_gt_u32_e32 vcc_lo, s19, v29
	v_or_b32_e32 v29, 7, v47
	v_cndmask_b32_e64 v27, v27, v25, s2
	s_delay_alu instid0(VALU_DEP_1) | instskip(NEXT) | instid1(VALU_DEP_1)
	v_dual_cndmask_b32 v28, v28, v26 :: v_dual_cndmask_b32 v27, v27, v25
	v_and_b32_e32 v28, 0xffffff, v28
	s_delay_alu instid0(VALU_DEP_4) | instskip(NEXT) | instid1(VALU_DEP_2)
	v_cmp_gt_u32_e32 vcc_lo, s19, v29
	v_dual_cndmask_b32 v26, v28, v26 :: v_dual_cndmask_b32 v25, v27, v25
.LBB731_63:
	s_delay_alu instid0(VALU_DEP_1) | instskip(SKIP_1) | instid1(VALU_DEP_2)
	v_and_b32_e32 v36, 0xff, v25
	s_waitcnt vmcnt(0) lgkmcnt(0)
	v_alignbit_b32 v27, v26, v25, 24
	v_bfe_u32 v38, v25, 8, 8
	v_bfe_u32 v40, v25, 16, 8
	v_and_b32_e32 v44, 0xff, v26
	v_bfe_u32 v46, v26, 8, 8
	v_and_b32_e32 v42, 0xff, v27
	v_add_nc_u32_e32 v27, v38, v36
	v_mbcnt_lo_u32_b32 v50, -1, 0
	v_bfe_u32 v49, v26, 16, 8
	v_lshrrev_b32_e32 v48, 24, v26
	v_lshrrev_b32_e32 v51, 5, v0
	v_add3_u32 v27, v27, v40, v42
	v_and_b32_e32 v28, 15, v50
	v_and_b32_e32 v29, 16, v50
	s_and_b32 vcc_lo, exec_lo, s9
	s_mov_b32 s19, -1
	v_add3_u32 v27, v27, v44, v46
	v_cmp_eq_u32_e64 s4, 0, v28
	v_cmp_lt_u32_e64 s2, 1, v28
	v_cmp_lt_u32_e64 s5, 3, v28
	;; [unrolled: 1-line block ×3, first 2 shown]
	v_add3_u32 v52, v27, v49, v48
	v_or_b32_e32 v27, 31, v0
	v_cmp_eq_u32_e64 s7, 0, v29
	s_barrier
	buffer_gl0_inv
	v_cmp_eq_u32_e64 s6, v27, v0
	s_cbranch_vccz .LBB731_89
; %bb.64:
	v_mov_b32_dpp v27, v52 row_shr:1 row_mask:0xf bank_mask:0xf
	s_delay_alu instid0(VALU_DEP_1) | instskip(NEXT) | instid1(VALU_DEP_1)
	v_cndmask_b32_e64 v27, v27, 0, s4
	v_add_nc_u32_e32 v27, v27, v52
	s_delay_alu instid0(VALU_DEP_1) | instskip(NEXT) | instid1(VALU_DEP_1)
	v_mov_b32_dpp v28, v27 row_shr:2 row_mask:0xf bank_mask:0xf
	v_cndmask_b32_e64 v28, 0, v28, s2
	s_delay_alu instid0(VALU_DEP_1) | instskip(NEXT) | instid1(VALU_DEP_1)
	v_add_nc_u32_e32 v27, v27, v28
	v_mov_b32_dpp v28, v27 row_shr:4 row_mask:0xf bank_mask:0xf
	s_delay_alu instid0(VALU_DEP_1) | instskip(NEXT) | instid1(VALU_DEP_1)
	v_cndmask_b32_e64 v28, 0, v28, s5
	v_add_nc_u32_e32 v27, v27, v28
	s_delay_alu instid0(VALU_DEP_1) | instskip(NEXT) | instid1(VALU_DEP_1)
	v_mov_b32_dpp v28, v27 row_shr:8 row_mask:0xf bank_mask:0xf
	v_cndmask_b32_e64 v28, 0, v28, s3
	s_delay_alu instid0(VALU_DEP_1) | instskip(SKIP_3) | instid1(VALU_DEP_1)
	v_add_nc_u32_e32 v27, v27, v28
	ds_swizzle_b32 v28, v27 offset:swizzle(BROADCAST,32,15)
	s_waitcnt lgkmcnt(0)
	v_cndmask_b32_e64 v28, v28, 0, s7
	v_add_nc_u32_e32 v27, v27, v28
	s_and_saveexec_b32 s8, s6
	s_cbranch_execz .LBB731_66
; %bb.65:
	v_lshlrev_b32_e32 v28, 2, v51
	ds_store_b32 v28, v27
.LBB731_66:
	s_or_b32 exec_lo, exec_lo, s8
	s_delay_alu instid0(SALU_CYCLE_1)
	s_mov_b32 s8, exec_lo
	s_waitcnt lgkmcnt(0)
	s_barrier
	buffer_gl0_inv
	v_cmpx_gt_u32_e32 16, v0
	s_cbranch_execz .LBB731_68
; %bb.67:
	v_lshlrev_b32_e32 v28, 2, v0
	ds_load_b32 v29, v28
	s_waitcnt lgkmcnt(0)
	v_mov_b32_dpp v30, v29 row_shr:1 row_mask:0xf bank_mask:0xf
	s_delay_alu instid0(VALU_DEP_1) | instskip(NEXT) | instid1(VALU_DEP_1)
	v_cndmask_b32_e64 v30, v30, 0, s4
	v_add_nc_u32_e32 v29, v30, v29
	s_delay_alu instid0(VALU_DEP_1) | instskip(NEXT) | instid1(VALU_DEP_1)
	v_mov_b32_dpp v30, v29 row_shr:2 row_mask:0xf bank_mask:0xf
	v_cndmask_b32_e64 v30, 0, v30, s2
	s_delay_alu instid0(VALU_DEP_1) | instskip(NEXT) | instid1(VALU_DEP_1)
	v_add_nc_u32_e32 v29, v29, v30
	v_mov_b32_dpp v30, v29 row_shr:4 row_mask:0xf bank_mask:0xf
	s_delay_alu instid0(VALU_DEP_1) | instskip(NEXT) | instid1(VALU_DEP_1)
	v_cndmask_b32_e64 v30, 0, v30, s5
	v_add_nc_u32_e32 v29, v29, v30
	s_delay_alu instid0(VALU_DEP_1) | instskip(NEXT) | instid1(VALU_DEP_1)
	v_mov_b32_dpp v30, v29 row_shr:8 row_mask:0xf bank_mask:0xf
	v_cndmask_b32_e64 v30, 0, v30, s3
	s_delay_alu instid0(VALU_DEP_1)
	v_add_nc_u32_e32 v29, v29, v30
	ds_store_b32 v28, v29
.LBB731_68:
	s_or_b32 exec_lo, exec_lo, s8
	v_cmp_gt_u32_e32 vcc_lo, 32, v0
	s_mov_b32 s9, exec_lo
	s_waitcnt lgkmcnt(0)
	s_barrier
	buffer_gl0_inv
                                        ; implicit-def: $vgpr35
	v_cmpx_lt_u32_e32 31, v0
	s_cbranch_execz .LBB731_70
; %bb.69:
	v_lshl_add_u32 v28, v51, 2, -4
	ds_load_b32 v35, v28
	s_waitcnt lgkmcnt(0)
	v_add_nc_u32_e32 v27, v35, v27
.LBB731_70:
	s_or_b32 exec_lo, exec_lo, s9
	v_add_nc_u32_e32 v28, -1, v50
	s_delay_alu instid0(VALU_DEP_1) | instskip(NEXT) | instid1(VALU_DEP_1)
	v_cmp_gt_i32_e64 s8, 0, v28
	v_cndmask_b32_e64 v28, v28, v50, s8
	v_cmp_eq_u32_e64 s8, 0, v50
	s_delay_alu instid0(VALU_DEP_2)
	v_lshlrev_b32_e32 v28, 2, v28
	ds_bpermute_b32 v37, v28, v27
	s_and_saveexec_b32 s9, vcc_lo
	s_cbranch_execz .LBB731_88
; %bb.71:
	v_mov_b32_e32 v31, 0
	ds_load_b32 v27, v31 offset:60
	s_and_saveexec_b32 s19, s8
	s_cbranch_execz .LBB731_73
; %bb.72:
	s_add_i32 s20, s15, 32
	s_mov_b32 s21, 0
	v_mov_b32_e32 v28, 1
	s_lshl_b64 s[20:21], s[20:21], 3
	s_delay_alu instid0(SALU_CYCLE_1)
	s_add_u32 s20, s12, s20
	s_addc_u32 s21, s13, s21
	s_waitcnt lgkmcnt(0)
	global_store_b64 v31, v[27:28], s[20:21]
.LBB731_73:
	s_or_b32 exec_lo, exec_lo, s19
	v_xad_u32 v29, v50, -1, s15
	s_mov_b32 s20, 0
	s_mov_b32 s19, exec_lo
	s_delay_alu instid0(VALU_DEP_1) | instskip(NEXT) | instid1(VALU_DEP_1)
	v_add_nc_u32_e32 v30, 32, v29
	v_lshlrev_b64 v[30:31], 3, v[30:31]
	s_delay_alu instid0(VALU_DEP_1) | instskip(NEXT) | instid1(VALU_DEP_2)
	v_add_co_u32 v33, vcc_lo, s12, v30
	v_add_co_ci_u32_e32 v34, vcc_lo, s13, v31, vcc_lo
	global_load_b64 v[31:32], v[33:34], off glc
	s_waitcnt vmcnt(0)
	v_and_b32_e32 v28, 0xff, v32
	s_delay_alu instid0(VALU_DEP_1)
	v_cmpx_eq_u16_e32 0, v28
	s_cbranch_execz .LBB731_76
.LBB731_74:                             ; =>This Inner Loop Header: Depth=1
	global_load_b64 v[31:32], v[33:34], off glc
	s_waitcnt vmcnt(0)
	v_and_b32_e32 v28, 0xff, v32
	s_delay_alu instid0(VALU_DEP_1) | instskip(SKIP_1) | instid1(SALU_CYCLE_1)
	v_cmp_ne_u16_e32 vcc_lo, 0, v28
	s_or_b32 s20, vcc_lo, s20
	s_and_not1_b32 exec_lo, exec_lo, s20
	s_cbranch_execnz .LBB731_74
; %bb.75:
	s_or_b32 exec_lo, exec_lo, s20
.LBB731_76:
	s_delay_alu instid0(SALU_CYCLE_1)
	s_or_b32 exec_lo, exec_lo, s19
	v_cmp_ne_u32_e32 vcc_lo, 31, v50
	v_lshlrev_b32_e64 v41, v50, -1
	v_add_nc_u32_e32 v45, 2, v50
	v_add_nc_u32_e32 v58, 16, v50
	v_add_co_ci_u32_e32 v28, vcc_lo, 0, v50, vcc_lo
	s_delay_alu instid0(VALU_DEP_1)
	v_lshlrev_b32_e32 v39, 2, v28
	v_and_b32_e32 v28, 0xff, v32
	ds_bpermute_b32 v30, v39, v31
	v_cmp_eq_u16_e32 vcc_lo, 2, v28
	v_and_or_b32 v28, vcc_lo, v41, 0x80000000
	v_cmp_gt_u32_e32 vcc_lo, 30, v50
	s_delay_alu instid0(VALU_DEP_2) | instskip(SKIP_1) | instid1(VALU_DEP_2)
	v_ctz_i32_b32_e32 v28, v28
	v_cndmask_b32_e64 v33, 0, 1, vcc_lo
	v_cmp_lt_u32_e32 vcc_lo, v50, v28
	s_waitcnt lgkmcnt(0)
	s_delay_alu instid0(VALU_DEP_2) | instskip(NEXT) | instid1(VALU_DEP_1)
	v_dual_cndmask_b32 v30, 0, v30 :: v_dual_lshlrev_b32 v33, 1, v33
	v_add_lshl_u32 v43, v33, v50, 2
	v_cmp_gt_u32_e32 vcc_lo, 28, v50
	s_delay_alu instid0(VALU_DEP_3) | instskip(SKIP_4) | instid1(VALU_DEP_1)
	v_add_nc_u32_e32 v30, v30, v31
	v_cndmask_b32_e64 v33, 0, 1, vcc_lo
	v_cmp_le_u32_e32 vcc_lo, v45, v28
	ds_bpermute_b32 v31, v43, v30
	v_lshlrev_b32_e32 v33, 2, v33
	v_add_lshl_u32 v53, v33, v50, 2
	s_waitcnt lgkmcnt(0)
	v_cndmask_b32_e32 v31, 0, v31, vcc_lo
	v_cmp_gt_u32_e32 vcc_lo, 24, v50
	s_delay_alu instid0(VALU_DEP_2) | instskip(SKIP_4) | instid1(VALU_DEP_2)
	v_add_nc_u32_e32 v30, v30, v31
	v_cndmask_b32_e64 v33, 0, 1, vcc_lo
	ds_bpermute_b32 v31, v53, v30
	v_add_nc_u32_e32 v54, 4, v50
	v_lshlrev_b32_e32 v33, 3, v33
	v_cmp_le_u32_e32 vcc_lo, v54, v28
	s_delay_alu instid0(VALU_DEP_2) | instskip(SKIP_3) | instid1(VALU_DEP_2)
	v_add_lshl_u32 v55, v33, v50, 2
	s_waitcnt lgkmcnt(0)
	v_cndmask_b32_e32 v31, 0, v31, vcc_lo
	v_cmp_gt_u32_e32 vcc_lo, 16, v50
	v_add_nc_u32_e32 v30, v30, v31
	v_cndmask_b32_e64 v33, 0, 1, vcc_lo
	ds_bpermute_b32 v31, v55, v30
	v_add_nc_u32_e32 v56, 8, v50
	v_lshlrev_b32_e32 v33, 4, v33
	s_delay_alu instid0(VALU_DEP_2) | instskip(NEXT) | instid1(VALU_DEP_2)
	v_cmp_le_u32_e32 vcc_lo, v56, v28
	v_add_lshl_u32 v57, v33, v50, 2
	s_waitcnt lgkmcnt(0)
	v_cndmask_b32_e32 v31, 0, v31, vcc_lo
	v_cmp_le_u32_e32 vcc_lo, v58, v28
	s_delay_alu instid0(VALU_DEP_2) | instskip(SKIP_3) | instid1(VALU_DEP_1)
	v_add_nc_u32_e32 v30, v30, v31
	ds_bpermute_b32 v31, v57, v30
	s_waitcnt lgkmcnt(0)
	v_cndmask_b32_e32 v28, 0, v31, vcc_lo
	v_dual_mov_b32 v30, 0 :: v_dual_add_nc_u32 v31, v30, v28
	s_branch .LBB731_78
.LBB731_77:                             ;   in Loop: Header=BB731_78 Depth=1
	s_or_b32 exec_lo, exec_lo, s19
	ds_bpermute_b32 v34, v39, v31
	v_and_b32_e32 v33, 0xff, v32
	v_subrev_nc_u32_e32 v29, 32, v29
	s_delay_alu instid0(VALU_DEP_2) | instskip(SKIP_1) | instid1(VALU_DEP_1)
	v_cmp_eq_u16_e32 vcc_lo, 2, v33
	v_and_or_b32 v33, vcc_lo, v41, 0x80000000
	v_ctz_i32_b32_e32 v33, v33
	s_delay_alu instid0(VALU_DEP_1) | instskip(SKIP_3) | instid1(VALU_DEP_2)
	v_cmp_lt_u32_e32 vcc_lo, v50, v33
	s_waitcnt lgkmcnt(0)
	v_cndmask_b32_e32 v34, 0, v34, vcc_lo
	v_cmp_le_u32_e32 vcc_lo, v45, v33
	v_add_nc_u32_e32 v31, v34, v31
	ds_bpermute_b32 v34, v43, v31
	s_waitcnt lgkmcnt(0)
	v_cndmask_b32_e32 v34, 0, v34, vcc_lo
	v_cmp_le_u32_e32 vcc_lo, v54, v33
	s_delay_alu instid0(VALU_DEP_2) | instskip(SKIP_4) | instid1(VALU_DEP_2)
	v_add_nc_u32_e32 v31, v31, v34
	ds_bpermute_b32 v34, v53, v31
	s_waitcnt lgkmcnt(0)
	v_cndmask_b32_e32 v34, 0, v34, vcc_lo
	v_cmp_le_u32_e32 vcc_lo, v56, v33
	v_add_nc_u32_e32 v31, v31, v34
	ds_bpermute_b32 v34, v55, v31
	s_waitcnt lgkmcnt(0)
	v_cndmask_b32_e32 v34, 0, v34, vcc_lo
	v_cmp_le_u32_e32 vcc_lo, v58, v33
	s_delay_alu instid0(VALU_DEP_2) | instskip(SKIP_3) | instid1(VALU_DEP_1)
	v_add_nc_u32_e32 v31, v31, v34
	ds_bpermute_b32 v34, v57, v31
	s_waitcnt lgkmcnt(0)
	v_cndmask_b32_e32 v33, 0, v34, vcc_lo
	v_add3_u32 v31, v33, v28, v31
.LBB731_78:                             ; =>This Loop Header: Depth=1
                                        ;     Child Loop BB731_81 Depth 2
	v_and_b32_e32 v28, 0xff, v32
	s_delay_alu instid0(VALU_DEP_1) | instskip(SKIP_2) | instid1(VALU_DEP_1)
	v_cmp_ne_u16_e32 vcc_lo, 2, v28
	v_cndmask_b32_e64 v28, 0, 1, vcc_lo
	;;#ASMSTART
	;;#ASMEND
	v_cmp_ne_u32_e32 vcc_lo, 0, v28
	v_mov_b32_e32 v28, v31
	s_cmp_lg_u32 vcc_lo, exec_lo
	s_cbranch_scc1 .LBB731_83
; %bb.79:                               ;   in Loop: Header=BB731_78 Depth=1
	v_lshlrev_b64 v[31:32], 3, v[29:30]
	s_mov_b32 s19, exec_lo
	s_delay_alu instid0(VALU_DEP_1) | instskip(NEXT) | instid1(VALU_DEP_2)
	v_add_co_u32 v33, vcc_lo, s12, v31
	v_add_co_ci_u32_e32 v34, vcc_lo, s13, v32, vcc_lo
	global_load_b64 v[31:32], v[33:34], off glc
	s_waitcnt vmcnt(0)
	v_and_b32_e32 v59, 0xff, v32
	s_delay_alu instid0(VALU_DEP_1)
	v_cmpx_eq_u16_e32 0, v59
	s_cbranch_execz .LBB731_77
; %bb.80:                               ;   in Loop: Header=BB731_78 Depth=1
	s_mov_b32 s20, 0
.LBB731_81:                             ;   Parent Loop BB731_78 Depth=1
                                        ; =>  This Inner Loop Header: Depth=2
	global_load_b64 v[31:32], v[33:34], off glc
	s_waitcnt vmcnt(0)
	v_and_b32_e32 v59, 0xff, v32
	s_delay_alu instid0(VALU_DEP_1) | instskip(SKIP_1) | instid1(SALU_CYCLE_1)
	v_cmp_ne_u16_e32 vcc_lo, 0, v59
	s_or_b32 s20, vcc_lo, s20
	s_and_not1_b32 exec_lo, exec_lo, s20
	s_cbranch_execnz .LBB731_81
; %bb.82:                               ;   in Loop: Header=BB731_78 Depth=1
	s_or_b32 exec_lo, exec_lo, s20
	s_branch .LBB731_77
.LBB731_83:                             ;   in Loop: Header=BB731_78 Depth=1
                                        ; implicit-def: $vgpr31
                                        ; implicit-def: $vgpr32
	s_cbranch_execz .LBB731_78
; %bb.84:
	s_and_saveexec_b32 s19, s8
	s_cbranch_execz .LBB731_86
; %bb.85:
	s_add_i32 s20, s15, 32
	s_mov_b32 s21, 0
	v_dual_mov_b32 v30, 2 :: v_dual_add_nc_u32 v29, v28, v27
	s_lshl_b64 s[20:21], s[20:21], 3
	v_mov_b32_e32 v31, 0
	s_add_u32 s20, s12, s20
	s_addc_u32 s21, s13, s21
	global_store_b64 v31, v[29:30], s[20:21]
	ds_store_b64 v31, v[27:28] offset:33792
.LBB731_86:
	s_or_b32 exec_lo, exec_lo, s19
	v_cmp_eq_u32_e32 vcc_lo, 0, v0
	s_and_b32 exec_lo, exec_lo, vcc_lo
	s_cbranch_execz .LBB731_88
; %bb.87:
	v_mov_b32_e32 v27, 0
	ds_store_b32 v27, v28 offset:60
.LBB731_88:
	s_or_b32 exec_lo, exec_lo, s9
	v_mov_b32_e32 v27, 0
	s_waitcnt lgkmcnt(0)
	s_waitcnt_vscnt null, 0x0
	s_barrier
	buffer_gl0_inv
	v_cndmask_b32_e64 v29, v37, v35, s8
	ds_load_b32 v28, v27 offset:60
	v_cmp_ne_u32_e32 vcc_lo, 0, v0
	s_waitcnt lgkmcnt(0)
	s_barrier
	buffer_gl0_inv
	v_cndmask_b32_e32 v29, 0, v29, vcc_lo
	s_delay_alu instid0(VALU_DEP_1) | instskip(SKIP_2) | instid1(VALU_DEP_1)
	v_add_nc_u32_e32 v45, v28, v29
	ds_load_b64 v[27:28], v27 offset:33792
	v_add_nc_u32_e32 v43, v45, v36
	v_add_nc_u32_e32 v41, v43, v38
	s_delay_alu instid0(VALU_DEP_1) | instskip(NEXT) | instid1(VALU_DEP_1)
	v_add_nc_u32_e32 v39, v41, v40
	v_add_nc_u32_e32 v37, v39, v42
	s_delay_alu instid0(VALU_DEP_1) | instskip(NEXT) | instid1(VALU_DEP_1)
	v_add_nc_u32_e32 v35, v37, v44
	v_add_nc_u32_e32 v33, v35, v46
	s_delay_alu instid0(VALU_DEP_1)
	v_add_nc_u32_e32 v31, v33, v49
	s_load_b64 s[8:9], s[0:1], 0x28
	v_lshrrev_b64 v[29:30], 24, v[25:26]
	s_branch .LBB731_99
.LBB731_89:
                                        ; implicit-def: $vgpr31
                                        ; implicit-def: $vgpr33
                                        ; implicit-def: $vgpr35
                                        ; implicit-def: $vgpr37
                                        ; implicit-def: $vgpr39
                                        ; implicit-def: $vgpr41
                                        ; implicit-def: $vgpr43
                                        ; implicit-def: $vgpr45
                                        ; implicit-def: $vgpr28
	s_load_b64 s[8:9], s[0:1], 0x28
	v_lshrrev_b64 v[29:30], 24, v[25:26]
	s_and_b32 vcc_lo, exec_lo, s19
	s_cbranch_vccz .LBB731_99
; %bb.90:
	s_waitcnt lgkmcnt(0)
	v_mov_b32_dpp v27, v52 row_shr:1 row_mask:0xf bank_mask:0xf
	s_delay_alu instid0(VALU_DEP_1) | instskip(NEXT) | instid1(VALU_DEP_1)
	v_cndmask_b32_e64 v27, v27, 0, s4
	v_add_nc_u32_e32 v27, v27, v52
	s_delay_alu instid0(VALU_DEP_1) | instskip(NEXT) | instid1(VALU_DEP_1)
	v_mov_b32_dpp v28, v27 row_shr:2 row_mask:0xf bank_mask:0xf
	v_cndmask_b32_e64 v28, 0, v28, s2
	s_delay_alu instid0(VALU_DEP_1) | instskip(NEXT) | instid1(VALU_DEP_1)
	v_add_nc_u32_e32 v27, v27, v28
	v_mov_b32_dpp v28, v27 row_shr:4 row_mask:0xf bank_mask:0xf
	s_delay_alu instid0(VALU_DEP_1) | instskip(NEXT) | instid1(VALU_DEP_1)
	v_cndmask_b32_e64 v28, 0, v28, s5
	v_add_nc_u32_e32 v27, v27, v28
	s_delay_alu instid0(VALU_DEP_1) | instskip(NEXT) | instid1(VALU_DEP_1)
	v_mov_b32_dpp v28, v27 row_shr:8 row_mask:0xf bank_mask:0xf
	v_cndmask_b32_e64 v28, 0, v28, s3
	s_delay_alu instid0(VALU_DEP_1) | instskip(SKIP_3) | instid1(VALU_DEP_1)
	v_add_nc_u32_e32 v27, v27, v28
	ds_swizzle_b32 v28, v27 offset:swizzle(BROADCAST,32,15)
	s_waitcnt lgkmcnt(0)
	v_cndmask_b32_e64 v28, v28, 0, s7
	v_add_nc_u32_e32 v27, v27, v28
	s_and_saveexec_b32 s0, s6
	s_cbranch_execz .LBB731_92
; %bb.91:
	v_lshlrev_b32_e32 v28, 2, v51
	ds_store_b32 v28, v27
.LBB731_92:
	s_or_b32 exec_lo, exec_lo, s0
	s_delay_alu instid0(SALU_CYCLE_1)
	s_mov_b32 s0, exec_lo
	s_waitcnt lgkmcnt(0)
	s_barrier
	buffer_gl0_inv
	v_cmpx_gt_u32_e32 16, v0
	s_cbranch_execz .LBB731_94
; %bb.93:
	v_lshlrev_b32_e32 v28, 2, v0
	ds_load_b32 v30, v28
	s_waitcnt lgkmcnt(0)
	v_mov_b32_dpp v31, v30 row_shr:1 row_mask:0xf bank_mask:0xf
	s_delay_alu instid0(VALU_DEP_1) | instskip(NEXT) | instid1(VALU_DEP_1)
	v_cndmask_b32_e64 v31, v31, 0, s4
	v_add_nc_u32_e32 v30, v31, v30
	s_delay_alu instid0(VALU_DEP_1) | instskip(NEXT) | instid1(VALU_DEP_1)
	v_mov_b32_dpp v31, v30 row_shr:2 row_mask:0xf bank_mask:0xf
	v_cndmask_b32_e64 v31, 0, v31, s2
	s_delay_alu instid0(VALU_DEP_1) | instskip(NEXT) | instid1(VALU_DEP_1)
	v_add_nc_u32_e32 v30, v30, v31
	v_mov_b32_dpp v31, v30 row_shr:4 row_mask:0xf bank_mask:0xf
	s_delay_alu instid0(VALU_DEP_1) | instskip(NEXT) | instid1(VALU_DEP_1)
	v_cndmask_b32_e64 v31, 0, v31, s5
	v_add_nc_u32_e32 v30, v30, v31
	s_delay_alu instid0(VALU_DEP_1) | instskip(NEXT) | instid1(VALU_DEP_1)
	v_mov_b32_dpp v31, v30 row_shr:8 row_mask:0xf bank_mask:0xf
	v_cndmask_b32_e64 v31, 0, v31, s3
	s_delay_alu instid0(VALU_DEP_1)
	v_add_nc_u32_e32 v30, v30, v31
	ds_store_b32 v28, v30
.LBB731_94:
	s_or_b32 exec_lo, exec_lo, s0
	v_mov_b32_e32 v28, 0
	v_mov_b32_e32 v30, 0
	s_mov_b32 s0, exec_lo
	s_waitcnt lgkmcnt(0)
	s_barrier
	buffer_gl0_inv
	v_cmpx_lt_u32_e32 31, v0
	s_cbranch_execz .LBB731_96
; %bb.95:
	v_lshl_add_u32 v30, v51, 2, -4
	ds_load_b32 v30, v30
.LBB731_96:
	s_or_b32 exec_lo, exec_lo, s0
	v_add_nc_u32_e32 v31, -1, v50
	s_waitcnt lgkmcnt(0)
	v_add_nc_u32_e32 v27, v30, v27
	s_delay_alu instid0(VALU_DEP_2) | instskip(SKIP_2) | instid1(VALU_DEP_2)
	v_cmp_gt_i32_e32 vcc_lo, 0, v31
	v_cndmask_b32_e32 v31, v31, v50, vcc_lo
	v_cmp_eq_u32_e32 vcc_lo, 0, v0
	v_lshlrev_b32_e32 v31, 2, v31
	ds_bpermute_b32 v31, v31, v27
	ds_load_b32 v27, v28 offset:60
	s_and_saveexec_b32 s0, vcc_lo
	s_cbranch_execz .LBB731_98
; %bb.97:
	v_mov_b32_e32 v32, 0
	v_mov_b32_e32 v28, 2
	s_waitcnt lgkmcnt(0)
	global_store_b64 v32, v[27:28], s[12:13] offset:256
.LBB731_98:
	s_or_b32 exec_lo, exec_lo, s0
	v_cmp_eq_u32_e64 s0, 0, v50
	s_waitcnt lgkmcnt(0)
	s_waitcnt_vscnt null, 0x0
	s_barrier
	buffer_gl0_inv
	v_cndmask_b32_e64 v28, v31, v30, s0
	s_delay_alu instid0(VALU_DEP_1) | instskip(NEXT) | instid1(VALU_DEP_1)
	v_cndmask_b32_e64 v45, v28, 0, vcc_lo
	v_dual_mov_b32 v28, 0 :: v_dual_add_nc_u32 v43, v45, v36
	s_delay_alu instid0(VALU_DEP_1) | instskip(NEXT) | instid1(VALU_DEP_1)
	v_add_nc_u32_e32 v41, v43, v38
	v_add_nc_u32_e32 v39, v41, v40
	s_delay_alu instid0(VALU_DEP_1) | instskip(NEXT) | instid1(VALU_DEP_1)
	v_add_nc_u32_e32 v37, v39, v42
	v_add_nc_u32_e32 v35, v37, v44
	;; [unrolled: 3-line block ×3, first 2 shown]
.LBB731_99:
	s_waitcnt lgkmcnt(0)
	v_cmp_gt_u32_e32 vcc_lo, 0x201, v27
	v_lshrrev_b32_e32 v51, 8, v25
	v_lshrrev_b32_e32 v50, 16, v25
	v_lshrrev_b32_e32 v49, 8, v26
	v_lshrrev_b32_e32 v30, 16, v26
	v_cmp_lt_u32_e64 s0, 0x200, v27
	s_mov_b32 s1, -1
	s_cbranch_vccz .LBB731_125
; %bb.100:
	v_add_nc_u32_e32 v32, v28, v27
	s_lshl_b64 s[2:3], s[10:11], 3
	s_delay_alu instid0(SALU_CYCLE_1) | instskip(SKIP_1) | instid1(VALU_DEP_1)
	s_add_u32 s1, s8, s2
	s_addc_u32 s2, s9, s3
	v_cmp_lt_u32_e32 vcc_lo, v45, v32
	s_or_b32 s4, s18, vcc_lo
	s_delay_alu instid0(SALU_CYCLE_1)
	s_and_saveexec_b32 s3, s4
	s_cbranch_execz .LBB731_103
; %bb.101:
	v_and_b32_e32 v34, 1, v25
	s_delay_alu instid0(VALU_DEP_1)
	v_cmp_eq_u32_e32 vcc_lo, 1, v34
	s_and_b32 exec_lo, exec_lo, vcc_lo
	s_cbranch_execz .LBB731_103
; %bb.102:
	v_mov_b32_e32 v46, 0
	s_delay_alu instid0(VALU_DEP_1) | instskip(NEXT) | instid1(VALU_DEP_1)
	v_lshlrev_b64 v[52:53], 3, v[45:46]
	v_add_co_u32 v52, vcc_lo, s1, v52
	s_delay_alu instid0(VALU_DEP_2)
	v_add_co_ci_u32_e32 v53, vcc_lo, s2, v53, vcc_lo
	global_store_b64 v[52:53], v[13:14], off
.LBB731_103:
	s_or_b32 exec_lo, exec_lo, s3
	v_cmp_lt_u32_e32 vcc_lo, v43, v32
	s_or_b32 s4, s18, vcc_lo
	s_delay_alu instid0(SALU_CYCLE_1)
	s_and_saveexec_b32 s3, s4
	s_cbranch_execz .LBB731_106
; %bb.104:
	v_and_b32_e32 v34, 1, v51
	s_delay_alu instid0(VALU_DEP_1)
	v_cmp_eq_u32_e32 vcc_lo, 1, v34
	s_and_b32 exec_lo, exec_lo, vcc_lo
	s_cbranch_execz .LBB731_106
; %bb.105:
	v_mov_b32_e32 v44, 0
	s_delay_alu instid0(VALU_DEP_1) | instskip(NEXT) | instid1(VALU_DEP_1)
	v_lshlrev_b64 v[52:53], 3, v[43:44]
	v_add_co_u32 v52, vcc_lo, s1, v52
	s_delay_alu instid0(VALU_DEP_2)
	v_add_co_ci_u32_e32 v53, vcc_lo, s2, v53, vcc_lo
	global_store_b64 v[52:53], v[15:16], off
.LBB731_106:
	s_or_b32 exec_lo, exec_lo, s3
	;; [unrolled: 21-line block ×8, first 2 shown]
	s_mov_b32 s1, 0
.LBB731_125:
	v_and_b32_e32 v25, 1, v25
	s_and_b32 vcc_lo, exec_lo, s1
	s_delay_alu instid0(VALU_DEP_1)
	v_cmp_eq_u32_e64 s1, 1, v25
	s_cbranch_vccz .LBB731_146
; %bb.126:
	s_delay_alu instid0(VALU_DEP_1)
	s_and_saveexec_b32 s2, s1
	s_cbranch_execz .LBB731_128
; %bb.127:
	v_sub_nc_u32_e32 v32, v45, v28
	s_delay_alu instid0(VALU_DEP_1)
	v_lshlrev_b32_e32 v32, 3, v32
	ds_store_b64 v32, v[13:14]
.LBB731_128:
	s_or_b32 exec_lo, exec_lo, s2
	v_and_b32_e32 v13, 1, v51
	s_mov_b32 s1, exec_lo
	s_delay_alu instid0(VALU_DEP_1)
	v_cmpx_eq_u32_e32 1, v13
	s_cbranch_execz .LBB731_130
; %bb.129:
	v_sub_nc_u32_e32 v13, v43, v28
	s_delay_alu instid0(VALU_DEP_1)
	v_lshlrev_b32_e32 v13, 3, v13
	ds_store_b64 v13, v[15:16]
.LBB731_130:
	s_or_b32 exec_lo, exec_lo, s1
	v_and_b32_e32 v13, 1, v50
	s_mov_b32 s1, exec_lo
	s_delay_alu instid0(VALU_DEP_1)
	v_cmpx_eq_u32_e32 1, v13
	;; [unrolled: 12-line block ×7, first 2 shown]
	s_cbranch_execz .LBB731_142
; %bb.141:
	v_sub_nc_u32_e32 v1, v31, v28
	s_delay_alu instid0(VALU_DEP_1)
	v_lshlrev_b32_e32 v1, 3, v1
	ds_store_b64 v1, v[3:4]
.LBB731_142:
	s_or_b32 exec_lo, exec_lo, s1
	s_delay_alu instid0(SALU_CYCLE_1)
	s_mov_b32 s2, exec_lo
	s_waitcnt lgkmcnt(0)
	s_waitcnt_vscnt null, 0x0
	s_barrier
	buffer_gl0_inv
	v_cmpx_lt_u32_e64 v0, v27
	s_cbranch_execz .LBB731_145
; %bb.143:
	v_dual_mov_b32 v2, 0 :: v_dual_mov_b32 v1, v28
	s_lshl_b64 s[4:5], s[10:11], 3
	v_mov_b32_e32 v3, v0
	s_mov_b32 s3, 0
	s_delay_alu instid0(VALU_DEP_2) | instskip(NEXT) | instid1(VALU_DEP_1)
	v_lshlrev_b64 v[1:2], 3, v[1:2]
	v_add_co_u32 v1, vcc_lo, s4, v1
	s_delay_alu instid0(VALU_DEP_2) | instskip(NEXT) | instid1(VALU_DEP_2)
	v_add_co_ci_u32_e32 v2, vcc_lo, s5, v2, vcc_lo
	v_add_co_u32 v1, vcc_lo, s8, v1
	s_delay_alu instid0(VALU_DEP_2) | instskip(NEXT) | instid1(VALU_DEP_2)
	v_add_co_ci_u32_e32 v2, vcc_lo, s9, v2, vcc_lo
	v_add_co_u32 v1, vcc_lo, v1, v47
	s_delay_alu instid0(VALU_DEP_2)
	v_add_co_ci_u32_e32 v2, vcc_lo, 0, v2, vcc_lo
	.p2align	6
.LBB731_144:                            ; =>This Inner Loop Header: Depth=1
	ds_load_b64 v[4:5], v47
	v_add_nc_u32_e32 v3, 0x200, v3
	v_add_nc_u32_e32 v47, 0x1000, v47
	s_delay_alu instid0(VALU_DEP_2) | instskip(SKIP_4) | instid1(VALU_DEP_1)
	v_cmp_ge_u32_e32 vcc_lo, v3, v27
	s_or_b32 s3, vcc_lo, s3
	s_waitcnt lgkmcnt(0)
	global_store_b64 v[1:2], v[4:5], off
	v_add_co_u32 v1, s1, 0x1000, v1
	v_add_co_ci_u32_e64 v2, s1, 0, v2, s1
	s_and_not1_b32 exec_lo, exec_lo, s3
	s_cbranch_execnz .LBB731_144
.LBB731_145:
	s_or_b32 exec_lo, exec_lo, s2
.LBB731_146:
	s_delay_alu instid0(SALU_CYCLE_1)
	s_and_not1_b32 vcc_lo, exec_lo, s0
	s_waitcnt_vscnt null, 0x0
	s_barrier
	buffer_gl0_inv
	s_cbranch_vccnz .LBB731_165
; %bb.147:
	s_mov_b32 s0, exec_lo
	v_cmpx_eq_u32_e32 1, v25
	s_cbranch_execz .LBB731_149
; %bb.148:
	v_sub_nc_u32_e32 v1, v45, v28
	s_delay_alu instid0(VALU_DEP_1)
	v_lshlrev_b32_e32 v1, 2, v1
	ds_store_b32 v1, v23
.LBB731_149:
	s_or_b32 exec_lo, exec_lo, s0
	v_and_b32_e32 v1, 1, v51
	s_mov_b32 s0, exec_lo
	s_delay_alu instid0(VALU_DEP_1)
	v_cmpx_eq_u32_e32 1, v1
	s_cbranch_execz .LBB731_151
; %bb.150:
	v_sub_nc_u32_e32 v1, v43, v28
	s_delay_alu instid0(VALU_DEP_1)
	v_lshlrev_b32_e32 v1, 2, v1
	ds_store_b32 v1, v24
.LBB731_151:
	s_or_b32 exec_lo, exec_lo, s0
	v_and_b32_e32 v1, 1, v50
	s_mov_b32 s0, exec_lo
	s_delay_alu instid0(VALU_DEP_1)
	;; [unrolled: 12-line block ×7, first 2 shown]
	v_cmpx_eq_u32_e32 1, v1
	s_cbranch_execz .LBB731_163
; %bb.162:
	v_sub_nc_u32_e32 v1, v31, v28
	s_delay_alu instid0(VALU_DEP_1)
	v_lshlrev_b32_e32 v1, 2, v1
	ds_store_b32 v1, v18
.LBB731_163:
	s_or_b32 exec_lo, exec_lo, s0
	s_waitcnt lgkmcnt(0)
	s_barrier
	buffer_gl0_inv
	v_cmp_eq_u32_e32 vcc_lo, 0, v0
	s_and_b32 s0, vcc_lo, s14
	s_delay_alu instid0(SALU_CYCLE_1)
	s_and_saveexec_b32 s1, s0
	s_cbranch_execnz .LBB731_166
.LBB731_164:
	s_endpgm
.LBB731_165:
	v_cmp_eq_u32_e32 vcc_lo, 0, v0
	s_and_b32 s0, vcc_lo, s14
	s_delay_alu instid0(SALU_CYCLE_1)
	s_and_saveexec_b32 s1, s0
	s_cbranch_execz .LBB731_164
.LBB731_166:
	v_add_co_u32 v0, s0, s10, v27
	s_delay_alu instid0(VALU_DEP_1) | instskip(SKIP_1) | instid1(VALU_DEP_3)
	v_add_co_ci_u32_e64 v1, null, s11, 0, s0
	v_mov_b32_e32 v2, 0
	v_add_co_u32 v0, vcc_lo, v0, v28
	s_delay_alu instid0(VALU_DEP_3)
	v_add_co_ci_u32_e32 v1, vcc_lo, 0, v1, vcc_lo
	global_store_b64 v2, v[0:1], s[16:17]
	s_nop 0
	s_sendmsg sendmsg(MSG_DEALLOC_VGPRS)
	s_endpgm
	.section	.rodata,"a",@progbits
	.p2align	6, 0x0
	.amdhsa_kernel _ZN7rocprim17ROCPRIM_400000_NS6detail17trampoline_kernelINS0_14default_configENS1_25partition_config_selectorILNS1_17partition_subalgoE9EyjbEEZZNS1_14partition_implILS5_9ELb0ES3_jN6thrust23THRUST_200600_302600_NS6detail15normal_iteratorINS9_10device_ptrIyEEEENSB_INSC_IjEEEEPNS0_10empty_typeENS0_5tupleIJSE_SH_EEENSJ_IJNS9_16discard_iteratorINS9_11use_defaultEEESI_EEENS0_18inequality_wrapperINS9_8equal_toIyEEEEPmJSH_EEE10hipError_tPvRmT3_T4_T5_T6_T7_T9_mT8_P12ihipStream_tbDpT10_ENKUlT_T0_E_clISt17integral_constantIbLb0EES1D_EEDaS18_S19_EUlS18_E_NS1_11comp_targetILNS1_3genE9ELNS1_11target_archE1100ELNS1_3gpuE3ELNS1_3repE0EEENS1_30default_config_static_selectorELNS0_4arch9wavefront6targetE0EEEvT1_
		.amdhsa_group_segment_fixed_size 33800
		.amdhsa_private_segment_fixed_size 0
		.amdhsa_kernarg_size 120
		.amdhsa_user_sgpr_count 15
		.amdhsa_user_sgpr_dispatch_ptr 0
		.amdhsa_user_sgpr_queue_ptr 0
		.amdhsa_user_sgpr_kernarg_segment_ptr 1
		.amdhsa_user_sgpr_dispatch_id 0
		.amdhsa_user_sgpr_private_segment_size 0
		.amdhsa_wavefront_size32 1
		.amdhsa_uses_dynamic_stack 0
		.amdhsa_enable_private_segment 0
		.amdhsa_system_sgpr_workgroup_id_x 1
		.amdhsa_system_sgpr_workgroup_id_y 0
		.amdhsa_system_sgpr_workgroup_id_z 0
		.amdhsa_system_sgpr_workgroup_info 0
		.amdhsa_system_vgpr_workitem_id 0
		.amdhsa_next_free_vgpr 60
		.amdhsa_next_free_sgpr 24
		.amdhsa_reserve_vcc 1
		.amdhsa_float_round_mode_32 0
		.amdhsa_float_round_mode_16_64 0
		.amdhsa_float_denorm_mode_32 3
		.amdhsa_float_denorm_mode_16_64 3
		.amdhsa_dx10_clamp 1
		.amdhsa_ieee_mode 1
		.amdhsa_fp16_overflow 0
		.amdhsa_workgroup_processor_mode 1
		.amdhsa_memory_ordered 1
		.amdhsa_forward_progress 0
		.amdhsa_shared_vgpr_count 0
		.amdhsa_exception_fp_ieee_invalid_op 0
		.amdhsa_exception_fp_denorm_src 0
		.amdhsa_exception_fp_ieee_div_zero 0
		.amdhsa_exception_fp_ieee_overflow 0
		.amdhsa_exception_fp_ieee_underflow 0
		.amdhsa_exception_fp_ieee_inexact 0
		.amdhsa_exception_int_div_zero 0
	.end_amdhsa_kernel
	.section	.text._ZN7rocprim17ROCPRIM_400000_NS6detail17trampoline_kernelINS0_14default_configENS1_25partition_config_selectorILNS1_17partition_subalgoE9EyjbEEZZNS1_14partition_implILS5_9ELb0ES3_jN6thrust23THRUST_200600_302600_NS6detail15normal_iteratorINS9_10device_ptrIyEEEENSB_INSC_IjEEEEPNS0_10empty_typeENS0_5tupleIJSE_SH_EEENSJ_IJNS9_16discard_iteratorINS9_11use_defaultEEESI_EEENS0_18inequality_wrapperINS9_8equal_toIyEEEEPmJSH_EEE10hipError_tPvRmT3_T4_T5_T6_T7_T9_mT8_P12ihipStream_tbDpT10_ENKUlT_T0_E_clISt17integral_constantIbLb0EES1D_EEDaS18_S19_EUlS18_E_NS1_11comp_targetILNS1_3genE9ELNS1_11target_archE1100ELNS1_3gpuE3ELNS1_3repE0EEENS1_30default_config_static_selectorELNS0_4arch9wavefront6targetE0EEEvT1_,"axG",@progbits,_ZN7rocprim17ROCPRIM_400000_NS6detail17trampoline_kernelINS0_14default_configENS1_25partition_config_selectorILNS1_17partition_subalgoE9EyjbEEZZNS1_14partition_implILS5_9ELb0ES3_jN6thrust23THRUST_200600_302600_NS6detail15normal_iteratorINS9_10device_ptrIyEEEENSB_INSC_IjEEEEPNS0_10empty_typeENS0_5tupleIJSE_SH_EEENSJ_IJNS9_16discard_iteratorINS9_11use_defaultEEESI_EEENS0_18inequality_wrapperINS9_8equal_toIyEEEEPmJSH_EEE10hipError_tPvRmT3_T4_T5_T6_T7_T9_mT8_P12ihipStream_tbDpT10_ENKUlT_T0_E_clISt17integral_constantIbLb0EES1D_EEDaS18_S19_EUlS18_E_NS1_11comp_targetILNS1_3genE9ELNS1_11target_archE1100ELNS1_3gpuE3ELNS1_3repE0EEENS1_30default_config_static_selectorELNS0_4arch9wavefront6targetE0EEEvT1_,comdat
.Lfunc_end731:
	.size	_ZN7rocprim17ROCPRIM_400000_NS6detail17trampoline_kernelINS0_14default_configENS1_25partition_config_selectorILNS1_17partition_subalgoE9EyjbEEZZNS1_14partition_implILS5_9ELb0ES3_jN6thrust23THRUST_200600_302600_NS6detail15normal_iteratorINS9_10device_ptrIyEEEENSB_INSC_IjEEEEPNS0_10empty_typeENS0_5tupleIJSE_SH_EEENSJ_IJNS9_16discard_iteratorINS9_11use_defaultEEESI_EEENS0_18inequality_wrapperINS9_8equal_toIyEEEEPmJSH_EEE10hipError_tPvRmT3_T4_T5_T6_T7_T9_mT8_P12ihipStream_tbDpT10_ENKUlT_T0_E_clISt17integral_constantIbLb0EES1D_EEDaS18_S19_EUlS18_E_NS1_11comp_targetILNS1_3genE9ELNS1_11target_archE1100ELNS1_3gpuE3ELNS1_3repE0EEENS1_30default_config_static_selectorELNS0_4arch9wavefront6targetE0EEEvT1_, .Lfunc_end731-_ZN7rocprim17ROCPRIM_400000_NS6detail17trampoline_kernelINS0_14default_configENS1_25partition_config_selectorILNS1_17partition_subalgoE9EyjbEEZZNS1_14partition_implILS5_9ELb0ES3_jN6thrust23THRUST_200600_302600_NS6detail15normal_iteratorINS9_10device_ptrIyEEEENSB_INSC_IjEEEEPNS0_10empty_typeENS0_5tupleIJSE_SH_EEENSJ_IJNS9_16discard_iteratorINS9_11use_defaultEEESI_EEENS0_18inequality_wrapperINS9_8equal_toIyEEEEPmJSH_EEE10hipError_tPvRmT3_T4_T5_T6_T7_T9_mT8_P12ihipStream_tbDpT10_ENKUlT_T0_E_clISt17integral_constantIbLb0EES1D_EEDaS18_S19_EUlS18_E_NS1_11comp_targetILNS1_3genE9ELNS1_11target_archE1100ELNS1_3gpuE3ELNS1_3repE0EEENS1_30default_config_static_selectorELNS0_4arch9wavefront6targetE0EEEvT1_
                                        ; -- End function
	.section	.AMDGPU.csdata,"",@progbits
; Kernel info:
; codeLenInByte = 8472
; NumSgprs: 26
; NumVgprs: 60
; ScratchSize: 0
; MemoryBound: 0
; FloatMode: 240
; IeeeMode: 1
; LDSByteSize: 33800 bytes/workgroup (compile time only)
; SGPRBlocks: 3
; VGPRBlocks: 7
; NumSGPRsForWavesPerEU: 26
; NumVGPRsForWavesPerEU: 60
; Occupancy: 12
; WaveLimiterHint : 1
; COMPUTE_PGM_RSRC2:SCRATCH_EN: 0
; COMPUTE_PGM_RSRC2:USER_SGPR: 15
; COMPUTE_PGM_RSRC2:TRAP_HANDLER: 0
; COMPUTE_PGM_RSRC2:TGID_X_EN: 1
; COMPUTE_PGM_RSRC2:TGID_Y_EN: 0
; COMPUTE_PGM_RSRC2:TGID_Z_EN: 0
; COMPUTE_PGM_RSRC2:TIDIG_COMP_CNT: 0
	.section	.text._ZN7rocprim17ROCPRIM_400000_NS6detail17trampoline_kernelINS0_14default_configENS1_25partition_config_selectorILNS1_17partition_subalgoE9EyjbEEZZNS1_14partition_implILS5_9ELb0ES3_jN6thrust23THRUST_200600_302600_NS6detail15normal_iteratorINS9_10device_ptrIyEEEENSB_INSC_IjEEEEPNS0_10empty_typeENS0_5tupleIJSE_SH_EEENSJ_IJNS9_16discard_iteratorINS9_11use_defaultEEESI_EEENS0_18inequality_wrapperINS9_8equal_toIyEEEEPmJSH_EEE10hipError_tPvRmT3_T4_T5_T6_T7_T9_mT8_P12ihipStream_tbDpT10_ENKUlT_T0_E_clISt17integral_constantIbLb0EES1D_EEDaS18_S19_EUlS18_E_NS1_11comp_targetILNS1_3genE8ELNS1_11target_archE1030ELNS1_3gpuE2ELNS1_3repE0EEENS1_30default_config_static_selectorELNS0_4arch9wavefront6targetE0EEEvT1_,"axG",@progbits,_ZN7rocprim17ROCPRIM_400000_NS6detail17trampoline_kernelINS0_14default_configENS1_25partition_config_selectorILNS1_17partition_subalgoE9EyjbEEZZNS1_14partition_implILS5_9ELb0ES3_jN6thrust23THRUST_200600_302600_NS6detail15normal_iteratorINS9_10device_ptrIyEEEENSB_INSC_IjEEEEPNS0_10empty_typeENS0_5tupleIJSE_SH_EEENSJ_IJNS9_16discard_iteratorINS9_11use_defaultEEESI_EEENS0_18inequality_wrapperINS9_8equal_toIyEEEEPmJSH_EEE10hipError_tPvRmT3_T4_T5_T6_T7_T9_mT8_P12ihipStream_tbDpT10_ENKUlT_T0_E_clISt17integral_constantIbLb0EES1D_EEDaS18_S19_EUlS18_E_NS1_11comp_targetILNS1_3genE8ELNS1_11target_archE1030ELNS1_3gpuE2ELNS1_3repE0EEENS1_30default_config_static_selectorELNS0_4arch9wavefront6targetE0EEEvT1_,comdat
	.protected	_ZN7rocprim17ROCPRIM_400000_NS6detail17trampoline_kernelINS0_14default_configENS1_25partition_config_selectorILNS1_17partition_subalgoE9EyjbEEZZNS1_14partition_implILS5_9ELb0ES3_jN6thrust23THRUST_200600_302600_NS6detail15normal_iteratorINS9_10device_ptrIyEEEENSB_INSC_IjEEEEPNS0_10empty_typeENS0_5tupleIJSE_SH_EEENSJ_IJNS9_16discard_iteratorINS9_11use_defaultEEESI_EEENS0_18inequality_wrapperINS9_8equal_toIyEEEEPmJSH_EEE10hipError_tPvRmT3_T4_T5_T6_T7_T9_mT8_P12ihipStream_tbDpT10_ENKUlT_T0_E_clISt17integral_constantIbLb0EES1D_EEDaS18_S19_EUlS18_E_NS1_11comp_targetILNS1_3genE8ELNS1_11target_archE1030ELNS1_3gpuE2ELNS1_3repE0EEENS1_30default_config_static_selectorELNS0_4arch9wavefront6targetE0EEEvT1_ ; -- Begin function _ZN7rocprim17ROCPRIM_400000_NS6detail17trampoline_kernelINS0_14default_configENS1_25partition_config_selectorILNS1_17partition_subalgoE9EyjbEEZZNS1_14partition_implILS5_9ELb0ES3_jN6thrust23THRUST_200600_302600_NS6detail15normal_iteratorINS9_10device_ptrIyEEEENSB_INSC_IjEEEEPNS0_10empty_typeENS0_5tupleIJSE_SH_EEENSJ_IJNS9_16discard_iteratorINS9_11use_defaultEEESI_EEENS0_18inequality_wrapperINS9_8equal_toIyEEEEPmJSH_EEE10hipError_tPvRmT3_T4_T5_T6_T7_T9_mT8_P12ihipStream_tbDpT10_ENKUlT_T0_E_clISt17integral_constantIbLb0EES1D_EEDaS18_S19_EUlS18_E_NS1_11comp_targetILNS1_3genE8ELNS1_11target_archE1030ELNS1_3gpuE2ELNS1_3repE0EEENS1_30default_config_static_selectorELNS0_4arch9wavefront6targetE0EEEvT1_
	.globl	_ZN7rocprim17ROCPRIM_400000_NS6detail17trampoline_kernelINS0_14default_configENS1_25partition_config_selectorILNS1_17partition_subalgoE9EyjbEEZZNS1_14partition_implILS5_9ELb0ES3_jN6thrust23THRUST_200600_302600_NS6detail15normal_iteratorINS9_10device_ptrIyEEEENSB_INSC_IjEEEEPNS0_10empty_typeENS0_5tupleIJSE_SH_EEENSJ_IJNS9_16discard_iteratorINS9_11use_defaultEEESI_EEENS0_18inequality_wrapperINS9_8equal_toIyEEEEPmJSH_EEE10hipError_tPvRmT3_T4_T5_T6_T7_T9_mT8_P12ihipStream_tbDpT10_ENKUlT_T0_E_clISt17integral_constantIbLb0EES1D_EEDaS18_S19_EUlS18_E_NS1_11comp_targetILNS1_3genE8ELNS1_11target_archE1030ELNS1_3gpuE2ELNS1_3repE0EEENS1_30default_config_static_selectorELNS0_4arch9wavefront6targetE0EEEvT1_
	.p2align	8
	.type	_ZN7rocprim17ROCPRIM_400000_NS6detail17trampoline_kernelINS0_14default_configENS1_25partition_config_selectorILNS1_17partition_subalgoE9EyjbEEZZNS1_14partition_implILS5_9ELb0ES3_jN6thrust23THRUST_200600_302600_NS6detail15normal_iteratorINS9_10device_ptrIyEEEENSB_INSC_IjEEEEPNS0_10empty_typeENS0_5tupleIJSE_SH_EEENSJ_IJNS9_16discard_iteratorINS9_11use_defaultEEESI_EEENS0_18inequality_wrapperINS9_8equal_toIyEEEEPmJSH_EEE10hipError_tPvRmT3_T4_T5_T6_T7_T9_mT8_P12ihipStream_tbDpT10_ENKUlT_T0_E_clISt17integral_constantIbLb0EES1D_EEDaS18_S19_EUlS18_E_NS1_11comp_targetILNS1_3genE8ELNS1_11target_archE1030ELNS1_3gpuE2ELNS1_3repE0EEENS1_30default_config_static_selectorELNS0_4arch9wavefront6targetE0EEEvT1_,@function
_ZN7rocprim17ROCPRIM_400000_NS6detail17trampoline_kernelINS0_14default_configENS1_25partition_config_selectorILNS1_17partition_subalgoE9EyjbEEZZNS1_14partition_implILS5_9ELb0ES3_jN6thrust23THRUST_200600_302600_NS6detail15normal_iteratorINS9_10device_ptrIyEEEENSB_INSC_IjEEEEPNS0_10empty_typeENS0_5tupleIJSE_SH_EEENSJ_IJNS9_16discard_iteratorINS9_11use_defaultEEESI_EEENS0_18inequality_wrapperINS9_8equal_toIyEEEEPmJSH_EEE10hipError_tPvRmT3_T4_T5_T6_T7_T9_mT8_P12ihipStream_tbDpT10_ENKUlT_T0_E_clISt17integral_constantIbLb0EES1D_EEDaS18_S19_EUlS18_E_NS1_11comp_targetILNS1_3genE8ELNS1_11target_archE1030ELNS1_3gpuE2ELNS1_3repE0EEENS1_30default_config_static_selectorELNS0_4arch9wavefront6targetE0EEEvT1_: ; @_ZN7rocprim17ROCPRIM_400000_NS6detail17trampoline_kernelINS0_14default_configENS1_25partition_config_selectorILNS1_17partition_subalgoE9EyjbEEZZNS1_14partition_implILS5_9ELb0ES3_jN6thrust23THRUST_200600_302600_NS6detail15normal_iteratorINS9_10device_ptrIyEEEENSB_INSC_IjEEEEPNS0_10empty_typeENS0_5tupleIJSE_SH_EEENSJ_IJNS9_16discard_iteratorINS9_11use_defaultEEESI_EEENS0_18inequality_wrapperINS9_8equal_toIyEEEEPmJSH_EEE10hipError_tPvRmT3_T4_T5_T6_T7_T9_mT8_P12ihipStream_tbDpT10_ENKUlT_T0_E_clISt17integral_constantIbLb0EES1D_EEDaS18_S19_EUlS18_E_NS1_11comp_targetILNS1_3genE8ELNS1_11target_archE1030ELNS1_3gpuE2ELNS1_3repE0EEENS1_30default_config_static_selectorELNS0_4arch9wavefront6targetE0EEEvT1_
; %bb.0:
	.section	.rodata,"a",@progbits
	.p2align	6, 0x0
	.amdhsa_kernel _ZN7rocprim17ROCPRIM_400000_NS6detail17trampoline_kernelINS0_14default_configENS1_25partition_config_selectorILNS1_17partition_subalgoE9EyjbEEZZNS1_14partition_implILS5_9ELb0ES3_jN6thrust23THRUST_200600_302600_NS6detail15normal_iteratorINS9_10device_ptrIyEEEENSB_INSC_IjEEEEPNS0_10empty_typeENS0_5tupleIJSE_SH_EEENSJ_IJNS9_16discard_iteratorINS9_11use_defaultEEESI_EEENS0_18inequality_wrapperINS9_8equal_toIyEEEEPmJSH_EEE10hipError_tPvRmT3_T4_T5_T6_T7_T9_mT8_P12ihipStream_tbDpT10_ENKUlT_T0_E_clISt17integral_constantIbLb0EES1D_EEDaS18_S19_EUlS18_E_NS1_11comp_targetILNS1_3genE8ELNS1_11target_archE1030ELNS1_3gpuE2ELNS1_3repE0EEENS1_30default_config_static_selectorELNS0_4arch9wavefront6targetE0EEEvT1_
		.amdhsa_group_segment_fixed_size 0
		.amdhsa_private_segment_fixed_size 0
		.amdhsa_kernarg_size 120
		.amdhsa_user_sgpr_count 15
		.amdhsa_user_sgpr_dispatch_ptr 0
		.amdhsa_user_sgpr_queue_ptr 0
		.amdhsa_user_sgpr_kernarg_segment_ptr 1
		.amdhsa_user_sgpr_dispatch_id 0
		.amdhsa_user_sgpr_private_segment_size 0
		.amdhsa_wavefront_size32 1
		.amdhsa_uses_dynamic_stack 0
		.amdhsa_enable_private_segment 0
		.amdhsa_system_sgpr_workgroup_id_x 1
		.amdhsa_system_sgpr_workgroup_id_y 0
		.amdhsa_system_sgpr_workgroup_id_z 0
		.amdhsa_system_sgpr_workgroup_info 0
		.amdhsa_system_vgpr_workitem_id 0
		.amdhsa_next_free_vgpr 1
		.amdhsa_next_free_sgpr 1
		.amdhsa_reserve_vcc 0
		.amdhsa_float_round_mode_32 0
		.amdhsa_float_round_mode_16_64 0
		.amdhsa_float_denorm_mode_32 3
		.amdhsa_float_denorm_mode_16_64 3
		.amdhsa_dx10_clamp 1
		.amdhsa_ieee_mode 1
		.amdhsa_fp16_overflow 0
		.amdhsa_workgroup_processor_mode 1
		.amdhsa_memory_ordered 1
		.amdhsa_forward_progress 0
		.amdhsa_shared_vgpr_count 0
		.amdhsa_exception_fp_ieee_invalid_op 0
		.amdhsa_exception_fp_denorm_src 0
		.amdhsa_exception_fp_ieee_div_zero 0
		.amdhsa_exception_fp_ieee_overflow 0
		.amdhsa_exception_fp_ieee_underflow 0
		.amdhsa_exception_fp_ieee_inexact 0
		.amdhsa_exception_int_div_zero 0
	.end_amdhsa_kernel
	.section	.text._ZN7rocprim17ROCPRIM_400000_NS6detail17trampoline_kernelINS0_14default_configENS1_25partition_config_selectorILNS1_17partition_subalgoE9EyjbEEZZNS1_14partition_implILS5_9ELb0ES3_jN6thrust23THRUST_200600_302600_NS6detail15normal_iteratorINS9_10device_ptrIyEEEENSB_INSC_IjEEEEPNS0_10empty_typeENS0_5tupleIJSE_SH_EEENSJ_IJNS9_16discard_iteratorINS9_11use_defaultEEESI_EEENS0_18inequality_wrapperINS9_8equal_toIyEEEEPmJSH_EEE10hipError_tPvRmT3_T4_T5_T6_T7_T9_mT8_P12ihipStream_tbDpT10_ENKUlT_T0_E_clISt17integral_constantIbLb0EES1D_EEDaS18_S19_EUlS18_E_NS1_11comp_targetILNS1_3genE8ELNS1_11target_archE1030ELNS1_3gpuE2ELNS1_3repE0EEENS1_30default_config_static_selectorELNS0_4arch9wavefront6targetE0EEEvT1_,"axG",@progbits,_ZN7rocprim17ROCPRIM_400000_NS6detail17trampoline_kernelINS0_14default_configENS1_25partition_config_selectorILNS1_17partition_subalgoE9EyjbEEZZNS1_14partition_implILS5_9ELb0ES3_jN6thrust23THRUST_200600_302600_NS6detail15normal_iteratorINS9_10device_ptrIyEEEENSB_INSC_IjEEEEPNS0_10empty_typeENS0_5tupleIJSE_SH_EEENSJ_IJNS9_16discard_iteratorINS9_11use_defaultEEESI_EEENS0_18inequality_wrapperINS9_8equal_toIyEEEEPmJSH_EEE10hipError_tPvRmT3_T4_T5_T6_T7_T9_mT8_P12ihipStream_tbDpT10_ENKUlT_T0_E_clISt17integral_constantIbLb0EES1D_EEDaS18_S19_EUlS18_E_NS1_11comp_targetILNS1_3genE8ELNS1_11target_archE1030ELNS1_3gpuE2ELNS1_3repE0EEENS1_30default_config_static_selectorELNS0_4arch9wavefront6targetE0EEEvT1_,comdat
.Lfunc_end732:
	.size	_ZN7rocprim17ROCPRIM_400000_NS6detail17trampoline_kernelINS0_14default_configENS1_25partition_config_selectorILNS1_17partition_subalgoE9EyjbEEZZNS1_14partition_implILS5_9ELb0ES3_jN6thrust23THRUST_200600_302600_NS6detail15normal_iteratorINS9_10device_ptrIyEEEENSB_INSC_IjEEEEPNS0_10empty_typeENS0_5tupleIJSE_SH_EEENSJ_IJNS9_16discard_iteratorINS9_11use_defaultEEESI_EEENS0_18inequality_wrapperINS9_8equal_toIyEEEEPmJSH_EEE10hipError_tPvRmT3_T4_T5_T6_T7_T9_mT8_P12ihipStream_tbDpT10_ENKUlT_T0_E_clISt17integral_constantIbLb0EES1D_EEDaS18_S19_EUlS18_E_NS1_11comp_targetILNS1_3genE8ELNS1_11target_archE1030ELNS1_3gpuE2ELNS1_3repE0EEENS1_30default_config_static_selectorELNS0_4arch9wavefront6targetE0EEEvT1_, .Lfunc_end732-_ZN7rocprim17ROCPRIM_400000_NS6detail17trampoline_kernelINS0_14default_configENS1_25partition_config_selectorILNS1_17partition_subalgoE9EyjbEEZZNS1_14partition_implILS5_9ELb0ES3_jN6thrust23THRUST_200600_302600_NS6detail15normal_iteratorINS9_10device_ptrIyEEEENSB_INSC_IjEEEEPNS0_10empty_typeENS0_5tupleIJSE_SH_EEENSJ_IJNS9_16discard_iteratorINS9_11use_defaultEEESI_EEENS0_18inequality_wrapperINS9_8equal_toIyEEEEPmJSH_EEE10hipError_tPvRmT3_T4_T5_T6_T7_T9_mT8_P12ihipStream_tbDpT10_ENKUlT_T0_E_clISt17integral_constantIbLb0EES1D_EEDaS18_S19_EUlS18_E_NS1_11comp_targetILNS1_3genE8ELNS1_11target_archE1030ELNS1_3gpuE2ELNS1_3repE0EEENS1_30default_config_static_selectorELNS0_4arch9wavefront6targetE0EEEvT1_
                                        ; -- End function
	.section	.AMDGPU.csdata,"",@progbits
; Kernel info:
; codeLenInByte = 0
; NumSgprs: 0
; NumVgprs: 0
; ScratchSize: 0
; MemoryBound: 0
; FloatMode: 240
; IeeeMode: 1
; LDSByteSize: 0 bytes/workgroup (compile time only)
; SGPRBlocks: 0
; VGPRBlocks: 0
; NumSGPRsForWavesPerEU: 1
; NumVGPRsForWavesPerEU: 1
; Occupancy: 16
; WaveLimiterHint : 0
; COMPUTE_PGM_RSRC2:SCRATCH_EN: 0
; COMPUTE_PGM_RSRC2:USER_SGPR: 15
; COMPUTE_PGM_RSRC2:TRAP_HANDLER: 0
; COMPUTE_PGM_RSRC2:TGID_X_EN: 1
; COMPUTE_PGM_RSRC2:TGID_Y_EN: 0
; COMPUTE_PGM_RSRC2:TGID_Z_EN: 0
; COMPUTE_PGM_RSRC2:TIDIG_COMP_CNT: 0
	.section	.text._ZN7rocprim17ROCPRIM_400000_NS6detail17trampoline_kernelINS0_14default_configENS1_25partition_config_selectorILNS1_17partition_subalgoE9EyjbEEZZNS1_14partition_implILS5_9ELb0ES3_jN6thrust23THRUST_200600_302600_NS6detail15normal_iteratorINS9_10device_ptrIyEEEENSB_INSC_IjEEEEPNS0_10empty_typeENS0_5tupleIJSE_SH_EEENSJ_IJNS9_16discard_iteratorINS9_11use_defaultEEESI_EEENS0_18inequality_wrapperINS9_8equal_toIyEEEEPmJSH_EEE10hipError_tPvRmT3_T4_T5_T6_T7_T9_mT8_P12ihipStream_tbDpT10_ENKUlT_T0_E_clISt17integral_constantIbLb1EES1D_EEDaS18_S19_EUlS18_E_NS1_11comp_targetILNS1_3genE0ELNS1_11target_archE4294967295ELNS1_3gpuE0ELNS1_3repE0EEENS1_30default_config_static_selectorELNS0_4arch9wavefront6targetE0EEEvT1_,"axG",@progbits,_ZN7rocprim17ROCPRIM_400000_NS6detail17trampoline_kernelINS0_14default_configENS1_25partition_config_selectorILNS1_17partition_subalgoE9EyjbEEZZNS1_14partition_implILS5_9ELb0ES3_jN6thrust23THRUST_200600_302600_NS6detail15normal_iteratorINS9_10device_ptrIyEEEENSB_INSC_IjEEEEPNS0_10empty_typeENS0_5tupleIJSE_SH_EEENSJ_IJNS9_16discard_iteratorINS9_11use_defaultEEESI_EEENS0_18inequality_wrapperINS9_8equal_toIyEEEEPmJSH_EEE10hipError_tPvRmT3_T4_T5_T6_T7_T9_mT8_P12ihipStream_tbDpT10_ENKUlT_T0_E_clISt17integral_constantIbLb1EES1D_EEDaS18_S19_EUlS18_E_NS1_11comp_targetILNS1_3genE0ELNS1_11target_archE4294967295ELNS1_3gpuE0ELNS1_3repE0EEENS1_30default_config_static_selectorELNS0_4arch9wavefront6targetE0EEEvT1_,comdat
	.protected	_ZN7rocprim17ROCPRIM_400000_NS6detail17trampoline_kernelINS0_14default_configENS1_25partition_config_selectorILNS1_17partition_subalgoE9EyjbEEZZNS1_14partition_implILS5_9ELb0ES3_jN6thrust23THRUST_200600_302600_NS6detail15normal_iteratorINS9_10device_ptrIyEEEENSB_INSC_IjEEEEPNS0_10empty_typeENS0_5tupleIJSE_SH_EEENSJ_IJNS9_16discard_iteratorINS9_11use_defaultEEESI_EEENS0_18inequality_wrapperINS9_8equal_toIyEEEEPmJSH_EEE10hipError_tPvRmT3_T4_T5_T6_T7_T9_mT8_P12ihipStream_tbDpT10_ENKUlT_T0_E_clISt17integral_constantIbLb1EES1D_EEDaS18_S19_EUlS18_E_NS1_11comp_targetILNS1_3genE0ELNS1_11target_archE4294967295ELNS1_3gpuE0ELNS1_3repE0EEENS1_30default_config_static_selectorELNS0_4arch9wavefront6targetE0EEEvT1_ ; -- Begin function _ZN7rocprim17ROCPRIM_400000_NS6detail17trampoline_kernelINS0_14default_configENS1_25partition_config_selectorILNS1_17partition_subalgoE9EyjbEEZZNS1_14partition_implILS5_9ELb0ES3_jN6thrust23THRUST_200600_302600_NS6detail15normal_iteratorINS9_10device_ptrIyEEEENSB_INSC_IjEEEEPNS0_10empty_typeENS0_5tupleIJSE_SH_EEENSJ_IJNS9_16discard_iteratorINS9_11use_defaultEEESI_EEENS0_18inequality_wrapperINS9_8equal_toIyEEEEPmJSH_EEE10hipError_tPvRmT3_T4_T5_T6_T7_T9_mT8_P12ihipStream_tbDpT10_ENKUlT_T0_E_clISt17integral_constantIbLb1EES1D_EEDaS18_S19_EUlS18_E_NS1_11comp_targetILNS1_3genE0ELNS1_11target_archE4294967295ELNS1_3gpuE0ELNS1_3repE0EEENS1_30default_config_static_selectorELNS0_4arch9wavefront6targetE0EEEvT1_
	.globl	_ZN7rocprim17ROCPRIM_400000_NS6detail17trampoline_kernelINS0_14default_configENS1_25partition_config_selectorILNS1_17partition_subalgoE9EyjbEEZZNS1_14partition_implILS5_9ELb0ES3_jN6thrust23THRUST_200600_302600_NS6detail15normal_iteratorINS9_10device_ptrIyEEEENSB_INSC_IjEEEEPNS0_10empty_typeENS0_5tupleIJSE_SH_EEENSJ_IJNS9_16discard_iteratorINS9_11use_defaultEEESI_EEENS0_18inequality_wrapperINS9_8equal_toIyEEEEPmJSH_EEE10hipError_tPvRmT3_T4_T5_T6_T7_T9_mT8_P12ihipStream_tbDpT10_ENKUlT_T0_E_clISt17integral_constantIbLb1EES1D_EEDaS18_S19_EUlS18_E_NS1_11comp_targetILNS1_3genE0ELNS1_11target_archE4294967295ELNS1_3gpuE0ELNS1_3repE0EEENS1_30default_config_static_selectorELNS0_4arch9wavefront6targetE0EEEvT1_
	.p2align	8
	.type	_ZN7rocprim17ROCPRIM_400000_NS6detail17trampoline_kernelINS0_14default_configENS1_25partition_config_selectorILNS1_17partition_subalgoE9EyjbEEZZNS1_14partition_implILS5_9ELb0ES3_jN6thrust23THRUST_200600_302600_NS6detail15normal_iteratorINS9_10device_ptrIyEEEENSB_INSC_IjEEEEPNS0_10empty_typeENS0_5tupleIJSE_SH_EEENSJ_IJNS9_16discard_iteratorINS9_11use_defaultEEESI_EEENS0_18inequality_wrapperINS9_8equal_toIyEEEEPmJSH_EEE10hipError_tPvRmT3_T4_T5_T6_T7_T9_mT8_P12ihipStream_tbDpT10_ENKUlT_T0_E_clISt17integral_constantIbLb1EES1D_EEDaS18_S19_EUlS18_E_NS1_11comp_targetILNS1_3genE0ELNS1_11target_archE4294967295ELNS1_3gpuE0ELNS1_3repE0EEENS1_30default_config_static_selectorELNS0_4arch9wavefront6targetE0EEEvT1_,@function
_ZN7rocprim17ROCPRIM_400000_NS6detail17trampoline_kernelINS0_14default_configENS1_25partition_config_selectorILNS1_17partition_subalgoE9EyjbEEZZNS1_14partition_implILS5_9ELb0ES3_jN6thrust23THRUST_200600_302600_NS6detail15normal_iteratorINS9_10device_ptrIyEEEENSB_INSC_IjEEEEPNS0_10empty_typeENS0_5tupleIJSE_SH_EEENSJ_IJNS9_16discard_iteratorINS9_11use_defaultEEESI_EEENS0_18inequality_wrapperINS9_8equal_toIyEEEEPmJSH_EEE10hipError_tPvRmT3_T4_T5_T6_T7_T9_mT8_P12ihipStream_tbDpT10_ENKUlT_T0_E_clISt17integral_constantIbLb1EES1D_EEDaS18_S19_EUlS18_E_NS1_11comp_targetILNS1_3genE0ELNS1_11target_archE4294967295ELNS1_3gpuE0ELNS1_3repE0EEENS1_30default_config_static_selectorELNS0_4arch9wavefront6targetE0EEEvT1_: ; @_ZN7rocprim17ROCPRIM_400000_NS6detail17trampoline_kernelINS0_14default_configENS1_25partition_config_selectorILNS1_17partition_subalgoE9EyjbEEZZNS1_14partition_implILS5_9ELb0ES3_jN6thrust23THRUST_200600_302600_NS6detail15normal_iteratorINS9_10device_ptrIyEEEENSB_INSC_IjEEEEPNS0_10empty_typeENS0_5tupleIJSE_SH_EEENSJ_IJNS9_16discard_iteratorINS9_11use_defaultEEESI_EEENS0_18inequality_wrapperINS9_8equal_toIyEEEEPmJSH_EEE10hipError_tPvRmT3_T4_T5_T6_T7_T9_mT8_P12ihipStream_tbDpT10_ENKUlT_T0_E_clISt17integral_constantIbLb1EES1D_EEDaS18_S19_EUlS18_E_NS1_11comp_targetILNS1_3genE0ELNS1_11target_archE4294967295ELNS1_3gpuE0ELNS1_3repE0EEENS1_30default_config_static_selectorELNS0_4arch9wavefront6targetE0EEEvT1_
; %bb.0:
	.section	.rodata,"a",@progbits
	.p2align	6, 0x0
	.amdhsa_kernel _ZN7rocprim17ROCPRIM_400000_NS6detail17trampoline_kernelINS0_14default_configENS1_25partition_config_selectorILNS1_17partition_subalgoE9EyjbEEZZNS1_14partition_implILS5_9ELb0ES3_jN6thrust23THRUST_200600_302600_NS6detail15normal_iteratorINS9_10device_ptrIyEEEENSB_INSC_IjEEEEPNS0_10empty_typeENS0_5tupleIJSE_SH_EEENSJ_IJNS9_16discard_iteratorINS9_11use_defaultEEESI_EEENS0_18inequality_wrapperINS9_8equal_toIyEEEEPmJSH_EEE10hipError_tPvRmT3_T4_T5_T6_T7_T9_mT8_P12ihipStream_tbDpT10_ENKUlT_T0_E_clISt17integral_constantIbLb1EES1D_EEDaS18_S19_EUlS18_E_NS1_11comp_targetILNS1_3genE0ELNS1_11target_archE4294967295ELNS1_3gpuE0ELNS1_3repE0EEENS1_30default_config_static_selectorELNS0_4arch9wavefront6targetE0EEEvT1_
		.amdhsa_group_segment_fixed_size 0
		.amdhsa_private_segment_fixed_size 0
		.amdhsa_kernarg_size 136
		.amdhsa_user_sgpr_count 15
		.amdhsa_user_sgpr_dispatch_ptr 0
		.amdhsa_user_sgpr_queue_ptr 0
		.amdhsa_user_sgpr_kernarg_segment_ptr 1
		.amdhsa_user_sgpr_dispatch_id 0
		.amdhsa_user_sgpr_private_segment_size 0
		.amdhsa_wavefront_size32 1
		.amdhsa_uses_dynamic_stack 0
		.amdhsa_enable_private_segment 0
		.amdhsa_system_sgpr_workgroup_id_x 1
		.amdhsa_system_sgpr_workgroup_id_y 0
		.amdhsa_system_sgpr_workgroup_id_z 0
		.amdhsa_system_sgpr_workgroup_info 0
		.amdhsa_system_vgpr_workitem_id 0
		.amdhsa_next_free_vgpr 1
		.amdhsa_next_free_sgpr 1
		.amdhsa_reserve_vcc 0
		.amdhsa_float_round_mode_32 0
		.amdhsa_float_round_mode_16_64 0
		.amdhsa_float_denorm_mode_32 3
		.amdhsa_float_denorm_mode_16_64 3
		.amdhsa_dx10_clamp 1
		.amdhsa_ieee_mode 1
		.amdhsa_fp16_overflow 0
		.amdhsa_workgroup_processor_mode 1
		.amdhsa_memory_ordered 1
		.amdhsa_forward_progress 0
		.amdhsa_shared_vgpr_count 0
		.amdhsa_exception_fp_ieee_invalid_op 0
		.amdhsa_exception_fp_denorm_src 0
		.amdhsa_exception_fp_ieee_div_zero 0
		.amdhsa_exception_fp_ieee_overflow 0
		.amdhsa_exception_fp_ieee_underflow 0
		.amdhsa_exception_fp_ieee_inexact 0
		.amdhsa_exception_int_div_zero 0
	.end_amdhsa_kernel
	.section	.text._ZN7rocprim17ROCPRIM_400000_NS6detail17trampoline_kernelINS0_14default_configENS1_25partition_config_selectorILNS1_17partition_subalgoE9EyjbEEZZNS1_14partition_implILS5_9ELb0ES3_jN6thrust23THRUST_200600_302600_NS6detail15normal_iteratorINS9_10device_ptrIyEEEENSB_INSC_IjEEEEPNS0_10empty_typeENS0_5tupleIJSE_SH_EEENSJ_IJNS9_16discard_iteratorINS9_11use_defaultEEESI_EEENS0_18inequality_wrapperINS9_8equal_toIyEEEEPmJSH_EEE10hipError_tPvRmT3_T4_T5_T6_T7_T9_mT8_P12ihipStream_tbDpT10_ENKUlT_T0_E_clISt17integral_constantIbLb1EES1D_EEDaS18_S19_EUlS18_E_NS1_11comp_targetILNS1_3genE0ELNS1_11target_archE4294967295ELNS1_3gpuE0ELNS1_3repE0EEENS1_30default_config_static_selectorELNS0_4arch9wavefront6targetE0EEEvT1_,"axG",@progbits,_ZN7rocprim17ROCPRIM_400000_NS6detail17trampoline_kernelINS0_14default_configENS1_25partition_config_selectorILNS1_17partition_subalgoE9EyjbEEZZNS1_14partition_implILS5_9ELb0ES3_jN6thrust23THRUST_200600_302600_NS6detail15normal_iteratorINS9_10device_ptrIyEEEENSB_INSC_IjEEEEPNS0_10empty_typeENS0_5tupleIJSE_SH_EEENSJ_IJNS9_16discard_iteratorINS9_11use_defaultEEESI_EEENS0_18inequality_wrapperINS9_8equal_toIyEEEEPmJSH_EEE10hipError_tPvRmT3_T4_T5_T6_T7_T9_mT8_P12ihipStream_tbDpT10_ENKUlT_T0_E_clISt17integral_constantIbLb1EES1D_EEDaS18_S19_EUlS18_E_NS1_11comp_targetILNS1_3genE0ELNS1_11target_archE4294967295ELNS1_3gpuE0ELNS1_3repE0EEENS1_30default_config_static_selectorELNS0_4arch9wavefront6targetE0EEEvT1_,comdat
.Lfunc_end733:
	.size	_ZN7rocprim17ROCPRIM_400000_NS6detail17trampoline_kernelINS0_14default_configENS1_25partition_config_selectorILNS1_17partition_subalgoE9EyjbEEZZNS1_14partition_implILS5_9ELb0ES3_jN6thrust23THRUST_200600_302600_NS6detail15normal_iteratorINS9_10device_ptrIyEEEENSB_INSC_IjEEEEPNS0_10empty_typeENS0_5tupleIJSE_SH_EEENSJ_IJNS9_16discard_iteratorINS9_11use_defaultEEESI_EEENS0_18inequality_wrapperINS9_8equal_toIyEEEEPmJSH_EEE10hipError_tPvRmT3_T4_T5_T6_T7_T9_mT8_P12ihipStream_tbDpT10_ENKUlT_T0_E_clISt17integral_constantIbLb1EES1D_EEDaS18_S19_EUlS18_E_NS1_11comp_targetILNS1_3genE0ELNS1_11target_archE4294967295ELNS1_3gpuE0ELNS1_3repE0EEENS1_30default_config_static_selectorELNS0_4arch9wavefront6targetE0EEEvT1_, .Lfunc_end733-_ZN7rocprim17ROCPRIM_400000_NS6detail17trampoline_kernelINS0_14default_configENS1_25partition_config_selectorILNS1_17partition_subalgoE9EyjbEEZZNS1_14partition_implILS5_9ELb0ES3_jN6thrust23THRUST_200600_302600_NS6detail15normal_iteratorINS9_10device_ptrIyEEEENSB_INSC_IjEEEEPNS0_10empty_typeENS0_5tupleIJSE_SH_EEENSJ_IJNS9_16discard_iteratorINS9_11use_defaultEEESI_EEENS0_18inequality_wrapperINS9_8equal_toIyEEEEPmJSH_EEE10hipError_tPvRmT3_T4_T5_T6_T7_T9_mT8_P12ihipStream_tbDpT10_ENKUlT_T0_E_clISt17integral_constantIbLb1EES1D_EEDaS18_S19_EUlS18_E_NS1_11comp_targetILNS1_3genE0ELNS1_11target_archE4294967295ELNS1_3gpuE0ELNS1_3repE0EEENS1_30default_config_static_selectorELNS0_4arch9wavefront6targetE0EEEvT1_
                                        ; -- End function
	.section	.AMDGPU.csdata,"",@progbits
; Kernel info:
; codeLenInByte = 0
; NumSgprs: 0
; NumVgprs: 0
; ScratchSize: 0
; MemoryBound: 0
; FloatMode: 240
; IeeeMode: 1
; LDSByteSize: 0 bytes/workgroup (compile time only)
; SGPRBlocks: 0
; VGPRBlocks: 0
; NumSGPRsForWavesPerEU: 1
; NumVGPRsForWavesPerEU: 1
; Occupancy: 16
; WaveLimiterHint : 0
; COMPUTE_PGM_RSRC2:SCRATCH_EN: 0
; COMPUTE_PGM_RSRC2:USER_SGPR: 15
; COMPUTE_PGM_RSRC2:TRAP_HANDLER: 0
; COMPUTE_PGM_RSRC2:TGID_X_EN: 1
; COMPUTE_PGM_RSRC2:TGID_Y_EN: 0
; COMPUTE_PGM_RSRC2:TGID_Z_EN: 0
; COMPUTE_PGM_RSRC2:TIDIG_COMP_CNT: 0
	.section	.text._ZN7rocprim17ROCPRIM_400000_NS6detail17trampoline_kernelINS0_14default_configENS1_25partition_config_selectorILNS1_17partition_subalgoE9EyjbEEZZNS1_14partition_implILS5_9ELb0ES3_jN6thrust23THRUST_200600_302600_NS6detail15normal_iteratorINS9_10device_ptrIyEEEENSB_INSC_IjEEEEPNS0_10empty_typeENS0_5tupleIJSE_SH_EEENSJ_IJNS9_16discard_iteratorINS9_11use_defaultEEESI_EEENS0_18inequality_wrapperINS9_8equal_toIyEEEEPmJSH_EEE10hipError_tPvRmT3_T4_T5_T6_T7_T9_mT8_P12ihipStream_tbDpT10_ENKUlT_T0_E_clISt17integral_constantIbLb1EES1D_EEDaS18_S19_EUlS18_E_NS1_11comp_targetILNS1_3genE5ELNS1_11target_archE942ELNS1_3gpuE9ELNS1_3repE0EEENS1_30default_config_static_selectorELNS0_4arch9wavefront6targetE0EEEvT1_,"axG",@progbits,_ZN7rocprim17ROCPRIM_400000_NS6detail17trampoline_kernelINS0_14default_configENS1_25partition_config_selectorILNS1_17partition_subalgoE9EyjbEEZZNS1_14partition_implILS5_9ELb0ES3_jN6thrust23THRUST_200600_302600_NS6detail15normal_iteratorINS9_10device_ptrIyEEEENSB_INSC_IjEEEEPNS0_10empty_typeENS0_5tupleIJSE_SH_EEENSJ_IJNS9_16discard_iteratorINS9_11use_defaultEEESI_EEENS0_18inequality_wrapperINS9_8equal_toIyEEEEPmJSH_EEE10hipError_tPvRmT3_T4_T5_T6_T7_T9_mT8_P12ihipStream_tbDpT10_ENKUlT_T0_E_clISt17integral_constantIbLb1EES1D_EEDaS18_S19_EUlS18_E_NS1_11comp_targetILNS1_3genE5ELNS1_11target_archE942ELNS1_3gpuE9ELNS1_3repE0EEENS1_30default_config_static_selectorELNS0_4arch9wavefront6targetE0EEEvT1_,comdat
	.protected	_ZN7rocprim17ROCPRIM_400000_NS6detail17trampoline_kernelINS0_14default_configENS1_25partition_config_selectorILNS1_17partition_subalgoE9EyjbEEZZNS1_14partition_implILS5_9ELb0ES3_jN6thrust23THRUST_200600_302600_NS6detail15normal_iteratorINS9_10device_ptrIyEEEENSB_INSC_IjEEEEPNS0_10empty_typeENS0_5tupleIJSE_SH_EEENSJ_IJNS9_16discard_iteratorINS9_11use_defaultEEESI_EEENS0_18inequality_wrapperINS9_8equal_toIyEEEEPmJSH_EEE10hipError_tPvRmT3_T4_T5_T6_T7_T9_mT8_P12ihipStream_tbDpT10_ENKUlT_T0_E_clISt17integral_constantIbLb1EES1D_EEDaS18_S19_EUlS18_E_NS1_11comp_targetILNS1_3genE5ELNS1_11target_archE942ELNS1_3gpuE9ELNS1_3repE0EEENS1_30default_config_static_selectorELNS0_4arch9wavefront6targetE0EEEvT1_ ; -- Begin function _ZN7rocprim17ROCPRIM_400000_NS6detail17trampoline_kernelINS0_14default_configENS1_25partition_config_selectorILNS1_17partition_subalgoE9EyjbEEZZNS1_14partition_implILS5_9ELb0ES3_jN6thrust23THRUST_200600_302600_NS6detail15normal_iteratorINS9_10device_ptrIyEEEENSB_INSC_IjEEEEPNS0_10empty_typeENS0_5tupleIJSE_SH_EEENSJ_IJNS9_16discard_iteratorINS9_11use_defaultEEESI_EEENS0_18inequality_wrapperINS9_8equal_toIyEEEEPmJSH_EEE10hipError_tPvRmT3_T4_T5_T6_T7_T9_mT8_P12ihipStream_tbDpT10_ENKUlT_T0_E_clISt17integral_constantIbLb1EES1D_EEDaS18_S19_EUlS18_E_NS1_11comp_targetILNS1_3genE5ELNS1_11target_archE942ELNS1_3gpuE9ELNS1_3repE0EEENS1_30default_config_static_selectorELNS0_4arch9wavefront6targetE0EEEvT1_
	.globl	_ZN7rocprim17ROCPRIM_400000_NS6detail17trampoline_kernelINS0_14default_configENS1_25partition_config_selectorILNS1_17partition_subalgoE9EyjbEEZZNS1_14partition_implILS5_9ELb0ES3_jN6thrust23THRUST_200600_302600_NS6detail15normal_iteratorINS9_10device_ptrIyEEEENSB_INSC_IjEEEEPNS0_10empty_typeENS0_5tupleIJSE_SH_EEENSJ_IJNS9_16discard_iteratorINS9_11use_defaultEEESI_EEENS0_18inequality_wrapperINS9_8equal_toIyEEEEPmJSH_EEE10hipError_tPvRmT3_T4_T5_T6_T7_T9_mT8_P12ihipStream_tbDpT10_ENKUlT_T0_E_clISt17integral_constantIbLb1EES1D_EEDaS18_S19_EUlS18_E_NS1_11comp_targetILNS1_3genE5ELNS1_11target_archE942ELNS1_3gpuE9ELNS1_3repE0EEENS1_30default_config_static_selectorELNS0_4arch9wavefront6targetE0EEEvT1_
	.p2align	8
	.type	_ZN7rocprim17ROCPRIM_400000_NS6detail17trampoline_kernelINS0_14default_configENS1_25partition_config_selectorILNS1_17partition_subalgoE9EyjbEEZZNS1_14partition_implILS5_9ELb0ES3_jN6thrust23THRUST_200600_302600_NS6detail15normal_iteratorINS9_10device_ptrIyEEEENSB_INSC_IjEEEEPNS0_10empty_typeENS0_5tupleIJSE_SH_EEENSJ_IJNS9_16discard_iteratorINS9_11use_defaultEEESI_EEENS0_18inequality_wrapperINS9_8equal_toIyEEEEPmJSH_EEE10hipError_tPvRmT3_T4_T5_T6_T7_T9_mT8_P12ihipStream_tbDpT10_ENKUlT_T0_E_clISt17integral_constantIbLb1EES1D_EEDaS18_S19_EUlS18_E_NS1_11comp_targetILNS1_3genE5ELNS1_11target_archE942ELNS1_3gpuE9ELNS1_3repE0EEENS1_30default_config_static_selectorELNS0_4arch9wavefront6targetE0EEEvT1_,@function
_ZN7rocprim17ROCPRIM_400000_NS6detail17trampoline_kernelINS0_14default_configENS1_25partition_config_selectorILNS1_17partition_subalgoE9EyjbEEZZNS1_14partition_implILS5_9ELb0ES3_jN6thrust23THRUST_200600_302600_NS6detail15normal_iteratorINS9_10device_ptrIyEEEENSB_INSC_IjEEEEPNS0_10empty_typeENS0_5tupleIJSE_SH_EEENSJ_IJNS9_16discard_iteratorINS9_11use_defaultEEESI_EEENS0_18inequality_wrapperINS9_8equal_toIyEEEEPmJSH_EEE10hipError_tPvRmT3_T4_T5_T6_T7_T9_mT8_P12ihipStream_tbDpT10_ENKUlT_T0_E_clISt17integral_constantIbLb1EES1D_EEDaS18_S19_EUlS18_E_NS1_11comp_targetILNS1_3genE5ELNS1_11target_archE942ELNS1_3gpuE9ELNS1_3repE0EEENS1_30default_config_static_selectorELNS0_4arch9wavefront6targetE0EEEvT1_: ; @_ZN7rocprim17ROCPRIM_400000_NS6detail17trampoline_kernelINS0_14default_configENS1_25partition_config_selectorILNS1_17partition_subalgoE9EyjbEEZZNS1_14partition_implILS5_9ELb0ES3_jN6thrust23THRUST_200600_302600_NS6detail15normal_iteratorINS9_10device_ptrIyEEEENSB_INSC_IjEEEEPNS0_10empty_typeENS0_5tupleIJSE_SH_EEENSJ_IJNS9_16discard_iteratorINS9_11use_defaultEEESI_EEENS0_18inequality_wrapperINS9_8equal_toIyEEEEPmJSH_EEE10hipError_tPvRmT3_T4_T5_T6_T7_T9_mT8_P12ihipStream_tbDpT10_ENKUlT_T0_E_clISt17integral_constantIbLb1EES1D_EEDaS18_S19_EUlS18_E_NS1_11comp_targetILNS1_3genE5ELNS1_11target_archE942ELNS1_3gpuE9ELNS1_3repE0EEENS1_30default_config_static_selectorELNS0_4arch9wavefront6targetE0EEEvT1_
; %bb.0:
	.section	.rodata,"a",@progbits
	.p2align	6, 0x0
	.amdhsa_kernel _ZN7rocprim17ROCPRIM_400000_NS6detail17trampoline_kernelINS0_14default_configENS1_25partition_config_selectorILNS1_17partition_subalgoE9EyjbEEZZNS1_14partition_implILS5_9ELb0ES3_jN6thrust23THRUST_200600_302600_NS6detail15normal_iteratorINS9_10device_ptrIyEEEENSB_INSC_IjEEEEPNS0_10empty_typeENS0_5tupleIJSE_SH_EEENSJ_IJNS9_16discard_iteratorINS9_11use_defaultEEESI_EEENS0_18inequality_wrapperINS9_8equal_toIyEEEEPmJSH_EEE10hipError_tPvRmT3_T4_T5_T6_T7_T9_mT8_P12ihipStream_tbDpT10_ENKUlT_T0_E_clISt17integral_constantIbLb1EES1D_EEDaS18_S19_EUlS18_E_NS1_11comp_targetILNS1_3genE5ELNS1_11target_archE942ELNS1_3gpuE9ELNS1_3repE0EEENS1_30default_config_static_selectorELNS0_4arch9wavefront6targetE0EEEvT1_
		.amdhsa_group_segment_fixed_size 0
		.amdhsa_private_segment_fixed_size 0
		.amdhsa_kernarg_size 136
		.amdhsa_user_sgpr_count 15
		.amdhsa_user_sgpr_dispatch_ptr 0
		.amdhsa_user_sgpr_queue_ptr 0
		.amdhsa_user_sgpr_kernarg_segment_ptr 1
		.amdhsa_user_sgpr_dispatch_id 0
		.amdhsa_user_sgpr_private_segment_size 0
		.amdhsa_wavefront_size32 1
		.amdhsa_uses_dynamic_stack 0
		.amdhsa_enable_private_segment 0
		.amdhsa_system_sgpr_workgroup_id_x 1
		.amdhsa_system_sgpr_workgroup_id_y 0
		.amdhsa_system_sgpr_workgroup_id_z 0
		.amdhsa_system_sgpr_workgroup_info 0
		.amdhsa_system_vgpr_workitem_id 0
		.amdhsa_next_free_vgpr 1
		.amdhsa_next_free_sgpr 1
		.amdhsa_reserve_vcc 0
		.amdhsa_float_round_mode_32 0
		.amdhsa_float_round_mode_16_64 0
		.amdhsa_float_denorm_mode_32 3
		.amdhsa_float_denorm_mode_16_64 3
		.amdhsa_dx10_clamp 1
		.amdhsa_ieee_mode 1
		.amdhsa_fp16_overflow 0
		.amdhsa_workgroup_processor_mode 1
		.amdhsa_memory_ordered 1
		.amdhsa_forward_progress 0
		.amdhsa_shared_vgpr_count 0
		.amdhsa_exception_fp_ieee_invalid_op 0
		.amdhsa_exception_fp_denorm_src 0
		.amdhsa_exception_fp_ieee_div_zero 0
		.amdhsa_exception_fp_ieee_overflow 0
		.amdhsa_exception_fp_ieee_underflow 0
		.amdhsa_exception_fp_ieee_inexact 0
		.amdhsa_exception_int_div_zero 0
	.end_amdhsa_kernel
	.section	.text._ZN7rocprim17ROCPRIM_400000_NS6detail17trampoline_kernelINS0_14default_configENS1_25partition_config_selectorILNS1_17partition_subalgoE9EyjbEEZZNS1_14partition_implILS5_9ELb0ES3_jN6thrust23THRUST_200600_302600_NS6detail15normal_iteratorINS9_10device_ptrIyEEEENSB_INSC_IjEEEEPNS0_10empty_typeENS0_5tupleIJSE_SH_EEENSJ_IJNS9_16discard_iteratorINS9_11use_defaultEEESI_EEENS0_18inequality_wrapperINS9_8equal_toIyEEEEPmJSH_EEE10hipError_tPvRmT3_T4_T5_T6_T7_T9_mT8_P12ihipStream_tbDpT10_ENKUlT_T0_E_clISt17integral_constantIbLb1EES1D_EEDaS18_S19_EUlS18_E_NS1_11comp_targetILNS1_3genE5ELNS1_11target_archE942ELNS1_3gpuE9ELNS1_3repE0EEENS1_30default_config_static_selectorELNS0_4arch9wavefront6targetE0EEEvT1_,"axG",@progbits,_ZN7rocprim17ROCPRIM_400000_NS6detail17trampoline_kernelINS0_14default_configENS1_25partition_config_selectorILNS1_17partition_subalgoE9EyjbEEZZNS1_14partition_implILS5_9ELb0ES3_jN6thrust23THRUST_200600_302600_NS6detail15normal_iteratorINS9_10device_ptrIyEEEENSB_INSC_IjEEEEPNS0_10empty_typeENS0_5tupleIJSE_SH_EEENSJ_IJNS9_16discard_iteratorINS9_11use_defaultEEESI_EEENS0_18inequality_wrapperINS9_8equal_toIyEEEEPmJSH_EEE10hipError_tPvRmT3_T4_T5_T6_T7_T9_mT8_P12ihipStream_tbDpT10_ENKUlT_T0_E_clISt17integral_constantIbLb1EES1D_EEDaS18_S19_EUlS18_E_NS1_11comp_targetILNS1_3genE5ELNS1_11target_archE942ELNS1_3gpuE9ELNS1_3repE0EEENS1_30default_config_static_selectorELNS0_4arch9wavefront6targetE0EEEvT1_,comdat
.Lfunc_end734:
	.size	_ZN7rocprim17ROCPRIM_400000_NS6detail17trampoline_kernelINS0_14default_configENS1_25partition_config_selectorILNS1_17partition_subalgoE9EyjbEEZZNS1_14partition_implILS5_9ELb0ES3_jN6thrust23THRUST_200600_302600_NS6detail15normal_iteratorINS9_10device_ptrIyEEEENSB_INSC_IjEEEEPNS0_10empty_typeENS0_5tupleIJSE_SH_EEENSJ_IJNS9_16discard_iteratorINS9_11use_defaultEEESI_EEENS0_18inequality_wrapperINS9_8equal_toIyEEEEPmJSH_EEE10hipError_tPvRmT3_T4_T5_T6_T7_T9_mT8_P12ihipStream_tbDpT10_ENKUlT_T0_E_clISt17integral_constantIbLb1EES1D_EEDaS18_S19_EUlS18_E_NS1_11comp_targetILNS1_3genE5ELNS1_11target_archE942ELNS1_3gpuE9ELNS1_3repE0EEENS1_30default_config_static_selectorELNS0_4arch9wavefront6targetE0EEEvT1_, .Lfunc_end734-_ZN7rocprim17ROCPRIM_400000_NS6detail17trampoline_kernelINS0_14default_configENS1_25partition_config_selectorILNS1_17partition_subalgoE9EyjbEEZZNS1_14partition_implILS5_9ELb0ES3_jN6thrust23THRUST_200600_302600_NS6detail15normal_iteratorINS9_10device_ptrIyEEEENSB_INSC_IjEEEEPNS0_10empty_typeENS0_5tupleIJSE_SH_EEENSJ_IJNS9_16discard_iteratorINS9_11use_defaultEEESI_EEENS0_18inequality_wrapperINS9_8equal_toIyEEEEPmJSH_EEE10hipError_tPvRmT3_T4_T5_T6_T7_T9_mT8_P12ihipStream_tbDpT10_ENKUlT_T0_E_clISt17integral_constantIbLb1EES1D_EEDaS18_S19_EUlS18_E_NS1_11comp_targetILNS1_3genE5ELNS1_11target_archE942ELNS1_3gpuE9ELNS1_3repE0EEENS1_30default_config_static_selectorELNS0_4arch9wavefront6targetE0EEEvT1_
                                        ; -- End function
	.section	.AMDGPU.csdata,"",@progbits
; Kernel info:
; codeLenInByte = 0
; NumSgprs: 0
; NumVgprs: 0
; ScratchSize: 0
; MemoryBound: 0
; FloatMode: 240
; IeeeMode: 1
; LDSByteSize: 0 bytes/workgroup (compile time only)
; SGPRBlocks: 0
; VGPRBlocks: 0
; NumSGPRsForWavesPerEU: 1
; NumVGPRsForWavesPerEU: 1
; Occupancy: 16
; WaveLimiterHint : 0
; COMPUTE_PGM_RSRC2:SCRATCH_EN: 0
; COMPUTE_PGM_RSRC2:USER_SGPR: 15
; COMPUTE_PGM_RSRC2:TRAP_HANDLER: 0
; COMPUTE_PGM_RSRC2:TGID_X_EN: 1
; COMPUTE_PGM_RSRC2:TGID_Y_EN: 0
; COMPUTE_PGM_RSRC2:TGID_Z_EN: 0
; COMPUTE_PGM_RSRC2:TIDIG_COMP_CNT: 0
	.section	.text._ZN7rocprim17ROCPRIM_400000_NS6detail17trampoline_kernelINS0_14default_configENS1_25partition_config_selectorILNS1_17partition_subalgoE9EyjbEEZZNS1_14partition_implILS5_9ELb0ES3_jN6thrust23THRUST_200600_302600_NS6detail15normal_iteratorINS9_10device_ptrIyEEEENSB_INSC_IjEEEEPNS0_10empty_typeENS0_5tupleIJSE_SH_EEENSJ_IJNS9_16discard_iteratorINS9_11use_defaultEEESI_EEENS0_18inequality_wrapperINS9_8equal_toIyEEEEPmJSH_EEE10hipError_tPvRmT3_T4_T5_T6_T7_T9_mT8_P12ihipStream_tbDpT10_ENKUlT_T0_E_clISt17integral_constantIbLb1EES1D_EEDaS18_S19_EUlS18_E_NS1_11comp_targetILNS1_3genE4ELNS1_11target_archE910ELNS1_3gpuE8ELNS1_3repE0EEENS1_30default_config_static_selectorELNS0_4arch9wavefront6targetE0EEEvT1_,"axG",@progbits,_ZN7rocprim17ROCPRIM_400000_NS6detail17trampoline_kernelINS0_14default_configENS1_25partition_config_selectorILNS1_17partition_subalgoE9EyjbEEZZNS1_14partition_implILS5_9ELb0ES3_jN6thrust23THRUST_200600_302600_NS6detail15normal_iteratorINS9_10device_ptrIyEEEENSB_INSC_IjEEEEPNS0_10empty_typeENS0_5tupleIJSE_SH_EEENSJ_IJNS9_16discard_iteratorINS9_11use_defaultEEESI_EEENS0_18inequality_wrapperINS9_8equal_toIyEEEEPmJSH_EEE10hipError_tPvRmT3_T4_T5_T6_T7_T9_mT8_P12ihipStream_tbDpT10_ENKUlT_T0_E_clISt17integral_constantIbLb1EES1D_EEDaS18_S19_EUlS18_E_NS1_11comp_targetILNS1_3genE4ELNS1_11target_archE910ELNS1_3gpuE8ELNS1_3repE0EEENS1_30default_config_static_selectorELNS0_4arch9wavefront6targetE0EEEvT1_,comdat
	.protected	_ZN7rocprim17ROCPRIM_400000_NS6detail17trampoline_kernelINS0_14default_configENS1_25partition_config_selectorILNS1_17partition_subalgoE9EyjbEEZZNS1_14partition_implILS5_9ELb0ES3_jN6thrust23THRUST_200600_302600_NS6detail15normal_iteratorINS9_10device_ptrIyEEEENSB_INSC_IjEEEEPNS0_10empty_typeENS0_5tupleIJSE_SH_EEENSJ_IJNS9_16discard_iteratorINS9_11use_defaultEEESI_EEENS0_18inequality_wrapperINS9_8equal_toIyEEEEPmJSH_EEE10hipError_tPvRmT3_T4_T5_T6_T7_T9_mT8_P12ihipStream_tbDpT10_ENKUlT_T0_E_clISt17integral_constantIbLb1EES1D_EEDaS18_S19_EUlS18_E_NS1_11comp_targetILNS1_3genE4ELNS1_11target_archE910ELNS1_3gpuE8ELNS1_3repE0EEENS1_30default_config_static_selectorELNS0_4arch9wavefront6targetE0EEEvT1_ ; -- Begin function _ZN7rocprim17ROCPRIM_400000_NS6detail17trampoline_kernelINS0_14default_configENS1_25partition_config_selectorILNS1_17partition_subalgoE9EyjbEEZZNS1_14partition_implILS5_9ELb0ES3_jN6thrust23THRUST_200600_302600_NS6detail15normal_iteratorINS9_10device_ptrIyEEEENSB_INSC_IjEEEEPNS0_10empty_typeENS0_5tupleIJSE_SH_EEENSJ_IJNS9_16discard_iteratorINS9_11use_defaultEEESI_EEENS0_18inequality_wrapperINS9_8equal_toIyEEEEPmJSH_EEE10hipError_tPvRmT3_T4_T5_T6_T7_T9_mT8_P12ihipStream_tbDpT10_ENKUlT_T0_E_clISt17integral_constantIbLb1EES1D_EEDaS18_S19_EUlS18_E_NS1_11comp_targetILNS1_3genE4ELNS1_11target_archE910ELNS1_3gpuE8ELNS1_3repE0EEENS1_30default_config_static_selectorELNS0_4arch9wavefront6targetE0EEEvT1_
	.globl	_ZN7rocprim17ROCPRIM_400000_NS6detail17trampoline_kernelINS0_14default_configENS1_25partition_config_selectorILNS1_17partition_subalgoE9EyjbEEZZNS1_14partition_implILS5_9ELb0ES3_jN6thrust23THRUST_200600_302600_NS6detail15normal_iteratorINS9_10device_ptrIyEEEENSB_INSC_IjEEEEPNS0_10empty_typeENS0_5tupleIJSE_SH_EEENSJ_IJNS9_16discard_iteratorINS9_11use_defaultEEESI_EEENS0_18inequality_wrapperINS9_8equal_toIyEEEEPmJSH_EEE10hipError_tPvRmT3_T4_T5_T6_T7_T9_mT8_P12ihipStream_tbDpT10_ENKUlT_T0_E_clISt17integral_constantIbLb1EES1D_EEDaS18_S19_EUlS18_E_NS1_11comp_targetILNS1_3genE4ELNS1_11target_archE910ELNS1_3gpuE8ELNS1_3repE0EEENS1_30default_config_static_selectorELNS0_4arch9wavefront6targetE0EEEvT1_
	.p2align	8
	.type	_ZN7rocprim17ROCPRIM_400000_NS6detail17trampoline_kernelINS0_14default_configENS1_25partition_config_selectorILNS1_17partition_subalgoE9EyjbEEZZNS1_14partition_implILS5_9ELb0ES3_jN6thrust23THRUST_200600_302600_NS6detail15normal_iteratorINS9_10device_ptrIyEEEENSB_INSC_IjEEEEPNS0_10empty_typeENS0_5tupleIJSE_SH_EEENSJ_IJNS9_16discard_iteratorINS9_11use_defaultEEESI_EEENS0_18inequality_wrapperINS9_8equal_toIyEEEEPmJSH_EEE10hipError_tPvRmT3_T4_T5_T6_T7_T9_mT8_P12ihipStream_tbDpT10_ENKUlT_T0_E_clISt17integral_constantIbLb1EES1D_EEDaS18_S19_EUlS18_E_NS1_11comp_targetILNS1_3genE4ELNS1_11target_archE910ELNS1_3gpuE8ELNS1_3repE0EEENS1_30default_config_static_selectorELNS0_4arch9wavefront6targetE0EEEvT1_,@function
_ZN7rocprim17ROCPRIM_400000_NS6detail17trampoline_kernelINS0_14default_configENS1_25partition_config_selectorILNS1_17partition_subalgoE9EyjbEEZZNS1_14partition_implILS5_9ELb0ES3_jN6thrust23THRUST_200600_302600_NS6detail15normal_iteratorINS9_10device_ptrIyEEEENSB_INSC_IjEEEEPNS0_10empty_typeENS0_5tupleIJSE_SH_EEENSJ_IJNS9_16discard_iteratorINS9_11use_defaultEEESI_EEENS0_18inequality_wrapperINS9_8equal_toIyEEEEPmJSH_EEE10hipError_tPvRmT3_T4_T5_T6_T7_T9_mT8_P12ihipStream_tbDpT10_ENKUlT_T0_E_clISt17integral_constantIbLb1EES1D_EEDaS18_S19_EUlS18_E_NS1_11comp_targetILNS1_3genE4ELNS1_11target_archE910ELNS1_3gpuE8ELNS1_3repE0EEENS1_30default_config_static_selectorELNS0_4arch9wavefront6targetE0EEEvT1_: ; @_ZN7rocprim17ROCPRIM_400000_NS6detail17trampoline_kernelINS0_14default_configENS1_25partition_config_selectorILNS1_17partition_subalgoE9EyjbEEZZNS1_14partition_implILS5_9ELb0ES3_jN6thrust23THRUST_200600_302600_NS6detail15normal_iteratorINS9_10device_ptrIyEEEENSB_INSC_IjEEEEPNS0_10empty_typeENS0_5tupleIJSE_SH_EEENSJ_IJNS9_16discard_iteratorINS9_11use_defaultEEESI_EEENS0_18inequality_wrapperINS9_8equal_toIyEEEEPmJSH_EEE10hipError_tPvRmT3_T4_T5_T6_T7_T9_mT8_P12ihipStream_tbDpT10_ENKUlT_T0_E_clISt17integral_constantIbLb1EES1D_EEDaS18_S19_EUlS18_E_NS1_11comp_targetILNS1_3genE4ELNS1_11target_archE910ELNS1_3gpuE8ELNS1_3repE0EEENS1_30default_config_static_selectorELNS0_4arch9wavefront6targetE0EEEvT1_
; %bb.0:
	.section	.rodata,"a",@progbits
	.p2align	6, 0x0
	.amdhsa_kernel _ZN7rocprim17ROCPRIM_400000_NS6detail17trampoline_kernelINS0_14default_configENS1_25partition_config_selectorILNS1_17partition_subalgoE9EyjbEEZZNS1_14partition_implILS5_9ELb0ES3_jN6thrust23THRUST_200600_302600_NS6detail15normal_iteratorINS9_10device_ptrIyEEEENSB_INSC_IjEEEEPNS0_10empty_typeENS0_5tupleIJSE_SH_EEENSJ_IJNS9_16discard_iteratorINS9_11use_defaultEEESI_EEENS0_18inequality_wrapperINS9_8equal_toIyEEEEPmJSH_EEE10hipError_tPvRmT3_T4_T5_T6_T7_T9_mT8_P12ihipStream_tbDpT10_ENKUlT_T0_E_clISt17integral_constantIbLb1EES1D_EEDaS18_S19_EUlS18_E_NS1_11comp_targetILNS1_3genE4ELNS1_11target_archE910ELNS1_3gpuE8ELNS1_3repE0EEENS1_30default_config_static_selectorELNS0_4arch9wavefront6targetE0EEEvT1_
		.amdhsa_group_segment_fixed_size 0
		.amdhsa_private_segment_fixed_size 0
		.amdhsa_kernarg_size 136
		.amdhsa_user_sgpr_count 15
		.amdhsa_user_sgpr_dispatch_ptr 0
		.amdhsa_user_sgpr_queue_ptr 0
		.amdhsa_user_sgpr_kernarg_segment_ptr 1
		.amdhsa_user_sgpr_dispatch_id 0
		.amdhsa_user_sgpr_private_segment_size 0
		.amdhsa_wavefront_size32 1
		.amdhsa_uses_dynamic_stack 0
		.amdhsa_enable_private_segment 0
		.amdhsa_system_sgpr_workgroup_id_x 1
		.amdhsa_system_sgpr_workgroup_id_y 0
		.amdhsa_system_sgpr_workgroup_id_z 0
		.amdhsa_system_sgpr_workgroup_info 0
		.amdhsa_system_vgpr_workitem_id 0
		.amdhsa_next_free_vgpr 1
		.amdhsa_next_free_sgpr 1
		.amdhsa_reserve_vcc 0
		.amdhsa_float_round_mode_32 0
		.amdhsa_float_round_mode_16_64 0
		.amdhsa_float_denorm_mode_32 3
		.amdhsa_float_denorm_mode_16_64 3
		.amdhsa_dx10_clamp 1
		.amdhsa_ieee_mode 1
		.amdhsa_fp16_overflow 0
		.amdhsa_workgroup_processor_mode 1
		.amdhsa_memory_ordered 1
		.amdhsa_forward_progress 0
		.amdhsa_shared_vgpr_count 0
		.amdhsa_exception_fp_ieee_invalid_op 0
		.amdhsa_exception_fp_denorm_src 0
		.amdhsa_exception_fp_ieee_div_zero 0
		.amdhsa_exception_fp_ieee_overflow 0
		.amdhsa_exception_fp_ieee_underflow 0
		.amdhsa_exception_fp_ieee_inexact 0
		.amdhsa_exception_int_div_zero 0
	.end_amdhsa_kernel
	.section	.text._ZN7rocprim17ROCPRIM_400000_NS6detail17trampoline_kernelINS0_14default_configENS1_25partition_config_selectorILNS1_17partition_subalgoE9EyjbEEZZNS1_14partition_implILS5_9ELb0ES3_jN6thrust23THRUST_200600_302600_NS6detail15normal_iteratorINS9_10device_ptrIyEEEENSB_INSC_IjEEEEPNS0_10empty_typeENS0_5tupleIJSE_SH_EEENSJ_IJNS9_16discard_iteratorINS9_11use_defaultEEESI_EEENS0_18inequality_wrapperINS9_8equal_toIyEEEEPmJSH_EEE10hipError_tPvRmT3_T4_T5_T6_T7_T9_mT8_P12ihipStream_tbDpT10_ENKUlT_T0_E_clISt17integral_constantIbLb1EES1D_EEDaS18_S19_EUlS18_E_NS1_11comp_targetILNS1_3genE4ELNS1_11target_archE910ELNS1_3gpuE8ELNS1_3repE0EEENS1_30default_config_static_selectorELNS0_4arch9wavefront6targetE0EEEvT1_,"axG",@progbits,_ZN7rocprim17ROCPRIM_400000_NS6detail17trampoline_kernelINS0_14default_configENS1_25partition_config_selectorILNS1_17partition_subalgoE9EyjbEEZZNS1_14partition_implILS5_9ELb0ES3_jN6thrust23THRUST_200600_302600_NS6detail15normal_iteratorINS9_10device_ptrIyEEEENSB_INSC_IjEEEEPNS0_10empty_typeENS0_5tupleIJSE_SH_EEENSJ_IJNS9_16discard_iteratorINS9_11use_defaultEEESI_EEENS0_18inequality_wrapperINS9_8equal_toIyEEEEPmJSH_EEE10hipError_tPvRmT3_T4_T5_T6_T7_T9_mT8_P12ihipStream_tbDpT10_ENKUlT_T0_E_clISt17integral_constantIbLb1EES1D_EEDaS18_S19_EUlS18_E_NS1_11comp_targetILNS1_3genE4ELNS1_11target_archE910ELNS1_3gpuE8ELNS1_3repE0EEENS1_30default_config_static_selectorELNS0_4arch9wavefront6targetE0EEEvT1_,comdat
.Lfunc_end735:
	.size	_ZN7rocprim17ROCPRIM_400000_NS6detail17trampoline_kernelINS0_14default_configENS1_25partition_config_selectorILNS1_17partition_subalgoE9EyjbEEZZNS1_14partition_implILS5_9ELb0ES3_jN6thrust23THRUST_200600_302600_NS6detail15normal_iteratorINS9_10device_ptrIyEEEENSB_INSC_IjEEEEPNS0_10empty_typeENS0_5tupleIJSE_SH_EEENSJ_IJNS9_16discard_iteratorINS9_11use_defaultEEESI_EEENS0_18inequality_wrapperINS9_8equal_toIyEEEEPmJSH_EEE10hipError_tPvRmT3_T4_T5_T6_T7_T9_mT8_P12ihipStream_tbDpT10_ENKUlT_T0_E_clISt17integral_constantIbLb1EES1D_EEDaS18_S19_EUlS18_E_NS1_11comp_targetILNS1_3genE4ELNS1_11target_archE910ELNS1_3gpuE8ELNS1_3repE0EEENS1_30default_config_static_selectorELNS0_4arch9wavefront6targetE0EEEvT1_, .Lfunc_end735-_ZN7rocprim17ROCPRIM_400000_NS6detail17trampoline_kernelINS0_14default_configENS1_25partition_config_selectorILNS1_17partition_subalgoE9EyjbEEZZNS1_14partition_implILS5_9ELb0ES3_jN6thrust23THRUST_200600_302600_NS6detail15normal_iteratorINS9_10device_ptrIyEEEENSB_INSC_IjEEEEPNS0_10empty_typeENS0_5tupleIJSE_SH_EEENSJ_IJNS9_16discard_iteratorINS9_11use_defaultEEESI_EEENS0_18inequality_wrapperINS9_8equal_toIyEEEEPmJSH_EEE10hipError_tPvRmT3_T4_T5_T6_T7_T9_mT8_P12ihipStream_tbDpT10_ENKUlT_T0_E_clISt17integral_constantIbLb1EES1D_EEDaS18_S19_EUlS18_E_NS1_11comp_targetILNS1_3genE4ELNS1_11target_archE910ELNS1_3gpuE8ELNS1_3repE0EEENS1_30default_config_static_selectorELNS0_4arch9wavefront6targetE0EEEvT1_
                                        ; -- End function
	.section	.AMDGPU.csdata,"",@progbits
; Kernel info:
; codeLenInByte = 0
; NumSgprs: 0
; NumVgprs: 0
; ScratchSize: 0
; MemoryBound: 0
; FloatMode: 240
; IeeeMode: 1
; LDSByteSize: 0 bytes/workgroup (compile time only)
; SGPRBlocks: 0
; VGPRBlocks: 0
; NumSGPRsForWavesPerEU: 1
; NumVGPRsForWavesPerEU: 1
; Occupancy: 15
; WaveLimiterHint : 0
; COMPUTE_PGM_RSRC2:SCRATCH_EN: 0
; COMPUTE_PGM_RSRC2:USER_SGPR: 15
; COMPUTE_PGM_RSRC2:TRAP_HANDLER: 0
; COMPUTE_PGM_RSRC2:TGID_X_EN: 1
; COMPUTE_PGM_RSRC2:TGID_Y_EN: 0
; COMPUTE_PGM_RSRC2:TGID_Z_EN: 0
; COMPUTE_PGM_RSRC2:TIDIG_COMP_CNT: 0
	.section	.text._ZN7rocprim17ROCPRIM_400000_NS6detail17trampoline_kernelINS0_14default_configENS1_25partition_config_selectorILNS1_17partition_subalgoE9EyjbEEZZNS1_14partition_implILS5_9ELb0ES3_jN6thrust23THRUST_200600_302600_NS6detail15normal_iteratorINS9_10device_ptrIyEEEENSB_INSC_IjEEEEPNS0_10empty_typeENS0_5tupleIJSE_SH_EEENSJ_IJNS9_16discard_iteratorINS9_11use_defaultEEESI_EEENS0_18inequality_wrapperINS9_8equal_toIyEEEEPmJSH_EEE10hipError_tPvRmT3_T4_T5_T6_T7_T9_mT8_P12ihipStream_tbDpT10_ENKUlT_T0_E_clISt17integral_constantIbLb1EES1D_EEDaS18_S19_EUlS18_E_NS1_11comp_targetILNS1_3genE3ELNS1_11target_archE908ELNS1_3gpuE7ELNS1_3repE0EEENS1_30default_config_static_selectorELNS0_4arch9wavefront6targetE0EEEvT1_,"axG",@progbits,_ZN7rocprim17ROCPRIM_400000_NS6detail17trampoline_kernelINS0_14default_configENS1_25partition_config_selectorILNS1_17partition_subalgoE9EyjbEEZZNS1_14partition_implILS5_9ELb0ES3_jN6thrust23THRUST_200600_302600_NS6detail15normal_iteratorINS9_10device_ptrIyEEEENSB_INSC_IjEEEEPNS0_10empty_typeENS0_5tupleIJSE_SH_EEENSJ_IJNS9_16discard_iteratorINS9_11use_defaultEEESI_EEENS0_18inequality_wrapperINS9_8equal_toIyEEEEPmJSH_EEE10hipError_tPvRmT3_T4_T5_T6_T7_T9_mT8_P12ihipStream_tbDpT10_ENKUlT_T0_E_clISt17integral_constantIbLb1EES1D_EEDaS18_S19_EUlS18_E_NS1_11comp_targetILNS1_3genE3ELNS1_11target_archE908ELNS1_3gpuE7ELNS1_3repE0EEENS1_30default_config_static_selectorELNS0_4arch9wavefront6targetE0EEEvT1_,comdat
	.protected	_ZN7rocprim17ROCPRIM_400000_NS6detail17trampoline_kernelINS0_14default_configENS1_25partition_config_selectorILNS1_17partition_subalgoE9EyjbEEZZNS1_14partition_implILS5_9ELb0ES3_jN6thrust23THRUST_200600_302600_NS6detail15normal_iteratorINS9_10device_ptrIyEEEENSB_INSC_IjEEEEPNS0_10empty_typeENS0_5tupleIJSE_SH_EEENSJ_IJNS9_16discard_iteratorINS9_11use_defaultEEESI_EEENS0_18inequality_wrapperINS9_8equal_toIyEEEEPmJSH_EEE10hipError_tPvRmT3_T4_T5_T6_T7_T9_mT8_P12ihipStream_tbDpT10_ENKUlT_T0_E_clISt17integral_constantIbLb1EES1D_EEDaS18_S19_EUlS18_E_NS1_11comp_targetILNS1_3genE3ELNS1_11target_archE908ELNS1_3gpuE7ELNS1_3repE0EEENS1_30default_config_static_selectorELNS0_4arch9wavefront6targetE0EEEvT1_ ; -- Begin function _ZN7rocprim17ROCPRIM_400000_NS6detail17trampoline_kernelINS0_14default_configENS1_25partition_config_selectorILNS1_17partition_subalgoE9EyjbEEZZNS1_14partition_implILS5_9ELb0ES3_jN6thrust23THRUST_200600_302600_NS6detail15normal_iteratorINS9_10device_ptrIyEEEENSB_INSC_IjEEEEPNS0_10empty_typeENS0_5tupleIJSE_SH_EEENSJ_IJNS9_16discard_iteratorINS9_11use_defaultEEESI_EEENS0_18inequality_wrapperINS9_8equal_toIyEEEEPmJSH_EEE10hipError_tPvRmT3_T4_T5_T6_T7_T9_mT8_P12ihipStream_tbDpT10_ENKUlT_T0_E_clISt17integral_constantIbLb1EES1D_EEDaS18_S19_EUlS18_E_NS1_11comp_targetILNS1_3genE3ELNS1_11target_archE908ELNS1_3gpuE7ELNS1_3repE0EEENS1_30default_config_static_selectorELNS0_4arch9wavefront6targetE0EEEvT1_
	.globl	_ZN7rocprim17ROCPRIM_400000_NS6detail17trampoline_kernelINS0_14default_configENS1_25partition_config_selectorILNS1_17partition_subalgoE9EyjbEEZZNS1_14partition_implILS5_9ELb0ES3_jN6thrust23THRUST_200600_302600_NS6detail15normal_iteratorINS9_10device_ptrIyEEEENSB_INSC_IjEEEEPNS0_10empty_typeENS0_5tupleIJSE_SH_EEENSJ_IJNS9_16discard_iteratorINS9_11use_defaultEEESI_EEENS0_18inequality_wrapperINS9_8equal_toIyEEEEPmJSH_EEE10hipError_tPvRmT3_T4_T5_T6_T7_T9_mT8_P12ihipStream_tbDpT10_ENKUlT_T0_E_clISt17integral_constantIbLb1EES1D_EEDaS18_S19_EUlS18_E_NS1_11comp_targetILNS1_3genE3ELNS1_11target_archE908ELNS1_3gpuE7ELNS1_3repE0EEENS1_30default_config_static_selectorELNS0_4arch9wavefront6targetE0EEEvT1_
	.p2align	8
	.type	_ZN7rocprim17ROCPRIM_400000_NS6detail17trampoline_kernelINS0_14default_configENS1_25partition_config_selectorILNS1_17partition_subalgoE9EyjbEEZZNS1_14partition_implILS5_9ELb0ES3_jN6thrust23THRUST_200600_302600_NS6detail15normal_iteratorINS9_10device_ptrIyEEEENSB_INSC_IjEEEEPNS0_10empty_typeENS0_5tupleIJSE_SH_EEENSJ_IJNS9_16discard_iteratorINS9_11use_defaultEEESI_EEENS0_18inequality_wrapperINS9_8equal_toIyEEEEPmJSH_EEE10hipError_tPvRmT3_T4_T5_T6_T7_T9_mT8_P12ihipStream_tbDpT10_ENKUlT_T0_E_clISt17integral_constantIbLb1EES1D_EEDaS18_S19_EUlS18_E_NS1_11comp_targetILNS1_3genE3ELNS1_11target_archE908ELNS1_3gpuE7ELNS1_3repE0EEENS1_30default_config_static_selectorELNS0_4arch9wavefront6targetE0EEEvT1_,@function
_ZN7rocprim17ROCPRIM_400000_NS6detail17trampoline_kernelINS0_14default_configENS1_25partition_config_selectorILNS1_17partition_subalgoE9EyjbEEZZNS1_14partition_implILS5_9ELb0ES3_jN6thrust23THRUST_200600_302600_NS6detail15normal_iteratorINS9_10device_ptrIyEEEENSB_INSC_IjEEEEPNS0_10empty_typeENS0_5tupleIJSE_SH_EEENSJ_IJNS9_16discard_iteratorINS9_11use_defaultEEESI_EEENS0_18inequality_wrapperINS9_8equal_toIyEEEEPmJSH_EEE10hipError_tPvRmT3_T4_T5_T6_T7_T9_mT8_P12ihipStream_tbDpT10_ENKUlT_T0_E_clISt17integral_constantIbLb1EES1D_EEDaS18_S19_EUlS18_E_NS1_11comp_targetILNS1_3genE3ELNS1_11target_archE908ELNS1_3gpuE7ELNS1_3repE0EEENS1_30default_config_static_selectorELNS0_4arch9wavefront6targetE0EEEvT1_: ; @_ZN7rocprim17ROCPRIM_400000_NS6detail17trampoline_kernelINS0_14default_configENS1_25partition_config_selectorILNS1_17partition_subalgoE9EyjbEEZZNS1_14partition_implILS5_9ELb0ES3_jN6thrust23THRUST_200600_302600_NS6detail15normal_iteratorINS9_10device_ptrIyEEEENSB_INSC_IjEEEEPNS0_10empty_typeENS0_5tupleIJSE_SH_EEENSJ_IJNS9_16discard_iteratorINS9_11use_defaultEEESI_EEENS0_18inequality_wrapperINS9_8equal_toIyEEEEPmJSH_EEE10hipError_tPvRmT3_T4_T5_T6_T7_T9_mT8_P12ihipStream_tbDpT10_ENKUlT_T0_E_clISt17integral_constantIbLb1EES1D_EEDaS18_S19_EUlS18_E_NS1_11comp_targetILNS1_3genE3ELNS1_11target_archE908ELNS1_3gpuE7ELNS1_3repE0EEENS1_30default_config_static_selectorELNS0_4arch9wavefront6targetE0EEEvT1_
; %bb.0:
	.section	.rodata,"a",@progbits
	.p2align	6, 0x0
	.amdhsa_kernel _ZN7rocprim17ROCPRIM_400000_NS6detail17trampoline_kernelINS0_14default_configENS1_25partition_config_selectorILNS1_17partition_subalgoE9EyjbEEZZNS1_14partition_implILS5_9ELb0ES3_jN6thrust23THRUST_200600_302600_NS6detail15normal_iteratorINS9_10device_ptrIyEEEENSB_INSC_IjEEEEPNS0_10empty_typeENS0_5tupleIJSE_SH_EEENSJ_IJNS9_16discard_iteratorINS9_11use_defaultEEESI_EEENS0_18inequality_wrapperINS9_8equal_toIyEEEEPmJSH_EEE10hipError_tPvRmT3_T4_T5_T6_T7_T9_mT8_P12ihipStream_tbDpT10_ENKUlT_T0_E_clISt17integral_constantIbLb1EES1D_EEDaS18_S19_EUlS18_E_NS1_11comp_targetILNS1_3genE3ELNS1_11target_archE908ELNS1_3gpuE7ELNS1_3repE0EEENS1_30default_config_static_selectorELNS0_4arch9wavefront6targetE0EEEvT1_
		.amdhsa_group_segment_fixed_size 0
		.amdhsa_private_segment_fixed_size 0
		.amdhsa_kernarg_size 136
		.amdhsa_user_sgpr_count 15
		.amdhsa_user_sgpr_dispatch_ptr 0
		.amdhsa_user_sgpr_queue_ptr 0
		.amdhsa_user_sgpr_kernarg_segment_ptr 1
		.amdhsa_user_sgpr_dispatch_id 0
		.amdhsa_user_sgpr_private_segment_size 0
		.amdhsa_wavefront_size32 1
		.amdhsa_uses_dynamic_stack 0
		.amdhsa_enable_private_segment 0
		.amdhsa_system_sgpr_workgroup_id_x 1
		.amdhsa_system_sgpr_workgroup_id_y 0
		.amdhsa_system_sgpr_workgroup_id_z 0
		.amdhsa_system_sgpr_workgroup_info 0
		.amdhsa_system_vgpr_workitem_id 0
		.amdhsa_next_free_vgpr 1
		.amdhsa_next_free_sgpr 1
		.amdhsa_reserve_vcc 0
		.amdhsa_float_round_mode_32 0
		.amdhsa_float_round_mode_16_64 0
		.amdhsa_float_denorm_mode_32 3
		.amdhsa_float_denorm_mode_16_64 3
		.amdhsa_dx10_clamp 1
		.amdhsa_ieee_mode 1
		.amdhsa_fp16_overflow 0
		.amdhsa_workgroup_processor_mode 1
		.amdhsa_memory_ordered 1
		.amdhsa_forward_progress 0
		.amdhsa_shared_vgpr_count 0
		.amdhsa_exception_fp_ieee_invalid_op 0
		.amdhsa_exception_fp_denorm_src 0
		.amdhsa_exception_fp_ieee_div_zero 0
		.amdhsa_exception_fp_ieee_overflow 0
		.amdhsa_exception_fp_ieee_underflow 0
		.amdhsa_exception_fp_ieee_inexact 0
		.amdhsa_exception_int_div_zero 0
	.end_amdhsa_kernel
	.section	.text._ZN7rocprim17ROCPRIM_400000_NS6detail17trampoline_kernelINS0_14default_configENS1_25partition_config_selectorILNS1_17partition_subalgoE9EyjbEEZZNS1_14partition_implILS5_9ELb0ES3_jN6thrust23THRUST_200600_302600_NS6detail15normal_iteratorINS9_10device_ptrIyEEEENSB_INSC_IjEEEEPNS0_10empty_typeENS0_5tupleIJSE_SH_EEENSJ_IJNS9_16discard_iteratorINS9_11use_defaultEEESI_EEENS0_18inequality_wrapperINS9_8equal_toIyEEEEPmJSH_EEE10hipError_tPvRmT3_T4_T5_T6_T7_T9_mT8_P12ihipStream_tbDpT10_ENKUlT_T0_E_clISt17integral_constantIbLb1EES1D_EEDaS18_S19_EUlS18_E_NS1_11comp_targetILNS1_3genE3ELNS1_11target_archE908ELNS1_3gpuE7ELNS1_3repE0EEENS1_30default_config_static_selectorELNS0_4arch9wavefront6targetE0EEEvT1_,"axG",@progbits,_ZN7rocprim17ROCPRIM_400000_NS6detail17trampoline_kernelINS0_14default_configENS1_25partition_config_selectorILNS1_17partition_subalgoE9EyjbEEZZNS1_14partition_implILS5_9ELb0ES3_jN6thrust23THRUST_200600_302600_NS6detail15normal_iteratorINS9_10device_ptrIyEEEENSB_INSC_IjEEEEPNS0_10empty_typeENS0_5tupleIJSE_SH_EEENSJ_IJNS9_16discard_iteratorINS9_11use_defaultEEESI_EEENS0_18inequality_wrapperINS9_8equal_toIyEEEEPmJSH_EEE10hipError_tPvRmT3_T4_T5_T6_T7_T9_mT8_P12ihipStream_tbDpT10_ENKUlT_T0_E_clISt17integral_constantIbLb1EES1D_EEDaS18_S19_EUlS18_E_NS1_11comp_targetILNS1_3genE3ELNS1_11target_archE908ELNS1_3gpuE7ELNS1_3repE0EEENS1_30default_config_static_selectorELNS0_4arch9wavefront6targetE0EEEvT1_,comdat
.Lfunc_end736:
	.size	_ZN7rocprim17ROCPRIM_400000_NS6detail17trampoline_kernelINS0_14default_configENS1_25partition_config_selectorILNS1_17partition_subalgoE9EyjbEEZZNS1_14partition_implILS5_9ELb0ES3_jN6thrust23THRUST_200600_302600_NS6detail15normal_iteratorINS9_10device_ptrIyEEEENSB_INSC_IjEEEEPNS0_10empty_typeENS0_5tupleIJSE_SH_EEENSJ_IJNS9_16discard_iteratorINS9_11use_defaultEEESI_EEENS0_18inequality_wrapperINS9_8equal_toIyEEEEPmJSH_EEE10hipError_tPvRmT3_T4_T5_T6_T7_T9_mT8_P12ihipStream_tbDpT10_ENKUlT_T0_E_clISt17integral_constantIbLb1EES1D_EEDaS18_S19_EUlS18_E_NS1_11comp_targetILNS1_3genE3ELNS1_11target_archE908ELNS1_3gpuE7ELNS1_3repE0EEENS1_30default_config_static_selectorELNS0_4arch9wavefront6targetE0EEEvT1_, .Lfunc_end736-_ZN7rocprim17ROCPRIM_400000_NS6detail17trampoline_kernelINS0_14default_configENS1_25partition_config_selectorILNS1_17partition_subalgoE9EyjbEEZZNS1_14partition_implILS5_9ELb0ES3_jN6thrust23THRUST_200600_302600_NS6detail15normal_iteratorINS9_10device_ptrIyEEEENSB_INSC_IjEEEEPNS0_10empty_typeENS0_5tupleIJSE_SH_EEENSJ_IJNS9_16discard_iteratorINS9_11use_defaultEEESI_EEENS0_18inequality_wrapperINS9_8equal_toIyEEEEPmJSH_EEE10hipError_tPvRmT3_T4_T5_T6_T7_T9_mT8_P12ihipStream_tbDpT10_ENKUlT_T0_E_clISt17integral_constantIbLb1EES1D_EEDaS18_S19_EUlS18_E_NS1_11comp_targetILNS1_3genE3ELNS1_11target_archE908ELNS1_3gpuE7ELNS1_3repE0EEENS1_30default_config_static_selectorELNS0_4arch9wavefront6targetE0EEEvT1_
                                        ; -- End function
	.section	.AMDGPU.csdata,"",@progbits
; Kernel info:
; codeLenInByte = 0
; NumSgprs: 0
; NumVgprs: 0
; ScratchSize: 0
; MemoryBound: 0
; FloatMode: 240
; IeeeMode: 1
; LDSByteSize: 0 bytes/workgroup (compile time only)
; SGPRBlocks: 0
; VGPRBlocks: 0
; NumSGPRsForWavesPerEU: 1
; NumVGPRsForWavesPerEU: 1
; Occupancy: 16
; WaveLimiterHint : 0
; COMPUTE_PGM_RSRC2:SCRATCH_EN: 0
; COMPUTE_PGM_RSRC2:USER_SGPR: 15
; COMPUTE_PGM_RSRC2:TRAP_HANDLER: 0
; COMPUTE_PGM_RSRC2:TGID_X_EN: 1
; COMPUTE_PGM_RSRC2:TGID_Y_EN: 0
; COMPUTE_PGM_RSRC2:TGID_Z_EN: 0
; COMPUTE_PGM_RSRC2:TIDIG_COMP_CNT: 0
	.section	.text._ZN7rocprim17ROCPRIM_400000_NS6detail17trampoline_kernelINS0_14default_configENS1_25partition_config_selectorILNS1_17partition_subalgoE9EyjbEEZZNS1_14partition_implILS5_9ELb0ES3_jN6thrust23THRUST_200600_302600_NS6detail15normal_iteratorINS9_10device_ptrIyEEEENSB_INSC_IjEEEEPNS0_10empty_typeENS0_5tupleIJSE_SH_EEENSJ_IJNS9_16discard_iteratorINS9_11use_defaultEEESI_EEENS0_18inequality_wrapperINS9_8equal_toIyEEEEPmJSH_EEE10hipError_tPvRmT3_T4_T5_T6_T7_T9_mT8_P12ihipStream_tbDpT10_ENKUlT_T0_E_clISt17integral_constantIbLb1EES1D_EEDaS18_S19_EUlS18_E_NS1_11comp_targetILNS1_3genE2ELNS1_11target_archE906ELNS1_3gpuE6ELNS1_3repE0EEENS1_30default_config_static_selectorELNS0_4arch9wavefront6targetE0EEEvT1_,"axG",@progbits,_ZN7rocprim17ROCPRIM_400000_NS6detail17trampoline_kernelINS0_14default_configENS1_25partition_config_selectorILNS1_17partition_subalgoE9EyjbEEZZNS1_14partition_implILS5_9ELb0ES3_jN6thrust23THRUST_200600_302600_NS6detail15normal_iteratorINS9_10device_ptrIyEEEENSB_INSC_IjEEEEPNS0_10empty_typeENS0_5tupleIJSE_SH_EEENSJ_IJNS9_16discard_iteratorINS9_11use_defaultEEESI_EEENS0_18inequality_wrapperINS9_8equal_toIyEEEEPmJSH_EEE10hipError_tPvRmT3_T4_T5_T6_T7_T9_mT8_P12ihipStream_tbDpT10_ENKUlT_T0_E_clISt17integral_constantIbLb1EES1D_EEDaS18_S19_EUlS18_E_NS1_11comp_targetILNS1_3genE2ELNS1_11target_archE906ELNS1_3gpuE6ELNS1_3repE0EEENS1_30default_config_static_selectorELNS0_4arch9wavefront6targetE0EEEvT1_,comdat
	.protected	_ZN7rocprim17ROCPRIM_400000_NS6detail17trampoline_kernelINS0_14default_configENS1_25partition_config_selectorILNS1_17partition_subalgoE9EyjbEEZZNS1_14partition_implILS5_9ELb0ES3_jN6thrust23THRUST_200600_302600_NS6detail15normal_iteratorINS9_10device_ptrIyEEEENSB_INSC_IjEEEEPNS0_10empty_typeENS0_5tupleIJSE_SH_EEENSJ_IJNS9_16discard_iteratorINS9_11use_defaultEEESI_EEENS0_18inequality_wrapperINS9_8equal_toIyEEEEPmJSH_EEE10hipError_tPvRmT3_T4_T5_T6_T7_T9_mT8_P12ihipStream_tbDpT10_ENKUlT_T0_E_clISt17integral_constantIbLb1EES1D_EEDaS18_S19_EUlS18_E_NS1_11comp_targetILNS1_3genE2ELNS1_11target_archE906ELNS1_3gpuE6ELNS1_3repE0EEENS1_30default_config_static_selectorELNS0_4arch9wavefront6targetE0EEEvT1_ ; -- Begin function _ZN7rocprim17ROCPRIM_400000_NS6detail17trampoline_kernelINS0_14default_configENS1_25partition_config_selectorILNS1_17partition_subalgoE9EyjbEEZZNS1_14partition_implILS5_9ELb0ES3_jN6thrust23THRUST_200600_302600_NS6detail15normal_iteratorINS9_10device_ptrIyEEEENSB_INSC_IjEEEEPNS0_10empty_typeENS0_5tupleIJSE_SH_EEENSJ_IJNS9_16discard_iteratorINS9_11use_defaultEEESI_EEENS0_18inequality_wrapperINS9_8equal_toIyEEEEPmJSH_EEE10hipError_tPvRmT3_T4_T5_T6_T7_T9_mT8_P12ihipStream_tbDpT10_ENKUlT_T0_E_clISt17integral_constantIbLb1EES1D_EEDaS18_S19_EUlS18_E_NS1_11comp_targetILNS1_3genE2ELNS1_11target_archE906ELNS1_3gpuE6ELNS1_3repE0EEENS1_30default_config_static_selectorELNS0_4arch9wavefront6targetE0EEEvT1_
	.globl	_ZN7rocprim17ROCPRIM_400000_NS6detail17trampoline_kernelINS0_14default_configENS1_25partition_config_selectorILNS1_17partition_subalgoE9EyjbEEZZNS1_14partition_implILS5_9ELb0ES3_jN6thrust23THRUST_200600_302600_NS6detail15normal_iteratorINS9_10device_ptrIyEEEENSB_INSC_IjEEEEPNS0_10empty_typeENS0_5tupleIJSE_SH_EEENSJ_IJNS9_16discard_iteratorINS9_11use_defaultEEESI_EEENS0_18inequality_wrapperINS9_8equal_toIyEEEEPmJSH_EEE10hipError_tPvRmT3_T4_T5_T6_T7_T9_mT8_P12ihipStream_tbDpT10_ENKUlT_T0_E_clISt17integral_constantIbLb1EES1D_EEDaS18_S19_EUlS18_E_NS1_11comp_targetILNS1_3genE2ELNS1_11target_archE906ELNS1_3gpuE6ELNS1_3repE0EEENS1_30default_config_static_selectorELNS0_4arch9wavefront6targetE0EEEvT1_
	.p2align	8
	.type	_ZN7rocprim17ROCPRIM_400000_NS6detail17trampoline_kernelINS0_14default_configENS1_25partition_config_selectorILNS1_17partition_subalgoE9EyjbEEZZNS1_14partition_implILS5_9ELb0ES3_jN6thrust23THRUST_200600_302600_NS6detail15normal_iteratorINS9_10device_ptrIyEEEENSB_INSC_IjEEEEPNS0_10empty_typeENS0_5tupleIJSE_SH_EEENSJ_IJNS9_16discard_iteratorINS9_11use_defaultEEESI_EEENS0_18inequality_wrapperINS9_8equal_toIyEEEEPmJSH_EEE10hipError_tPvRmT3_T4_T5_T6_T7_T9_mT8_P12ihipStream_tbDpT10_ENKUlT_T0_E_clISt17integral_constantIbLb1EES1D_EEDaS18_S19_EUlS18_E_NS1_11comp_targetILNS1_3genE2ELNS1_11target_archE906ELNS1_3gpuE6ELNS1_3repE0EEENS1_30default_config_static_selectorELNS0_4arch9wavefront6targetE0EEEvT1_,@function
_ZN7rocprim17ROCPRIM_400000_NS6detail17trampoline_kernelINS0_14default_configENS1_25partition_config_selectorILNS1_17partition_subalgoE9EyjbEEZZNS1_14partition_implILS5_9ELb0ES3_jN6thrust23THRUST_200600_302600_NS6detail15normal_iteratorINS9_10device_ptrIyEEEENSB_INSC_IjEEEEPNS0_10empty_typeENS0_5tupleIJSE_SH_EEENSJ_IJNS9_16discard_iteratorINS9_11use_defaultEEESI_EEENS0_18inequality_wrapperINS9_8equal_toIyEEEEPmJSH_EEE10hipError_tPvRmT3_T4_T5_T6_T7_T9_mT8_P12ihipStream_tbDpT10_ENKUlT_T0_E_clISt17integral_constantIbLb1EES1D_EEDaS18_S19_EUlS18_E_NS1_11comp_targetILNS1_3genE2ELNS1_11target_archE906ELNS1_3gpuE6ELNS1_3repE0EEENS1_30default_config_static_selectorELNS0_4arch9wavefront6targetE0EEEvT1_: ; @_ZN7rocprim17ROCPRIM_400000_NS6detail17trampoline_kernelINS0_14default_configENS1_25partition_config_selectorILNS1_17partition_subalgoE9EyjbEEZZNS1_14partition_implILS5_9ELb0ES3_jN6thrust23THRUST_200600_302600_NS6detail15normal_iteratorINS9_10device_ptrIyEEEENSB_INSC_IjEEEEPNS0_10empty_typeENS0_5tupleIJSE_SH_EEENSJ_IJNS9_16discard_iteratorINS9_11use_defaultEEESI_EEENS0_18inequality_wrapperINS9_8equal_toIyEEEEPmJSH_EEE10hipError_tPvRmT3_T4_T5_T6_T7_T9_mT8_P12ihipStream_tbDpT10_ENKUlT_T0_E_clISt17integral_constantIbLb1EES1D_EEDaS18_S19_EUlS18_E_NS1_11comp_targetILNS1_3genE2ELNS1_11target_archE906ELNS1_3gpuE6ELNS1_3repE0EEENS1_30default_config_static_selectorELNS0_4arch9wavefront6targetE0EEEvT1_
; %bb.0:
	.section	.rodata,"a",@progbits
	.p2align	6, 0x0
	.amdhsa_kernel _ZN7rocprim17ROCPRIM_400000_NS6detail17trampoline_kernelINS0_14default_configENS1_25partition_config_selectorILNS1_17partition_subalgoE9EyjbEEZZNS1_14partition_implILS5_9ELb0ES3_jN6thrust23THRUST_200600_302600_NS6detail15normal_iteratorINS9_10device_ptrIyEEEENSB_INSC_IjEEEEPNS0_10empty_typeENS0_5tupleIJSE_SH_EEENSJ_IJNS9_16discard_iteratorINS9_11use_defaultEEESI_EEENS0_18inequality_wrapperINS9_8equal_toIyEEEEPmJSH_EEE10hipError_tPvRmT3_T4_T5_T6_T7_T9_mT8_P12ihipStream_tbDpT10_ENKUlT_T0_E_clISt17integral_constantIbLb1EES1D_EEDaS18_S19_EUlS18_E_NS1_11comp_targetILNS1_3genE2ELNS1_11target_archE906ELNS1_3gpuE6ELNS1_3repE0EEENS1_30default_config_static_selectorELNS0_4arch9wavefront6targetE0EEEvT1_
		.amdhsa_group_segment_fixed_size 0
		.amdhsa_private_segment_fixed_size 0
		.amdhsa_kernarg_size 136
		.amdhsa_user_sgpr_count 15
		.amdhsa_user_sgpr_dispatch_ptr 0
		.amdhsa_user_sgpr_queue_ptr 0
		.amdhsa_user_sgpr_kernarg_segment_ptr 1
		.amdhsa_user_sgpr_dispatch_id 0
		.amdhsa_user_sgpr_private_segment_size 0
		.amdhsa_wavefront_size32 1
		.amdhsa_uses_dynamic_stack 0
		.amdhsa_enable_private_segment 0
		.amdhsa_system_sgpr_workgroup_id_x 1
		.amdhsa_system_sgpr_workgroup_id_y 0
		.amdhsa_system_sgpr_workgroup_id_z 0
		.amdhsa_system_sgpr_workgroup_info 0
		.amdhsa_system_vgpr_workitem_id 0
		.amdhsa_next_free_vgpr 1
		.amdhsa_next_free_sgpr 1
		.amdhsa_reserve_vcc 0
		.amdhsa_float_round_mode_32 0
		.amdhsa_float_round_mode_16_64 0
		.amdhsa_float_denorm_mode_32 3
		.amdhsa_float_denorm_mode_16_64 3
		.amdhsa_dx10_clamp 1
		.amdhsa_ieee_mode 1
		.amdhsa_fp16_overflow 0
		.amdhsa_workgroup_processor_mode 1
		.amdhsa_memory_ordered 1
		.amdhsa_forward_progress 0
		.amdhsa_shared_vgpr_count 0
		.amdhsa_exception_fp_ieee_invalid_op 0
		.amdhsa_exception_fp_denorm_src 0
		.amdhsa_exception_fp_ieee_div_zero 0
		.amdhsa_exception_fp_ieee_overflow 0
		.amdhsa_exception_fp_ieee_underflow 0
		.amdhsa_exception_fp_ieee_inexact 0
		.amdhsa_exception_int_div_zero 0
	.end_amdhsa_kernel
	.section	.text._ZN7rocprim17ROCPRIM_400000_NS6detail17trampoline_kernelINS0_14default_configENS1_25partition_config_selectorILNS1_17partition_subalgoE9EyjbEEZZNS1_14partition_implILS5_9ELb0ES3_jN6thrust23THRUST_200600_302600_NS6detail15normal_iteratorINS9_10device_ptrIyEEEENSB_INSC_IjEEEEPNS0_10empty_typeENS0_5tupleIJSE_SH_EEENSJ_IJNS9_16discard_iteratorINS9_11use_defaultEEESI_EEENS0_18inequality_wrapperINS9_8equal_toIyEEEEPmJSH_EEE10hipError_tPvRmT3_T4_T5_T6_T7_T9_mT8_P12ihipStream_tbDpT10_ENKUlT_T0_E_clISt17integral_constantIbLb1EES1D_EEDaS18_S19_EUlS18_E_NS1_11comp_targetILNS1_3genE2ELNS1_11target_archE906ELNS1_3gpuE6ELNS1_3repE0EEENS1_30default_config_static_selectorELNS0_4arch9wavefront6targetE0EEEvT1_,"axG",@progbits,_ZN7rocprim17ROCPRIM_400000_NS6detail17trampoline_kernelINS0_14default_configENS1_25partition_config_selectorILNS1_17partition_subalgoE9EyjbEEZZNS1_14partition_implILS5_9ELb0ES3_jN6thrust23THRUST_200600_302600_NS6detail15normal_iteratorINS9_10device_ptrIyEEEENSB_INSC_IjEEEEPNS0_10empty_typeENS0_5tupleIJSE_SH_EEENSJ_IJNS9_16discard_iteratorINS9_11use_defaultEEESI_EEENS0_18inequality_wrapperINS9_8equal_toIyEEEEPmJSH_EEE10hipError_tPvRmT3_T4_T5_T6_T7_T9_mT8_P12ihipStream_tbDpT10_ENKUlT_T0_E_clISt17integral_constantIbLb1EES1D_EEDaS18_S19_EUlS18_E_NS1_11comp_targetILNS1_3genE2ELNS1_11target_archE906ELNS1_3gpuE6ELNS1_3repE0EEENS1_30default_config_static_selectorELNS0_4arch9wavefront6targetE0EEEvT1_,comdat
.Lfunc_end737:
	.size	_ZN7rocprim17ROCPRIM_400000_NS6detail17trampoline_kernelINS0_14default_configENS1_25partition_config_selectorILNS1_17partition_subalgoE9EyjbEEZZNS1_14partition_implILS5_9ELb0ES3_jN6thrust23THRUST_200600_302600_NS6detail15normal_iteratorINS9_10device_ptrIyEEEENSB_INSC_IjEEEEPNS0_10empty_typeENS0_5tupleIJSE_SH_EEENSJ_IJNS9_16discard_iteratorINS9_11use_defaultEEESI_EEENS0_18inequality_wrapperINS9_8equal_toIyEEEEPmJSH_EEE10hipError_tPvRmT3_T4_T5_T6_T7_T9_mT8_P12ihipStream_tbDpT10_ENKUlT_T0_E_clISt17integral_constantIbLb1EES1D_EEDaS18_S19_EUlS18_E_NS1_11comp_targetILNS1_3genE2ELNS1_11target_archE906ELNS1_3gpuE6ELNS1_3repE0EEENS1_30default_config_static_selectorELNS0_4arch9wavefront6targetE0EEEvT1_, .Lfunc_end737-_ZN7rocprim17ROCPRIM_400000_NS6detail17trampoline_kernelINS0_14default_configENS1_25partition_config_selectorILNS1_17partition_subalgoE9EyjbEEZZNS1_14partition_implILS5_9ELb0ES3_jN6thrust23THRUST_200600_302600_NS6detail15normal_iteratorINS9_10device_ptrIyEEEENSB_INSC_IjEEEEPNS0_10empty_typeENS0_5tupleIJSE_SH_EEENSJ_IJNS9_16discard_iteratorINS9_11use_defaultEEESI_EEENS0_18inequality_wrapperINS9_8equal_toIyEEEEPmJSH_EEE10hipError_tPvRmT3_T4_T5_T6_T7_T9_mT8_P12ihipStream_tbDpT10_ENKUlT_T0_E_clISt17integral_constantIbLb1EES1D_EEDaS18_S19_EUlS18_E_NS1_11comp_targetILNS1_3genE2ELNS1_11target_archE906ELNS1_3gpuE6ELNS1_3repE0EEENS1_30default_config_static_selectorELNS0_4arch9wavefront6targetE0EEEvT1_
                                        ; -- End function
	.section	.AMDGPU.csdata,"",@progbits
; Kernel info:
; codeLenInByte = 0
; NumSgprs: 0
; NumVgprs: 0
; ScratchSize: 0
; MemoryBound: 0
; FloatMode: 240
; IeeeMode: 1
; LDSByteSize: 0 bytes/workgroup (compile time only)
; SGPRBlocks: 0
; VGPRBlocks: 0
; NumSGPRsForWavesPerEU: 1
; NumVGPRsForWavesPerEU: 1
; Occupancy: 16
; WaveLimiterHint : 0
; COMPUTE_PGM_RSRC2:SCRATCH_EN: 0
; COMPUTE_PGM_RSRC2:USER_SGPR: 15
; COMPUTE_PGM_RSRC2:TRAP_HANDLER: 0
; COMPUTE_PGM_RSRC2:TGID_X_EN: 1
; COMPUTE_PGM_RSRC2:TGID_Y_EN: 0
; COMPUTE_PGM_RSRC2:TGID_Z_EN: 0
; COMPUTE_PGM_RSRC2:TIDIG_COMP_CNT: 0
	.section	.text._ZN7rocprim17ROCPRIM_400000_NS6detail17trampoline_kernelINS0_14default_configENS1_25partition_config_selectorILNS1_17partition_subalgoE9EyjbEEZZNS1_14partition_implILS5_9ELb0ES3_jN6thrust23THRUST_200600_302600_NS6detail15normal_iteratorINS9_10device_ptrIyEEEENSB_INSC_IjEEEEPNS0_10empty_typeENS0_5tupleIJSE_SH_EEENSJ_IJNS9_16discard_iteratorINS9_11use_defaultEEESI_EEENS0_18inequality_wrapperINS9_8equal_toIyEEEEPmJSH_EEE10hipError_tPvRmT3_T4_T5_T6_T7_T9_mT8_P12ihipStream_tbDpT10_ENKUlT_T0_E_clISt17integral_constantIbLb1EES1D_EEDaS18_S19_EUlS18_E_NS1_11comp_targetILNS1_3genE10ELNS1_11target_archE1200ELNS1_3gpuE4ELNS1_3repE0EEENS1_30default_config_static_selectorELNS0_4arch9wavefront6targetE0EEEvT1_,"axG",@progbits,_ZN7rocprim17ROCPRIM_400000_NS6detail17trampoline_kernelINS0_14default_configENS1_25partition_config_selectorILNS1_17partition_subalgoE9EyjbEEZZNS1_14partition_implILS5_9ELb0ES3_jN6thrust23THRUST_200600_302600_NS6detail15normal_iteratorINS9_10device_ptrIyEEEENSB_INSC_IjEEEEPNS0_10empty_typeENS0_5tupleIJSE_SH_EEENSJ_IJNS9_16discard_iteratorINS9_11use_defaultEEESI_EEENS0_18inequality_wrapperINS9_8equal_toIyEEEEPmJSH_EEE10hipError_tPvRmT3_T4_T5_T6_T7_T9_mT8_P12ihipStream_tbDpT10_ENKUlT_T0_E_clISt17integral_constantIbLb1EES1D_EEDaS18_S19_EUlS18_E_NS1_11comp_targetILNS1_3genE10ELNS1_11target_archE1200ELNS1_3gpuE4ELNS1_3repE0EEENS1_30default_config_static_selectorELNS0_4arch9wavefront6targetE0EEEvT1_,comdat
	.protected	_ZN7rocprim17ROCPRIM_400000_NS6detail17trampoline_kernelINS0_14default_configENS1_25partition_config_selectorILNS1_17partition_subalgoE9EyjbEEZZNS1_14partition_implILS5_9ELb0ES3_jN6thrust23THRUST_200600_302600_NS6detail15normal_iteratorINS9_10device_ptrIyEEEENSB_INSC_IjEEEEPNS0_10empty_typeENS0_5tupleIJSE_SH_EEENSJ_IJNS9_16discard_iteratorINS9_11use_defaultEEESI_EEENS0_18inequality_wrapperINS9_8equal_toIyEEEEPmJSH_EEE10hipError_tPvRmT3_T4_T5_T6_T7_T9_mT8_P12ihipStream_tbDpT10_ENKUlT_T0_E_clISt17integral_constantIbLb1EES1D_EEDaS18_S19_EUlS18_E_NS1_11comp_targetILNS1_3genE10ELNS1_11target_archE1200ELNS1_3gpuE4ELNS1_3repE0EEENS1_30default_config_static_selectorELNS0_4arch9wavefront6targetE0EEEvT1_ ; -- Begin function _ZN7rocprim17ROCPRIM_400000_NS6detail17trampoline_kernelINS0_14default_configENS1_25partition_config_selectorILNS1_17partition_subalgoE9EyjbEEZZNS1_14partition_implILS5_9ELb0ES3_jN6thrust23THRUST_200600_302600_NS6detail15normal_iteratorINS9_10device_ptrIyEEEENSB_INSC_IjEEEEPNS0_10empty_typeENS0_5tupleIJSE_SH_EEENSJ_IJNS9_16discard_iteratorINS9_11use_defaultEEESI_EEENS0_18inequality_wrapperINS9_8equal_toIyEEEEPmJSH_EEE10hipError_tPvRmT3_T4_T5_T6_T7_T9_mT8_P12ihipStream_tbDpT10_ENKUlT_T0_E_clISt17integral_constantIbLb1EES1D_EEDaS18_S19_EUlS18_E_NS1_11comp_targetILNS1_3genE10ELNS1_11target_archE1200ELNS1_3gpuE4ELNS1_3repE0EEENS1_30default_config_static_selectorELNS0_4arch9wavefront6targetE0EEEvT1_
	.globl	_ZN7rocprim17ROCPRIM_400000_NS6detail17trampoline_kernelINS0_14default_configENS1_25partition_config_selectorILNS1_17partition_subalgoE9EyjbEEZZNS1_14partition_implILS5_9ELb0ES3_jN6thrust23THRUST_200600_302600_NS6detail15normal_iteratorINS9_10device_ptrIyEEEENSB_INSC_IjEEEEPNS0_10empty_typeENS0_5tupleIJSE_SH_EEENSJ_IJNS9_16discard_iteratorINS9_11use_defaultEEESI_EEENS0_18inequality_wrapperINS9_8equal_toIyEEEEPmJSH_EEE10hipError_tPvRmT3_T4_T5_T6_T7_T9_mT8_P12ihipStream_tbDpT10_ENKUlT_T0_E_clISt17integral_constantIbLb1EES1D_EEDaS18_S19_EUlS18_E_NS1_11comp_targetILNS1_3genE10ELNS1_11target_archE1200ELNS1_3gpuE4ELNS1_3repE0EEENS1_30default_config_static_selectorELNS0_4arch9wavefront6targetE0EEEvT1_
	.p2align	8
	.type	_ZN7rocprim17ROCPRIM_400000_NS6detail17trampoline_kernelINS0_14default_configENS1_25partition_config_selectorILNS1_17partition_subalgoE9EyjbEEZZNS1_14partition_implILS5_9ELb0ES3_jN6thrust23THRUST_200600_302600_NS6detail15normal_iteratorINS9_10device_ptrIyEEEENSB_INSC_IjEEEEPNS0_10empty_typeENS0_5tupleIJSE_SH_EEENSJ_IJNS9_16discard_iteratorINS9_11use_defaultEEESI_EEENS0_18inequality_wrapperINS9_8equal_toIyEEEEPmJSH_EEE10hipError_tPvRmT3_T4_T5_T6_T7_T9_mT8_P12ihipStream_tbDpT10_ENKUlT_T0_E_clISt17integral_constantIbLb1EES1D_EEDaS18_S19_EUlS18_E_NS1_11comp_targetILNS1_3genE10ELNS1_11target_archE1200ELNS1_3gpuE4ELNS1_3repE0EEENS1_30default_config_static_selectorELNS0_4arch9wavefront6targetE0EEEvT1_,@function
_ZN7rocprim17ROCPRIM_400000_NS6detail17trampoline_kernelINS0_14default_configENS1_25partition_config_selectorILNS1_17partition_subalgoE9EyjbEEZZNS1_14partition_implILS5_9ELb0ES3_jN6thrust23THRUST_200600_302600_NS6detail15normal_iteratorINS9_10device_ptrIyEEEENSB_INSC_IjEEEEPNS0_10empty_typeENS0_5tupleIJSE_SH_EEENSJ_IJNS9_16discard_iteratorINS9_11use_defaultEEESI_EEENS0_18inequality_wrapperINS9_8equal_toIyEEEEPmJSH_EEE10hipError_tPvRmT3_T4_T5_T6_T7_T9_mT8_P12ihipStream_tbDpT10_ENKUlT_T0_E_clISt17integral_constantIbLb1EES1D_EEDaS18_S19_EUlS18_E_NS1_11comp_targetILNS1_3genE10ELNS1_11target_archE1200ELNS1_3gpuE4ELNS1_3repE0EEENS1_30default_config_static_selectorELNS0_4arch9wavefront6targetE0EEEvT1_: ; @_ZN7rocprim17ROCPRIM_400000_NS6detail17trampoline_kernelINS0_14default_configENS1_25partition_config_selectorILNS1_17partition_subalgoE9EyjbEEZZNS1_14partition_implILS5_9ELb0ES3_jN6thrust23THRUST_200600_302600_NS6detail15normal_iteratorINS9_10device_ptrIyEEEENSB_INSC_IjEEEEPNS0_10empty_typeENS0_5tupleIJSE_SH_EEENSJ_IJNS9_16discard_iteratorINS9_11use_defaultEEESI_EEENS0_18inequality_wrapperINS9_8equal_toIyEEEEPmJSH_EEE10hipError_tPvRmT3_T4_T5_T6_T7_T9_mT8_P12ihipStream_tbDpT10_ENKUlT_T0_E_clISt17integral_constantIbLb1EES1D_EEDaS18_S19_EUlS18_E_NS1_11comp_targetILNS1_3genE10ELNS1_11target_archE1200ELNS1_3gpuE4ELNS1_3repE0EEENS1_30default_config_static_selectorELNS0_4arch9wavefront6targetE0EEEvT1_
; %bb.0:
	.section	.rodata,"a",@progbits
	.p2align	6, 0x0
	.amdhsa_kernel _ZN7rocprim17ROCPRIM_400000_NS6detail17trampoline_kernelINS0_14default_configENS1_25partition_config_selectorILNS1_17partition_subalgoE9EyjbEEZZNS1_14partition_implILS5_9ELb0ES3_jN6thrust23THRUST_200600_302600_NS6detail15normal_iteratorINS9_10device_ptrIyEEEENSB_INSC_IjEEEEPNS0_10empty_typeENS0_5tupleIJSE_SH_EEENSJ_IJNS9_16discard_iteratorINS9_11use_defaultEEESI_EEENS0_18inequality_wrapperINS9_8equal_toIyEEEEPmJSH_EEE10hipError_tPvRmT3_T4_T5_T6_T7_T9_mT8_P12ihipStream_tbDpT10_ENKUlT_T0_E_clISt17integral_constantIbLb1EES1D_EEDaS18_S19_EUlS18_E_NS1_11comp_targetILNS1_3genE10ELNS1_11target_archE1200ELNS1_3gpuE4ELNS1_3repE0EEENS1_30default_config_static_selectorELNS0_4arch9wavefront6targetE0EEEvT1_
		.amdhsa_group_segment_fixed_size 0
		.amdhsa_private_segment_fixed_size 0
		.amdhsa_kernarg_size 136
		.amdhsa_user_sgpr_count 15
		.amdhsa_user_sgpr_dispatch_ptr 0
		.amdhsa_user_sgpr_queue_ptr 0
		.amdhsa_user_sgpr_kernarg_segment_ptr 1
		.amdhsa_user_sgpr_dispatch_id 0
		.amdhsa_user_sgpr_private_segment_size 0
		.amdhsa_wavefront_size32 1
		.amdhsa_uses_dynamic_stack 0
		.amdhsa_enable_private_segment 0
		.amdhsa_system_sgpr_workgroup_id_x 1
		.amdhsa_system_sgpr_workgroup_id_y 0
		.amdhsa_system_sgpr_workgroup_id_z 0
		.amdhsa_system_sgpr_workgroup_info 0
		.amdhsa_system_vgpr_workitem_id 0
		.amdhsa_next_free_vgpr 1
		.amdhsa_next_free_sgpr 1
		.amdhsa_reserve_vcc 0
		.amdhsa_float_round_mode_32 0
		.amdhsa_float_round_mode_16_64 0
		.amdhsa_float_denorm_mode_32 3
		.amdhsa_float_denorm_mode_16_64 3
		.amdhsa_dx10_clamp 1
		.amdhsa_ieee_mode 1
		.amdhsa_fp16_overflow 0
		.amdhsa_workgroup_processor_mode 1
		.amdhsa_memory_ordered 1
		.amdhsa_forward_progress 0
		.amdhsa_shared_vgpr_count 0
		.amdhsa_exception_fp_ieee_invalid_op 0
		.amdhsa_exception_fp_denorm_src 0
		.amdhsa_exception_fp_ieee_div_zero 0
		.amdhsa_exception_fp_ieee_overflow 0
		.amdhsa_exception_fp_ieee_underflow 0
		.amdhsa_exception_fp_ieee_inexact 0
		.amdhsa_exception_int_div_zero 0
	.end_amdhsa_kernel
	.section	.text._ZN7rocprim17ROCPRIM_400000_NS6detail17trampoline_kernelINS0_14default_configENS1_25partition_config_selectorILNS1_17partition_subalgoE9EyjbEEZZNS1_14partition_implILS5_9ELb0ES3_jN6thrust23THRUST_200600_302600_NS6detail15normal_iteratorINS9_10device_ptrIyEEEENSB_INSC_IjEEEEPNS0_10empty_typeENS0_5tupleIJSE_SH_EEENSJ_IJNS9_16discard_iteratorINS9_11use_defaultEEESI_EEENS0_18inequality_wrapperINS9_8equal_toIyEEEEPmJSH_EEE10hipError_tPvRmT3_T4_T5_T6_T7_T9_mT8_P12ihipStream_tbDpT10_ENKUlT_T0_E_clISt17integral_constantIbLb1EES1D_EEDaS18_S19_EUlS18_E_NS1_11comp_targetILNS1_3genE10ELNS1_11target_archE1200ELNS1_3gpuE4ELNS1_3repE0EEENS1_30default_config_static_selectorELNS0_4arch9wavefront6targetE0EEEvT1_,"axG",@progbits,_ZN7rocprim17ROCPRIM_400000_NS6detail17trampoline_kernelINS0_14default_configENS1_25partition_config_selectorILNS1_17partition_subalgoE9EyjbEEZZNS1_14partition_implILS5_9ELb0ES3_jN6thrust23THRUST_200600_302600_NS6detail15normal_iteratorINS9_10device_ptrIyEEEENSB_INSC_IjEEEEPNS0_10empty_typeENS0_5tupleIJSE_SH_EEENSJ_IJNS9_16discard_iteratorINS9_11use_defaultEEESI_EEENS0_18inequality_wrapperINS9_8equal_toIyEEEEPmJSH_EEE10hipError_tPvRmT3_T4_T5_T6_T7_T9_mT8_P12ihipStream_tbDpT10_ENKUlT_T0_E_clISt17integral_constantIbLb1EES1D_EEDaS18_S19_EUlS18_E_NS1_11comp_targetILNS1_3genE10ELNS1_11target_archE1200ELNS1_3gpuE4ELNS1_3repE0EEENS1_30default_config_static_selectorELNS0_4arch9wavefront6targetE0EEEvT1_,comdat
.Lfunc_end738:
	.size	_ZN7rocprim17ROCPRIM_400000_NS6detail17trampoline_kernelINS0_14default_configENS1_25partition_config_selectorILNS1_17partition_subalgoE9EyjbEEZZNS1_14partition_implILS5_9ELb0ES3_jN6thrust23THRUST_200600_302600_NS6detail15normal_iteratorINS9_10device_ptrIyEEEENSB_INSC_IjEEEEPNS0_10empty_typeENS0_5tupleIJSE_SH_EEENSJ_IJNS9_16discard_iteratorINS9_11use_defaultEEESI_EEENS0_18inequality_wrapperINS9_8equal_toIyEEEEPmJSH_EEE10hipError_tPvRmT3_T4_T5_T6_T7_T9_mT8_P12ihipStream_tbDpT10_ENKUlT_T0_E_clISt17integral_constantIbLb1EES1D_EEDaS18_S19_EUlS18_E_NS1_11comp_targetILNS1_3genE10ELNS1_11target_archE1200ELNS1_3gpuE4ELNS1_3repE0EEENS1_30default_config_static_selectorELNS0_4arch9wavefront6targetE0EEEvT1_, .Lfunc_end738-_ZN7rocprim17ROCPRIM_400000_NS6detail17trampoline_kernelINS0_14default_configENS1_25partition_config_selectorILNS1_17partition_subalgoE9EyjbEEZZNS1_14partition_implILS5_9ELb0ES3_jN6thrust23THRUST_200600_302600_NS6detail15normal_iteratorINS9_10device_ptrIyEEEENSB_INSC_IjEEEEPNS0_10empty_typeENS0_5tupleIJSE_SH_EEENSJ_IJNS9_16discard_iteratorINS9_11use_defaultEEESI_EEENS0_18inequality_wrapperINS9_8equal_toIyEEEEPmJSH_EEE10hipError_tPvRmT3_T4_T5_T6_T7_T9_mT8_P12ihipStream_tbDpT10_ENKUlT_T0_E_clISt17integral_constantIbLb1EES1D_EEDaS18_S19_EUlS18_E_NS1_11comp_targetILNS1_3genE10ELNS1_11target_archE1200ELNS1_3gpuE4ELNS1_3repE0EEENS1_30default_config_static_selectorELNS0_4arch9wavefront6targetE0EEEvT1_
                                        ; -- End function
	.section	.AMDGPU.csdata,"",@progbits
; Kernel info:
; codeLenInByte = 0
; NumSgprs: 0
; NumVgprs: 0
; ScratchSize: 0
; MemoryBound: 0
; FloatMode: 240
; IeeeMode: 1
; LDSByteSize: 0 bytes/workgroup (compile time only)
; SGPRBlocks: 0
; VGPRBlocks: 0
; NumSGPRsForWavesPerEU: 1
; NumVGPRsForWavesPerEU: 1
; Occupancy: 15
; WaveLimiterHint : 0
; COMPUTE_PGM_RSRC2:SCRATCH_EN: 0
; COMPUTE_PGM_RSRC2:USER_SGPR: 15
; COMPUTE_PGM_RSRC2:TRAP_HANDLER: 0
; COMPUTE_PGM_RSRC2:TGID_X_EN: 1
; COMPUTE_PGM_RSRC2:TGID_Y_EN: 0
; COMPUTE_PGM_RSRC2:TGID_Z_EN: 0
; COMPUTE_PGM_RSRC2:TIDIG_COMP_CNT: 0
	.section	.text._ZN7rocprim17ROCPRIM_400000_NS6detail17trampoline_kernelINS0_14default_configENS1_25partition_config_selectorILNS1_17partition_subalgoE9EyjbEEZZNS1_14partition_implILS5_9ELb0ES3_jN6thrust23THRUST_200600_302600_NS6detail15normal_iteratorINS9_10device_ptrIyEEEENSB_INSC_IjEEEEPNS0_10empty_typeENS0_5tupleIJSE_SH_EEENSJ_IJNS9_16discard_iteratorINS9_11use_defaultEEESI_EEENS0_18inequality_wrapperINS9_8equal_toIyEEEEPmJSH_EEE10hipError_tPvRmT3_T4_T5_T6_T7_T9_mT8_P12ihipStream_tbDpT10_ENKUlT_T0_E_clISt17integral_constantIbLb1EES1D_EEDaS18_S19_EUlS18_E_NS1_11comp_targetILNS1_3genE9ELNS1_11target_archE1100ELNS1_3gpuE3ELNS1_3repE0EEENS1_30default_config_static_selectorELNS0_4arch9wavefront6targetE0EEEvT1_,"axG",@progbits,_ZN7rocprim17ROCPRIM_400000_NS6detail17trampoline_kernelINS0_14default_configENS1_25partition_config_selectorILNS1_17partition_subalgoE9EyjbEEZZNS1_14partition_implILS5_9ELb0ES3_jN6thrust23THRUST_200600_302600_NS6detail15normal_iteratorINS9_10device_ptrIyEEEENSB_INSC_IjEEEEPNS0_10empty_typeENS0_5tupleIJSE_SH_EEENSJ_IJNS9_16discard_iteratorINS9_11use_defaultEEESI_EEENS0_18inequality_wrapperINS9_8equal_toIyEEEEPmJSH_EEE10hipError_tPvRmT3_T4_T5_T6_T7_T9_mT8_P12ihipStream_tbDpT10_ENKUlT_T0_E_clISt17integral_constantIbLb1EES1D_EEDaS18_S19_EUlS18_E_NS1_11comp_targetILNS1_3genE9ELNS1_11target_archE1100ELNS1_3gpuE3ELNS1_3repE0EEENS1_30default_config_static_selectorELNS0_4arch9wavefront6targetE0EEEvT1_,comdat
	.protected	_ZN7rocprim17ROCPRIM_400000_NS6detail17trampoline_kernelINS0_14default_configENS1_25partition_config_selectorILNS1_17partition_subalgoE9EyjbEEZZNS1_14partition_implILS5_9ELb0ES3_jN6thrust23THRUST_200600_302600_NS6detail15normal_iteratorINS9_10device_ptrIyEEEENSB_INSC_IjEEEEPNS0_10empty_typeENS0_5tupleIJSE_SH_EEENSJ_IJNS9_16discard_iteratorINS9_11use_defaultEEESI_EEENS0_18inequality_wrapperINS9_8equal_toIyEEEEPmJSH_EEE10hipError_tPvRmT3_T4_T5_T6_T7_T9_mT8_P12ihipStream_tbDpT10_ENKUlT_T0_E_clISt17integral_constantIbLb1EES1D_EEDaS18_S19_EUlS18_E_NS1_11comp_targetILNS1_3genE9ELNS1_11target_archE1100ELNS1_3gpuE3ELNS1_3repE0EEENS1_30default_config_static_selectorELNS0_4arch9wavefront6targetE0EEEvT1_ ; -- Begin function _ZN7rocprim17ROCPRIM_400000_NS6detail17trampoline_kernelINS0_14default_configENS1_25partition_config_selectorILNS1_17partition_subalgoE9EyjbEEZZNS1_14partition_implILS5_9ELb0ES3_jN6thrust23THRUST_200600_302600_NS6detail15normal_iteratorINS9_10device_ptrIyEEEENSB_INSC_IjEEEEPNS0_10empty_typeENS0_5tupleIJSE_SH_EEENSJ_IJNS9_16discard_iteratorINS9_11use_defaultEEESI_EEENS0_18inequality_wrapperINS9_8equal_toIyEEEEPmJSH_EEE10hipError_tPvRmT3_T4_T5_T6_T7_T9_mT8_P12ihipStream_tbDpT10_ENKUlT_T0_E_clISt17integral_constantIbLb1EES1D_EEDaS18_S19_EUlS18_E_NS1_11comp_targetILNS1_3genE9ELNS1_11target_archE1100ELNS1_3gpuE3ELNS1_3repE0EEENS1_30default_config_static_selectorELNS0_4arch9wavefront6targetE0EEEvT1_
	.globl	_ZN7rocprim17ROCPRIM_400000_NS6detail17trampoline_kernelINS0_14default_configENS1_25partition_config_selectorILNS1_17partition_subalgoE9EyjbEEZZNS1_14partition_implILS5_9ELb0ES3_jN6thrust23THRUST_200600_302600_NS6detail15normal_iteratorINS9_10device_ptrIyEEEENSB_INSC_IjEEEEPNS0_10empty_typeENS0_5tupleIJSE_SH_EEENSJ_IJNS9_16discard_iteratorINS9_11use_defaultEEESI_EEENS0_18inequality_wrapperINS9_8equal_toIyEEEEPmJSH_EEE10hipError_tPvRmT3_T4_T5_T6_T7_T9_mT8_P12ihipStream_tbDpT10_ENKUlT_T0_E_clISt17integral_constantIbLb1EES1D_EEDaS18_S19_EUlS18_E_NS1_11comp_targetILNS1_3genE9ELNS1_11target_archE1100ELNS1_3gpuE3ELNS1_3repE0EEENS1_30default_config_static_selectorELNS0_4arch9wavefront6targetE0EEEvT1_
	.p2align	8
	.type	_ZN7rocprim17ROCPRIM_400000_NS6detail17trampoline_kernelINS0_14default_configENS1_25partition_config_selectorILNS1_17partition_subalgoE9EyjbEEZZNS1_14partition_implILS5_9ELb0ES3_jN6thrust23THRUST_200600_302600_NS6detail15normal_iteratorINS9_10device_ptrIyEEEENSB_INSC_IjEEEEPNS0_10empty_typeENS0_5tupleIJSE_SH_EEENSJ_IJNS9_16discard_iteratorINS9_11use_defaultEEESI_EEENS0_18inequality_wrapperINS9_8equal_toIyEEEEPmJSH_EEE10hipError_tPvRmT3_T4_T5_T6_T7_T9_mT8_P12ihipStream_tbDpT10_ENKUlT_T0_E_clISt17integral_constantIbLb1EES1D_EEDaS18_S19_EUlS18_E_NS1_11comp_targetILNS1_3genE9ELNS1_11target_archE1100ELNS1_3gpuE3ELNS1_3repE0EEENS1_30default_config_static_selectorELNS0_4arch9wavefront6targetE0EEEvT1_,@function
_ZN7rocprim17ROCPRIM_400000_NS6detail17trampoline_kernelINS0_14default_configENS1_25partition_config_selectorILNS1_17partition_subalgoE9EyjbEEZZNS1_14partition_implILS5_9ELb0ES3_jN6thrust23THRUST_200600_302600_NS6detail15normal_iteratorINS9_10device_ptrIyEEEENSB_INSC_IjEEEEPNS0_10empty_typeENS0_5tupleIJSE_SH_EEENSJ_IJNS9_16discard_iteratorINS9_11use_defaultEEESI_EEENS0_18inequality_wrapperINS9_8equal_toIyEEEEPmJSH_EEE10hipError_tPvRmT3_T4_T5_T6_T7_T9_mT8_P12ihipStream_tbDpT10_ENKUlT_T0_E_clISt17integral_constantIbLb1EES1D_EEDaS18_S19_EUlS18_E_NS1_11comp_targetILNS1_3genE9ELNS1_11target_archE1100ELNS1_3gpuE3ELNS1_3repE0EEENS1_30default_config_static_selectorELNS0_4arch9wavefront6targetE0EEEvT1_: ; @_ZN7rocprim17ROCPRIM_400000_NS6detail17trampoline_kernelINS0_14default_configENS1_25partition_config_selectorILNS1_17partition_subalgoE9EyjbEEZZNS1_14partition_implILS5_9ELb0ES3_jN6thrust23THRUST_200600_302600_NS6detail15normal_iteratorINS9_10device_ptrIyEEEENSB_INSC_IjEEEEPNS0_10empty_typeENS0_5tupleIJSE_SH_EEENSJ_IJNS9_16discard_iteratorINS9_11use_defaultEEESI_EEENS0_18inequality_wrapperINS9_8equal_toIyEEEEPmJSH_EEE10hipError_tPvRmT3_T4_T5_T6_T7_T9_mT8_P12ihipStream_tbDpT10_ENKUlT_T0_E_clISt17integral_constantIbLb1EES1D_EEDaS18_S19_EUlS18_E_NS1_11comp_targetILNS1_3genE9ELNS1_11target_archE1100ELNS1_3gpuE3ELNS1_3repE0EEENS1_30default_config_static_selectorELNS0_4arch9wavefront6targetE0EEEvT1_
; %bb.0:
	s_clause 0x5
	s_load_b128 s[4:7], s[0:1], 0x8
	s_load_b64 s[8:9], s[0:1], 0x18
	s_load_b64 s[10:11], s[0:1], 0x28
	s_load_b128 s[12:15], s[0:1], 0x48
	s_load_b64 s[18:19], s[0:1], 0x58
	s_load_b64 s[16:17], s[0:1], 0x68
	v_cmp_ne_u32_e64 s3, 0, v0
	v_cmp_eq_u32_e64 s2, 0, v0
	s_delay_alu instid0(VALU_DEP_1)
	s_and_saveexec_b32 s20, s2
	s_cbranch_execz .LBB739_4
; %bb.1:
	s_mov_b32 s22, exec_lo
	s_mov_b32 s21, exec_lo
	v_mbcnt_lo_u32_b32 v1, s22, 0
                                        ; implicit-def: $vgpr2
	s_delay_alu instid0(VALU_DEP_1)
	v_cmpx_eq_u32_e32 0, v1
	s_cbranch_execz .LBB739_3
; %bb.2:
	s_load_b64 s[24:25], s[0:1], 0x78
	s_bcnt1_i32_b32 s22, s22
	s_delay_alu instid0(SALU_CYCLE_1)
	v_dual_mov_b32 v2, 0 :: v_dual_mov_b32 v3, s22
	s_waitcnt lgkmcnt(0)
	global_atomic_add_u32 v2, v2, v3, s[24:25] glc
.LBB739_3:
	s_or_b32 exec_lo, exec_lo, s21
	s_waitcnt vmcnt(0)
	v_readfirstlane_b32 s21, v2
	s_delay_alu instid0(VALU_DEP_1)
	v_dual_mov_b32 v2, 0 :: v_dual_add_nc_u32 v1, s21, v1
	ds_store_b32 v2, v1
.LBB739_4:
	s_or_b32 exec_lo, exec_lo, s20
	v_mov_b32_e32 v1, 0
	s_waitcnt lgkmcnt(0)
	s_barrier
	buffer_gl0_inv
	s_load_b32 s0, s[0:1], 0x70
	ds_load_b32 v2, v1
	s_waitcnt lgkmcnt(0)
	s_barrier
	buffer_gl0_inv
	global_load_b64 v[17:18], v1, s[14:15]
	s_lshl_b64 s[14:15], s[6:7], 3
	v_lshlrev_b32_e32 v49, 3, v0
	s_add_u32 s22, s4, s14
	s_addc_u32 s23, s5, s15
	v_lshrrev_b32_e32 v26, 2, v0
	v_or_b32_e32 v25, 0x200, v0
	v_or_b32_e32 v24, 0x400, v0
	;; [unrolled: 1-line block ×7, first 2 shown]
	s_add_i32 s5, s0, -1
	v_readfirstlane_b32 s20, v2
	s_lshl_b32 s1, s5, 12
	s_lshl_b32 s0, s0, 12
	s_add_i32 s1, s6, s1
	s_delay_alu instid0(SALU_CYCLE_1)
	s_sub_i32 s21, s18, s1
	s_lshl_b32 s4, s20, 12
	s_add_u32 s0, s6, s0
	s_addc_u32 s1, s7, 0
	s_cmp_eq_u32 s20, s5
	v_cmp_ge_u64_e64 s0, s[0:1], s[18:19]
	s_cselect_b32 s14, -1, 0
	s_mov_b32 s5, 0
	s_delay_alu instid0(VALU_DEP_1)
	s_and_b32 s18, s0, s14
	s_lshl_b64 s[0:1], s[4:5], 3
	s_xor_b32 s15, s18, -1
	s_add_u32 s19, s22, s0
	s_addc_u32 s1, s23, s1
	s_and_b32 vcc_lo, exec_lo, s15
	s_mov_b32 s22, -1
	s_cbranch_vccz .LBB739_6
; %bb.5:
	v_add_co_u32 v1, s0, s19, v49
	s_delay_alu instid0(VALU_DEP_1) | instskip(SKIP_1) | instid1(VALU_DEP_3)
	v_add_co_ci_u32_e64 v2, null, s1, 0, s0
	v_lshrrev_b32_e32 v28, 2, v25
	v_add_co_u32 v3, vcc_lo, 0x1000, v1
	s_delay_alu instid0(VALU_DEP_3)
	v_add_co_ci_u32_e32 v4, vcc_lo, 0, v2, vcc_lo
	v_add_co_u32 v5, vcc_lo, 0x2000, v1
	v_add_co_ci_u32_e32 v6, vcc_lo, 0, v2, vcc_lo
	v_add_co_u32 v7, vcc_lo, 0x3000, v1
	;; [unrolled: 2-line block ×6, first 2 shown]
	v_add_co_ci_u32_e32 v16, vcc_lo, 0, v2, vcc_lo
	s_clause 0x7
	flat_load_b64 v[1:2], v[1:2]
	flat_load_b64 v[3:4], v[3:4]
	;; [unrolled: 1-line block ×8, first 2 shown]
	v_lshrrev_b32_e32 v29, 2, v24
	v_lshrrev_b32_e32 v30, 2, v23
	;; [unrolled: 1-line block ×3, first 2 shown]
	v_and_b32_e32 v27, 0x78, v26
	v_lshrrev_b32_e32 v32, 2, v21
	v_lshrrev_b32_e32 v33, 2, v20
	;; [unrolled: 1-line block ×3, first 2 shown]
	v_and_b32_e32 v28, 0xf8, v28
	v_and_b32_e32 v29, 0x178, v29
	v_and_b32_e32 v30, 0x1f8, v30
	v_and_b32_e32 v31, 0x278, v31
	v_add_nc_u32_e32 v27, v27, v49
	v_and_b32_e32 v32, 0x2f8, v32
	v_and_b32_e32 v33, 0x378, v33
	;; [unrolled: 1-line block ×3, first 2 shown]
	v_add_nc_u32_e32 v28, v28, v49
	v_add_nc_u32_e32 v29, v29, v49
	;; [unrolled: 1-line block ×4, first 2 shown]
	s_mov_b32 s22, s5
	v_add_nc_u32_e32 v32, v32, v49
	v_add_nc_u32_e32 v33, v33, v49
	;; [unrolled: 1-line block ×3, first 2 shown]
	s_waitcnt vmcnt(7) lgkmcnt(7)
	ds_store_b64 v27, v[1:2]
	s_waitcnt vmcnt(6) lgkmcnt(7)
	ds_store_b64 v28, v[3:4] offset:4096
	s_waitcnt vmcnt(5) lgkmcnt(7)
	ds_store_b64 v29, v[5:6] offset:8192
	;; [unrolled: 2-line block ×7, first 2 shown]
	s_waitcnt lgkmcnt(0)
	s_barrier
.LBB739_6:
	v_cmp_gt_u32_e64 s0, s21, v0
	s_and_not1_b32 vcc_lo, exec_lo, s22
	s_cbranch_vccnz .LBB739_24
; %bb.7:
                                        ; implicit-def: $vgpr1_vgpr2_vgpr3_vgpr4_vgpr5_vgpr6_vgpr7_vgpr8_vgpr9_vgpr10_vgpr11_vgpr12_vgpr13_vgpr14_vgpr15_vgpr16
	s_delay_alu instid0(VALU_DEP_1)
	s_and_saveexec_b32 s22, s0
	s_cbranch_execz .LBB739_15
; %bb.8:
	v_add_co_u32 v1, s0, s19, v49
	s_delay_alu instid0(VALU_DEP_1) | instskip(SKIP_2) | instid1(SALU_CYCLE_1)
	v_add_co_ci_u32_e64 v2, null, s1, 0, s0
	flat_load_b64 v[1:2], v[1:2]
	s_or_b32 exec_lo, exec_lo, s22
	s_mov_b32 s0, exec_lo
	v_cmpx_gt_u32_e64 s21, v25
	s_cbranch_execnz .LBB739_16
.LBB739_9:
	s_or_b32 exec_lo, exec_lo, s0
	s_delay_alu instid0(SALU_CYCLE_1)
	s_mov_b32 s0, exec_lo
	v_cmpx_gt_u32_e64 s21, v24
	s_cbranch_execz .LBB739_17
.LBB739_10:
	v_lshlrev_b32_e32 v5, 3, v24
	s_delay_alu instid0(VALU_DEP_1) | instskip(NEXT) | instid1(VALU_DEP_1)
	v_add_co_u32 v5, s22, s19, v5
	v_add_co_ci_u32_e64 v6, null, s1, 0, s22
	flat_load_b64 v[5:6], v[5:6]
	s_or_b32 exec_lo, exec_lo, s0
	s_delay_alu instid0(SALU_CYCLE_1)
	s_mov_b32 s0, exec_lo
	v_cmpx_gt_u32_e64 s21, v23
	s_cbranch_execnz .LBB739_18
.LBB739_11:
	s_or_b32 exec_lo, exec_lo, s0
	s_delay_alu instid0(SALU_CYCLE_1)
	s_mov_b32 s0, exec_lo
	v_cmpx_gt_u32_e64 s21, v22
	s_cbranch_execz .LBB739_19
.LBB739_12:
	v_lshlrev_b32_e32 v9, 3, v22
	s_delay_alu instid0(VALU_DEP_1) | instskip(NEXT) | instid1(VALU_DEP_1)
	v_add_co_u32 v9, s22, s19, v9
	v_add_co_ci_u32_e64 v10, null, s1, 0, s22
	flat_load_b64 v[9:10], v[9:10]
	s_or_b32 exec_lo, exec_lo, s0
	s_delay_alu instid0(SALU_CYCLE_1)
	s_mov_b32 s0, exec_lo
	v_cmpx_gt_u32_e64 s21, v21
	s_cbranch_execnz .LBB739_20
.LBB739_13:
	s_or_b32 exec_lo, exec_lo, s0
	s_delay_alu instid0(SALU_CYCLE_1)
	s_mov_b32 s0, exec_lo
	v_cmpx_gt_u32_e64 s21, v20
	s_cbranch_execz .LBB739_21
.LBB739_14:
	v_lshlrev_b32_e32 v13, 3, v20
	s_delay_alu instid0(VALU_DEP_1) | instskip(NEXT) | instid1(VALU_DEP_1)
	v_add_co_u32 v13, s22, s19, v13
	v_add_co_ci_u32_e64 v14, null, s1, 0, s22
	flat_load_b64 v[13:14], v[13:14]
	s_or_b32 exec_lo, exec_lo, s0
	s_delay_alu instid0(SALU_CYCLE_1)
	s_mov_b32 s0, exec_lo
	v_cmpx_gt_u32_e64 s21, v19
	s_cbranch_execnz .LBB739_22
	s_branch .LBB739_23
.LBB739_15:
	s_or_b32 exec_lo, exec_lo, s22
	s_delay_alu instid0(SALU_CYCLE_1)
	s_mov_b32 s0, exec_lo
	v_cmpx_gt_u32_e64 s21, v25
	s_cbranch_execz .LBB739_9
.LBB739_16:
	v_lshlrev_b32_e32 v3, 3, v25
	s_delay_alu instid0(VALU_DEP_1) | instskip(NEXT) | instid1(VALU_DEP_1)
	v_add_co_u32 v3, s22, s19, v3
	v_add_co_ci_u32_e64 v4, null, s1, 0, s22
	flat_load_b64 v[3:4], v[3:4]
	s_or_b32 exec_lo, exec_lo, s0
	s_delay_alu instid0(SALU_CYCLE_1)
	s_mov_b32 s0, exec_lo
	v_cmpx_gt_u32_e64 s21, v24
	s_cbranch_execnz .LBB739_10
.LBB739_17:
	s_or_b32 exec_lo, exec_lo, s0
	s_delay_alu instid0(SALU_CYCLE_1)
	s_mov_b32 s0, exec_lo
	v_cmpx_gt_u32_e64 s21, v23
	s_cbranch_execz .LBB739_11
.LBB739_18:
	v_lshlrev_b32_e32 v7, 3, v23
	s_delay_alu instid0(VALU_DEP_1) | instskip(NEXT) | instid1(VALU_DEP_1)
	v_add_co_u32 v7, s22, s19, v7
	v_add_co_ci_u32_e64 v8, null, s1, 0, s22
	flat_load_b64 v[7:8], v[7:8]
	s_or_b32 exec_lo, exec_lo, s0
	s_delay_alu instid0(SALU_CYCLE_1)
	s_mov_b32 s0, exec_lo
	v_cmpx_gt_u32_e64 s21, v22
	s_cbranch_execnz .LBB739_12
.LBB739_19:
	s_or_b32 exec_lo, exec_lo, s0
	s_delay_alu instid0(SALU_CYCLE_1)
	s_mov_b32 s0, exec_lo
	v_cmpx_gt_u32_e64 s21, v21
	s_cbranch_execz .LBB739_13
.LBB739_20:
	v_lshlrev_b32_e32 v11, 3, v21
	s_delay_alu instid0(VALU_DEP_1) | instskip(NEXT) | instid1(VALU_DEP_1)
	v_add_co_u32 v11, s22, s19, v11
	v_add_co_ci_u32_e64 v12, null, s1, 0, s22
	flat_load_b64 v[11:12], v[11:12]
	s_or_b32 exec_lo, exec_lo, s0
	s_delay_alu instid0(SALU_CYCLE_1)
	s_mov_b32 s0, exec_lo
	v_cmpx_gt_u32_e64 s21, v20
	s_cbranch_execnz .LBB739_14
.LBB739_21:
	s_or_b32 exec_lo, exec_lo, s0
	s_delay_alu instid0(SALU_CYCLE_1)
	s_mov_b32 s0, exec_lo
	v_cmpx_gt_u32_e64 s21, v19
	s_cbranch_execz .LBB739_23
.LBB739_22:
	v_lshlrev_b32_e32 v15, 3, v19
	s_delay_alu instid0(VALU_DEP_1) | instskip(NEXT) | instid1(VALU_DEP_1)
	v_add_co_u32 v15, s22, s19, v15
	v_add_co_ci_u32_e64 v16, null, s1, 0, s22
	flat_load_b64 v[15:16], v[15:16]
.LBB739_23:
	s_or_b32 exec_lo, exec_lo, s0
	v_lshrrev_b32_e32 v27, 2, v25
	v_lshrrev_b32_e32 v28, 2, v24
	v_lshrrev_b32_e32 v30, 2, v23
	v_lshrrev_b32_e32 v31, 2, v22
	v_and_b32_e32 v29, 0x78, v26
	v_lshrrev_b32_e32 v32, 2, v21
	v_lshrrev_b32_e32 v33, 2, v20
	;; [unrolled: 1-line block ×3, first 2 shown]
	v_and_b32_e32 v27, 0xf8, v27
	v_and_b32_e32 v28, 0x1f8, v28
	;; [unrolled: 1-line block ×4, first 2 shown]
	v_add_nc_u32_e32 v29, v29, v49
	v_and_b32_e32 v32, 0x3f8, v32
	v_and_b32_e32 v33, 0x3f8, v33
	;; [unrolled: 1-line block ×3, first 2 shown]
	v_add_nc_u32_e32 v27, v27, v49
	v_add_nc_u32_e32 v28, v28, v49
	;; [unrolled: 1-line block ×7, first 2 shown]
	s_waitcnt vmcnt(0) lgkmcnt(0)
	ds_store_b64 v29, v[1:2]
	ds_store_b64 v27, v[3:4] offset:4096
	ds_store_b64 v28, v[5:6] offset:8192
	;; [unrolled: 1-line block ×7, first 2 shown]
	s_waitcnt lgkmcnt(0)
	s_barrier
.LBB739_24:
	v_add_nc_u32_e32 v26, v26, v49
	s_waitcnt vmcnt(0)
	buffer_gl0_inv
	s_lshl_b64 s[22:23], s[6:7], 2
	v_lshrrev_b32_e32 v28, 3, v0
	s_add_u32 s0, s8, s22
	v_lshlrev_b32_e32 v27, 3, v26
	s_addc_u32 s8, s9, s23
	s_lshl_b64 s[4:5], s[4:5], 2
	ds_load_2addr_b64 v[13:16], v27 offset1:1
	ds_load_2addr_b64 v[9:12], v27 offset0:2 offset1:3
	ds_load_2addr_b64 v[5:8], v27 offset0:4 offset1:5
	ds_load_2addr_b64 v[1:4], v27 offset0:6 offset1:7
	s_add_u32 s0, s0, s4
	s_addc_u32 s4, s8, s5
	s_and_b32 vcc_lo, exec_lo, s15
	s_mov_b32 s5, -1
	s_waitcnt lgkmcnt(0)
	s_barrier
	buffer_gl0_inv
	s_cbranch_vccz .LBB739_26
; %bb.25:
	v_lshlrev_b32_e32 v37, 2, v0
	v_lshrrev_b32_e32 v39, 3, v25
	v_lshrrev_b32_e32 v40, 3, v24
	;; [unrolled: 1-line block ×4, first 2 shown]
	v_add_co_u32 v29, s5, s0, v37
	s_delay_alu instid0(VALU_DEP_1) | instskip(SKIP_1) | instid1(VALU_DEP_3)
	v_add_co_ci_u32_e64 v30, null, s4, 0, s5
	v_lshrrev_b32_e32 v43, 3, v21
	v_add_co_u32 v31, vcc_lo, 0x1000, v29
	s_delay_alu instid0(VALU_DEP_3)
	v_add_co_ci_u32_e32 v32, vcc_lo, 0, v30, vcc_lo
	v_add_co_u32 v33, vcc_lo, 0x2000, v29
	v_add_co_ci_u32_e32 v34, vcc_lo, 0, v30, vcc_lo
	v_add_co_u32 v35, vcc_lo, 0x3000, v29
	v_add_co_ci_u32_e32 v36, vcc_lo, 0, v30, vcc_lo
	s_clause 0x7
	flat_load_b32 v38, v[29:30]
	flat_load_b32 v29, v[29:30] offset:2048
	flat_load_b32 v30, v[31:32]
	flat_load_b32 v31, v[31:32] offset:2048
	;; [unrolled: 2-line block ×4, first 2 shown]
	v_and_b32_e32 v36, 60, v28
	v_lshrrev_b32_e32 v44, 3, v20
	v_lshrrev_b32_e32 v45, 3, v19
	v_and_b32_e32 v39, 0x7c, v39
	v_and_b32_e32 v40, 0xbc, v40
	;; [unrolled: 1-line block ×4, first 2 shown]
	v_add_nc_u32_e32 v36, v36, v37
	v_and_b32_e32 v43, 0x17c, v43
	v_and_b32_e32 v44, 0x1bc, v44
	;; [unrolled: 1-line block ×3, first 2 shown]
	v_add_nc_u32_e32 v39, v39, v37
	v_add_nc_u32_e32 v40, v40, v37
	v_add_nc_u32_e32 v41, v41, v37
	v_add_nc_u32_e32 v42, v42, v37
	s_mov_b32 s5, 0
	v_add_nc_u32_e32 v43, v43, v37
	v_add_nc_u32_e32 v44, v44, v37
	v_add_nc_u32_e32 v37, v45, v37
	s_waitcnt vmcnt(7) lgkmcnt(7)
	ds_store_b32 v36, v38
	s_waitcnt vmcnt(6) lgkmcnt(7)
	ds_store_b32 v39, v29 offset:2048
	s_waitcnt vmcnt(5) lgkmcnt(7)
	ds_store_b32 v40, v30 offset:4096
	;; [unrolled: 2-line block ×7, first 2 shown]
	s_waitcnt lgkmcnt(0)
	s_barrier
.LBB739_26:
	s_and_not1_b32 vcc_lo, exec_lo, s5
	s_cbranch_vccnz .LBB739_44
; %bb.27:
	s_mov_b32 s5, exec_lo
                                        ; implicit-def: $vgpr29
	v_cmpx_gt_u32_e64 s21, v0
	s_cbranch_execz .LBB739_29
; %bb.28:
	v_lshlrev_b32_e32 v29, 2, v0
	s_delay_alu instid0(VALU_DEP_1) | instskip(NEXT) | instid1(VALU_DEP_1)
	v_add_co_u32 v29, s8, s0, v29
	v_add_co_ci_u32_e64 v30, null, s4, 0, s8
	flat_load_b32 v29, v[29:30]
.LBB739_29:
	s_or_b32 exec_lo, exec_lo, s5
	s_delay_alu instid0(SALU_CYCLE_1)
	s_mov_b32 s5, exec_lo
                                        ; implicit-def: $vgpr30
	v_cmpx_gt_u32_e64 s21, v25
	s_cbranch_execz .LBB739_31
; %bb.30:
	v_lshlrev_b32_e32 v30, 2, v0
	s_delay_alu instid0(VALU_DEP_1) | instskip(NEXT) | instid1(VALU_DEP_1)
	v_add_co_u32 v30, s8, s0, v30
	v_add_co_ci_u32_e64 v31, null, s4, 0, s8
	flat_load_b32 v30, v[30:31] offset:2048
.LBB739_31:
	s_or_b32 exec_lo, exec_lo, s5
	s_delay_alu instid0(SALU_CYCLE_1)
	s_mov_b32 s5, exec_lo
                                        ; implicit-def: $vgpr31
	v_cmpx_gt_u32_e64 s21, v24
	s_cbranch_execz .LBB739_33
; %bb.32:
	v_lshlrev_b32_e32 v31, 2, v24
	s_delay_alu instid0(VALU_DEP_1) | instskip(NEXT) | instid1(VALU_DEP_1)
	v_add_co_u32 v31, s8, s0, v31
	v_add_co_ci_u32_e64 v32, null, s4, 0, s8
	flat_load_b32 v31, v[31:32]
.LBB739_33:
	s_or_b32 exec_lo, exec_lo, s5
	s_delay_alu instid0(SALU_CYCLE_1)
	s_mov_b32 s5, exec_lo
                                        ; implicit-def: $vgpr32
	v_cmpx_gt_u32_e64 s21, v23
	s_cbranch_execz .LBB739_35
; %bb.34:
	v_lshlrev_b32_e32 v32, 2, v23
	s_delay_alu instid0(VALU_DEP_1) | instskip(NEXT) | instid1(VALU_DEP_1)
	v_add_co_u32 v32, s8, s0, v32
	v_add_co_ci_u32_e64 v33, null, s4, 0, s8
	flat_load_b32 v32, v[32:33]
.LBB739_35:
	s_or_b32 exec_lo, exec_lo, s5
	s_delay_alu instid0(SALU_CYCLE_1)
	s_mov_b32 s5, exec_lo
                                        ; implicit-def: $vgpr33
	v_cmpx_gt_u32_e64 s21, v22
	s_cbranch_execz .LBB739_37
; %bb.36:
	v_lshlrev_b32_e32 v33, 2, v22
	s_delay_alu instid0(VALU_DEP_1) | instskip(NEXT) | instid1(VALU_DEP_1)
	v_add_co_u32 v33, s8, s0, v33
	v_add_co_ci_u32_e64 v34, null, s4, 0, s8
	flat_load_b32 v33, v[33:34]
.LBB739_37:
	s_or_b32 exec_lo, exec_lo, s5
	s_delay_alu instid0(SALU_CYCLE_1)
	s_mov_b32 s5, exec_lo
                                        ; implicit-def: $vgpr34
	v_cmpx_gt_u32_e64 s21, v21
	s_cbranch_execz .LBB739_39
; %bb.38:
	v_lshlrev_b32_e32 v34, 2, v21
	s_delay_alu instid0(VALU_DEP_1) | instskip(NEXT) | instid1(VALU_DEP_1)
	v_add_co_u32 v34, s8, s0, v34
	v_add_co_ci_u32_e64 v35, null, s4, 0, s8
	flat_load_b32 v34, v[34:35]
.LBB739_39:
	s_or_b32 exec_lo, exec_lo, s5
	s_delay_alu instid0(SALU_CYCLE_1)
	s_mov_b32 s5, exec_lo
                                        ; implicit-def: $vgpr35
	v_cmpx_gt_u32_e64 s21, v20
	s_cbranch_execz .LBB739_41
; %bb.40:
	v_lshlrev_b32_e32 v35, 2, v20
	s_delay_alu instid0(VALU_DEP_1) | instskip(NEXT) | instid1(VALU_DEP_1)
	v_add_co_u32 v35, s8, s0, v35
	v_add_co_ci_u32_e64 v36, null, s4, 0, s8
	flat_load_b32 v35, v[35:36]
.LBB739_41:
	s_or_b32 exec_lo, exec_lo, s5
	s_delay_alu instid0(SALU_CYCLE_1)
	s_mov_b32 s5, exec_lo
                                        ; implicit-def: $vgpr36
	v_cmpx_gt_u32_e64 s21, v19
	s_cbranch_execz .LBB739_43
; %bb.42:
	v_lshlrev_b32_e32 v36, 2, v19
	s_delay_alu instid0(VALU_DEP_1) | instskip(NEXT) | instid1(VALU_DEP_1)
	v_add_co_u32 v36, s0, s0, v36
	v_add_co_ci_u32_e64 v37, null, s4, 0, s0
	flat_load_b32 v36, v[36:37]
.LBB739_43:
	s_or_b32 exec_lo, exec_lo, s5
	v_lshrrev_b32_e32 v25, 3, v25
	v_lshrrev_b32_e32 v24, 3, v24
	;; [unrolled: 1-line block ×4, first 2 shown]
	v_and_b32_e32 v28, 60, v28
	v_lshlrev_b32_e32 v37, 2, v0
	v_lshrrev_b32_e32 v21, 3, v21
	v_lshrrev_b32_e32 v20, 3, v20
	v_lshrrev_b32_e32 v19, 3, v19
	v_and_b32_e32 v25, 0x7c, v25
	v_and_b32_e32 v24, 0xfc, v24
	;; [unrolled: 1-line block ×4, first 2 shown]
	v_add_nc_u32_e32 v28, v28, v37
	v_and_b32_e32 v21, 0x1fc, v21
	v_and_b32_e32 v20, 0x1fc, v20
	;; [unrolled: 1-line block ×3, first 2 shown]
	v_add_nc_u32_e32 v25, v25, v37
	v_add_nc_u32_e32 v24, v24, v37
	;; [unrolled: 1-line block ×7, first 2 shown]
	s_waitcnt vmcnt(0) lgkmcnt(0)
	ds_store_b32 v28, v29
	ds_store_b32 v25, v30 offset:2048
	ds_store_b32 v24, v31 offset:4096
	;; [unrolled: 1-line block ×7, first 2 shown]
	s_waitcnt lgkmcnt(0)
	s_barrier
.LBB739_44:
	v_lshlrev_b32_e32 v19, 2, v26
	buffer_gl0_inv
	s_cmp_lg_u32 s20, 0
	s_mov_b32 s22, 0
	s_cselect_b32 s9, -1, 0
	v_sub_nc_u32_e32 v19, v27, v19
	s_cmp_lg_u64 s[6:7], 0
	ds_load_2addr_b32 v[25:26], v19 offset1:1
	ds_load_2addr_b32 v[23:24], v19 offset0:2 offset1:3
	ds_load_2addr_b32 v[21:22], v19 offset0:4 offset1:5
	;; [unrolled: 1-line block ×3, first 2 shown]
	s_cselect_b32 s0, -1, 0
	s_waitcnt lgkmcnt(0)
	s_or_b32 s0, s0, s9
	s_barrier
	s_and_b32 vcc_lo, exec_lo, s0
	buffer_gl0_inv
	s_cbranch_vccz .LBB739_49
; %bb.45:
	v_add_co_u32 v27, s0, -8, s19
	s_delay_alu instid0(VALU_DEP_1)
	v_add_co_ci_u32_e64 v28, null, -1, s1, s0
	s_mov_b32 s1, -1
	s_and_b32 vcc_lo, exec_lo, s15
	flat_load_b64 v[29:30], v[27:28]
	ds_store_b64 v49, v[3:4]
	s_cbranch_vccz .LBB739_50
; %bb.46:
	s_waitcnt vmcnt(0) lgkmcnt(1)
	v_dual_mov_b32 v27, v29 :: v_dual_mov_b32 v28, v30
	s_waitcnt lgkmcnt(0)
	s_barrier
	buffer_gl0_inv
	s_and_saveexec_b32 s0, s3
	s_cbranch_execz .LBB739_48
; %bb.47:
	v_add_nc_u32_e32 v27, -8, v49
	ds_load_b64 v[27:28], v27
.LBB739_48:
	s_or_b32 exec_lo, exec_lo, s0
	v_cmp_ne_u64_e32 vcc_lo, v[1:2], v[3:4]
	s_waitcnt lgkmcnt(0)
	v_cmp_ne_u64_e64 s0, v[27:28], v[13:14]
	v_cndmask_b32_e64 v31, 0, 1, vcc_lo
	v_cmp_ne_u64_e32 vcc_lo, v[7:8], v[1:2]
	s_delay_alu instid0(VALU_DEP_2) | instskip(SKIP_2) | instid1(VALU_DEP_2)
	v_lshlrev_b16 v31, 8, v31
	v_cndmask_b32_e64 v32, 0, 1, vcc_lo
	v_cmp_ne_u64_e32 vcc_lo, v[5:6], v[7:8]
	v_or_b32_e32 v31, v32, v31
	v_cndmask_b32_e64 v33, 0, 1, vcc_lo
	v_cmp_ne_u64_e32 vcc_lo, v[9:10], v[11:12]
	s_delay_alu instid0(VALU_DEP_3) | instskip(NEXT) | instid1(VALU_DEP_3)
	v_lshlrev_b32_e32 v31, 16, v31
	v_lshlrev_b16 v33, 8, v33
	v_cndmask_b32_e64 v34, 0, 1, vcc_lo
	v_cmp_ne_u64_e32 vcc_lo, v[11:12], v[5:6]
	s_delay_alu instid0(VALU_DEP_2) | instskip(SKIP_2) | instid1(VALU_DEP_2)
	v_lshlrev_b16 v34, 8, v34
	v_cndmask_b32_e64 v35, 0, 1, vcc_lo
	v_cmp_ne_u64_e32 vcc_lo, v[15:16], v[9:10]
	v_or_b32_e32 v33, v35, v33
	v_cndmask_b32_e64 v36, 0, 1, vcc_lo
	v_cmp_ne_u64_e32 vcc_lo, v[13:14], v[15:16]
	s_delay_alu instid0(VALU_DEP_3) | instskip(NEXT) | instid1(VALU_DEP_3)
	v_and_b32_e32 v33, 0xffff, v33
	v_or_b32_e32 v34, v36, v34
	v_cndmask_b32_e64 v37, 0, 1, vcc_lo
	s_delay_alu instid0(VALU_DEP_3) | instskip(NEXT) | instid1(VALU_DEP_3)
	v_or_b32_e32 v28, v33, v31
	v_lshlrev_b32_e32 v32, 16, v34
	s_delay_alu instid0(VALU_DEP_3) | instskip(NEXT) | instid1(VALU_DEP_1)
	v_lshlrev_b16 v36, 8, v37
	v_and_b32_e32 v34, 0xffff, v36
	s_delay_alu instid0(VALU_DEP_1)
	v_or_b32_e32 v27, v34, v32
	s_branch .LBB739_54
.LBB739_49:
                                        ; implicit-def: $sgpr0
                                        ; implicit-def: $vgpr28
	s_branch .LBB739_55
.LBB739_50:
                                        ; implicit-def: $sgpr0
                                        ; implicit-def: $vgpr28
	s_and_b32 vcc_lo, exec_lo, s1
	s_cbranch_vccz .LBB739_54
; %bb.51:
	s_waitcnt vmcnt(0) lgkmcnt(0)
	s_barrier
	buffer_gl0_inv
	s_and_saveexec_b32 s0, s3
	s_cbranch_execz .LBB739_53
; %bb.52:
	v_add_nc_u32_e32 v27, -8, v49
	ds_load_b64 v[29:30], v27
.LBB739_53:
	s_or_b32 exec_lo, exec_lo, s0
	v_or_b32_e32 v27, 7, v49
	v_or_b32_e32 v28, 6, v49
	v_cmp_ne_u64_e32 vcc_lo, v[1:2], v[3:4]
	v_or_b32_e32 v31, 5, v49
	v_cmp_ne_u64_e64 s1, v[7:8], v[1:2]
	v_cmp_gt_u32_e64 s0, s21, v27
	v_cmp_gt_u32_e64 s4, s21, v28
	v_cmp_ne_u64_e64 s5, v[5:6], v[7:8]
	v_cmp_gt_u32_e64 s6, s21, v31
	v_or_b32_e32 v31, 3, v49
	s_and_b32 s0, s0, vcc_lo
	v_or_b32_e32 v32, 4, v49
	v_cndmask_b32_e64 v27, 0, 1, s0
	s_and_b32 s0, s4, s1
	v_cmp_ne_u64_e32 vcc_lo, v[9:10], v[11:12]
	v_cndmask_b32_e64 v28, 0, 1, s0
	s_and_b32 s0, s6, s5
	v_cmp_gt_u32_e64 s1, s21, v32
	v_cndmask_b32_e64 v33, 0, 1, s0
	v_cmp_gt_u32_e64 s0, s21, v31
	v_or_b32_e32 v31, 2, v49
	v_or_b32_e32 v32, 1, v49
	v_cmp_ne_u64_e64 s4, v[11:12], v[5:6]
	v_cmp_ne_u64_e64 s6, v[13:14], v[15:16]
	s_and_b32 s0, s0, vcc_lo
	v_cmp_ne_u64_e32 vcc_lo, v[15:16], v[9:10]
	v_cndmask_b32_e64 v34, 0, 1, s0
	v_cmp_gt_u32_e64 s0, s21, v31
	v_cmp_gt_u32_e64 s5, s21, v32
	s_and_b32 s1, s1, s4
	v_lshlrev_b16 v33, 8, v33
	v_cndmask_b32_e64 v31, 0, 1, s1
	s_and_b32 s0, s0, vcc_lo
	v_lshlrev_b16 v34, 8, v34
	v_cndmask_b32_e64 v32, 0, 1, s0
	s_and_b32 s0, s5, s6
	v_lshlrev_b16 v27, 8, v27
	v_cndmask_b32_e64 v35, 0, 1, s0
	v_or_b32_e32 v31, v31, v33
	v_or_b32_e32 v32, v32, v34
	s_waitcnt lgkmcnt(0)
	v_cmp_ne_u64_e32 vcc_lo, v[29:30], v[13:14]
	v_or_b32_e32 v27, v28, v27
	v_lshlrev_b16 v34, 8, v35
	v_and_b32_e32 v31, 0xffff, v31
	v_lshlrev_b32_e32 v28, 16, v32
	v_cmp_gt_u32_e64 s0, s21, v49
	v_lshlrev_b32_e32 v33, 16, v27
	v_and_b32_e32 v32, 0xffff, v34
	s_delay_alu instid0(VALU_DEP_3) | instskip(NEXT) | instid1(VALU_DEP_1)
	s_and_b32 s0, s0, vcc_lo
	v_or_b32_e32 v27, v32, v28
	s_delay_alu instid0(VALU_DEP_3)
	v_or_b32_e32 v28, v31, v33
.LBB739_54:
	s_mov_b32 s22, -1
	s_cbranch_execnz .LBB739_63
.LBB739_55:
	v_cmp_ne_u64_e64 s1, v[1:2], v[3:4]
	v_cmp_ne_u64_e64 s4, v[7:8], v[1:2]
	v_cmp_ne_u64_e64 s5, v[5:6], v[7:8]
	v_cmp_ne_u64_e64 s6, v[11:12], v[5:6]
	v_cmp_ne_u64_e64 s7, v[9:10], v[11:12]
	v_cmp_ne_u64_e64 s0, v[15:16], v[9:10]
	v_cmp_ne_u64_e64 s8, v[13:14], v[15:16]
	s_and_b32 vcc_lo, exec_lo, s15
	ds_store_b64 v49, v[3:4]
	s_cbranch_vccz .LBB739_59
; %bb.56:
	v_cndmask_b32_e64 v27, 0, 1, s1
	s_waitcnt vmcnt(0) lgkmcnt(2)
	v_cndmask_b32_e64 v29, 0, 1, s5
	v_cndmask_b32_e64 v31, 0, 1, s7
	;; [unrolled: 1-line block ×6, first 2 shown]
	v_lshlrev_b16 v29, 8, v29
	v_lshlrev_b16 v27, 8, v27
	;; [unrolled: 1-line block ×4, first 2 shown]
	s_waitcnt lgkmcnt(0)
	v_or_b32_e32 v29, v30, v29
	v_or_b32_e32 v27, v28, v27
	;; [unrolled: 1-line block ×4, first 2 shown]
	s_barrier
	v_and_b32_e32 v29, 0xffff, v29
	v_lshlrev_b32_e32 v27, 16, v27
	v_lshlrev_b32_e32 v31, 16, v28
	v_and_b32_e32 v30, 0xffff, v30
	buffer_gl0_inv
                                        ; implicit-def: $sgpr0
	v_or_b32_e32 v28, v29, v27
	v_or_b32_e32 v27, v30, v31
	s_and_saveexec_b32 s1, s3
	s_delay_alu instid0(SALU_CYCLE_1)
	s_xor_b32 s1, exec_lo, s1
	s_cbranch_execz .LBB739_58
; %bb.57:
	v_add_nc_u32_e32 v29, -8, v49
	s_or_b32 s22, s22, exec_lo
	ds_load_b64 v[29:30], v29
	s_waitcnt lgkmcnt(0)
	v_cmp_ne_u64_e32 vcc_lo, v[29:30], v[13:14]
	s_and_b32 s0, vcc_lo, exec_lo
.LBB739_58:
	s_or_b32 exec_lo, exec_lo, s1
	s_branch .LBB739_63
.LBB739_59:
                                        ; implicit-def: $sgpr0
                                        ; implicit-def: $vgpr28
	s_cbranch_execz .LBB739_63
; %bb.60:
	v_or_b32_e32 v27, 7, v49
	v_or_b32_e32 v28, 6, v49
	v_cmp_ne_u64_e32 vcc_lo, v[1:2], v[3:4]
	v_cmp_ne_u64_e64 s0, v[7:8], v[1:2]
	s_waitcnt vmcnt(0) lgkmcnt(2)
	v_or_b32_e32 v29, 4, v49
	v_cmp_gt_u32_e64 s1, s21, v27
	v_or_b32_e32 v27, 5, v49
	v_cmp_gt_u32_e64 s5, s21, v28
	v_cmp_ne_u64_e64 s4, v[5:6], v[7:8]
	v_cmp_ne_u64_e64 s6, v[11:12], v[5:6]
	s_and_b32 s1, s1, vcc_lo
	v_cmp_gt_u32_e32 vcc_lo, s21, v27
	v_cndmask_b32_e64 v28, 0, 1, s1
	v_cmp_gt_u32_e64 s1, s21, v29
	s_and_b32 s0, s5, s0
	v_or_b32_e32 v30, 3, v49
	v_cndmask_b32_e64 v27, 0, 1, s0
	s_and_b32 s0, vcc_lo, s4
	v_or_b32_e32 v32, 1, v49
	v_cndmask_b32_e64 v29, 0, 1, s0
	s_and_b32 s0, s1, s6
	v_cmp_ne_u64_e32 vcc_lo, v[9:10], v[11:12]
	v_cndmask_b32_e64 v31, 0, 1, s0
	v_cmp_gt_u32_e64 s0, s21, v30
	v_cmp_ne_u64_e64 s1, v[13:14], v[15:16]
	v_or_b32_e32 v33, 2, v49
	v_cmp_gt_u32_e64 s4, s21, v32
	v_cmp_ne_u64_e64 s5, v[15:16], v[9:10]
	s_and_b32 s0, s0, vcc_lo
	v_lshlrev_b16 v29, 8, v29
	v_cmp_gt_u32_e64 s6, s21, v33
	v_cndmask_b32_e64 v30, 0, 1, s0
	s_and_b32 s0, s4, s1
	v_lshlrev_b16 v28, 8, v28
	v_cndmask_b32_e64 v32, 0, 1, s0
	s_and_b32 s0, s6, s5
	v_lshlrev_b16 v30, 8, v30
	v_cndmask_b32_e64 v33, 0, 1, s0
	v_or_b32_e32 v29, v31, v29
	v_lshlrev_b16 v32, 8, v32
	v_or_b32_e32 v27, v27, v28
	s_waitcnt lgkmcnt(0)
	v_or_b32_e32 v28, v33, v30
	v_and_b32_e32 v29, 0xffff, v29
	v_or_b32_e32 v30, 1, v32
	v_lshlrev_b32_e32 v27, 16, v27
	s_barrier
	v_lshlrev_b32_e32 v31, 16, v28
	buffer_gl0_inv
	v_and_b32_e32 v30, 0xffff, v30
	v_or_b32_e32 v28, v29, v27
                                        ; implicit-def: $sgpr0
	s_delay_alu instid0(VALU_DEP_2)
	v_or_b32_e32 v27, v30, v31
	s_and_saveexec_b32 s1, s3
	s_cbranch_execz .LBB739_62
; %bb.61:
	v_add_nc_u32_e32 v29, -8, v49
	v_cmp_gt_u32_e64 s0, s21, v49
	s_or_b32 s22, s22, exec_lo
	ds_load_b64 v[29:30], v29
	s_waitcnt lgkmcnt(0)
	v_cmp_ne_u64_e32 vcc_lo, v[29:30], v[13:14]
	s_and_b32 s0, s0, vcc_lo
	s_delay_alu instid0(SALU_CYCLE_1)
	s_and_b32 s0, s0, exec_lo
.LBB739_62:
	s_or_b32 exec_lo, exec_lo, s1
.LBB739_63:
	s_and_saveexec_b32 s1, s22
	s_cbranch_execz .LBB739_65
; %bb.64:
	s_waitcnt vmcnt(0) lgkmcnt(1)
	v_and_b32_e32 v29, 0xffffff00, v27
	v_cndmask_b32_e64 v30, 0, 1, s0
	s_delay_alu instid0(VALU_DEP_1) | instskip(NEXT) | instid1(VALU_DEP_1)
	v_or_b32_e32 v29, v30, v29
	v_and_b32_e32 v29, 0xffff, v29
	s_delay_alu instid0(VALU_DEP_1)
	v_and_or_b32 v27, 0xffff0000, v27, v29
.LBB739_65:
	s_or_b32 exec_lo, exec_lo, s1
	s_delay_alu instid0(SALU_CYCLE_1)
	s_and_not1_b32 vcc_lo, exec_lo, s18
	s_cbranch_vccnz .LBB739_67
; %bb.66:
	v_cmp_gt_u32_e32 vcc_lo, s21, v49
	s_waitcnt vmcnt(0) lgkmcnt(1)
	v_or_b32_e32 v30, 1, v49
	v_and_b32_e32 v31, 0xffffff00, v28
	v_or_b32_e32 v32, 2, v49
	v_cndmask_b32_e32 v29, 0, v27, vcc_lo
	s_delay_alu instid0(VALU_DEP_4) | instskip(SKIP_1) | instid1(VALU_DEP_4)
	v_cmp_gt_u32_e32 vcc_lo, s21, v30
	v_or_b32_e32 v30, 4, v49
	v_cmp_gt_u32_e64 s0, s21, v32
	v_or_b32_e32 v32, 3, v49
	v_and_b32_e32 v29, 0xff, v29
	s_delay_alu instid0(VALU_DEP_2) | instskip(NEXT) | instid1(VALU_DEP_2)
	v_cmp_gt_u32_e64 s1, s21, v32
	v_cndmask_b32_e32 v29, v29, v27, vcc_lo
	v_cmp_gt_u32_e32 vcc_lo, s21, v30
	v_cndmask_b32_e32 v30, v31, v28, vcc_lo
	v_or_b32_e32 v31, 5, v49
	s_delay_alu instid0(VALU_DEP_2) | instskip(SKIP_1) | instid1(VALU_DEP_1)
	v_and_b32_e32 v30, 0xffff00ff, v30
	v_and_b32_e32 v29, 0xffff, v29
	v_cndmask_b32_e64 v29, v29, v27, s0
	s_delay_alu instid0(VALU_DEP_4) | instskip(SKIP_1) | instid1(VALU_DEP_3)
	v_cmp_gt_u32_e64 s0, s21, v31
	v_or_b32_e32 v31, 6, v49
	v_and_b32_e32 v29, 0xffffff, v29
	s_delay_alu instid0(VALU_DEP_3) | instskip(NEXT) | instid1(VALU_DEP_2)
	v_cndmask_b32_e64 v30, v30, v28, s0
	v_cndmask_b32_e64 v29, v29, v27, s1
	s_delay_alu instid0(VALU_DEP_1) | instskip(SKIP_2) | instid1(VALU_DEP_3)
	v_dual_cndmask_b32 v29, v29, v27 :: v_dual_and_b32 v30, 0xff00ffff, v30
	v_cmp_gt_u32_e32 vcc_lo, s21, v31
	v_or_b32_e32 v31, 7, v49
	v_cndmask_b32_e64 v29, v29, v27, s0
	s_delay_alu instid0(VALU_DEP_1) | instskip(NEXT) | instid1(VALU_DEP_1)
	v_dual_cndmask_b32 v30, v30, v28 :: v_dual_cndmask_b32 v29, v29, v27
	v_and_b32_e32 v30, 0xffffff, v30
	s_delay_alu instid0(VALU_DEP_4) | instskip(NEXT) | instid1(VALU_DEP_2)
	v_cmp_gt_u32_e32 vcc_lo, s21, v31
	v_dual_cndmask_b32 v28, v30, v28 :: v_dual_cndmask_b32 v27, v29, v27
.LBB739_67:
	s_delay_alu instid0(VALU_DEP_1) | instskip(SKIP_1) | instid1(VALU_DEP_2)
	v_and_b32_e32 v38, 0xff, v27
	s_waitcnt vmcnt(0) lgkmcnt(1)
	v_alignbit_b32 v29, v28, v27, 24
	v_bfe_u32 v40, v27, 8, 8
	v_bfe_u32 v42, v27, 16, 8
	v_and_b32_e32 v46, 0xff, v28
	v_bfe_u32 v48, v28, 8, 8
	v_and_b32_e32 v44, 0xff, v29
	v_add_nc_u32_e32 v29, v40, v38
	v_mbcnt_lo_u32_b32 v52, -1, 0
	v_bfe_u32 v51, v28, 16, 8
	v_lshrrev_b32_e32 v50, 24, v28
	v_lshrrev_b32_e32 v53, 5, v0
	v_add3_u32 v29, v29, v42, v44
	v_and_b32_e32 v30, 15, v52
	v_and_b32_e32 v31, 16, v52
	s_and_b32 vcc_lo, exec_lo, s9
	s_mov_b32 s7, -1
	v_add3_u32 v29, v29, v46, v48
	v_cmp_eq_u32_e64 s3, 0, v30
	v_cmp_lt_u32_e64 s0, 1, v30
	v_cmp_lt_u32_e64 s4, 3, v30
	;; [unrolled: 1-line block ×3, first 2 shown]
	v_add3_u32 v54, v29, v51, v50
	v_or_b32_e32 v29, 31, v0
	v_cmp_eq_u32_e64 s6, 0, v31
	s_waitcnt lgkmcnt(0)
	s_barrier
	buffer_gl0_inv
	v_cmp_eq_u32_e64 s5, v29, v0
	s_cbranch_vccz .LBB739_98
; %bb.68:
	v_mov_b32_dpp v29, v54 row_shr:1 row_mask:0xf bank_mask:0xf
	s_delay_alu instid0(VALU_DEP_1) | instskip(NEXT) | instid1(VALU_DEP_1)
	v_cndmask_b32_e64 v29, v29, 0, s3
	v_add_nc_u32_e32 v29, v29, v54
	s_delay_alu instid0(VALU_DEP_1) | instskip(NEXT) | instid1(VALU_DEP_1)
	v_mov_b32_dpp v30, v29 row_shr:2 row_mask:0xf bank_mask:0xf
	v_cndmask_b32_e64 v30, 0, v30, s0
	s_delay_alu instid0(VALU_DEP_1) | instskip(NEXT) | instid1(VALU_DEP_1)
	v_add_nc_u32_e32 v29, v29, v30
	v_mov_b32_dpp v30, v29 row_shr:4 row_mask:0xf bank_mask:0xf
	s_delay_alu instid0(VALU_DEP_1) | instskip(NEXT) | instid1(VALU_DEP_1)
	v_cndmask_b32_e64 v30, 0, v30, s4
	v_add_nc_u32_e32 v29, v29, v30
	s_delay_alu instid0(VALU_DEP_1) | instskip(NEXT) | instid1(VALU_DEP_1)
	v_mov_b32_dpp v30, v29 row_shr:8 row_mask:0xf bank_mask:0xf
	v_cndmask_b32_e64 v30, 0, v30, s1
	s_delay_alu instid0(VALU_DEP_1) | instskip(SKIP_3) | instid1(VALU_DEP_1)
	v_add_nc_u32_e32 v29, v29, v30
	ds_swizzle_b32 v30, v29 offset:swizzle(BROADCAST,32,15)
	s_waitcnt lgkmcnt(0)
	v_cndmask_b32_e64 v30, v30, 0, s6
	v_add_nc_u32_e32 v29, v29, v30
	s_and_saveexec_b32 s7, s5
	s_cbranch_execz .LBB739_70
; %bb.69:
	v_lshlrev_b32_e32 v30, 2, v53
	ds_store_b32 v30, v29
.LBB739_70:
	s_or_b32 exec_lo, exec_lo, s7
	s_delay_alu instid0(SALU_CYCLE_1)
	s_mov_b32 s7, exec_lo
	s_waitcnt lgkmcnt(0)
	s_barrier
	buffer_gl0_inv
	v_cmpx_gt_u32_e32 16, v0
	s_cbranch_execz .LBB739_72
; %bb.71:
	v_lshlrev_b32_e32 v30, 2, v0
	ds_load_b32 v31, v30
	s_waitcnt lgkmcnt(0)
	v_mov_b32_dpp v32, v31 row_shr:1 row_mask:0xf bank_mask:0xf
	s_delay_alu instid0(VALU_DEP_1) | instskip(NEXT) | instid1(VALU_DEP_1)
	v_cndmask_b32_e64 v32, v32, 0, s3
	v_add_nc_u32_e32 v31, v32, v31
	s_delay_alu instid0(VALU_DEP_1) | instskip(NEXT) | instid1(VALU_DEP_1)
	v_mov_b32_dpp v32, v31 row_shr:2 row_mask:0xf bank_mask:0xf
	v_cndmask_b32_e64 v32, 0, v32, s0
	s_delay_alu instid0(VALU_DEP_1) | instskip(NEXT) | instid1(VALU_DEP_1)
	v_add_nc_u32_e32 v31, v31, v32
	v_mov_b32_dpp v32, v31 row_shr:4 row_mask:0xf bank_mask:0xf
	s_delay_alu instid0(VALU_DEP_1) | instskip(NEXT) | instid1(VALU_DEP_1)
	v_cndmask_b32_e64 v32, 0, v32, s4
	v_add_nc_u32_e32 v31, v31, v32
	s_delay_alu instid0(VALU_DEP_1) | instskip(NEXT) | instid1(VALU_DEP_1)
	v_mov_b32_dpp v32, v31 row_shr:8 row_mask:0xf bank_mask:0xf
	v_cndmask_b32_e64 v32, 0, v32, s1
	s_delay_alu instid0(VALU_DEP_1)
	v_add_nc_u32_e32 v31, v31, v32
	ds_store_b32 v30, v31
.LBB739_72:
	s_or_b32 exec_lo, exec_lo, s7
	v_cmp_gt_u32_e32 vcc_lo, 32, v0
	s_mov_b32 s8, exec_lo
	s_waitcnt lgkmcnt(0)
	s_barrier
	buffer_gl0_inv
                                        ; implicit-def: $vgpr37
	v_cmpx_lt_u32_e32 31, v0
	s_cbranch_execz .LBB739_74
; %bb.73:
	v_lshl_add_u32 v30, v53, 2, -4
	ds_load_b32 v37, v30
	s_waitcnt lgkmcnt(0)
	v_add_nc_u32_e32 v29, v37, v29
.LBB739_74:
	s_or_b32 exec_lo, exec_lo, s8
	v_add_nc_u32_e32 v30, -1, v52
	s_delay_alu instid0(VALU_DEP_1) | instskip(NEXT) | instid1(VALU_DEP_1)
	v_cmp_gt_i32_e64 s7, 0, v30
	v_cndmask_b32_e64 v30, v30, v52, s7
	v_cmp_eq_u32_e64 s7, 0, v52
	s_delay_alu instid0(VALU_DEP_2)
	v_lshlrev_b32_e32 v30, 2, v30
	ds_bpermute_b32 v39, v30, v29
	s_and_saveexec_b32 s8, vcc_lo
	s_cbranch_execz .LBB739_97
; %bb.75:
	v_mov_b32_e32 v33, 0
	ds_load_b32 v29, v33 offset:60
	s_and_saveexec_b32 s9, s7
	s_cbranch_execz .LBB739_77
; %bb.76:
	s_add_i32 s18, s20, 32
	s_mov_b32 s19, 0
	v_mov_b32_e32 v30, 1
	s_lshl_b64 s[18:19], s[18:19], 3
	s_delay_alu instid0(SALU_CYCLE_1)
	s_add_u32 s18, s16, s18
	s_addc_u32 s19, s17, s19
	s_waitcnt lgkmcnt(0)
	global_store_b64 v33, v[29:30], s[18:19]
.LBB739_77:
	s_or_b32 exec_lo, exec_lo, s9
	v_xad_u32 v31, v52, -1, s20
	s_mov_b32 s18, 0
	s_mov_b32 s9, exec_lo
	s_delay_alu instid0(VALU_DEP_1) | instskip(NEXT) | instid1(VALU_DEP_1)
	v_add_nc_u32_e32 v32, 32, v31
	v_lshlrev_b64 v[32:33], 3, v[32:33]
	s_delay_alu instid0(VALU_DEP_1) | instskip(NEXT) | instid1(VALU_DEP_2)
	v_add_co_u32 v35, vcc_lo, s16, v32
	v_add_co_ci_u32_e32 v36, vcc_lo, s17, v33, vcc_lo
	global_load_b64 v[33:34], v[35:36], off glc
	s_waitcnt vmcnt(0)
	v_and_b32_e32 v30, 0xff, v34
	s_delay_alu instid0(VALU_DEP_1)
	v_cmpx_eq_u16_e32 0, v30
	s_cbranch_execz .LBB739_83
; %bb.78:
	s_mov_b32 s19, 1
	.p2align	6
.LBB739_79:                             ; =>This Loop Header: Depth=1
                                        ;     Child Loop BB739_80 Depth 2
	s_delay_alu instid0(SALU_CYCLE_1)
	s_max_u32 s21, s19, 1
.LBB739_80:                             ;   Parent Loop BB739_79 Depth=1
                                        ; =>  This Inner Loop Header: Depth=2
	s_delay_alu instid0(SALU_CYCLE_1)
	s_add_i32 s21, s21, -1
	s_sleep 1
	s_cmp_eq_u32 s21, 0
	s_cbranch_scc0 .LBB739_80
; %bb.81:                               ;   in Loop: Header=BB739_79 Depth=1
	global_load_b64 v[33:34], v[35:36], off glc
	s_cmp_lt_u32 s19, 32
	s_cselect_b32 s21, -1, 0
	s_delay_alu instid0(SALU_CYCLE_1) | instskip(SKIP_3) | instid1(VALU_DEP_1)
	s_cmp_lg_u32 s21, 0
	s_addc_u32 s19, s19, 0
	s_waitcnt vmcnt(0)
	v_and_b32_e32 v30, 0xff, v34
	v_cmp_ne_u16_e32 vcc_lo, 0, v30
	s_or_b32 s18, vcc_lo, s18
	s_delay_alu instid0(SALU_CYCLE_1)
	s_and_not1_b32 exec_lo, exec_lo, s18
	s_cbranch_execnz .LBB739_79
; %bb.82:
	s_or_b32 exec_lo, exec_lo, s18
.LBB739_83:
	s_delay_alu instid0(SALU_CYCLE_1)
	s_or_b32 exec_lo, exec_lo, s9
	v_cmp_ne_u32_e32 vcc_lo, 31, v52
	v_lshlrev_b32_e64 v43, v52, -1
	v_add_nc_u32_e32 v47, 2, v52
	v_add_nc_u32_e32 v60, 16, v52
	v_add_co_ci_u32_e32 v30, vcc_lo, 0, v52, vcc_lo
	s_delay_alu instid0(VALU_DEP_1)
	v_lshlrev_b32_e32 v41, 2, v30
	v_and_b32_e32 v30, 0xff, v34
	ds_bpermute_b32 v32, v41, v33
	v_cmp_eq_u16_e32 vcc_lo, 2, v30
	v_and_or_b32 v30, vcc_lo, v43, 0x80000000
	v_cmp_gt_u32_e32 vcc_lo, 30, v52
	s_delay_alu instid0(VALU_DEP_2) | instskip(SKIP_1) | instid1(VALU_DEP_2)
	v_ctz_i32_b32_e32 v30, v30
	v_cndmask_b32_e64 v35, 0, 1, vcc_lo
	v_cmp_lt_u32_e32 vcc_lo, v52, v30
	s_waitcnt lgkmcnt(0)
	s_delay_alu instid0(VALU_DEP_2) | instskip(NEXT) | instid1(VALU_DEP_1)
	v_dual_cndmask_b32 v32, 0, v32 :: v_dual_lshlrev_b32 v35, 1, v35
	v_add_lshl_u32 v45, v35, v52, 2
	v_cmp_gt_u32_e32 vcc_lo, 28, v52
	s_delay_alu instid0(VALU_DEP_3) | instskip(SKIP_4) | instid1(VALU_DEP_1)
	v_add_nc_u32_e32 v32, v32, v33
	v_cndmask_b32_e64 v35, 0, 1, vcc_lo
	v_cmp_le_u32_e32 vcc_lo, v47, v30
	ds_bpermute_b32 v33, v45, v32
	v_lshlrev_b32_e32 v35, 2, v35
	v_add_lshl_u32 v55, v35, v52, 2
	s_waitcnt lgkmcnt(0)
	v_cndmask_b32_e32 v33, 0, v33, vcc_lo
	v_cmp_gt_u32_e32 vcc_lo, 24, v52
	s_delay_alu instid0(VALU_DEP_2) | instskip(SKIP_4) | instid1(VALU_DEP_2)
	v_add_nc_u32_e32 v32, v32, v33
	v_cndmask_b32_e64 v35, 0, 1, vcc_lo
	ds_bpermute_b32 v33, v55, v32
	v_add_nc_u32_e32 v56, 4, v52
	v_lshlrev_b32_e32 v35, 3, v35
	v_cmp_le_u32_e32 vcc_lo, v56, v30
	s_delay_alu instid0(VALU_DEP_2) | instskip(SKIP_3) | instid1(VALU_DEP_2)
	v_add_lshl_u32 v57, v35, v52, 2
	s_waitcnt lgkmcnt(0)
	v_cndmask_b32_e32 v33, 0, v33, vcc_lo
	v_cmp_gt_u32_e32 vcc_lo, 16, v52
	v_add_nc_u32_e32 v32, v32, v33
	v_cndmask_b32_e64 v35, 0, 1, vcc_lo
	ds_bpermute_b32 v33, v57, v32
	v_add_nc_u32_e32 v58, 8, v52
	v_lshlrev_b32_e32 v35, 4, v35
	s_delay_alu instid0(VALU_DEP_2) | instskip(NEXT) | instid1(VALU_DEP_2)
	v_cmp_le_u32_e32 vcc_lo, v58, v30
	v_add_lshl_u32 v59, v35, v52, 2
	s_waitcnt lgkmcnt(0)
	v_cndmask_b32_e32 v33, 0, v33, vcc_lo
	v_cmp_le_u32_e32 vcc_lo, v60, v30
	s_delay_alu instid0(VALU_DEP_2) | instskip(SKIP_3) | instid1(VALU_DEP_1)
	v_add_nc_u32_e32 v32, v32, v33
	ds_bpermute_b32 v33, v59, v32
	s_waitcnt lgkmcnt(0)
	v_cndmask_b32_e32 v30, 0, v33, vcc_lo
	v_dual_mov_b32 v32, 0 :: v_dual_add_nc_u32 v33, v32, v30
	s_branch .LBB739_85
.LBB739_84:                             ;   in Loop: Header=BB739_85 Depth=1
	s_or_b32 exec_lo, exec_lo, s9
	ds_bpermute_b32 v36, v41, v33
	v_and_b32_e32 v35, 0xff, v34
	v_subrev_nc_u32_e32 v31, 32, v31
	s_delay_alu instid0(VALU_DEP_2) | instskip(SKIP_1) | instid1(VALU_DEP_1)
	v_cmp_eq_u16_e32 vcc_lo, 2, v35
	v_and_or_b32 v35, vcc_lo, v43, 0x80000000
	v_ctz_i32_b32_e32 v35, v35
	s_delay_alu instid0(VALU_DEP_1) | instskip(SKIP_3) | instid1(VALU_DEP_2)
	v_cmp_lt_u32_e32 vcc_lo, v52, v35
	s_waitcnt lgkmcnt(0)
	v_cndmask_b32_e32 v36, 0, v36, vcc_lo
	v_cmp_le_u32_e32 vcc_lo, v47, v35
	v_add_nc_u32_e32 v33, v36, v33
	ds_bpermute_b32 v36, v45, v33
	s_waitcnt lgkmcnt(0)
	v_cndmask_b32_e32 v36, 0, v36, vcc_lo
	v_cmp_le_u32_e32 vcc_lo, v56, v35
	s_delay_alu instid0(VALU_DEP_2) | instskip(SKIP_4) | instid1(VALU_DEP_2)
	v_add_nc_u32_e32 v33, v33, v36
	ds_bpermute_b32 v36, v55, v33
	s_waitcnt lgkmcnt(0)
	v_cndmask_b32_e32 v36, 0, v36, vcc_lo
	v_cmp_le_u32_e32 vcc_lo, v58, v35
	v_add_nc_u32_e32 v33, v33, v36
	ds_bpermute_b32 v36, v57, v33
	s_waitcnt lgkmcnt(0)
	v_cndmask_b32_e32 v36, 0, v36, vcc_lo
	v_cmp_le_u32_e32 vcc_lo, v60, v35
	s_delay_alu instid0(VALU_DEP_2) | instskip(SKIP_3) | instid1(VALU_DEP_1)
	v_add_nc_u32_e32 v33, v33, v36
	ds_bpermute_b32 v36, v59, v33
	s_waitcnt lgkmcnt(0)
	v_cndmask_b32_e32 v35, 0, v36, vcc_lo
	v_add3_u32 v33, v35, v30, v33
.LBB739_85:                             ; =>This Loop Header: Depth=1
                                        ;     Child Loop BB739_88 Depth 2
                                        ;       Child Loop BB739_89 Depth 3
	v_and_b32_e32 v30, 0xff, v34
	s_delay_alu instid0(VALU_DEP_1) | instskip(SKIP_2) | instid1(VALU_DEP_1)
	v_cmp_ne_u16_e32 vcc_lo, 2, v30
	v_cndmask_b32_e64 v30, 0, 1, vcc_lo
	;;#ASMSTART
	;;#ASMEND
	v_cmp_ne_u32_e32 vcc_lo, 0, v30
	v_mov_b32_e32 v30, v33
	s_cmp_lg_u32 vcc_lo, exec_lo
	s_cbranch_scc1 .LBB739_92
; %bb.86:                               ;   in Loop: Header=BB739_85 Depth=1
	v_lshlrev_b64 v[33:34], 3, v[31:32]
	s_mov_b32 s9, exec_lo
	s_delay_alu instid0(VALU_DEP_1) | instskip(NEXT) | instid1(VALU_DEP_2)
	v_add_co_u32 v35, vcc_lo, s16, v33
	v_add_co_ci_u32_e32 v36, vcc_lo, s17, v34, vcc_lo
	global_load_b64 v[33:34], v[35:36], off glc
	s_waitcnt vmcnt(0)
	v_and_b32_e32 v61, 0xff, v34
	s_delay_alu instid0(VALU_DEP_1)
	v_cmpx_eq_u16_e32 0, v61
	s_cbranch_execz .LBB739_84
; %bb.87:                               ;   in Loop: Header=BB739_85 Depth=1
	s_mov_b32 s19, 1
	s_mov_b32 s18, 0
	.p2align	6
.LBB739_88:                             ;   Parent Loop BB739_85 Depth=1
                                        ; =>  This Loop Header: Depth=2
                                        ;       Child Loop BB739_89 Depth 3
	s_max_u32 s21, s19, 1
.LBB739_89:                             ;   Parent Loop BB739_85 Depth=1
                                        ;     Parent Loop BB739_88 Depth=2
                                        ; =>    This Inner Loop Header: Depth=3
	s_delay_alu instid0(SALU_CYCLE_1)
	s_add_i32 s21, s21, -1
	s_sleep 1
	s_cmp_eq_u32 s21, 0
	s_cbranch_scc0 .LBB739_89
; %bb.90:                               ;   in Loop: Header=BB739_88 Depth=2
	global_load_b64 v[33:34], v[35:36], off glc
	s_cmp_lt_u32 s19, 32
	s_cselect_b32 s21, -1, 0
	s_delay_alu instid0(SALU_CYCLE_1) | instskip(SKIP_3) | instid1(VALU_DEP_1)
	s_cmp_lg_u32 s21, 0
	s_addc_u32 s19, s19, 0
	s_waitcnt vmcnt(0)
	v_and_b32_e32 v61, 0xff, v34
	v_cmp_ne_u16_e32 vcc_lo, 0, v61
	s_or_b32 s18, vcc_lo, s18
	s_delay_alu instid0(SALU_CYCLE_1)
	s_and_not1_b32 exec_lo, exec_lo, s18
	s_cbranch_execnz .LBB739_88
; %bb.91:                               ;   in Loop: Header=BB739_85 Depth=1
	s_or_b32 exec_lo, exec_lo, s18
	s_branch .LBB739_84
.LBB739_92:                             ;   in Loop: Header=BB739_85 Depth=1
                                        ; implicit-def: $vgpr33
                                        ; implicit-def: $vgpr34
	s_cbranch_execz .LBB739_85
; %bb.93:
	s_and_saveexec_b32 s9, s7
	s_cbranch_execz .LBB739_95
; %bb.94:
	s_add_i32 s18, s20, 32
	s_mov_b32 s19, 0
	v_dual_mov_b32 v32, 2 :: v_dual_add_nc_u32 v31, v30, v29
	s_lshl_b64 s[18:19], s[18:19], 3
	v_mov_b32_e32 v33, 0
	s_add_u32 s18, s16, s18
	s_addc_u32 s19, s17, s19
	global_store_b64 v33, v[31:32], s[18:19]
	ds_store_b64 v33, v[29:30] offset:33792
.LBB739_95:
	s_or_b32 exec_lo, exec_lo, s9
	s_delay_alu instid0(SALU_CYCLE_1)
	s_and_b32 exec_lo, exec_lo, s2
	s_cbranch_execz .LBB739_97
; %bb.96:
	v_mov_b32_e32 v29, 0
	ds_store_b32 v29, v30 offset:60
.LBB739_97:
	s_or_b32 exec_lo, exec_lo, s8
	v_mov_b32_e32 v29, 0
	s_waitcnt lgkmcnt(0)
	s_waitcnt_vscnt null, 0x0
	s_barrier
	buffer_gl0_inv
	v_cndmask_b32_e64 v31, v39, v37, s7
	ds_load_b32 v30, v29 offset:60
	s_waitcnt lgkmcnt(0)
	s_barrier
	buffer_gl0_inv
	v_cndmask_b32_e64 v31, v31, 0, s2
	s_delay_alu instid0(VALU_DEP_1) | instskip(SKIP_2) | instid1(VALU_DEP_1)
	v_add_nc_u32_e32 v47, v30, v31
	ds_load_b64 v[29:30], v29 offset:33792
	v_add_nc_u32_e32 v45, v47, v38
	v_add_nc_u32_e32 v43, v45, v40
	s_delay_alu instid0(VALU_DEP_1) | instskip(NEXT) | instid1(VALU_DEP_1)
	v_add_nc_u32_e32 v41, v43, v42
	v_add_nc_u32_e32 v39, v41, v44
	s_delay_alu instid0(VALU_DEP_1) | instskip(NEXT) | instid1(VALU_DEP_1)
	v_add_nc_u32_e32 v37, v39, v46
	v_add_nc_u32_e32 v35, v37, v48
	s_delay_alu instid0(VALU_DEP_1)
	v_add_nc_u32_e32 v33, v35, v51
	v_lshrrev_b64 v[31:32], 24, v[27:28]
	s_branch .LBB739_108
.LBB739_98:
                                        ; implicit-def: $vgpr33
                                        ; implicit-def: $vgpr35
                                        ; implicit-def: $vgpr37
                                        ; implicit-def: $vgpr39
                                        ; implicit-def: $vgpr41
                                        ; implicit-def: $vgpr43
                                        ; implicit-def: $vgpr45
                                        ; implicit-def: $vgpr47
                                        ; implicit-def: $vgpr30
	v_lshrrev_b64 v[31:32], 24, v[27:28]
	s_and_b32 vcc_lo, exec_lo, s7
	s_cbranch_vccz .LBB739_108
; %bb.99:
	s_waitcnt lgkmcnt(0)
	v_mov_b32_dpp v29, v54 row_shr:1 row_mask:0xf bank_mask:0xf
	s_delay_alu instid0(VALU_DEP_1) | instskip(NEXT) | instid1(VALU_DEP_1)
	v_cndmask_b32_e64 v29, v29, 0, s3
	v_add_nc_u32_e32 v29, v29, v54
	s_delay_alu instid0(VALU_DEP_1) | instskip(NEXT) | instid1(VALU_DEP_1)
	v_mov_b32_dpp v30, v29 row_shr:2 row_mask:0xf bank_mask:0xf
	v_cndmask_b32_e64 v30, 0, v30, s0
	s_delay_alu instid0(VALU_DEP_1) | instskip(NEXT) | instid1(VALU_DEP_1)
	v_add_nc_u32_e32 v29, v29, v30
	v_mov_b32_dpp v30, v29 row_shr:4 row_mask:0xf bank_mask:0xf
	s_delay_alu instid0(VALU_DEP_1) | instskip(NEXT) | instid1(VALU_DEP_1)
	v_cndmask_b32_e64 v30, 0, v30, s4
	v_add_nc_u32_e32 v29, v29, v30
	s_delay_alu instid0(VALU_DEP_1) | instskip(NEXT) | instid1(VALU_DEP_1)
	v_mov_b32_dpp v30, v29 row_shr:8 row_mask:0xf bank_mask:0xf
	v_cndmask_b32_e64 v30, 0, v30, s1
	s_delay_alu instid0(VALU_DEP_1) | instskip(SKIP_3) | instid1(VALU_DEP_1)
	v_add_nc_u32_e32 v29, v29, v30
	ds_swizzle_b32 v30, v29 offset:swizzle(BROADCAST,32,15)
	s_waitcnt lgkmcnt(0)
	v_cndmask_b32_e64 v30, v30, 0, s6
	v_add_nc_u32_e32 v29, v29, v30
	s_and_saveexec_b32 s6, s5
	s_cbranch_execz .LBB739_101
; %bb.100:
	v_lshlrev_b32_e32 v30, 2, v53
	ds_store_b32 v30, v29
.LBB739_101:
	s_or_b32 exec_lo, exec_lo, s6
	s_delay_alu instid0(SALU_CYCLE_1)
	s_mov_b32 s5, exec_lo
	s_waitcnt lgkmcnt(0)
	s_barrier
	buffer_gl0_inv
	v_cmpx_gt_u32_e32 16, v0
	s_cbranch_execz .LBB739_103
; %bb.102:
	v_lshlrev_b32_e32 v30, 2, v0
	ds_load_b32 v32, v30
	s_waitcnt lgkmcnt(0)
	v_mov_b32_dpp v33, v32 row_shr:1 row_mask:0xf bank_mask:0xf
	s_delay_alu instid0(VALU_DEP_1) | instskip(NEXT) | instid1(VALU_DEP_1)
	v_cndmask_b32_e64 v33, v33, 0, s3
	v_add_nc_u32_e32 v32, v33, v32
	s_delay_alu instid0(VALU_DEP_1) | instskip(NEXT) | instid1(VALU_DEP_1)
	v_mov_b32_dpp v33, v32 row_shr:2 row_mask:0xf bank_mask:0xf
	v_cndmask_b32_e64 v33, 0, v33, s0
	s_delay_alu instid0(VALU_DEP_1) | instskip(NEXT) | instid1(VALU_DEP_1)
	v_add_nc_u32_e32 v32, v32, v33
	v_mov_b32_dpp v33, v32 row_shr:4 row_mask:0xf bank_mask:0xf
	s_delay_alu instid0(VALU_DEP_1) | instskip(NEXT) | instid1(VALU_DEP_1)
	v_cndmask_b32_e64 v33, 0, v33, s4
	v_add_nc_u32_e32 v32, v32, v33
	s_delay_alu instid0(VALU_DEP_1) | instskip(NEXT) | instid1(VALU_DEP_1)
	v_mov_b32_dpp v33, v32 row_shr:8 row_mask:0xf bank_mask:0xf
	v_cndmask_b32_e64 v33, 0, v33, s1
	s_delay_alu instid0(VALU_DEP_1)
	v_add_nc_u32_e32 v32, v32, v33
	ds_store_b32 v30, v32
.LBB739_103:
	s_or_b32 exec_lo, exec_lo, s5
	v_mov_b32_e32 v30, 0
	v_mov_b32_e32 v32, 0
	s_mov_b32 s0, exec_lo
	s_waitcnt lgkmcnt(0)
	s_barrier
	buffer_gl0_inv
	v_cmpx_lt_u32_e32 31, v0
	s_cbranch_execz .LBB739_105
; %bb.104:
	v_lshl_add_u32 v32, v53, 2, -4
	ds_load_b32 v32, v32
.LBB739_105:
	s_or_b32 exec_lo, exec_lo, s0
	v_add_nc_u32_e32 v33, -1, v52
	s_waitcnt lgkmcnt(0)
	v_add_nc_u32_e32 v29, v32, v29
	s_delay_alu instid0(VALU_DEP_2) | instskip(SKIP_1) | instid1(VALU_DEP_1)
	v_cmp_gt_i32_e32 vcc_lo, 0, v33
	v_cndmask_b32_e32 v33, v33, v52, vcc_lo
	v_lshlrev_b32_e32 v33, 2, v33
	ds_bpermute_b32 v33, v33, v29
	ds_load_b32 v29, v30 offset:60
	s_and_saveexec_b32 s0, s2
	s_cbranch_execz .LBB739_107
; %bb.106:
	v_mov_b32_e32 v34, 0
	v_mov_b32_e32 v30, 2
	s_waitcnt lgkmcnt(0)
	global_store_b64 v34, v[29:30], s[16:17] offset:256
.LBB739_107:
	s_or_b32 exec_lo, exec_lo, s0
	v_cmp_eq_u32_e32 vcc_lo, 0, v52
	s_waitcnt lgkmcnt(0)
	s_waitcnt_vscnt null, 0x0
	s_barrier
	buffer_gl0_inv
	v_cndmask_b32_e32 v30, v33, v32, vcc_lo
	s_delay_alu instid0(VALU_DEP_1) | instskip(NEXT) | instid1(VALU_DEP_1)
	v_cndmask_b32_e64 v47, v30, 0, s2
	v_dual_mov_b32 v30, 0 :: v_dual_add_nc_u32 v45, v47, v38
	s_delay_alu instid0(VALU_DEP_1) | instskip(NEXT) | instid1(VALU_DEP_1)
	v_add_nc_u32_e32 v43, v45, v40
	v_add_nc_u32_e32 v41, v43, v42
	s_delay_alu instid0(VALU_DEP_1) | instskip(NEXT) | instid1(VALU_DEP_1)
	v_add_nc_u32_e32 v39, v41, v44
	v_add_nc_u32_e32 v37, v39, v46
	;; [unrolled: 3-line block ×3, first 2 shown]
.LBB739_108:
	s_waitcnt lgkmcnt(0)
	v_cmp_gt_u32_e32 vcc_lo, 0x201, v29
	v_lshrrev_b32_e32 v53, 8, v27
	v_lshrrev_b32_e32 v52, 16, v27
	;; [unrolled: 1-line block ×4, first 2 shown]
	v_cmp_lt_u32_e64 s0, 0x200, v29
	s_mov_b32 s1, -1
	s_cbranch_vccz .LBB739_134
; %bb.109:
	v_lshlrev_b64 v[54:55], 3, v[17:18]
	v_add_nc_u32_e32 v34, v30, v29
	s_delay_alu instid0(VALU_DEP_1) | instskip(NEXT) | instid1(VALU_DEP_3)
	v_cmp_lt_u32_e32 vcc_lo, v47, v34
	v_add_co_u32 v54, s1, s10, v54
	s_delay_alu instid0(VALU_DEP_1) | instskip(SKIP_1) | instid1(SALU_CYCLE_1)
	v_add_co_ci_u32_e64 v55, s1, s11, v55, s1
	s_or_b32 s3, s15, vcc_lo
	s_and_saveexec_b32 s1, s3
	s_cbranch_execz .LBB739_112
; %bb.110:
	v_and_b32_e32 v36, 1, v27
	s_delay_alu instid0(VALU_DEP_1)
	v_cmp_eq_u32_e32 vcc_lo, 1, v36
	s_and_b32 exec_lo, exec_lo, vcc_lo
	s_cbranch_execz .LBB739_112
; %bb.111:
	v_mov_b32_e32 v48, 0
	s_delay_alu instid0(VALU_DEP_1) | instskip(NEXT) | instid1(VALU_DEP_1)
	v_lshlrev_b64 v[56:57], 3, v[47:48]
	v_add_co_u32 v56, vcc_lo, v54, v56
	s_delay_alu instid0(VALU_DEP_2)
	v_add_co_ci_u32_e32 v57, vcc_lo, v55, v57, vcc_lo
	global_store_b64 v[56:57], v[13:14], off
.LBB739_112:
	s_or_b32 exec_lo, exec_lo, s1
	v_cmp_lt_u32_e32 vcc_lo, v45, v34
	s_or_b32 s3, s15, vcc_lo
	s_delay_alu instid0(SALU_CYCLE_1)
	s_and_saveexec_b32 s1, s3
	s_cbranch_execz .LBB739_115
; %bb.113:
	v_and_b32_e32 v36, 1, v53
	s_delay_alu instid0(VALU_DEP_1)
	v_cmp_eq_u32_e32 vcc_lo, 1, v36
	s_and_b32 exec_lo, exec_lo, vcc_lo
	s_cbranch_execz .LBB739_115
; %bb.114:
	v_mov_b32_e32 v46, 0
	s_delay_alu instid0(VALU_DEP_1) | instskip(NEXT) | instid1(VALU_DEP_1)
	v_lshlrev_b64 v[56:57], 3, v[45:46]
	v_add_co_u32 v56, vcc_lo, v54, v56
	s_delay_alu instid0(VALU_DEP_2)
	v_add_co_ci_u32_e32 v57, vcc_lo, v55, v57, vcc_lo
	global_store_b64 v[56:57], v[15:16], off
.LBB739_115:
	s_or_b32 exec_lo, exec_lo, s1
	v_cmp_lt_u32_e32 vcc_lo, v43, v34
	s_or_b32 s3, s15, vcc_lo
	s_delay_alu instid0(SALU_CYCLE_1)
	;; [unrolled: 21-line block ×7, first 2 shown]
	s_and_saveexec_b32 s1, s3
	s_cbranch_execz .LBB739_133
; %bb.131:
	v_and_b32_e32 v34, 1, v50
	s_delay_alu instid0(VALU_DEP_1)
	v_cmp_eq_u32_e32 vcc_lo, 1, v34
	s_and_b32 exec_lo, exec_lo, vcc_lo
	s_cbranch_execz .LBB739_133
; %bb.132:
	v_mov_b32_e32 v34, 0
	s_delay_alu instid0(VALU_DEP_1) | instskip(NEXT) | instid1(VALU_DEP_1)
	v_lshlrev_b64 v[56:57], 3, v[33:34]
	v_add_co_u32 v54, vcc_lo, v54, v56
	s_delay_alu instid0(VALU_DEP_2)
	v_add_co_ci_u32_e32 v55, vcc_lo, v55, v57, vcc_lo
	global_store_b64 v[54:55], v[3:4], off
.LBB739_133:
	s_or_b32 exec_lo, exec_lo, s1
	s_mov_b32 s1, 0
.LBB739_134:
	v_and_b32_e32 v27, 1, v27
	s_and_b32 vcc_lo, exec_lo, s1
	s_delay_alu instid0(VALU_DEP_1)
	v_cmp_eq_u32_e64 s1, 1, v27
	s_cbranch_vccz .LBB739_155
; %bb.135:
	s_delay_alu instid0(VALU_DEP_1)
	s_and_saveexec_b32 s3, s1
	s_cbranch_execz .LBB739_137
; %bb.136:
	v_sub_nc_u32_e32 v34, v47, v30
	s_delay_alu instid0(VALU_DEP_1)
	v_lshlrev_b32_e32 v34, 3, v34
	ds_store_b64 v34, v[13:14]
.LBB739_137:
	s_or_b32 exec_lo, exec_lo, s3
	v_and_b32_e32 v13, 1, v53
	s_mov_b32 s1, exec_lo
	s_delay_alu instid0(VALU_DEP_1)
	v_cmpx_eq_u32_e32 1, v13
	s_cbranch_execz .LBB739_139
; %bb.138:
	v_sub_nc_u32_e32 v13, v45, v30
	s_delay_alu instid0(VALU_DEP_1)
	v_lshlrev_b32_e32 v13, 3, v13
	ds_store_b64 v13, v[15:16]
.LBB739_139:
	s_or_b32 exec_lo, exec_lo, s1
	v_and_b32_e32 v13, 1, v52
	s_mov_b32 s1, exec_lo
	s_delay_alu instid0(VALU_DEP_1)
	v_cmpx_eq_u32_e32 1, v13
	;; [unrolled: 12-line block ×7, first 2 shown]
	s_cbranch_execz .LBB739_151
; %bb.150:
	v_sub_nc_u32_e32 v1, v33, v30
	s_delay_alu instid0(VALU_DEP_1)
	v_lshlrev_b32_e32 v1, 3, v1
	ds_store_b64 v1, v[3:4]
.LBB739_151:
	s_or_b32 exec_lo, exec_lo, s1
	s_delay_alu instid0(SALU_CYCLE_1)
	s_mov_b32 s3, exec_lo
	s_waitcnt lgkmcnt(0)
	s_waitcnt_vscnt null, 0x0
	s_barrier
	buffer_gl0_inv
	v_cmpx_lt_u32_e64 v0, v29
	s_cbranch_execz .LBB739_154
; %bb.152:
	v_dual_mov_b32 v2, 0 :: v_dual_mov_b32 v1, v30
	v_lshlrev_b64 v[3:4], 3, v[17:18]
	s_mov_b32 s4, 0
	s_delay_alu instid0(VALU_DEP_2) | instskip(NEXT) | instid1(VALU_DEP_1)
	v_lshlrev_b64 v[1:2], 3, v[1:2]
	v_add_co_u32 v1, vcc_lo, v3, v1
	s_delay_alu instid0(VALU_DEP_2) | instskip(NEXT) | instid1(VALU_DEP_2)
	v_add_co_ci_u32_e32 v2, vcc_lo, v4, v2, vcc_lo
	v_add_co_u32 v1, vcc_lo, s10, v1
	s_delay_alu instid0(VALU_DEP_2) | instskip(NEXT) | instid1(VALU_DEP_2)
	v_add_co_ci_u32_e32 v2, vcc_lo, s11, v2, vcc_lo
	v_add_co_u32 v1, vcc_lo, v1, v49
	s_delay_alu instid0(VALU_DEP_2)
	v_add_co_ci_u32_e32 v2, vcc_lo, 0, v2, vcc_lo
	.p2align	6
.LBB739_153:                            ; =>This Inner Loop Header: Depth=1
	ds_load_b64 v[3:4], v49
	v_add_nc_u32_e32 v0, 0x200, v0
	v_add_nc_u32_e32 v49, 0x1000, v49
	s_delay_alu instid0(VALU_DEP_2) | instskip(SKIP_4) | instid1(VALU_DEP_1)
	v_cmp_ge_u32_e32 vcc_lo, v0, v29
	s_or_b32 s4, vcc_lo, s4
	s_waitcnt lgkmcnt(0)
	global_store_b64 v[1:2], v[3:4], off
	v_add_co_u32 v1, s1, 0x1000, v1
	v_add_co_ci_u32_e64 v2, s1, 0, v2, s1
	s_and_not1_b32 exec_lo, exec_lo, s4
	s_cbranch_execnz .LBB739_153
.LBB739_154:
	s_or_b32 exec_lo, exec_lo, s3
.LBB739_155:
	s_delay_alu instid0(SALU_CYCLE_1)
	s_and_not1_b32 vcc_lo, exec_lo, s0
	s_waitcnt_vscnt null, 0x0
	s_barrier
	buffer_gl0_inv
	s_cbranch_vccnz .LBB739_174
; %bb.156:
	s_mov_b32 s0, exec_lo
	v_cmpx_eq_u32_e32 1, v27
	s_cbranch_execz .LBB739_158
; %bb.157:
	v_sub_nc_u32_e32 v0, v47, v30
	s_delay_alu instid0(VALU_DEP_1)
	v_lshlrev_b32_e32 v0, 2, v0
	ds_store_b32 v0, v25
.LBB739_158:
	s_or_b32 exec_lo, exec_lo, s0
	v_and_b32_e32 v0, 1, v53
	s_mov_b32 s0, exec_lo
	s_delay_alu instid0(VALU_DEP_1)
	v_cmpx_eq_u32_e32 1, v0
	s_cbranch_execz .LBB739_160
; %bb.159:
	v_sub_nc_u32_e32 v0, v45, v30
	s_delay_alu instid0(VALU_DEP_1)
	v_lshlrev_b32_e32 v0, 2, v0
	ds_store_b32 v0, v26
.LBB739_160:
	s_or_b32 exec_lo, exec_lo, s0
	v_and_b32_e32 v0, 1, v52
	s_mov_b32 s0, exec_lo
	s_delay_alu instid0(VALU_DEP_1)
	;; [unrolled: 12-line block ×7, first 2 shown]
	v_cmpx_eq_u32_e32 1, v0
	s_cbranch_execz .LBB739_172
; %bb.171:
	v_sub_nc_u32_e32 v0, v33, v30
	s_delay_alu instid0(VALU_DEP_1)
	v_lshlrev_b32_e32 v0, 2, v0
	ds_store_b32 v0, v20
.LBB739_172:
	s_or_b32 exec_lo, exec_lo, s0
	s_waitcnt lgkmcnt(0)
	s_barrier
	buffer_gl0_inv
	s_and_b32 s0, s2, s14
	s_delay_alu instid0(SALU_CYCLE_1)
	s_and_saveexec_b32 s1, s0
	s_cbranch_execnz .LBB739_175
.LBB739_173:
	s_endpgm
.LBB739_174:
	s_and_b32 s0, s2, s14
	s_delay_alu instid0(SALU_CYCLE_1)
	s_and_saveexec_b32 s1, s0
	s_cbranch_execz .LBB739_173
.LBB739_175:
	v_add_co_u32 v0, vcc_lo, v17, v29
	v_add_co_ci_u32_e32 v1, vcc_lo, 0, v18, vcc_lo
	v_mov_b32_e32 v2, 0
	s_delay_alu instid0(VALU_DEP_3) | instskip(NEXT) | instid1(VALU_DEP_3)
	v_add_co_u32 v0, vcc_lo, v0, v30
	v_add_co_ci_u32_e32 v1, vcc_lo, 0, v1, vcc_lo
	global_store_b64 v2, v[0:1], s[12:13]
	s_nop 0
	s_sendmsg sendmsg(MSG_DEALLOC_VGPRS)
	s_endpgm
	.section	.rodata,"a",@progbits
	.p2align	6, 0x0
	.amdhsa_kernel _ZN7rocprim17ROCPRIM_400000_NS6detail17trampoline_kernelINS0_14default_configENS1_25partition_config_selectorILNS1_17partition_subalgoE9EyjbEEZZNS1_14partition_implILS5_9ELb0ES3_jN6thrust23THRUST_200600_302600_NS6detail15normal_iteratorINS9_10device_ptrIyEEEENSB_INSC_IjEEEEPNS0_10empty_typeENS0_5tupleIJSE_SH_EEENSJ_IJNS9_16discard_iteratorINS9_11use_defaultEEESI_EEENS0_18inequality_wrapperINS9_8equal_toIyEEEEPmJSH_EEE10hipError_tPvRmT3_T4_T5_T6_T7_T9_mT8_P12ihipStream_tbDpT10_ENKUlT_T0_E_clISt17integral_constantIbLb1EES1D_EEDaS18_S19_EUlS18_E_NS1_11comp_targetILNS1_3genE9ELNS1_11target_archE1100ELNS1_3gpuE3ELNS1_3repE0EEENS1_30default_config_static_selectorELNS0_4arch9wavefront6targetE0EEEvT1_
		.amdhsa_group_segment_fixed_size 33800
		.amdhsa_private_segment_fixed_size 0
		.amdhsa_kernarg_size 136
		.amdhsa_user_sgpr_count 15
		.amdhsa_user_sgpr_dispatch_ptr 0
		.amdhsa_user_sgpr_queue_ptr 0
		.amdhsa_user_sgpr_kernarg_segment_ptr 1
		.amdhsa_user_sgpr_dispatch_id 0
		.amdhsa_user_sgpr_private_segment_size 0
		.amdhsa_wavefront_size32 1
		.amdhsa_uses_dynamic_stack 0
		.amdhsa_enable_private_segment 0
		.amdhsa_system_sgpr_workgroup_id_x 1
		.amdhsa_system_sgpr_workgroup_id_y 0
		.amdhsa_system_sgpr_workgroup_id_z 0
		.amdhsa_system_sgpr_workgroup_info 0
		.amdhsa_system_vgpr_workitem_id 0
		.amdhsa_next_free_vgpr 62
		.amdhsa_next_free_sgpr 26
		.amdhsa_reserve_vcc 1
		.amdhsa_float_round_mode_32 0
		.amdhsa_float_round_mode_16_64 0
		.amdhsa_float_denorm_mode_32 3
		.amdhsa_float_denorm_mode_16_64 3
		.amdhsa_dx10_clamp 1
		.amdhsa_ieee_mode 1
		.amdhsa_fp16_overflow 0
		.amdhsa_workgroup_processor_mode 1
		.amdhsa_memory_ordered 1
		.amdhsa_forward_progress 0
		.amdhsa_shared_vgpr_count 0
		.amdhsa_exception_fp_ieee_invalid_op 0
		.amdhsa_exception_fp_denorm_src 0
		.amdhsa_exception_fp_ieee_div_zero 0
		.amdhsa_exception_fp_ieee_overflow 0
		.amdhsa_exception_fp_ieee_underflow 0
		.amdhsa_exception_fp_ieee_inexact 0
		.amdhsa_exception_int_div_zero 0
	.end_amdhsa_kernel
	.section	.text._ZN7rocprim17ROCPRIM_400000_NS6detail17trampoline_kernelINS0_14default_configENS1_25partition_config_selectorILNS1_17partition_subalgoE9EyjbEEZZNS1_14partition_implILS5_9ELb0ES3_jN6thrust23THRUST_200600_302600_NS6detail15normal_iteratorINS9_10device_ptrIyEEEENSB_INSC_IjEEEEPNS0_10empty_typeENS0_5tupleIJSE_SH_EEENSJ_IJNS9_16discard_iteratorINS9_11use_defaultEEESI_EEENS0_18inequality_wrapperINS9_8equal_toIyEEEEPmJSH_EEE10hipError_tPvRmT3_T4_T5_T6_T7_T9_mT8_P12ihipStream_tbDpT10_ENKUlT_T0_E_clISt17integral_constantIbLb1EES1D_EEDaS18_S19_EUlS18_E_NS1_11comp_targetILNS1_3genE9ELNS1_11target_archE1100ELNS1_3gpuE3ELNS1_3repE0EEENS1_30default_config_static_selectorELNS0_4arch9wavefront6targetE0EEEvT1_,"axG",@progbits,_ZN7rocprim17ROCPRIM_400000_NS6detail17trampoline_kernelINS0_14default_configENS1_25partition_config_selectorILNS1_17partition_subalgoE9EyjbEEZZNS1_14partition_implILS5_9ELb0ES3_jN6thrust23THRUST_200600_302600_NS6detail15normal_iteratorINS9_10device_ptrIyEEEENSB_INSC_IjEEEEPNS0_10empty_typeENS0_5tupleIJSE_SH_EEENSJ_IJNS9_16discard_iteratorINS9_11use_defaultEEESI_EEENS0_18inequality_wrapperINS9_8equal_toIyEEEEPmJSH_EEE10hipError_tPvRmT3_T4_T5_T6_T7_T9_mT8_P12ihipStream_tbDpT10_ENKUlT_T0_E_clISt17integral_constantIbLb1EES1D_EEDaS18_S19_EUlS18_E_NS1_11comp_targetILNS1_3genE9ELNS1_11target_archE1100ELNS1_3gpuE3ELNS1_3repE0EEENS1_30default_config_static_selectorELNS0_4arch9wavefront6targetE0EEEvT1_,comdat
.Lfunc_end739:
	.size	_ZN7rocprim17ROCPRIM_400000_NS6detail17trampoline_kernelINS0_14default_configENS1_25partition_config_selectorILNS1_17partition_subalgoE9EyjbEEZZNS1_14partition_implILS5_9ELb0ES3_jN6thrust23THRUST_200600_302600_NS6detail15normal_iteratorINS9_10device_ptrIyEEEENSB_INSC_IjEEEEPNS0_10empty_typeENS0_5tupleIJSE_SH_EEENSJ_IJNS9_16discard_iteratorINS9_11use_defaultEEESI_EEENS0_18inequality_wrapperINS9_8equal_toIyEEEEPmJSH_EEE10hipError_tPvRmT3_T4_T5_T6_T7_T9_mT8_P12ihipStream_tbDpT10_ENKUlT_T0_E_clISt17integral_constantIbLb1EES1D_EEDaS18_S19_EUlS18_E_NS1_11comp_targetILNS1_3genE9ELNS1_11target_archE1100ELNS1_3gpuE3ELNS1_3repE0EEENS1_30default_config_static_selectorELNS0_4arch9wavefront6targetE0EEEvT1_, .Lfunc_end739-_ZN7rocprim17ROCPRIM_400000_NS6detail17trampoline_kernelINS0_14default_configENS1_25partition_config_selectorILNS1_17partition_subalgoE9EyjbEEZZNS1_14partition_implILS5_9ELb0ES3_jN6thrust23THRUST_200600_302600_NS6detail15normal_iteratorINS9_10device_ptrIyEEEENSB_INSC_IjEEEEPNS0_10empty_typeENS0_5tupleIJSE_SH_EEENSJ_IJNS9_16discard_iteratorINS9_11use_defaultEEESI_EEENS0_18inequality_wrapperINS9_8equal_toIyEEEEPmJSH_EEE10hipError_tPvRmT3_T4_T5_T6_T7_T9_mT8_P12ihipStream_tbDpT10_ENKUlT_T0_E_clISt17integral_constantIbLb1EES1D_EEDaS18_S19_EUlS18_E_NS1_11comp_targetILNS1_3genE9ELNS1_11target_archE1100ELNS1_3gpuE3ELNS1_3repE0EEENS1_30default_config_static_selectorELNS0_4arch9wavefront6targetE0EEEvT1_
                                        ; -- End function
	.section	.AMDGPU.csdata,"",@progbits
; Kernel info:
; codeLenInByte = 8692
; NumSgprs: 28
; NumVgprs: 62
; ScratchSize: 0
; MemoryBound: 0
; FloatMode: 240
; IeeeMode: 1
; LDSByteSize: 33800 bytes/workgroup (compile time only)
; SGPRBlocks: 3
; VGPRBlocks: 7
; NumSGPRsForWavesPerEU: 28
; NumVGPRsForWavesPerEU: 62
; Occupancy: 12
; WaveLimiterHint : 1
; COMPUTE_PGM_RSRC2:SCRATCH_EN: 0
; COMPUTE_PGM_RSRC2:USER_SGPR: 15
; COMPUTE_PGM_RSRC2:TRAP_HANDLER: 0
; COMPUTE_PGM_RSRC2:TGID_X_EN: 1
; COMPUTE_PGM_RSRC2:TGID_Y_EN: 0
; COMPUTE_PGM_RSRC2:TGID_Z_EN: 0
; COMPUTE_PGM_RSRC2:TIDIG_COMP_CNT: 0
	.section	.text._ZN7rocprim17ROCPRIM_400000_NS6detail17trampoline_kernelINS0_14default_configENS1_25partition_config_selectorILNS1_17partition_subalgoE9EyjbEEZZNS1_14partition_implILS5_9ELb0ES3_jN6thrust23THRUST_200600_302600_NS6detail15normal_iteratorINS9_10device_ptrIyEEEENSB_INSC_IjEEEEPNS0_10empty_typeENS0_5tupleIJSE_SH_EEENSJ_IJNS9_16discard_iteratorINS9_11use_defaultEEESI_EEENS0_18inequality_wrapperINS9_8equal_toIyEEEEPmJSH_EEE10hipError_tPvRmT3_T4_T5_T6_T7_T9_mT8_P12ihipStream_tbDpT10_ENKUlT_T0_E_clISt17integral_constantIbLb1EES1D_EEDaS18_S19_EUlS18_E_NS1_11comp_targetILNS1_3genE8ELNS1_11target_archE1030ELNS1_3gpuE2ELNS1_3repE0EEENS1_30default_config_static_selectorELNS0_4arch9wavefront6targetE0EEEvT1_,"axG",@progbits,_ZN7rocprim17ROCPRIM_400000_NS6detail17trampoline_kernelINS0_14default_configENS1_25partition_config_selectorILNS1_17partition_subalgoE9EyjbEEZZNS1_14partition_implILS5_9ELb0ES3_jN6thrust23THRUST_200600_302600_NS6detail15normal_iteratorINS9_10device_ptrIyEEEENSB_INSC_IjEEEEPNS0_10empty_typeENS0_5tupleIJSE_SH_EEENSJ_IJNS9_16discard_iteratorINS9_11use_defaultEEESI_EEENS0_18inequality_wrapperINS9_8equal_toIyEEEEPmJSH_EEE10hipError_tPvRmT3_T4_T5_T6_T7_T9_mT8_P12ihipStream_tbDpT10_ENKUlT_T0_E_clISt17integral_constantIbLb1EES1D_EEDaS18_S19_EUlS18_E_NS1_11comp_targetILNS1_3genE8ELNS1_11target_archE1030ELNS1_3gpuE2ELNS1_3repE0EEENS1_30default_config_static_selectorELNS0_4arch9wavefront6targetE0EEEvT1_,comdat
	.protected	_ZN7rocprim17ROCPRIM_400000_NS6detail17trampoline_kernelINS0_14default_configENS1_25partition_config_selectorILNS1_17partition_subalgoE9EyjbEEZZNS1_14partition_implILS5_9ELb0ES3_jN6thrust23THRUST_200600_302600_NS6detail15normal_iteratorINS9_10device_ptrIyEEEENSB_INSC_IjEEEEPNS0_10empty_typeENS0_5tupleIJSE_SH_EEENSJ_IJNS9_16discard_iteratorINS9_11use_defaultEEESI_EEENS0_18inequality_wrapperINS9_8equal_toIyEEEEPmJSH_EEE10hipError_tPvRmT3_T4_T5_T6_T7_T9_mT8_P12ihipStream_tbDpT10_ENKUlT_T0_E_clISt17integral_constantIbLb1EES1D_EEDaS18_S19_EUlS18_E_NS1_11comp_targetILNS1_3genE8ELNS1_11target_archE1030ELNS1_3gpuE2ELNS1_3repE0EEENS1_30default_config_static_selectorELNS0_4arch9wavefront6targetE0EEEvT1_ ; -- Begin function _ZN7rocprim17ROCPRIM_400000_NS6detail17trampoline_kernelINS0_14default_configENS1_25partition_config_selectorILNS1_17partition_subalgoE9EyjbEEZZNS1_14partition_implILS5_9ELb0ES3_jN6thrust23THRUST_200600_302600_NS6detail15normal_iteratorINS9_10device_ptrIyEEEENSB_INSC_IjEEEEPNS0_10empty_typeENS0_5tupleIJSE_SH_EEENSJ_IJNS9_16discard_iteratorINS9_11use_defaultEEESI_EEENS0_18inequality_wrapperINS9_8equal_toIyEEEEPmJSH_EEE10hipError_tPvRmT3_T4_T5_T6_T7_T9_mT8_P12ihipStream_tbDpT10_ENKUlT_T0_E_clISt17integral_constantIbLb1EES1D_EEDaS18_S19_EUlS18_E_NS1_11comp_targetILNS1_3genE8ELNS1_11target_archE1030ELNS1_3gpuE2ELNS1_3repE0EEENS1_30default_config_static_selectorELNS0_4arch9wavefront6targetE0EEEvT1_
	.globl	_ZN7rocprim17ROCPRIM_400000_NS6detail17trampoline_kernelINS0_14default_configENS1_25partition_config_selectorILNS1_17partition_subalgoE9EyjbEEZZNS1_14partition_implILS5_9ELb0ES3_jN6thrust23THRUST_200600_302600_NS6detail15normal_iteratorINS9_10device_ptrIyEEEENSB_INSC_IjEEEEPNS0_10empty_typeENS0_5tupleIJSE_SH_EEENSJ_IJNS9_16discard_iteratorINS9_11use_defaultEEESI_EEENS0_18inequality_wrapperINS9_8equal_toIyEEEEPmJSH_EEE10hipError_tPvRmT3_T4_T5_T6_T7_T9_mT8_P12ihipStream_tbDpT10_ENKUlT_T0_E_clISt17integral_constantIbLb1EES1D_EEDaS18_S19_EUlS18_E_NS1_11comp_targetILNS1_3genE8ELNS1_11target_archE1030ELNS1_3gpuE2ELNS1_3repE0EEENS1_30default_config_static_selectorELNS0_4arch9wavefront6targetE0EEEvT1_
	.p2align	8
	.type	_ZN7rocprim17ROCPRIM_400000_NS6detail17trampoline_kernelINS0_14default_configENS1_25partition_config_selectorILNS1_17partition_subalgoE9EyjbEEZZNS1_14partition_implILS5_9ELb0ES3_jN6thrust23THRUST_200600_302600_NS6detail15normal_iteratorINS9_10device_ptrIyEEEENSB_INSC_IjEEEEPNS0_10empty_typeENS0_5tupleIJSE_SH_EEENSJ_IJNS9_16discard_iteratorINS9_11use_defaultEEESI_EEENS0_18inequality_wrapperINS9_8equal_toIyEEEEPmJSH_EEE10hipError_tPvRmT3_T4_T5_T6_T7_T9_mT8_P12ihipStream_tbDpT10_ENKUlT_T0_E_clISt17integral_constantIbLb1EES1D_EEDaS18_S19_EUlS18_E_NS1_11comp_targetILNS1_3genE8ELNS1_11target_archE1030ELNS1_3gpuE2ELNS1_3repE0EEENS1_30default_config_static_selectorELNS0_4arch9wavefront6targetE0EEEvT1_,@function
_ZN7rocprim17ROCPRIM_400000_NS6detail17trampoline_kernelINS0_14default_configENS1_25partition_config_selectorILNS1_17partition_subalgoE9EyjbEEZZNS1_14partition_implILS5_9ELb0ES3_jN6thrust23THRUST_200600_302600_NS6detail15normal_iteratorINS9_10device_ptrIyEEEENSB_INSC_IjEEEEPNS0_10empty_typeENS0_5tupleIJSE_SH_EEENSJ_IJNS9_16discard_iteratorINS9_11use_defaultEEESI_EEENS0_18inequality_wrapperINS9_8equal_toIyEEEEPmJSH_EEE10hipError_tPvRmT3_T4_T5_T6_T7_T9_mT8_P12ihipStream_tbDpT10_ENKUlT_T0_E_clISt17integral_constantIbLb1EES1D_EEDaS18_S19_EUlS18_E_NS1_11comp_targetILNS1_3genE8ELNS1_11target_archE1030ELNS1_3gpuE2ELNS1_3repE0EEENS1_30default_config_static_selectorELNS0_4arch9wavefront6targetE0EEEvT1_: ; @_ZN7rocprim17ROCPRIM_400000_NS6detail17trampoline_kernelINS0_14default_configENS1_25partition_config_selectorILNS1_17partition_subalgoE9EyjbEEZZNS1_14partition_implILS5_9ELb0ES3_jN6thrust23THRUST_200600_302600_NS6detail15normal_iteratorINS9_10device_ptrIyEEEENSB_INSC_IjEEEEPNS0_10empty_typeENS0_5tupleIJSE_SH_EEENSJ_IJNS9_16discard_iteratorINS9_11use_defaultEEESI_EEENS0_18inequality_wrapperINS9_8equal_toIyEEEEPmJSH_EEE10hipError_tPvRmT3_T4_T5_T6_T7_T9_mT8_P12ihipStream_tbDpT10_ENKUlT_T0_E_clISt17integral_constantIbLb1EES1D_EEDaS18_S19_EUlS18_E_NS1_11comp_targetILNS1_3genE8ELNS1_11target_archE1030ELNS1_3gpuE2ELNS1_3repE0EEENS1_30default_config_static_selectorELNS0_4arch9wavefront6targetE0EEEvT1_
; %bb.0:
	.section	.rodata,"a",@progbits
	.p2align	6, 0x0
	.amdhsa_kernel _ZN7rocprim17ROCPRIM_400000_NS6detail17trampoline_kernelINS0_14default_configENS1_25partition_config_selectorILNS1_17partition_subalgoE9EyjbEEZZNS1_14partition_implILS5_9ELb0ES3_jN6thrust23THRUST_200600_302600_NS6detail15normal_iteratorINS9_10device_ptrIyEEEENSB_INSC_IjEEEEPNS0_10empty_typeENS0_5tupleIJSE_SH_EEENSJ_IJNS9_16discard_iteratorINS9_11use_defaultEEESI_EEENS0_18inequality_wrapperINS9_8equal_toIyEEEEPmJSH_EEE10hipError_tPvRmT3_T4_T5_T6_T7_T9_mT8_P12ihipStream_tbDpT10_ENKUlT_T0_E_clISt17integral_constantIbLb1EES1D_EEDaS18_S19_EUlS18_E_NS1_11comp_targetILNS1_3genE8ELNS1_11target_archE1030ELNS1_3gpuE2ELNS1_3repE0EEENS1_30default_config_static_selectorELNS0_4arch9wavefront6targetE0EEEvT1_
		.amdhsa_group_segment_fixed_size 0
		.amdhsa_private_segment_fixed_size 0
		.amdhsa_kernarg_size 136
		.amdhsa_user_sgpr_count 15
		.amdhsa_user_sgpr_dispatch_ptr 0
		.amdhsa_user_sgpr_queue_ptr 0
		.amdhsa_user_sgpr_kernarg_segment_ptr 1
		.amdhsa_user_sgpr_dispatch_id 0
		.amdhsa_user_sgpr_private_segment_size 0
		.amdhsa_wavefront_size32 1
		.amdhsa_uses_dynamic_stack 0
		.amdhsa_enable_private_segment 0
		.amdhsa_system_sgpr_workgroup_id_x 1
		.amdhsa_system_sgpr_workgroup_id_y 0
		.amdhsa_system_sgpr_workgroup_id_z 0
		.amdhsa_system_sgpr_workgroup_info 0
		.amdhsa_system_vgpr_workitem_id 0
		.amdhsa_next_free_vgpr 1
		.amdhsa_next_free_sgpr 1
		.amdhsa_reserve_vcc 0
		.amdhsa_float_round_mode_32 0
		.amdhsa_float_round_mode_16_64 0
		.amdhsa_float_denorm_mode_32 3
		.amdhsa_float_denorm_mode_16_64 3
		.amdhsa_dx10_clamp 1
		.amdhsa_ieee_mode 1
		.amdhsa_fp16_overflow 0
		.amdhsa_workgroup_processor_mode 1
		.amdhsa_memory_ordered 1
		.amdhsa_forward_progress 0
		.amdhsa_shared_vgpr_count 0
		.amdhsa_exception_fp_ieee_invalid_op 0
		.amdhsa_exception_fp_denorm_src 0
		.amdhsa_exception_fp_ieee_div_zero 0
		.amdhsa_exception_fp_ieee_overflow 0
		.amdhsa_exception_fp_ieee_underflow 0
		.amdhsa_exception_fp_ieee_inexact 0
		.amdhsa_exception_int_div_zero 0
	.end_amdhsa_kernel
	.section	.text._ZN7rocprim17ROCPRIM_400000_NS6detail17trampoline_kernelINS0_14default_configENS1_25partition_config_selectorILNS1_17partition_subalgoE9EyjbEEZZNS1_14partition_implILS5_9ELb0ES3_jN6thrust23THRUST_200600_302600_NS6detail15normal_iteratorINS9_10device_ptrIyEEEENSB_INSC_IjEEEEPNS0_10empty_typeENS0_5tupleIJSE_SH_EEENSJ_IJNS9_16discard_iteratorINS9_11use_defaultEEESI_EEENS0_18inequality_wrapperINS9_8equal_toIyEEEEPmJSH_EEE10hipError_tPvRmT3_T4_T5_T6_T7_T9_mT8_P12ihipStream_tbDpT10_ENKUlT_T0_E_clISt17integral_constantIbLb1EES1D_EEDaS18_S19_EUlS18_E_NS1_11comp_targetILNS1_3genE8ELNS1_11target_archE1030ELNS1_3gpuE2ELNS1_3repE0EEENS1_30default_config_static_selectorELNS0_4arch9wavefront6targetE0EEEvT1_,"axG",@progbits,_ZN7rocprim17ROCPRIM_400000_NS6detail17trampoline_kernelINS0_14default_configENS1_25partition_config_selectorILNS1_17partition_subalgoE9EyjbEEZZNS1_14partition_implILS5_9ELb0ES3_jN6thrust23THRUST_200600_302600_NS6detail15normal_iteratorINS9_10device_ptrIyEEEENSB_INSC_IjEEEEPNS0_10empty_typeENS0_5tupleIJSE_SH_EEENSJ_IJNS9_16discard_iteratorINS9_11use_defaultEEESI_EEENS0_18inequality_wrapperINS9_8equal_toIyEEEEPmJSH_EEE10hipError_tPvRmT3_T4_T5_T6_T7_T9_mT8_P12ihipStream_tbDpT10_ENKUlT_T0_E_clISt17integral_constantIbLb1EES1D_EEDaS18_S19_EUlS18_E_NS1_11comp_targetILNS1_3genE8ELNS1_11target_archE1030ELNS1_3gpuE2ELNS1_3repE0EEENS1_30default_config_static_selectorELNS0_4arch9wavefront6targetE0EEEvT1_,comdat
.Lfunc_end740:
	.size	_ZN7rocprim17ROCPRIM_400000_NS6detail17trampoline_kernelINS0_14default_configENS1_25partition_config_selectorILNS1_17partition_subalgoE9EyjbEEZZNS1_14partition_implILS5_9ELb0ES3_jN6thrust23THRUST_200600_302600_NS6detail15normal_iteratorINS9_10device_ptrIyEEEENSB_INSC_IjEEEEPNS0_10empty_typeENS0_5tupleIJSE_SH_EEENSJ_IJNS9_16discard_iteratorINS9_11use_defaultEEESI_EEENS0_18inequality_wrapperINS9_8equal_toIyEEEEPmJSH_EEE10hipError_tPvRmT3_T4_T5_T6_T7_T9_mT8_P12ihipStream_tbDpT10_ENKUlT_T0_E_clISt17integral_constantIbLb1EES1D_EEDaS18_S19_EUlS18_E_NS1_11comp_targetILNS1_3genE8ELNS1_11target_archE1030ELNS1_3gpuE2ELNS1_3repE0EEENS1_30default_config_static_selectorELNS0_4arch9wavefront6targetE0EEEvT1_, .Lfunc_end740-_ZN7rocprim17ROCPRIM_400000_NS6detail17trampoline_kernelINS0_14default_configENS1_25partition_config_selectorILNS1_17partition_subalgoE9EyjbEEZZNS1_14partition_implILS5_9ELb0ES3_jN6thrust23THRUST_200600_302600_NS6detail15normal_iteratorINS9_10device_ptrIyEEEENSB_INSC_IjEEEEPNS0_10empty_typeENS0_5tupleIJSE_SH_EEENSJ_IJNS9_16discard_iteratorINS9_11use_defaultEEESI_EEENS0_18inequality_wrapperINS9_8equal_toIyEEEEPmJSH_EEE10hipError_tPvRmT3_T4_T5_T6_T7_T9_mT8_P12ihipStream_tbDpT10_ENKUlT_T0_E_clISt17integral_constantIbLb1EES1D_EEDaS18_S19_EUlS18_E_NS1_11comp_targetILNS1_3genE8ELNS1_11target_archE1030ELNS1_3gpuE2ELNS1_3repE0EEENS1_30default_config_static_selectorELNS0_4arch9wavefront6targetE0EEEvT1_
                                        ; -- End function
	.section	.AMDGPU.csdata,"",@progbits
; Kernel info:
; codeLenInByte = 0
; NumSgprs: 0
; NumVgprs: 0
; ScratchSize: 0
; MemoryBound: 0
; FloatMode: 240
; IeeeMode: 1
; LDSByteSize: 0 bytes/workgroup (compile time only)
; SGPRBlocks: 0
; VGPRBlocks: 0
; NumSGPRsForWavesPerEU: 1
; NumVGPRsForWavesPerEU: 1
; Occupancy: 16
; WaveLimiterHint : 0
; COMPUTE_PGM_RSRC2:SCRATCH_EN: 0
; COMPUTE_PGM_RSRC2:USER_SGPR: 15
; COMPUTE_PGM_RSRC2:TRAP_HANDLER: 0
; COMPUTE_PGM_RSRC2:TGID_X_EN: 1
; COMPUTE_PGM_RSRC2:TGID_Y_EN: 0
; COMPUTE_PGM_RSRC2:TGID_Z_EN: 0
; COMPUTE_PGM_RSRC2:TIDIG_COMP_CNT: 0
	.section	.text._ZN7rocprim17ROCPRIM_400000_NS6detail17trampoline_kernelINS0_14default_configENS1_25partition_config_selectorILNS1_17partition_subalgoE9EyjbEEZZNS1_14partition_implILS5_9ELb0ES3_jN6thrust23THRUST_200600_302600_NS6detail15normal_iteratorINS9_10device_ptrIyEEEENSB_INSC_IjEEEEPNS0_10empty_typeENS0_5tupleIJSE_SH_EEENSJ_IJNS9_16discard_iteratorINS9_11use_defaultEEESI_EEENS0_18inequality_wrapperINS9_8equal_toIyEEEEPmJSH_EEE10hipError_tPvRmT3_T4_T5_T6_T7_T9_mT8_P12ihipStream_tbDpT10_ENKUlT_T0_E_clISt17integral_constantIbLb1EES1C_IbLb0EEEEDaS18_S19_EUlS18_E_NS1_11comp_targetILNS1_3genE0ELNS1_11target_archE4294967295ELNS1_3gpuE0ELNS1_3repE0EEENS1_30default_config_static_selectorELNS0_4arch9wavefront6targetE0EEEvT1_,"axG",@progbits,_ZN7rocprim17ROCPRIM_400000_NS6detail17trampoline_kernelINS0_14default_configENS1_25partition_config_selectorILNS1_17partition_subalgoE9EyjbEEZZNS1_14partition_implILS5_9ELb0ES3_jN6thrust23THRUST_200600_302600_NS6detail15normal_iteratorINS9_10device_ptrIyEEEENSB_INSC_IjEEEEPNS0_10empty_typeENS0_5tupleIJSE_SH_EEENSJ_IJNS9_16discard_iteratorINS9_11use_defaultEEESI_EEENS0_18inequality_wrapperINS9_8equal_toIyEEEEPmJSH_EEE10hipError_tPvRmT3_T4_T5_T6_T7_T9_mT8_P12ihipStream_tbDpT10_ENKUlT_T0_E_clISt17integral_constantIbLb1EES1C_IbLb0EEEEDaS18_S19_EUlS18_E_NS1_11comp_targetILNS1_3genE0ELNS1_11target_archE4294967295ELNS1_3gpuE0ELNS1_3repE0EEENS1_30default_config_static_selectorELNS0_4arch9wavefront6targetE0EEEvT1_,comdat
	.protected	_ZN7rocprim17ROCPRIM_400000_NS6detail17trampoline_kernelINS0_14default_configENS1_25partition_config_selectorILNS1_17partition_subalgoE9EyjbEEZZNS1_14partition_implILS5_9ELb0ES3_jN6thrust23THRUST_200600_302600_NS6detail15normal_iteratorINS9_10device_ptrIyEEEENSB_INSC_IjEEEEPNS0_10empty_typeENS0_5tupleIJSE_SH_EEENSJ_IJNS9_16discard_iteratorINS9_11use_defaultEEESI_EEENS0_18inequality_wrapperINS9_8equal_toIyEEEEPmJSH_EEE10hipError_tPvRmT3_T4_T5_T6_T7_T9_mT8_P12ihipStream_tbDpT10_ENKUlT_T0_E_clISt17integral_constantIbLb1EES1C_IbLb0EEEEDaS18_S19_EUlS18_E_NS1_11comp_targetILNS1_3genE0ELNS1_11target_archE4294967295ELNS1_3gpuE0ELNS1_3repE0EEENS1_30default_config_static_selectorELNS0_4arch9wavefront6targetE0EEEvT1_ ; -- Begin function _ZN7rocprim17ROCPRIM_400000_NS6detail17trampoline_kernelINS0_14default_configENS1_25partition_config_selectorILNS1_17partition_subalgoE9EyjbEEZZNS1_14partition_implILS5_9ELb0ES3_jN6thrust23THRUST_200600_302600_NS6detail15normal_iteratorINS9_10device_ptrIyEEEENSB_INSC_IjEEEEPNS0_10empty_typeENS0_5tupleIJSE_SH_EEENSJ_IJNS9_16discard_iteratorINS9_11use_defaultEEESI_EEENS0_18inequality_wrapperINS9_8equal_toIyEEEEPmJSH_EEE10hipError_tPvRmT3_T4_T5_T6_T7_T9_mT8_P12ihipStream_tbDpT10_ENKUlT_T0_E_clISt17integral_constantIbLb1EES1C_IbLb0EEEEDaS18_S19_EUlS18_E_NS1_11comp_targetILNS1_3genE0ELNS1_11target_archE4294967295ELNS1_3gpuE0ELNS1_3repE0EEENS1_30default_config_static_selectorELNS0_4arch9wavefront6targetE0EEEvT1_
	.globl	_ZN7rocprim17ROCPRIM_400000_NS6detail17trampoline_kernelINS0_14default_configENS1_25partition_config_selectorILNS1_17partition_subalgoE9EyjbEEZZNS1_14partition_implILS5_9ELb0ES3_jN6thrust23THRUST_200600_302600_NS6detail15normal_iteratorINS9_10device_ptrIyEEEENSB_INSC_IjEEEEPNS0_10empty_typeENS0_5tupleIJSE_SH_EEENSJ_IJNS9_16discard_iteratorINS9_11use_defaultEEESI_EEENS0_18inequality_wrapperINS9_8equal_toIyEEEEPmJSH_EEE10hipError_tPvRmT3_T4_T5_T6_T7_T9_mT8_P12ihipStream_tbDpT10_ENKUlT_T0_E_clISt17integral_constantIbLb1EES1C_IbLb0EEEEDaS18_S19_EUlS18_E_NS1_11comp_targetILNS1_3genE0ELNS1_11target_archE4294967295ELNS1_3gpuE0ELNS1_3repE0EEENS1_30default_config_static_selectorELNS0_4arch9wavefront6targetE0EEEvT1_
	.p2align	8
	.type	_ZN7rocprim17ROCPRIM_400000_NS6detail17trampoline_kernelINS0_14default_configENS1_25partition_config_selectorILNS1_17partition_subalgoE9EyjbEEZZNS1_14partition_implILS5_9ELb0ES3_jN6thrust23THRUST_200600_302600_NS6detail15normal_iteratorINS9_10device_ptrIyEEEENSB_INSC_IjEEEEPNS0_10empty_typeENS0_5tupleIJSE_SH_EEENSJ_IJNS9_16discard_iteratorINS9_11use_defaultEEESI_EEENS0_18inequality_wrapperINS9_8equal_toIyEEEEPmJSH_EEE10hipError_tPvRmT3_T4_T5_T6_T7_T9_mT8_P12ihipStream_tbDpT10_ENKUlT_T0_E_clISt17integral_constantIbLb1EES1C_IbLb0EEEEDaS18_S19_EUlS18_E_NS1_11comp_targetILNS1_3genE0ELNS1_11target_archE4294967295ELNS1_3gpuE0ELNS1_3repE0EEENS1_30default_config_static_selectorELNS0_4arch9wavefront6targetE0EEEvT1_,@function
_ZN7rocprim17ROCPRIM_400000_NS6detail17trampoline_kernelINS0_14default_configENS1_25partition_config_selectorILNS1_17partition_subalgoE9EyjbEEZZNS1_14partition_implILS5_9ELb0ES3_jN6thrust23THRUST_200600_302600_NS6detail15normal_iteratorINS9_10device_ptrIyEEEENSB_INSC_IjEEEEPNS0_10empty_typeENS0_5tupleIJSE_SH_EEENSJ_IJNS9_16discard_iteratorINS9_11use_defaultEEESI_EEENS0_18inequality_wrapperINS9_8equal_toIyEEEEPmJSH_EEE10hipError_tPvRmT3_T4_T5_T6_T7_T9_mT8_P12ihipStream_tbDpT10_ENKUlT_T0_E_clISt17integral_constantIbLb1EES1C_IbLb0EEEEDaS18_S19_EUlS18_E_NS1_11comp_targetILNS1_3genE0ELNS1_11target_archE4294967295ELNS1_3gpuE0ELNS1_3repE0EEENS1_30default_config_static_selectorELNS0_4arch9wavefront6targetE0EEEvT1_: ; @_ZN7rocprim17ROCPRIM_400000_NS6detail17trampoline_kernelINS0_14default_configENS1_25partition_config_selectorILNS1_17partition_subalgoE9EyjbEEZZNS1_14partition_implILS5_9ELb0ES3_jN6thrust23THRUST_200600_302600_NS6detail15normal_iteratorINS9_10device_ptrIyEEEENSB_INSC_IjEEEEPNS0_10empty_typeENS0_5tupleIJSE_SH_EEENSJ_IJNS9_16discard_iteratorINS9_11use_defaultEEESI_EEENS0_18inequality_wrapperINS9_8equal_toIyEEEEPmJSH_EEE10hipError_tPvRmT3_T4_T5_T6_T7_T9_mT8_P12ihipStream_tbDpT10_ENKUlT_T0_E_clISt17integral_constantIbLb1EES1C_IbLb0EEEEDaS18_S19_EUlS18_E_NS1_11comp_targetILNS1_3genE0ELNS1_11target_archE4294967295ELNS1_3gpuE0ELNS1_3repE0EEENS1_30default_config_static_selectorELNS0_4arch9wavefront6targetE0EEEvT1_
; %bb.0:
	.section	.rodata,"a",@progbits
	.p2align	6, 0x0
	.amdhsa_kernel _ZN7rocprim17ROCPRIM_400000_NS6detail17trampoline_kernelINS0_14default_configENS1_25partition_config_selectorILNS1_17partition_subalgoE9EyjbEEZZNS1_14partition_implILS5_9ELb0ES3_jN6thrust23THRUST_200600_302600_NS6detail15normal_iteratorINS9_10device_ptrIyEEEENSB_INSC_IjEEEEPNS0_10empty_typeENS0_5tupleIJSE_SH_EEENSJ_IJNS9_16discard_iteratorINS9_11use_defaultEEESI_EEENS0_18inequality_wrapperINS9_8equal_toIyEEEEPmJSH_EEE10hipError_tPvRmT3_T4_T5_T6_T7_T9_mT8_P12ihipStream_tbDpT10_ENKUlT_T0_E_clISt17integral_constantIbLb1EES1C_IbLb0EEEEDaS18_S19_EUlS18_E_NS1_11comp_targetILNS1_3genE0ELNS1_11target_archE4294967295ELNS1_3gpuE0ELNS1_3repE0EEENS1_30default_config_static_selectorELNS0_4arch9wavefront6targetE0EEEvT1_
		.amdhsa_group_segment_fixed_size 0
		.amdhsa_private_segment_fixed_size 0
		.amdhsa_kernarg_size 120
		.amdhsa_user_sgpr_count 15
		.amdhsa_user_sgpr_dispatch_ptr 0
		.amdhsa_user_sgpr_queue_ptr 0
		.amdhsa_user_sgpr_kernarg_segment_ptr 1
		.amdhsa_user_sgpr_dispatch_id 0
		.amdhsa_user_sgpr_private_segment_size 0
		.amdhsa_wavefront_size32 1
		.amdhsa_uses_dynamic_stack 0
		.amdhsa_enable_private_segment 0
		.amdhsa_system_sgpr_workgroup_id_x 1
		.amdhsa_system_sgpr_workgroup_id_y 0
		.amdhsa_system_sgpr_workgroup_id_z 0
		.amdhsa_system_sgpr_workgroup_info 0
		.amdhsa_system_vgpr_workitem_id 0
		.amdhsa_next_free_vgpr 1
		.amdhsa_next_free_sgpr 1
		.amdhsa_reserve_vcc 0
		.amdhsa_float_round_mode_32 0
		.amdhsa_float_round_mode_16_64 0
		.amdhsa_float_denorm_mode_32 3
		.amdhsa_float_denorm_mode_16_64 3
		.amdhsa_dx10_clamp 1
		.amdhsa_ieee_mode 1
		.amdhsa_fp16_overflow 0
		.amdhsa_workgroup_processor_mode 1
		.amdhsa_memory_ordered 1
		.amdhsa_forward_progress 0
		.amdhsa_shared_vgpr_count 0
		.amdhsa_exception_fp_ieee_invalid_op 0
		.amdhsa_exception_fp_denorm_src 0
		.amdhsa_exception_fp_ieee_div_zero 0
		.amdhsa_exception_fp_ieee_overflow 0
		.amdhsa_exception_fp_ieee_underflow 0
		.amdhsa_exception_fp_ieee_inexact 0
		.amdhsa_exception_int_div_zero 0
	.end_amdhsa_kernel
	.section	.text._ZN7rocprim17ROCPRIM_400000_NS6detail17trampoline_kernelINS0_14default_configENS1_25partition_config_selectorILNS1_17partition_subalgoE9EyjbEEZZNS1_14partition_implILS5_9ELb0ES3_jN6thrust23THRUST_200600_302600_NS6detail15normal_iteratorINS9_10device_ptrIyEEEENSB_INSC_IjEEEEPNS0_10empty_typeENS0_5tupleIJSE_SH_EEENSJ_IJNS9_16discard_iteratorINS9_11use_defaultEEESI_EEENS0_18inequality_wrapperINS9_8equal_toIyEEEEPmJSH_EEE10hipError_tPvRmT3_T4_T5_T6_T7_T9_mT8_P12ihipStream_tbDpT10_ENKUlT_T0_E_clISt17integral_constantIbLb1EES1C_IbLb0EEEEDaS18_S19_EUlS18_E_NS1_11comp_targetILNS1_3genE0ELNS1_11target_archE4294967295ELNS1_3gpuE0ELNS1_3repE0EEENS1_30default_config_static_selectorELNS0_4arch9wavefront6targetE0EEEvT1_,"axG",@progbits,_ZN7rocprim17ROCPRIM_400000_NS6detail17trampoline_kernelINS0_14default_configENS1_25partition_config_selectorILNS1_17partition_subalgoE9EyjbEEZZNS1_14partition_implILS5_9ELb0ES3_jN6thrust23THRUST_200600_302600_NS6detail15normal_iteratorINS9_10device_ptrIyEEEENSB_INSC_IjEEEEPNS0_10empty_typeENS0_5tupleIJSE_SH_EEENSJ_IJNS9_16discard_iteratorINS9_11use_defaultEEESI_EEENS0_18inequality_wrapperINS9_8equal_toIyEEEEPmJSH_EEE10hipError_tPvRmT3_T4_T5_T6_T7_T9_mT8_P12ihipStream_tbDpT10_ENKUlT_T0_E_clISt17integral_constantIbLb1EES1C_IbLb0EEEEDaS18_S19_EUlS18_E_NS1_11comp_targetILNS1_3genE0ELNS1_11target_archE4294967295ELNS1_3gpuE0ELNS1_3repE0EEENS1_30default_config_static_selectorELNS0_4arch9wavefront6targetE0EEEvT1_,comdat
.Lfunc_end741:
	.size	_ZN7rocprim17ROCPRIM_400000_NS6detail17trampoline_kernelINS0_14default_configENS1_25partition_config_selectorILNS1_17partition_subalgoE9EyjbEEZZNS1_14partition_implILS5_9ELb0ES3_jN6thrust23THRUST_200600_302600_NS6detail15normal_iteratorINS9_10device_ptrIyEEEENSB_INSC_IjEEEEPNS0_10empty_typeENS0_5tupleIJSE_SH_EEENSJ_IJNS9_16discard_iteratorINS9_11use_defaultEEESI_EEENS0_18inequality_wrapperINS9_8equal_toIyEEEEPmJSH_EEE10hipError_tPvRmT3_T4_T5_T6_T7_T9_mT8_P12ihipStream_tbDpT10_ENKUlT_T0_E_clISt17integral_constantIbLb1EES1C_IbLb0EEEEDaS18_S19_EUlS18_E_NS1_11comp_targetILNS1_3genE0ELNS1_11target_archE4294967295ELNS1_3gpuE0ELNS1_3repE0EEENS1_30default_config_static_selectorELNS0_4arch9wavefront6targetE0EEEvT1_, .Lfunc_end741-_ZN7rocprim17ROCPRIM_400000_NS6detail17trampoline_kernelINS0_14default_configENS1_25partition_config_selectorILNS1_17partition_subalgoE9EyjbEEZZNS1_14partition_implILS5_9ELb0ES3_jN6thrust23THRUST_200600_302600_NS6detail15normal_iteratorINS9_10device_ptrIyEEEENSB_INSC_IjEEEEPNS0_10empty_typeENS0_5tupleIJSE_SH_EEENSJ_IJNS9_16discard_iteratorINS9_11use_defaultEEESI_EEENS0_18inequality_wrapperINS9_8equal_toIyEEEEPmJSH_EEE10hipError_tPvRmT3_T4_T5_T6_T7_T9_mT8_P12ihipStream_tbDpT10_ENKUlT_T0_E_clISt17integral_constantIbLb1EES1C_IbLb0EEEEDaS18_S19_EUlS18_E_NS1_11comp_targetILNS1_3genE0ELNS1_11target_archE4294967295ELNS1_3gpuE0ELNS1_3repE0EEENS1_30default_config_static_selectorELNS0_4arch9wavefront6targetE0EEEvT1_
                                        ; -- End function
	.section	.AMDGPU.csdata,"",@progbits
; Kernel info:
; codeLenInByte = 0
; NumSgprs: 0
; NumVgprs: 0
; ScratchSize: 0
; MemoryBound: 0
; FloatMode: 240
; IeeeMode: 1
; LDSByteSize: 0 bytes/workgroup (compile time only)
; SGPRBlocks: 0
; VGPRBlocks: 0
; NumSGPRsForWavesPerEU: 1
; NumVGPRsForWavesPerEU: 1
; Occupancy: 16
; WaveLimiterHint : 0
; COMPUTE_PGM_RSRC2:SCRATCH_EN: 0
; COMPUTE_PGM_RSRC2:USER_SGPR: 15
; COMPUTE_PGM_RSRC2:TRAP_HANDLER: 0
; COMPUTE_PGM_RSRC2:TGID_X_EN: 1
; COMPUTE_PGM_RSRC2:TGID_Y_EN: 0
; COMPUTE_PGM_RSRC2:TGID_Z_EN: 0
; COMPUTE_PGM_RSRC2:TIDIG_COMP_CNT: 0
	.section	.text._ZN7rocprim17ROCPRIM_400000_NS6detail17trampoline_kernelINS0_14default_configENS1_25partition_config_selectorILNS1_17partition_subalgoE9EyjbEEZZNS1_14partition_implILS5_9ELb0ES3_jN6thrust23THRUST_200600_302600_NS6detail15normal_iteratorINS9_10device_ptrIyEEEENSB_INSC_IjEEEEPNS0_10empty_typeENS0_5tupleIJSE_SH_EEENSJ_IJNS9_16discard_iteratorINS9_11use_defaultEEESI_EEENS0_18inequality_wrapperINS9_8equal_toIyEEEEPmJSH_EEE10hipError_tPvRmT3_T4_T5_T6_T7_T9_mT8_P12ihipStream_tbDpT10_ENKUlT_T0_E_clISt17integral_constantIbLb1EES1C_IbLb0EEEEDaS18_S19_EUlS18_E_NS1_11comp_targetILNS1_3genE5ELNS1_11target_archE942ELNS1_3gpuE9ELNS1_3repE0EEENS1_30default_config_static_selectorELNS0_4arch9wavefront6targetE0EEEvT1_,"axG",@progbits,_ZN7rocprim17ROCPRIM_400000_NS6detail17trampoline_kernelINS0_14default_configENS1_25partition_config_selectorILNS1_17partition_subalgoE9EyjbEEZZNS1_14partition_implILS5_9ELb0ES3_jN6thrust23THRUST_200600_302600_NS6detail15normal_iteratorINS9_10device_ptrIyEEEENSB_INSC_IjEEEEPNS0_10empty_typeENS0_5tupleIJSE_SH_EEENSJ_IJNS9_16discard_iteratorINS9_11use_defaultEEESI_EEENS0_18inequality_wrapperINS9_8equal_toIyEEEEPmJSH_EEE10hipError_tPvRmT3_T4_T5_T6_T7_T9_mT8_P12ihipStream_tbDpT10_ENKUlT_T0_E_clISt17integral_constantIbLb1EES1C_IbLb0EEEEDaS18_S19_EUlS18_E_NS1_11comp_targetILNS1_3genE5ELNS1_11target_archE942ELNS1_3gpuE9ELNS1_3repE0EEENS1_30default_config_static_selectorELNS0_4arch9wavefront6targetE0EEEvT1_,comdat
	.protected	_ZN7rocprim17ROCPRIM_400000_NS6detail17trampoline_kernelINS0_14default_configENS1_25partition_config_selectorILNS1_17partition_subalgoE9EyjbEEZZNS1_14partition_implILS5_9ELb0ES3_jN6thrust23THRUST_200600_302600_NS6detail15normal_iteratorINS9_10device_ptrIyEEEENSB_INSC_IjEEEEPNS0_10empty_typeENS0_5tupleIJSE_SH_EEENSJ_IJNS9_16discard_iteratorINS9_11use_defaultEEESI_EEENS0_18inequality_wrapperINS9_8equal_toIyEEEEPmJSH_EEE10hipError_tPvRmT3_T4_T5_T6_T7_T9_mT8_P12ihipStream_tbDpT10_ENKUlT_T0_E_clISt17integral_constantIbLb1EES1C_IbLb0EEEEDaS18_S19_EUlS18_E_NS1_11comp_targetILNS1_3genE5ELNS1_11target_archE942ELNS1_3gpuE9ELNS1_3repE0EEENS1_30default_config_static_selectorELNS0_4arch9wavefront6targetE0EEEvT1_ ; -- Begin function _ZN7rocprim17ROCPRIM_400000_NS6detail17trampoline_kernelINS0_14default_configENS1_25partition_config_selectorILNS1_17partition_subalgoE9EyjbEEZZNS1_14partition_implILS5_9ELb0ES3_jN6thrust23THRUST_200600_302600_NS6detail15normal_iteratorINS9_10device_ptrIyEEEENSB_INSC_IjEEEEPNS0_10empty_typeENS0_5tupleIJSE_SH_EEENSJ_IJNS9_16discard_iteratorINS9_11use_defaultEEESI_EEENS0_18inequality_wrapperINS9_8equal_toIyEEEEPmJSH_EEE10hipError_tPvRmT3_T4_T5_T6_T7_T9_mT8_P12ihipStream_tbDpT10_ENKUlT_T0_E_clISt17integral_constantIbLb1EES1C_IbLb0EEEEDaS18_S19_EUlS18_E_NS1_11comp_targetILNS1_3genE5ELNS1_11target_archE942ELNS1_3gpuE9ELNS1_3repE0EEENS1_30default_config_static_selectorELNS0_4arch9wavefront6targetE0EEEvT1_
	.globl	_ZN7rocprim17ROCPRIM_400000_NS6detail17trampoline_kernelINS0_14default_configENS1_25partition_config_selectorILNS1_17partition_subalgoE9EyjbEEZZNS1_14partition_implILS5_9ELb0ES3_jN6thrust23THRUST_200600_302600_NS6detail15normal_iteratorINS9_10device_ptrIyEEEENSB_INSC_IjEEEEPNS0_10empty_typeENS0_5tupleIJSE_SH_EEENSJ_IJNS9_16discard_iteratorINS9_11use_defaultEEESI_EEENS0_18inequality_wrapperINS9_8equal_toIyEEEEPmJSH_EEE10hipError_tPvRmT3_T4_T5_T6_T7_T9_mT8_P12ihipStream_tbDpT10_ENKUlT_T0_E_clISt17integral_constantIbLb1EES1C_IbLb0EEEEDaS18_S19_EUlS18_E_NS1_11comp_targetILNS1_3genE5ELNS1_11target_archE942ELNS1_3gpuE9ELNS1_3repE0EEENS1_30default_config_static_selectorELNS0_4arch9wavefront6targetE0EEEvT1_
	.p2align	8
	.type	_ZN7rocprim17ROCPRIM_400000_NS6detail17trampoline_kernelINS0_14default_configENS1_25partition_config_selectorILNS1_17partition_subalgoE9EyjbEEZZNS1_14partition_implILS5_9ELb0ES3_jN6thrust23THRUST_200600_302600_NS6detail15normal_iteratorINS9_10device_ptrIyEEEENSB_INSC_IjEEEEPNS0_10empty_typeENS0_5tupleIJSE_SH_EEENSJ_IJNS9_16discard_iteratorINS9_11use_defaultEEESI_EEENS0_18inequality_wrapperINS9_8equal_toIyEEEEPmJSH_EEE10hipError_tPvRmT3_T4_T5_T6_T7_T9_mT8_P12ihipStream_tbDpT10_ENKUlT_T0_E_clISt17integral_constantIbLb1EES1C_IbLb0EEEEDaS18_S19_EUlS18_E_NS1_11comp_targetILNS1_3genE5ELNS1_11target_archE942ELNS1_3gpuE9ELNS1_3repE0EEENS1_30default_config_static_selectorELNS0_4arch9wavefront6targetE0EEEvT1_,@function
_ZN7rocprim17ROCPRIM_400000_NS6detail17trampoline_kernelINS0_14default_configENS1_25partition_config_selectorILNS1_17partition_subalgoE9EyjbEEZZNS1_14partition_implILS5_9ELb0ES3_jN6thrust23THRUST_200600_302600_NS6detail15normal_iteratorINS9_10device_ptrIyEEEENSB_INSC_IjEEEEPNS0_10empty_typeENS0_5tupleIJSE_SH_EEENSJ_IJNS9_16discard_iteratorINS9_11use_defaultEEESI_EEENS0_18inequality_wrapperINS9_8equal_toIyEEEEPmJSH_EEE10hipError_tPvRmT3_T4_T5_T6_T7_T9_mT8_P12ihipStream_tbDpT10_ENKUlT_T0_E_clISt17integral_constantIbLb1EES1C_IbLb0EEEEDaS18_S19_EUlS18_E_NS1_11comp_targetILNS1_3genE5ELNS1_11target_archE942ELNS1_3gpuE9ELNS1_3repE0EEENS1_30default_config_static_selectorELNS0_4arch9wavefront6targetE0EEEvT1_: ; @_ZN7rocprim17ROCPRIM_400000_NS6detail17trampoline_kernelINS0_14default_configENS1_25partition_config_selectorILNS1_17partition_subalgoE9EyjbEEZZNS1_14partition_implILS5_9ELb0ES3_jN6thrust23THRUST_200600_302600_NS6detail15normal_iteratorINS9_10device_ptrIyEEEENSB_INSC_IjEEEEPNS0_10empty_typeENS0_5tupleIJSE_SH_EEENSJ_IJNS9_16discard_iteratorINS9_11use_defaultEEESI_EEENS0_18inequality_wrapperINS9_8equal_toIyEEEEPmJSH_EEE10hipError_tPvRmT3_T4_T5_T6_T7_T9_mT8_P12ihipStream_tbDpT10_ENKUlT_T0_E_clISt17integral_constantIbLb1EES1C_IbLb0EEEEDaS18_S19_EUlS18_E_NS1_11comp_targetILNS1_3genE5ELNS1_11target_archE942ELNS1_3gpuE9ELNS1_3repE0EEENS1_30default_config_static_selectorELNS0_4arch9wavefront6targetE0EEEvT1_
; %bb.0:
	.section	.rodata,"a",@progbits
	.p2align	6, 0x0
	.amdhsa_kernel _ZN7rocprim17ROCPRIM_400000_NS6detail17trampoline_kernelINS0_14default_configENS1_25partition_config_selectorILNS1_17partition_subalgoE9EyjbEEZZNS1_14partition_implILS5_9ELb0ES3_jN6thrust23THRUST_200600_302600_NS6detail15normal_iteratorINS9_10device_ptrIyEEEENSB_INSC_IjEEEEPNS0_10empty_typeENS0_5tupleIJSE_SH_EEENSJ_IJNS9_16discard_iteratorINS9_11use_defaultEEESI_EEENS0_18inequality_wrapperINS9_8equal_toIyEEEEPmJSH_EEE10hipError_tPvRmT3_T4_T5_T6_T7_T9_mT8_P12ihipStream_tbDpT10_ENKUlT_T0_E_clISt17integral_constantIbLb1EES1C_IbLb0EEEEDaS18_S19_EUlS18_E_NS1_11comp_targetILNS1_3genE5ELNS1_11target_archE942ELNS1_3gpuE9ELNS1_3repE0EEENS1_30default_config_static_selectorELNS0_4arch9wavefront6targetE0EEEvT1_
		.amdhsa_group_segment_fixed_size 0
		.amdhsa_private_segment_fixed_size 0
		.amdhsa_kernarg_size 120
		.amdhsa_user_sgpr_count 15
		.amdhsa_user_sgpr_dispatch_ptr 0
		.amdhsa_user_sgpr_queue_ptr 0
		.amdhsa_user_sgpr_kernarg_segment_ptr 1
		.amdhsa_user_sgpr_dispatch_id 0
		.amdhsa_user_sgpr_private_segment_size 0
		.amdhsa_wavefront_size32 1
		.amdhsa_uses_dynamic_stack 0
		.amdhsa_enable_private_segment 0
		.amdhsa_system_sgpr_workgroup_id_x 1
		.amdhsa_system_sgpr_workgroup_id_y 0
		.amdhsa_system_sgpr_workgroup_id_z 0
		.amdhsa_system_sgpr_workgroup_info 0
		.amdhsa_system_vgpr_workitem_id 0
		.amdhsa_next_free_vgpr 1
		.amdhsa_next_free_sgpr 1
		.amdhsa_reserve_vcc 0
		.amdhsa_float_round_mode_32 0
		.amdhsa_float_round_mode_16_64 0
		.amdhsa_float_denorm_mode_32 3
		.amdhsa_float_denorm_mode_16_64 3
		.amdhsa_dx10_clamp 1
		.amdhsa_ieee_mode 1
		.amdhsa_fp16_overflow 0
		.amdhsa_workgroup_processor_mode 1
		.amdhsa_memory_ordered 1
		.amdhsa_forward_progress 0
		.amdhsa_shared_vgpr_count 0
		.amdhsa_exception_fp_ieee_invalid_op 0
		.amdhsa_exception_fp_denorm_src 0
		.amdhsa_exception_fp_ieee_div_zero 0
		.amdhsa_exception_fp_ieee_overflow 0
		.amdhsa_exception_fp_ieee_underflow 0
		.amdhsa_exception_fp_ieee_inexact 0
		.amdhsa_exception_int_div_zero 0
	.end_amdhsa_kernel
	.section	.text._ZN7rocprim17ROCPRIM_400000_NS6detail17trampoline_kernelINS0_14default_configENS1_25partition_config_selectorILNS1_17partition_subalgoE9EyjbEEZZNS1_14partition_implILS5_9ELb0ES3_jN6thrust23THRUST_200600_302600_NS6detail15normal_iteratorINS9_10device_ptrIyEEEENSB_INSC_IjEEEEPNS0_10empty_typeENS0_5tupleIJSE_SH_EEENSJ_IJNS9_16discard_iteratorINS9_11use_defaultEEESI_EEENS0_18inequality_wrapperINS9_8equal_toIyEEEEPmJSH_EEE10hipError_tPvRmT3_T4_T5_T6_T7_T9_mT8_P12ihipStream_tbDpT10_ENKUlT_T0_E_clISt17integral_constantIbLb1EES1C_IbLb0EEEEDaS18_S19_EUlS18_E_NS1_11comp_targetILNS1_3genE5ELNS1_11target_archE942ELNS1_3gpuE9ELNS1_3repE0EEENS1_30default_config_static_selectorELNS0_4arch9wavefront6targetE0EEEvT1_,"axG",@progbits,_ZN7rocprim17ROCPRIM_400000_NS6detail17trampoline_kernelINS0_14default_configENS1_25partition_config_selectorILNS1_17partition_subalgoE9EyjbEEZZNS1_14partition_implILS5_9ELb0ES3_jN6thrust23THRUST_200600_302600_NS6detail15normal_iteratorINS9_10device_ptrIyEEEENSB_INSC_IjEEEEPNS0_10empty_typeENS0_5tupleIJSE_SH_EEENSJ_IJNS9_16discard_iteratorINS9_11use_defaultEEESI_EEENS0_18inequality_wrapperINS9_8equal_toIyEEEEPmJSH_EEE10hipError_tPvRmT3_T4_T5_T6_T7_T9_mT8_P12ihipStream_tbDpT10_ENKUlT_T0_E_clISt17integral_constantIbLb1EES1C_IbLb0EEEEDaS18_S19_EUlS18_E_NS1_11comp_targetILNS1_3genE5ELNS1_11target_archE942ELNS1_3gpuE9ELNS1_3repE0EEENS1_30default_config_static_selectorELNS0_4arch9wavefront6targetE0EEEvT1_,comdat
.Lfunc_end742:
	.size	_ZN7rocprim17ROCPRIM_400000_NS6detail17trampoline_kernelINS0_14default_configENS1_25partition_config_selectorILNS1_17partition_subalgoE9EyjbEEZZNS1_14partition_implILS5_9ELb0ES3_jN6thrust23THRUST_200600_302600_NS6detail15normal_iteratorINS9_10device_ptrIyEEEENSB_INSC_IjEEEEPNS0_10empty_typeENS0_5tupleIJSE_SH_EEENSJ_IJNS9_16discard_iteratorINS9_11use_defaultEEESI_EEENS0_18inequality_wrapperINS9_8equal_toIyEEEEPmJSH_EEE10hipError_tPvRmT3_T4_T5_T6_T7_T9_mT8_P12ihipStream_tbDpT10_ENKUlT_T0_E_clISt17integral_constantIbLb1EES1C_IbLb0EEEEDaS18_S19_EUlS18_E_NS1_11comp_targetILNS1_3genE5ELNS1_11target_archE942ELNS1_3gpuE9ELNS1_3repE0EEENS1_30default_config_static_selectorELNS0_4arch9wavefront6targetE0EEEvT1_, .Lfunc_end742-_ZN7rocprim17ROCPRIM_400000_NS6detail17trampoline_kernelINS0_14default_configENS1_25partition_config_selectorILNS1_17partition_subalgoE9EyjbEEZZNS1_14partition_implILS5_9ELb0ES3_jN6thrust23THRUST_200600_302600_NS6detail15normal_iteratorINS9_10device_ptrIyEEEENSB_INSC_IjEEEEPNS0_10empty_typeENS0_5tupleIJSE_SH_EEENSJ_IJNS9_16discard_iteratorINS9_11use_defaultEEESI_EEENS0_18inequality_wrapperINS9_8equal_toIyEEEEPmJSH_EEE10hipError_tPvRmT3_T4_T5_T6_T7_T9_mT8_P12ihipStream_tbDpT10_ENKUlT_T0_E_clISt17integral_constantIbLb1EES1C_IbLb0EEEEDaS18_S19_EUlS18_E_NS1_11comp_targetILNS1_3genE5ELNS1_11target_archE942ELNS1_3gpuE9ELNS1_3repE0EEENS1_30default_config_static_selectorELNS0_4arch9wavefront6targetE0EEEvT1_
                                        ; -- End function
	.section	.AMDGPU.csdata,"",@progbits
; Kernel info:
; codeLenInByte = 0
; NumSgprs: 0
; NumVgprs: 0
; ScratchSize: 0
; MemoryBound: 0
; FloatMode: 240
; IeeeMode: 1
; LDSByteSize: 0 bytes/workgroup (compile time only)
; SGPRBlocks: 0
; VGPRBlocks: 0
; NumSGPRsForWavesPerEU: 1
; NumVGPRsForWavesPerEU: 1
; Occupancy: 16
; WaveLimiterHint : 0
; COMPUTE_PGM_RSRC2:SCRATCH_EN: 0
; COMPUTE_PGM_RSRC2:USER_SGPR: 15
; COMPUTE_PGM_RSRC2:TRAP_HANDLER: 0
; COMPUTE_PGM_RSRC2:TGID_X_EN: 1
; COMPUTE_PGM_RSRC2:TGID_Y_EN: 0
; COMPUTE_PGM_RSRC2:TGID_Z_EN: 0
; COMPUTE_PGM_RSRC2:TIDIG_COMP_CNT: 0
	.section	.text._ZN7rocprim17ROCPRIM_400000_NS6detail17trampoline_kernelINS0_14default_configENS1_25partition_config_selectorILNS1_17partition_subalgoE9EyjbEEZZNS1_14partition_implILS5_9ELb0ES3_jN6thrust23THRUST_200600_302600_NS6detail15normal_iteratorINS9_10device_ptrIyEEEENSB_INSC_IjEEEEPNS0_10empty_typeENS0_5tupleIJSE_SH_EEENSJ_IJNS9_16discard_iteratorINS9_11use_defaultEEESI_EEENS0_18inequality_wrapperINS9_8equal_toIyEEEEPmJSH_EEE10hipError_tPvRmT3_T4_T5_T6_T7_T9_mT8_P12ihipStream_tbDpT10_ENKUlT_T0_E_clISt17integral_constantIbLb1EES1C_IbLb0EEEEDaS18_S19_EUlS18_E_NS1_11comp_targetILNS1_3genE4ELNS1_11target_archE910ELNS1_3gpuE8ELNS1_3repE0EEENS1_30default_config_static_selectorELNS0_4arch9wavefront6targetE0EEEvT1_,"axG",@progbits,_ZN7rocprim17ROCPRIM_400000_NS6detail17trampoline_kernelINS0_14default_configENS1_25partition_config_selectorILNS1_17partition_subalgoE9EyjbEEZZNS1_14partition_implILS5_9ELb0ES3_jN6thrust23THRUST_200600_302600_NS6detail15normal_iteratorINS9_10device_ptrIyEEEENSB_INSC_IjEEEEPNS0_10empty_typeENS0_5tupleIJSE_SH_EEENSJ_IJNS9_16discard_iteratorINS9_11use_defaultEEESI_EEENS0_18inequality_wrapperINS9_8equal_toIyEEEEPmJSH_EEE10hipError_tPvRmT3_T4_T5_T6_T7_T9_mT8_P12ihipStream_tbDpT10_ENKUlT_T0_E_clISt17integral_constantIbLb1EES1C_IbLb0EEEEDaS18_S19_EUlS18_E_NS1_11comp_targetILNS1_3genE4ELNS1_11target_archE910ELNS1_3gpuE8ELNS1_3repE0EEENS1_30default_config_static_selectorELNS0_4arch9wavefront6targetE0EEEvT1_,comdat
	.protected	_ZN7rocprim17ROCPRIM_400000_NS6detail17trampoline_kernelINS0_14default_configENS1_25partition_config_selectorILNS1_17partition_subalgoE9EyjbEEZZNS1_14partition_implILS5_9ELb0ES3_jN6thrust23THRUST_200600_302600_NS6detail15normal_iteratorINS9_10device_ptrIyEEEENSB_INSC_IjEEEEPNS0_10empty_typeENS0_5tupleIJSE_SH_EEENSJ_IJNS9_16discard_iteratorINS9_11use_defaultEEESI_EEENS0_18inequality_wrapperINS9_8equal_toIyEEEEPmJSH_EEE10hipError_tPvRmT3_T4_T5_T6_T7_T9_mT8_P12ihipStream_tbDpT10_ENKUlT_T0_E_clISt17integral_constantIbLb1EES1C_IbLb0EEEEDaS18_S19_EUlS18_E_NS1_11comp_targetILNS1_3genE4ELNS1_11target_archE910ELNS1_3gpuE8ELNS1_3repE0EEENS1_30default_config_static_selectorELNS0_4arch9wavefront6targetE0EEEvT1_ ; -- Begin function _ZN7rocprim17ROCPRIM_400000_NS6detail17trampoline_kernelINS0_14default_configENS1_25partition_config_selectorILNS1_17partition_subalgoE9EyjbEEZZNS1_14partition_implILS5_9ELb0ES3_jN6thrust23THRUST_200600_302600_NS6detail15normal_iteratorINS9_10device_ptrIyEEEENSB_INSC_IjEEEEPNS0_10empty_typeENS0_5tupleIJSE_SH_EEENSJ_IJNS9_16discard_iteratorINS9_11use_defaultEEESI_EEENS0_18inequality_wrapperINS9_8equal_toIyEEEEPmJSH_EEE10hipError_tPvRmT3_T4_T5_T6_T7_T9_mT8_P12ihipStream_tbDpT10_ENKUlT_T0_E_clISt17integral_constantIbLb1EES1C_IbLb0EEEEDaS18_S19_EUlS18_E_NS1_11comp_targetILNS1_3genE4ELNS1_11target_archE910ELNS1_3gpuE8ELNS1_3repE0EEENS1_30default_config_static_selectorELNS0_4arch9wavefront6targetE0EEEvT1_
	.globl	_ZN7rocprim17ROCPRIM_400000_NS6detail17trampoline_kernelINS0_14default_configENS1_25partition_config_selectorILNS1_17partition_subalgoE9EyjbEEZZNS1_14partition_implILS5_9ELb0ES3_jN6thrust23THRUST_200600_302600_NS6detail15normal_iteratorINS9_10device_ptrIyEEEENSB_INSC_IjEEEEPNS0_10empty_typeENS0_5tupleIJSE_SH_EEENSJ_IJNS9_16discard_iteratorINS9_11use_defaultEEESI_EEENS0_18inequality_wrapperINS9_8equal_toIyEEEEPmJSH_EEE10hipError_tPvRmT3_T4_T5_T6_T7_T9_mT8_P12ihipStream_tbDpT10_ENKUlT_T0_E_clISt17integral_constantIbLb1EES1C_IbLb0EEEEDaS18_S19_EUlS18_E_NS1_11comp_targetILNS1_3genE4ELNS1_11target_archE910ELNS1_3gpuE8ELNS1_3repE0EEENS1_30default_config_static_selectorELNS0_4arch9wavefront6targetE0EEEvT1_
	.p2align	8
	.type	_ZN7rocprim17ROCPRIM_400000_NS6detail17trampoline_kernelINS0_14default_configENS1_25partition_config_selectorILNS1_17partition_subalgoE9EyjbEEZZNS1_14partition_implILS5_9ELb0ES3_jN6thrust23THRUST_200600_302600_NS6detail15normal_iteratorINS9_10device_ptrIyEEEENSB_INSC_IjEEEEPNS0_10empty_typeENS0_5tupleIJSE_SH_EEENSJ_IJNS9_16discard_iteratorINS9_11use_defaultEEESI_EEENS0_18inequality_wrapperINS9_8equal_toIyEEEEPmJSH_EEE10hipError_tPvRmT3_T4_T5_T6_T7_T9_mT8_P12ihipStream_tbDpT10_ENKUlT_T0_E_clISt17integral_constantIbLb1EES1C_IbLb0EEEEDaS18_S19_EUlS18_E_NS1_11comp_targetILNS1_3genE4ELNS1_11target_archE910ELNS1_3gpuE8ELNS1_3repE0EEENS1_30default_config_static_selectorELNS0_4arch9wavefront6targetE0EEEvT1_,@function
_ZN7rocprim17ROCPRIM_400000_NS6detail17trampoline_kernelINS0_14default_configENS1_25partition_config_selectorILNS1_17partition_subalgoE9EyjbEEZZNS1_14partition_implILS5_9ELb0ES3_jN6thrust23THRUST_200600_302600_NS6detail15normal_iteratorINS9_10device_ptrIyEEEENSB_INSC_IjEEEEPNS0_10empty_typeENS0_5tupleIJSE_SH_EEENSJ_IJNS9_16discard_iteratorINS9_11use_defaultEEESI_EEENS0_18inequality_wrapperINS9_8equal_toIyEEEEPmJSH_EEE10hipError_tPvRmT3_T4_T5_T6_T7_T9_mT8_P12ihipStream_tbDpT10_ENKUlT_T0_E_clISt17integral_constantIbLb1EES1C_IbLb0EEEEDaS18_S19_EUlS18_E_NS1_11comp_targetILNS1_3genE4ELNS1_11target_archE910ELNS1_3gpuE8ELNS1_3repE0EEENS1_30default_config_static_selectorELNS0_4arch9wavefront6targetE0EEEvT1_: ; @_ZN7rocprim17ROCPRIM_400000_NS6detail17trampoline_kernelINS0_14default_configENS1_25partition_config_selectorILNS1_17partition_subalgoE9EyjbEEZZNS1_14partition_implILS5_9ELb0ES3_jN6thrust23THRUST_200600_302600_NS6detail15normal_iteratorINS9_10device_ptrIyEEEENSB_INSC_IjEEEEPNS0_10empty_typeENS0_5tupleIJSE_SH_EEENSJ_IJNS9_16discard_iteratorINS9_11use_defaultEEESI_EEENS0_18inequality_wrapperINS9_8equal_toIyEEEEPmJSH_EEE10hipError_tPvRmT3_T4_T5_T6_T7_T9_mT8_P12ihipStream_tbDpT10_ENKUlT_T0_E_clISt17integral_constantIbLb1EES1C_IbLb0EEEEDaS18_S19_EUlS18_E_NS1_11comp_targetILNS1_3genE4ELNS1_11target_archE910ELNS1_3gpuE8ELNS1_3repE0EEENS1_30default_config_static_selectorELNS0_4arch9wavefront6targetE0EEEvT1_
; %bb.0:
	.section	.rodata,"a",@progbits
	.p2align	6, 0x0
	.amdhsa_kernel _ZN7rocprim17ROCPRIM_400000_NS6detail17trampoline_kernelINS0_14default_configENS1_25partition_config_selectorILNS1_17partition_subalgoE9EyjbEEZZNS1_14partition_implILS5_9ELb0ES3_jN6thrust23THRUST_200600_302600_NS6detail15normal_iteratorINS9_10device_ptrIyEEEENSB_INSC_IjEEEEPNS0_10empty_typeENS0_5tupleIJSE_SH_EEENSJ_IJNS9_16discard_iteratorINS9_11use_defaultEEESI_EEENS0_18inequality_wrapperINS9_8equal_toIyEEEEPmJSH_EEE10hipError_tPvRmT3_T4_T5_T6_T7_T9_mT8_P12ihipStream_tbDpT10_ENKUlT_T0_E_clISt17integral_constantIbLb1EES1C_IbLb0EEEEDaS18_S19_EUlS18_E_NS1_11comp_targetILNS1_3genE4ELNS1_11target_archE910ELNS1_3gpuE8ELNS1_3repE0EEENS1_30default_config_static_selectorELNS0_4arch9wavefront6targetE0EEEvT1_
		.amdhsa_group_segment_fixed_size 0
		.amdhsa_private_segment_fixed_size 0
		.amdhsa_kernarg_size 120
		.amdhsa_user_sgpr_count 15
		.amdhsa_user_sgpr_dispatch_ptr 0
		.amdhsa_user_sgpr_queue_ptr 0
		.amdhsa_user_sgpr_kernarg_segment_ptr 1
		.amdhsa_user_sgpr_dispatch_id 0
		.amdhsa_user_sgpr_private_segment_size 0
		.amdhsa_wavefront_size32 1
		.amdhsa_uses_dynamic_stack 0
		.amdhsa_enable_private_segment 0
		.amdhsa_system_sgpr_workgroup_id_x 1
		.amdhsa_system_sgpr_workgroup_id_y 0
		.amdhsa_system_sgpr_workgroup_id_z 0
		.amdhsa_system_sgpr_workgroup_info 0
		.amdhsa_system_vgpr_workitem_id 0
		.amdhsa_next_free_vgpr 1
		.amdhsa_next_free_sgpr 1
		.amdhsa_reserve_vcc 0
		.amdhsa_float_round_mode_32 0
		.amdhsa_float_round_mode_16_64 0
		.amdhsa_float_denorm_mode_32 3
		.amdhsa_float_denorm_mode_16_64 3
		.amdhsa_dx10_clamp 1
		.amdhsa_ieee_mode 1
		.amdhsa_fp16_overflow 0
		.amdhsa_workgroup_processor_mode 1
		.amdhsa_memory_ordered 1
		.amdhsa_forward_progress 0
		.amdhsa_shared_vgpr_count 0
		.amdhsa_exception_fp_ieee_invalid_op 0
		.amdhsa_exception_fp_denorm_src 0
		.amdhsa_exception_fp_ieee_div_zero 0
		.amdhsa_exception_fp_ieee_overflow 0
		.amdhsa_exception_fp_ieee_underflow 0
		.amdhsa_exception_fp_ieee_inexact 0
		.amdhsa_exception_int_div_zero 0
	.end_amdhsa_kernel
	.section	.text._ZN7rocprim17ROCPRIM_400000_NS6detail17trampoline_kernelINS0_14default_configENS1_25partition_config_selectorILNS1_17partition_subalgoE9EyjbEEZZNS1_14partition_implILS5_9ELb0ES3_jN6thrust23THRUST_200600_302600_NS6detail15normal_iteratorINS9_10device_ptrIyEEEENSB_INSC_IjEEEEPNS0_10empty_typeENS0_5tupleIJSE_SH_EEENSJ_IJNS9_16discard_iteratorINS9_11use_defaultEEESI_EEENS0_18inequality_wrapperINS9_8equal_toIyEEEEPmJSH_EEE10hipError_tPvRmT3_T4_T5_T6_T7_T9_mT8_P12ihipStream_tbDpT10_ENKUlT_T0_E_clISt17integral_constantIbLb1EES1C_IbLb0EEEEDaS18_S19_EUlS18_E_NS1_11comp_targetILNS1_3genE4ELNS1_11target_archE910ELNS1_3gpuE8ELNS1_3repE0EEENS1_30default_config_static_selectorELNS0_4arch9wavefront6targetE0EEEvT1_,"axG",@progbits,_ZN7rocprim17ROCPRIM_400000_NS6detail17trampoline_kernelINS0_14default_configENS1_25partition_config_selectorILNS1_17partition_subalgoE9EyjbEEZZNS1_14partition_implILS5_9ELb0ES3_jN6thrust23THRUST_200600_302600_NS6detail15normal_iteratorINS9_10device_ptrIyEEEENSB_INSC_IjEEEEPNS0_10empty_typeENS0_5tupleIJSE_SH_EEENSJ_IJNS9_16discard_iteratorINS9_11use_defaultEEESI_EEENS0_18inequality_wrapperINS9_8equal_toIyEEEEPmJSH_EEE10hipError_tPvRmT3_T4_T5_T6_T7_T9_mT8_P12ihipStream_tbDpT10_ENKUlT_T0_E_clISt17integral_constantIbLb1EES1C_IbLb0EEEEDaS18_S19_EUlS18_E_NS1_11comp_targetILNS1_3genE4ELNS1_11target_archE910ELNS1_3gpuE8ELNS1_3repE0EEENS1_30default_config_static_selectorELNS0_4arch9wavefront6targetE0EEEvT1_,comdat
.Lfunc_end743:
	.size	_ZN7rocprim17ROCPRIM_400000_NS6detail17trampoline_kernelINS0_14default_configENS1_25partition_config_selectorILNS1_17partition_subalgoE9EyjbEEZZNS1_14partition_implILS5_9ELb0ES3_jN6thrust23THRUST_200600_302600_NS6detail15normal_iteratorINS9_10device_ptrIyEEEENSB_INSC_IjEEEEPNS0_10empty_typeENS0_5tupleIJSE_SH_EEENSJ_IJNS9_16discard_iteratorINS9_11use_defaultEEESI_EEENS0_18inequality_wrapperINS9_8equal_toIyEEEEPmJSH_EEE10hipError_tPvRmT3_T4_T5_T6_T7_T9_mT8_P12ihipStream_tbDpT10_ENKUlT_T0_E_clISt17integral_constantIbLb1EES1C_IbLb0EEEEDaS18_S19_EUlS18_E_NS1_11comp_targetILNS1_3genE4ELNS1_11target_archE910ELNS1_3gpuE8ELNS1_3repE0EEENS1_30default_config_static_selectorELNS0_4arch9wavefront6targetE0EEEvT1_, .Lfunc_end743-_ZN7rocprim17ROCPRIM_400000_NS6detail17trampoline_kernelINS0_14default_configENS1_25partition_config_selectorILNS1_17partition_subalgoE9EyjbEEZZNS1_14partition_implILS5_9ELb0ES3_jN6thrust23THRUST_200600_302600_NS6detail15normal_iteratorINS9_10device_ptrIyEEEENSB_INSC_IjEEEEPNS0_10empty_typeENS0_5tupleIJSE_SH_EEENSJ_IJNS9_16discard_iteratorINS9_11use_defaultEEESI_EEENS0_18inequality_wrapperINS9_8equal_toIyEEEEPmJSH_EEE10hipError_tPvRmT3_T4_T5_T6_T7_T9_mT8_P12ihipStream_tbDpT10_ENKUlT_T0_E_clISt17integral_constantIbLb1EES1C_IbLb0EEEEDaS18_S19_EUlS18_E_NS1_11comp_targetILNS1_3genE4ELNS1_11target_archE910ELNS1_3gpuE8ELNS1_3repE0EEENS1_30default_config_static_selectorELNS0_4arch9wavefront6targetE0EEEvT1_
                                        ; -- End function
	.section	.AMDGPU.csdata,"",@progbits
; Kernel info:
; codeLenInByte = 0
; NumSgprs: 0
; NumVgprs: 0
; ScratchSize: 0
; MemoryBound: 0
; FloatMode: 240
; IeeeMode: 1
; LDSByteSize: 0 bytes/workgroup (compile time only)
; SGPRBlocks: 0
; VGPRBlocks: 0
; NumSGPRsForWavesPerEU: 1
; NumVGPRsForWavesPerEU: 1
; Occupancy: 15
; WaveLimiterHint : 0
; COMPUTE_PGM_RSRC2:SCRATCH_EN: 0
; COMPUTE_PGM_RSRC2:USER_SGPR: 15
; COMPUTE_PGM_RSRC2:TRAP_HANDLER: 0
; COMPUTE_PGM_RSRC2:TGID_X_EN: 1
; COMPUTE_PGM_RSRC2:TGID_Y_EN: 0
; COMPUTE_PGM_RSRC2:TGID_Z_EN: 0
; COMPUTE_PGM_RSRC2:TIDIG_COMP_CNT: 0
	.section	.text._ZN7rocprim17ROCPRIM_400000_NS6detail17trampoline_kernelINS0_14default_configENS1_25partition_config_selectorILNS1_17partition_subalgoE9EyjbEEZZNS1_14partition_implILS5_9ELb0ES3_jN6thrust23THRUST_200600_302600_NS6detail15normal_iteratorINS9_10device_ptrIyEEEENSB_INSC_IjEEEEPNS0_10empty_typeENS0_5tupleIJSE_SH_EEENSJ_IJNS9_16discard_iteratorINS9_11use_defaultEEESI_EEENS0_18inequality_wrapperINS9_8equal_toIyEEEEPmJSH_EEE10hipError_tPvRmT3_T4_T5_T6_T7_T9_mT8_P12ihipStream_tbDpT10_ENKUlT_T0_E_clISt17integral_constantIbLb1EES1C_IbLb0EEEEDaS18_S19_EUlS18_E_NS1_11comp_targetILNS1_3genE3ELNS1_11target_archE908ELNS1_3gpuE7ELNS1_3repE0EEENS1_30default_config_static_selectorELNS0_4arch9wavefront6targetE0EEEvT1_,"axG",@progbits,_ZN7rocprim17ROCPRIM_400000_NS6detail17trampoline_kernelINS0_14default_configENS1_25partition_config_selectorILNS1_17partition_subalgoE9EyjbEEZZNS1_14partition_implILS5_9ELb0ES3_jN6thrust23THRUST_200600_302600_NS6detail15normal_iteratorINS9_10device_ptrIyEEEENSB_INSC_IjEEEEPNS0_10empty_typeENS0_5tupleIJSE_SH_EEENSJ_IJNS9_16discard_iteratorINS9_11use_defaultEEESI_EEENS0_18inequality_wrapperINS9_8equal_toIyEEEEPmJSH_EEE10hipError_tPvRmT3_T4_T5_T6_T7_T9_mT8_P12ihipStream_tbDpT10_ENKUlT_T0_E_clISt17integral_constantIbLb1EES1C_IbLb0EEEEDaS18_S19_EUlS18_E_NS1_11comp_targetILNS1_3genE3ELNS1_11target_archE908ELNS1_3gpuE7ELNS1_3repE0EEENS1_30default_config_static_selectorELNS0_4arch9wavefront6targetE0EEEvT1_,comdat
	.protected	_ZN7rocprim17ROCPRIM_400000_NS6detail17trampoline_kernelINS0_14default_configENS1_25partition_config_selectorILNS1_17partition_subalgoE9EyjbEEZZNS1_14partition_implILS5_9ELb0ES3_jN6thrust23THRUST_200600_302600_NS6detail15normal_iteratorINS9_10device_ptrIyEEEENSB_INSC_IjEEEEPNS0_10empty_typeENS0_5tupleIJSE_SH_EEENSJ_IJNS9_16discard_iteratorINS9_11use_defaultEEESI_EEENS0_18inequality_wrapperINS9_8equal_toIyEEEEPmJSH_EEE10hipError_tPvRmT3_T4_T5_T6_T7_T9_mT8_P12ihipStream_tbDpT10_ENKUlT_T0_E_clISt17integral_constantIbLb1EES1C_IbLb0EEEEDaS18_S19_EUlS18_E_NS1_11comp_targetILNS1_3genE3ELNS1_11target_archE908ELNS1_3gpuE7ELNS1_3repE0EEENS1_30default_config_static_selectorELNS0_4arch9wavefront6targetE0EEEvT1_ ; -- Begin function _ZN7rocprim17ROCPRIM_400000_NS6detail17trampoline_kernelINS0_14default_configENS1_25partition_config_selectorILNS1_17partition_subalgoE9EyjbEEZZNS1_14partition_implILS5_9ELb0ES3_jN6thrust23THRUST_200600_302600_NS6detail15normal_iteratorINS9_10device_ptrIyEEEENSB_INSC_IjEEEEPNS0_10empty_typeENS0_5tupleIJSE_SH_EEENSJ_IJNS9_16discard_iteratorINS9_11use_defaultEEESI_EEENS0_18inequality_wrapperINS9_8equal_toIyEEEEPmJSH_EEE10hipError_tPvRmT3_T4_T5_T6_T7_T9_mT8_P12ihipStream_tbDpT10_ENKUlT_T0_E_clISt17integral_constantIbLb1EES1C_IbLb0EEEEDaS18_S19_EUlS18_E_NS1_11comp_targetILNS1_3genE3ELNS1_11target_archE908ELNS1_3gpuE7ELNS1_3repE0EEENS1_30default_config_static_selectorELNS0_4arch9wavefront6targetE0EEEvT1_
	.globl	_ZN7rocprim17ROCPRIM_400000_NS6detail17trampoline_kernelINS0_14default_configENS1_25partition_config_selectorILNS1_17partition_subalgoE9EyjbEEZZNS1_14partition_implILS5_9ELb0ES3_jN6thrust23THRUST_200600_302600_NS6detail15normal_iteratorINS9_10device_ptrIyEEEENSB_INSC_IjEEEEPNS0_10empty_typeENS0_5tupleIJSE_SH_EEENSJ_IJNS9_16discard_iteratorINS9_11use_defaultEEESI_EEENS0_18inequality_wrapperINS9_8equal_toIyEEEEPmJSH_EEE10hipError_tPvRmT3_T4_T5_T6_T7_T9_mT8_P12ihipStream_tbDpT10_ENKUlT_T0_E_clISt17integral_constantIbLb1EES1C_IbLb0EEEEDaS18_S19_EUlS18_E_NS1_11comp_targetILNS1_3genE3ELNS1_11target_archE908ELNS1_3gpuE7ELNS1_3repE0EEENS1_30default_config_static_selectorELNS0_4arch9wavefront6targetE0EEEvT1_
	.p2align	8
	.type	_ZN7rocprim17ROCPRIM_400000_NS6detail17trampoline_kernelINS0_14default_configENS1_25partition_config_selectorILNS1_17partition_subalgoE9EyjbEEZZNS1_14partition_implILS5_9ELb0ES3_jN6thrust23THRUST_200600_302600_NS6detail15normal_iteratorINS9_10device_ptrIyEEEENSB_INSC_IjEEEEPNS0_10empty_typeENS0_5tupleIJSE_SH_EEENSJ_IJNS9_16discard_iteratorINS9_11use_defaultEEESI_EEENS0_18inequality_wrapperINS9_8equal_toIyEEEEPmJSH_EEE10hipError_tPvRmT3_T4_T5_T6_T7_T9_mT8_P12ihipStream_tbDpT10_ENKUlT_T0_E_clISt17integral_constantIbLb1EES1C_IbLb0EEEEDaS18_S19_EUlS18_E_NS1_11comp_targetILNS1_3genE3ELNS1_11target_archE908ELNS1_3gpuE7ELNS1_3repE0EEENS1_30default_config_static_selectorELNS0_4arch9wavefront6targetE0EEEvT1_,@function
_ZN7rocprim17ROCPRIM_400000_NS6detail17trampoline_kernelINS0_14default_configENS1_25partition_config_selectorILNS1_17partition_subalgoE9EyjbEEZZNS1_14partition_implILS5_9ELb0ES3_jN6thrust23THRUST_200600_302600_NS6detail15normal_iteratorINS9_10device_ptrIyEEEENSB_INSC_IjEEEEPNS0_10empty_typeENS0_5tupleIJSE_SH_EEENSJ_IJNS9_16discard_iteratorINS9_11use_defaultEEESI_EEENS0_18inequality_wrapperINS9_8equal_toIyEEEEPmJSH_EEE10hipError_tPvRmT3_T4_T5_T6_T7_T9_mT8_P12ihipStream_tbDpT10_ENKUlT_T0_E_clISt17integral_constantIbLb1EES1C_IbLb0EEEEDaS18_S19_EUlS18_E_NS1_11comp_targetILNS1_3genE3ELNS1_11target_archE908ELNS1_3gpuE7ELNS1_3repE0EEENS1_30default_config_static_selectorELNS0_4arch9wavefront6targetE0EEEvT1_: ; @_ZN7rocprim17ROCPRIM_400000_NS6detail17trampoline_kernelINS0_14default_configENS1_25partition_config_selectorILNS1_17partition_subalgoE9EyjbEEZZNS1_14partition_implILS5_9ELb0ES3_jN6thrust23THRUST_200600_302600_NS6detail15normal_iteratorINS9_10device_ptrIyEEEENSB_INSC_IjEEEEPNS0_10empty_typeENS0_5tupleIJSE_SH_EEENSJ_IJNS9_16discard_iteratorINS9_11use_defaultEEESI_EEENS0_18inequality_wrapperINS9_8equal_toIyEEEEPmJSH_EEE10hipError_tPvRmT3_T4_T5_T6_T7_T9_mT8_P12ihipStream_tbDpT10_ENKUlT_T0_E_clISt17integral_constantIbLb1EES1C_IbLb0EEEEDaS18_S19_EUlS18_E_NS1_11comp_targetILNS1_3genE3ELNS1_11target_archE908ELNS1_3gpuE7ELNS1_3repE0EEENS1_30default_config_static_selectorELNS0_4arch9wavefront6targetE0EEEvT1_
; %bb.0:
	.section	.rodata,"a",@progbits
	.p2align	6, 0x0
	.amdhsa_kernel _ZN7rocprim17ROCPRIM_400000_NS6detail17trampoline_kernelINS0_14default_configENS1_25partition_config_selectorILNS1_17partition_subalgoE9EyjbEEZZNS1_14partition_implILS5_9ELb0ES3_jN6thrust23THRUST_200600_302600_NS6detail15normal_iteratorINS9_10device_ptrIyEEEENSB_INSC_IjEEEEPNS0_10empty_typeENS0_5tupleIJSE_SH_EEENSJ_IJNS9_16discard_iteratorINS9_11use_defaultEEESI_EEENS0_18inequality_wrapperINS9_8equal_toIyEEEEPmJSH_EEE10hipError_tPvRmT3_T4_T5_T6_T7_T9_mT8_P12ihipStream_tbDpT10_ENKUlT_T0_E_clISt17integral_constantIbLb1EES1C_IbLb0EEEEDaS18_S19_EUlS18_E_NS1_11comp_targetILNS1_3genE3ELNS1_11target_archE908ELNS1_3gpuE7ELNS1_3repE0EEENS1_30default_config_static_selectorELNS0_4arch9wavefront6targetE0EEEvT1_
		.amdhsa_group_segment_fixed_size 0
		.amdhsa_private_segment_fixed_size 0
		.amdhsa_kernarg_size 120
		.amdhsa_user_sgpr_count 15
		.amdhsa_user_sgpr_dispatch_ptr 0
		.amdhsa_user_sgpr_queue_ptr 0
		.amdhsa_user_sgpr_kernarg_segment_ptr 1
		.amdhsa_user_sgpr_dispatch_id 0
		.amdhsa_user_sgpr_private_segment_size 0
		.amdhsa_wavefront_size32 1
		.amdhsa_uses_dynamic_stack 0
		.amdhsa_enable_private_segment 0
		.amdhsa_system_sgpr_workgroup_id_x 1
		.amdhsa_system_sgpr_workgroup_id_y 0
		.amdhsa_system_sgpr_workgroup_id_z 0
		.amdhsa_system_sgpr_workgroup_info 0
		.amdhsa_system_vgpr_workitem_id 0
		.amdhsa_next_free_vgpr 1
		.amdhsa_next_free_sgpr 1
		.amdhsa_reserve_vcc 0
		.amdhsa_float_round_mode_32 0
		.amdhsa_float_round_mode_16_64 0
		.amdhsa_float_denorm_mode_32 3
		.amdhsa_float_denorm_mode_16_64 3
		.amdhsa_dx10_clamp 1
		.amdhsa_ieee_mode 1
		.amdhsa_fp16_overflow 0
		.amdhsa_workgroup_processor_mode 1
		.amdhsa_memory_ordered 1
		.amdhsa_forward_progress 0
		.amdhsa_shared_vgpr_count 0
		.amdhsa_exception_fp_ieee_invalid_op 0
		.amdhsa_exception_fp_denorm_src 0
		.amdhsa_exception_fp_ieee_div_zero 0
		.amdhsa_exception_fp_ieee_overflow 0
		.amdhsa_exception_fp_ieee_underflow 0
		.amdhsa_exception_fp_ieee_inexact 0
		.amdhsa_exception_int_div_zero 0
	.end_amdhsa_kernel
	.section	.text._ZN7rocprim17ROCPRIM_400000_NS6detail17trampoline_kernelINS0_14default_configENS1_25partition_config_selectorILNS1_17partition_subalgoE9EyjbEEZZNS1_14partition_implILS5_9ELb0ES3_jN6thrust23THRUST_200600_302600_NS6detail15normal_iteratorINS9_10device_ptrIyEEEENSB_INSC_IjEEEEPNS0_10empty_typeENS0_5tupleIJSE_SH_EEENSJ_IJNS9_16discard_iteratorINS9_11use_defaultEEESI_EEENS0_18inequality_wrapperINS9_8equal_toIyEEEEPmJSH_EEE10hipError_tPvRmT3_T4_T5_T6_T7_T9_mT8_P12ihipStream_tbDpT10_ENKUlT_T0_E_clISt17integral_constantIbLb1EES1C_IbLb0EEEEDaS18_S19_EUlS18_E_NS1_11comp_targetILNS1_3genE3ELNS1_11target_archE908ELNS1_3gpuE7ELNS1_3repE0EEENS1_30default_config_static_selectorELNS0_4arch9wavefront6targetE0EEEvT1_,"axG",@progbits,_ZN7rocprim17ROCPRIM_400000_NS6detail17trampoline_kernelINS0_14default_configENS1_25partition_config_selectorILNS1_17partition_subalgoE9EyjbEEZZNS1_14partition_implILS5_9ELb0ES3_jN6thrust23THRUST_200600_302600_NS6detail15normal_iteratorINS9_10device_ptrIyEEEENSB_INSC_IjEEEEPNS0_10empty_typeENS0_5tupleIJSE_SH_EEENSJ_IJNS9_16discard_iteratorINS9_11use_defaultEEESI_EEENS0_18inequality_wrapperINS9_8equal_toIyEEEEPmJSH_EEE10hipError_tPvRmT3_T4_T5_T6_T7_T9_mT8_P12ihipStream_tbDpT10_ENKUlT_T0_E_clISt17integral_constantIbLb1EES1C_IbLb0EEEEDaS18_S19_EUlS18_E_NS1_11comp_targetILNS1_3genE3ELNS1_11target_archE908ELNS1_3gpuE7ELNS1_3repE0EEENS1_30default_config_static_selectorELNS0_4arch9wavefront6targetE0EEEvT1_,comdat
.Lfunc_end744:
	.size	_ZN7rocprim17ROCPRIM_400000_NS6detail17trampoline_kernelINS0_14default_configENS1_25partition_config_selectorILNS1_17partition_subalgoE9EyjbEEZZNS1_14partition_implILS5_9ELb0ES3_jN6thrust23THRUST_200600_302600_NS6detail15normal_iteratorINS9_10device_ptrIyEEEENSB_INSC_IjEEEEPNS0_10empty_typeENS0_5tupleIJSE_SH_EEENSJ_IJNS9_16discard_iteratorINS9_11use_defaultEEESI_EEENS0_18inequality_wrapperINS9_8equal_toIyEEEEPmJSH_EEE10hipError_tPvRmT3_T4_T5_T6_T7_T9_mT8_P12ihipStream_tbDpT10_ENKUlT_T0_E_clISt17integral_constantIbLb1EES1C_IbLb0EEEEDaS18_S19_EUlS18_E_NS1_11comp_targetILNS1_3genE3ELNS1_11target_archE908ELNS1_3gpuE7ELNS1_3repE0EEENS1_30default_config_static_selectorELNS0_4arch9wavefront6targetE0EEEvT1_, .Lfunc_end744-_ZN7rocprim17ROCPRIM_400000_NS6detail17trampoline_kernelINS0_14default_configENS1_25partition_config_selectorILNS1_17partition_subalgoE9EyjbEEZZNS1_14partition_implILS5_9ELb0ES3_jN6thrust23THRUST_200600_302600_NS6detail15normal_iteratorINS9_10device_ptrIyEEEENSB_INSC_IjEEEEPNS0_10empty_typeENS0_5tupleIJSE_SH_EEENSJ_IJNS9_16discard_iteratorINS9_11use_defaultEEESI_EEENS0_18inequality_wrapperINS9_8equal_toIyEEEEPmJSH_EEE10hipError_tPvRmT3_T4_T5_T6_T7_T9_mT8_P12ihipStream_tbDpT10_ENKUlT_T0_E_clISt17integral_constantIbLb1EES1C_IbLb0EEEEDaS18_S19_EUlS18_E_NS1_11comp_targetILNS1_3genE3ELNS1_11target_archE908ELNS1_3gpuE7ELNS1_3repE0EEENS1_30default_config_static_selectorELNS0_4arch9wavefront6targetE0EEEvT1_
                                        ; -- End function
	.section	.AMDGPU.csdata,"",@progbits
; Kernel info:
; codeLenInByte = 0
; NumSgprs: 0
; NumVgprs: 0
; ScratchSize: 0
; MemoryBound: 0
; FloatMode: 240
; IeeeMode: 1
; LDSByteSize: 0 bytes/workgroup (compile time only)
; SGPRBlocks: 0
; VGPRBlocks: 0
; NumSGPRsForWavesPerEU: 1
; NumVGPRsForWavesPerEU: 1
; Occupancy: 16
; WaveLimiterHint : 0
; COMPUTE_PGM_RSRC2:SCRATCH_EN: 0
; COMPUTE_PGM_RSRC2:USER_SGPR: 15
; COMPUTE_PGM_RSRC2:TRAP_HANDLER: 0
; COMPUTE_PGM_RSRC2:TGID_X_EN: 1
; COMPUTE_PGM_RSRC2:TGID_Y_EN: 0
; COMPUTE_PGM_RSRC2:TGID_Z_EN: 0
; COMPUTE_PGM_RSRC2:TIDIG_COMP_CNT: 0
	.section	.text._ZN7rocprim17ROCPRIM_400000_NS6detail17trampoline_kernelINS0_14default_configENS1_25partition_config_selectorILNS1_17partition_subalgoE9EyjbEEZZNS1_14partition_implILS5_9ELb0ES3_jN6thrust23THRUST_200600_302600_NS6detail15normal_iteratorINS9_10device_ptrIyEEEENSB_INSC_IjEEEEPNS0_10empty_typeENS0_5tupleIJSE_SH_EEENSJ_IJNS9_16discard_iteratorINS9_11use_defaultEEESI_EEENS0_18inequality_wrapperINS9_8equal_toIyEEEEPmJSH_EEE10hipError_tPvRmT3_T4_T5_T6_T7_T9_mT8_P12ihipStream_tbDpT10_ENKUlT_T0_E_clISt17integral_constantIbLb1EES1C_IbLb0EEEEDaS18_S19_EUlS18_E_NS1_11comp_targetILNS1_3genE2ELNS1_11target_archE906ELNS1_3gpuE6ELNS1_3repE0EEENS1_30default_config_static_selectorELNS0_4arch9wavefront6targetE0EEEvT1_,"axG",@progbits,_ZN7rocprim17ROCPRIM_400000_NS6detail17trampoline_kernelINS0_14default_configENS1_25partition_config_selectorILNS1_17partition_subalgoE9EyjbEEZZNS1_14partition_implILS5_9ELb0ES3_jN6thrust23THRUST_200600_302600_NS6detail15normal_iteratorINS9_10device_ptrIyEEEENSB_INSC_IjEEEEPNS0_10empty_typeENS0_5tupleIJSE_SH_EEENSJ_IJNS9_16discard_iteratorINS9_11use_defaultEEESI_EEENS0_18inequality_wrapperINS9_8equal_toIyEEEEPmJSH_EEE10hipError_tPvRmT3_T4_T5_T6_T7_T9_mT8_P12ihipStream_tbDpT10_ENKUlT_T0_E_clISt17integral_constantIbLb1EES1C_IbLb0EEEEDaS18_S19_EUlS18_E_NS1_11comp_targetILNS1_3genE2ELNS1_11target_archE906ELNS1_3gpuE6ELNS1_3repE0EEENS1_30default_config_static_selectorELNS0_4arch9wavefront6targetE0EEEvT1_,comdat
	.protected	_ZN7rocprim17ROCPRIM_400000_NS6detail17trampoline_kernelINS0_14default_configENS1_25partition_config_selectorILNS1_17partition_subalgoE9EyjbEEZZNS1_14partition_implILS5_9ELb0ES3_jN6thrust23THRUST_200600_302600_NS6detail15normal_iteratorINS9_10device_ptrIyEEEENSB_INSC_IjEEEEPNS0_10empty_typeENS0_5tupleIJSE_SH_EEENSJ_IJNS9_16discard_iteratorINS9_11use_defaultEEESI_EEENS0_18inequality_wrapperINS9_8equal_toIyEEEEPmJSH_EEE10hipError_tPvRmT3_T4_T5_T6_T7_T9_mT8_P12ihipStream_tbDpT10_ENKUlT_T0_E_clISt17integral_constantIbLb1EES1C_IbLb0EEEEDaS18_S19_EUlS18_E_NS1_11comp_targetILNS1_3genE2ELNS1_11target_archE906ELNS1_3gpuE6ELNS1_3repE0EEENS1_30default_config_static_selectorELNS0_4arch9wavefront6targetE0EEEvT1_ ; -- Begin function _ZN7rocprim17ROCPRIM_400000_NS6detail17trampoline_kernelINS0_14default_configENS1_25partition_config_selectorILNS1_17partition_subalgoE9EyjbEEZZNS1_14partition_implILS5_9ELb0ES3_jN6thrust23THRUST_200600_302600_NS6detail15normal_iteratorINS9_10device_ptrIyEEEENSB_INSC_IjEEEEPNS0_10empty_typeENS0_5tupleIJSE_SH_EEENSJ_IJNS9_16discard_iteratorINS9_11use_defaultEEESI_EEENS0_18inequality_wrapperINS9_8equal_toIyEEEEPmJSH_EEE10hipError_tPvRmT3_T4_T5_T6_T7_T9_mT8_P12ihipStream_tbDpT10_ENKUlT_T0_E_clISt17integral_constantIbLb1EES1C_IbLb0EEEEDaS18_S19_EUlS18_E_NS1_11comp_targetILNS1_3genE2ELNS1_11target_archE906ELNS1_3gpuE6ELNS1_3repE0EEENS1_30default_config_static_selectorELNS0_4arch9wavefront6targetE0EEEvT1_
	.globl	_ZN7rocprim17ROCPRIM_400000_NS6detail17trampoline_kernelINS0_14default_configENS1_25partition_config_selectorILNS1_17partition_subalgoE9EyjbEEZZNS1_14partition_implILS5_9ELb0ES3_jN6thrust23THRUST_200600_302600_NS6detail15normal_iteratorINS9_10device_ptrIyEEEENSB_INSC_IjEEEEPNS0_10empty_typeENS0_5tupleIJSE_SH_EEENSJ_IJNS9_16discard_iteratorINS9_11use_defaultEEESI_EEENS0_18inequality_wrapperINS9_8equal_toIyEEEEPmJSH_EEE10hipError_tPvRmT3_T4_T5_T6_T7_T9_mT8_P12ihipStream_tbDpT10_ENKUlT_T0_E_clISt17integral_constantIbLb1EES1C_IbLb0EEEEDaS18_S19_EUlS18_E_NS1_11comp_targetILNS1_3genE2ELNS1_11target_archE906ELNS1_3gpuE6ELNS1_3repE0EEENS1_30default_config_static_selectorELNS0_4arch9wavefront6targetE0EEEvT1_
	.p2align	8
	.type	_ZN7rocprim17ROCPRIM_400000_NS6detail17trampoline_kernelINS0_14default_configENS1_25partition_config_selectorILNS1_17partition_subalgoE9EyjbEEZZNS1_14partition_implILS5_9ELb0ES3_jN6thrust23THRUST_200600_302600_NS6detail15normal_iteratorINS9_10device_ptrIyEEEENSB_INSC_IjEEEEPNS0_10empty_typeENS0_5tupleIJSE_SH_EEENSJ_IJNS9_16discard_iteratorINS9_11use_defaultEEESI_EEENS0_18inequality_wrapperINS9_8equal_toIyEEEEPmJSH_EEE10hipError_tPvRmT3_T4_T5_T6_T7_T9_mT8_P12ihipStream_tbDpT10_ENKUlT_T0_E_clISt17integral_constantIbLb1EES1C_IbLb0EEEEDaS18_S19_EUlS18_E_NS1_11comp_targetILNS1_3genE2ELNS1_11target_archE906ELNS1_3gpuE6ELNS1_3repE0EEENS1_30default_config_static_selectorELNS0_4arch9wavefront6targetE0EEEvT1_,@function
_ZN7rocprim17ROCPRIM_400000_NS6detail17trampoline_kernelINS0_14default_configENS1_25partition_config_selectorILNS1_17partition_subalgoE9EyjbEEZZNS1_14partition_implILS5_9ELb0ES3_jN6thrust23THRUST_200600_302600_NS6detail15normal_iteratorINS9_10device_ptrIyEEEENSB_INSC_IjEEEEPNS0_10empty_typeENS0_5tupleIJSE_SH_EEENSJ_IJNS9_16discard_iteratorINS9_11use_defaultEEESI_EEENS0_18inequality_wrapperINS9_8equal_toIyEEEEPmJSH_EEE10hipError_tPvRmT3_T4_T5_T6_T7_T9_mT8_P12ihipStream_tbDpT10_ENKUlT_T0_E_clISt17integral_constantIbLb1EES1C_IbLb0EEEEDaS18_S19_EUlS18_E_NS1_11comp_targetILNS1_3genE2ELNS1_11target_archE906ELNS1_3gpuE6ELNS1_3repE0EEENS1_30default_config_static_selectorELNS0_4arch9wavefront6targetE0EEEvT1_: ; @_ZN7rocprim17ROCPRIM_400000_NS6detail17trampoline_kernelINS0_14default_configENS1_25partition_config_selectorILNS1_17partition_subalgoE9EyjbEEZZNS1_14partition_implILS5_9ELb0ES3_jN6thrust23THRUST_200600_302600_NS6detail15normal_iteratorINS9_10device_ptrIyEEEENSB_INSC_IjEEEEPNS0_10empty_typeENS0_5tupleIJSE_SH_EEENSJ_IJNS9_16discard_iteratorINS9_11use_defaultEEESI_EEENS0_18inequality_wrapperINS9_8equal_toIyEEEEPmJSH_EEE10hipError_tPvRmT3_T4_T5_T6_T7_T9_mT8_P12ihipStream_tbDpT10_ENKUlT_T0_E_clISt17integral_constantIbLb1EES1C_IbLb0EEEEDaS18_S19_EUlS18_E_NS1_11comp_targetILNS1_3genE2ELNS1_11target_archE906ELNS1_3gpuE6ELNS1_3repE0EEENS1_30default_config_static_selectorELNS0_4arch9wavefront6targetE0EEEvT1_
; %bb.0:
	.section	.rodata,"a",@progbits
	.p2align	6, 0x0
	.amdhsa_kernel _ZN7rocprim17ROCPRIM_400000_NS6detail17trampoline_kernelINS0_14default_configENS1_25partition_config_selectorILNS1_17partition_subalgoE9EyjbEEZZNS1_14partition_implILS5_9ELb0ES3_jN6thrust23THRUST_200600_302600_NS6detail15normal_iteratorINS9_10device_ptrIyEEEENSB_INSC_IjEEEEPNS0_10empty_typeENS0_5tupleIJSE_SH_EEENSJ_IJNS9_16discard_iteratorINS9_11use_defaultEEESI_EEENS0_18inequality_wrapperINS9_8equal_toIyEEEEPmJSH_EEE10hipError_tPvRmT3_T4_T5_T6_T7_T9_mT8_P12ihipStream_tbDpT10_ENKUlT_T0_E_clISt17integral_constantIbLb1EES1C_IbLb0EEEEDaS18_S19_EUlS18_E_NS1_11comp_targetILNS1_3genE2ELNS1_11target_archE906ELNS1_3gpuE6ELNS1_3repE0EEENS1_30default_config_static_selectorELNS0_4arch9wavefront6targetE0EEEvT1_
		.amdhsa_group_segment_fixed_size 0
		.amdhsa_private_segment_fixed_size 0
		.amdhsa_kernarg_size 120
		.amdhsa_user_sgpr_count 15
		.amdhsa_user_sgpr_dispatch_ptr 0
		.amdhsa_user_sgpr_queue_ptr 0
		.amdhsa_user_sgpr_kernarg_segment_ptr 1
		.amdhsa_user_sgpr_dispatch_id 0
		.amdhsa_user_sgpr_private_segment_size 0
		.amdhsa_wavefront_size32 1
		.amdhsa_uses_dynamic_stack 0
		.amdhsa_enable_private_segment 0
		.amdhsa_system_sgpr_workgroup_id_x 1
		.amdhsa_system_sgpr_workgroup_id_y 0
		.amdhsa_system_sgpr_workgroup_id_z 0
		.amdhsa_system_sgpr_workgroup_info 0
		.amdhsa_system_vgpr_workitem_id 0
		.amdhsa_next_free_vgpr 1
		.amdhsa_next_free_sgpr 1
		.amdhsa_reserve_vcc 0
		.amdhsa_float_round_mode_32 0
		.amdhsa_float_round_mode_16_64 0
		.amdhsa_float_denorm_mode_32 3
		.amdhsa_float_denorm_mode_16_64 3
		.amdhsa_dx10_clamp 1
		.amdhsa_ieee_mode 1
		.amdhsa_fp16_overflow 0
		.amdhsa_workgroup_processor_mode 1
		.amdhsa_memory_ordered 1
		.amdhsa_forward_progress 0
		.amdhsa_shared_vgpr_count 0
		.amdhsa_exception_fp_ieee_invalid_op 0
		.amdhsa_exception_fp_denorm_src 0
		.amdhsa_exception_fp_ieee_div_zero 0
		.amdhsa_exception_fp_ieee_overflow 0
		.amdhsa_exception_fp_ieee_underflow 0
		.amdhsa_exception_fp_ieee_inexact 0
		.amdhsa_exception_int_div_zero 0
	.end_amdhsa_kernel
	.section	.text._ZN7rocprim17ROCPRIM_400000_NS6detail17trampoline_kernelINS0_14default_configENS1_25partition_config_selectorILNS1_17partition_subalgoE9EyjbEEZZNS1_14partition_implILS5_9ELb0ES3_jN6thrust23THRUST_200600_302600_NS6detail15normal_iteratorINS9_10device_ptrIyEEEENSB_INSC_IjEEEEPNS0_10empty_typeENS0_5tupleIJSE_SH_EEENSJ_IJNS9_16discard_iteratorINS9_11use_defaultEEESI_EEENS0_18inequality_wrapperINS9_8equal_toIyEEEEPmJSH_EEE10hipError_tPvRmT3_T4_T5_T6_T7_T9_mT8_P12ihipStream_tbDpT10_ENKUlT_T0_E_clISt17integral_constantIbLb1EES1C_IbLb0EEEEDaS18_S19_EUlS18_E_NS1_11comp_targetILNS1_3genE2ELNS1_11target_archE906ELNS1_3gpuE6ELNS1_3repE0EEENS1_30default_config_static_selectorELNS0_4arch9wavefront6targetE0EEEvT1_,"axG",@progbits,_ZN7rocprim17ROCPRIM_400000_NS6detail17trampoline_kernelINS0_14default_configENS1_25partition_config_selectorILNS1_17partition_subalgoE9EyjbEEZZNS1_14partition_implILS5_9ELb0ES3_jN6thrust23THRUST_200600_302600_NS6detail15normal_iteratorINS9_10device_ptrIyEEEENSB_INSC_IjEEEEPNS0_10empty_typeENS0_5tupleIJSE_SH_EEENSJ_IJNS9_16discard_iteratorINS9_11use_defaultEEESI_EEENS0_18inequality_wrapperINS9_8equal_toIyEEEEPmJSH_EEE10hipError_tPvRmT3_T4_T5_T6_T7_T9_mT8_P12ihipStream_tbDpT10_ENKUlT_T0_E_clISt17integral_constantIbLb1EES1C_IbLb0EEEEDaS18_S19_EUlS18_E_NS1_11comp_targetILNS1_3genE2ELNS1_11target_archE906ELNS1_3gpuE6ELNS1_3repE0EEENS1_30default_config_static_selectorELNS0_4arch9wavefront6targetE0EEEvT1_,comdat
.Lfunc_end745:
	.size	_ZN7rocprim17ROCPRIM_400000_NS6detail17trampoline_kernelINS0_14default_configENS1_25partition_config_selectorILNS1_17partition_subalgoE9EyjbEEZZNS1_14partition_implILS5_9ELb0ES3_jN6thrust23THRUST_200600_302600_NS6detail15normal_iteratorINS9_10device_ptrIyEEEENSB_INSC_IjEEEEPNS0_10empty_typeENS0_5tupleIJSE_SH_EEENSJ_IJNS9_16discard_iteratorINS9_11use_defaultEEESI_EEENS0_18inequality_wrapperINS9_8equal_toIyEEEEPmJSH_EEE10hipError_tPvRmT3_T4_T5_T6_T7_T9_mT8_P12ihipStream_tbDpT10_ENKUlT_T0_E_clISt17integral_constantIbLb1EES1C_IbLb0EEEEDaS18_S19_EUlS18_E_NS1_11comp_targetILNS1_3genE2ELNS1_11target_archE906ELNS1_3gpuE6ELNS1_3repE0EEENS1_30default_config_static_selectorELNS0_4arch9wavefront6targetE0EEEvT1_, .Lfunc_end745-_ZN7rocprim17ROCPRIM_400000_NS6detail17trampoline_kernelINS0_14default_configENS1_25partition_config_selectorILNS1_17partition_subalgoE9EyjbEEZZNS1_14partition_implILS5_9ELb0ES3_jN6thrust23THRUST_200600_302600_NS6detail15normal_iteratorINS9_10device_ptrIyEEEENSB_INSC_IjEEEEPNS0_10empty_typeENS0_5tupleIJSE_SH_EEENSJ_IJNS9_16discard_iteratorINS9_11use_defaultEEESI_EEENS0_18inequality_wrapperINS9_8equal_toIyEEEEPmJSH_EEE10hipError_tPvRmT3_T4_T5_T6_T7_T9_mT8_P12ihipStream_tbDpT10_ENKUlT_T0_E_clISt17integral_constantIbLb1EES1C_IbLb0EEEEDaS18_S19_EUlS18_E_NS1_11comp_targetILNS1_3genE2ELNS1_11target_archE906ELNS1_3gpuE6ELNS1_3repE0EEENS1_30default_config_static_selectorELNS0_4arch9wavefront6targetE0EEEvT1_
                                        ; -- End function
	.section	.AMDGPU.csdata,"",@progbits
; Kernel info:
; codeLenInByte = 0
; NumSgprs: 0
; NumVgprs: 0
; ScratchSize: 0
; MemoryBound: 0
; FloatMode: 240
; IeeeMode: 1
; LDSByteSize: 0 bytes/workgroup (compile time only)
; SGPRBlocks: 0
; VGPRBlocks: 0
; NumSGPRsForWavesPerEU: 1
; NumVGPRsForWavesPerEU: 1
; Occupancy: 16
; WaveLimiterHint : 0
; COMPUTE_PGM_RSRC2:SCRATCH_EN: 0
; COMPUTE_PGM_RSRC2:USER_SGPR: 15
; COMPUTE_PGM_RSRC2:TRAP_HANDLER: 0
; COMPUTE_PGM_RSRC2:TGID_X_EN: 1
; COMPUTE_PGM_RSRC2:TGID_Y_EN: 0
; COMPUTE_PGM_RSRC2:TGID_Z_EN: 0
; COMPUTE_PGM_RSRC2:TIDIG_COMP_CNT: 0
	.section	.text._ZN7rocprim17ROCPRIM_400000_NS6detail17trampoline_kernelINS0_14default_configENS1_25partition_config_selectorILNS1_17partition_subalgoE9EyjbEEZZNS1_14partition_implILS5_9ELb0ES3_jN6thrust23THRUST_200600_302600_NS6detail15normal_iteratorINS9_10device_ptrIyEEEENSB_INSC_IjEEEEPNS0_10empty_typeENS0_5tupleIJSE_SH_EEENSJ_IJNS9_16discard_iteratorINS9_11use_defaultEEESI_EEENS0_18inequality_wrapperINS9_8equal_toIyEEEEPmJSH_EEE10hipError_tPvRmT3_T4_T5_T6_T7_T9_mT8_P12ihipStream_tbDpT10_ENKUlT_T0_E_clISt17integral_constantIbLb1EES1C_IbLb0EEEEDaS18_S19_EUlS18_E_NS1_11comp_targetILNS1_3genE10ELNS1_11target_archE1200ELNS1_3gpuE4ELNS1_3repE0EEENS1_30default_config_static_selectorELNS0_4arch9wavefront6targetE0EEEvT1_,"axG",@progbits,_ZN7rocprim17ROCPRIM_400000_NS6detail17trampoline_kernelINS0_14default_configENS1_25partition_config_selectorILNS1_17partition_subalgoE9EyjbEEZZNS1_14partition_implILS5_9ELb0ES3_jN6thrust23THRUST_200600_302600_NS6detail15normal_iteratorINS9_10device_ptrIyEEEENSB_INSC_IjEEEEPNS0_10empty_typeENS0_5tupleIJSE_SH_EEENSJ_IJNS9_16discard_iteratorINS9_11use_defaultEEESI_EEENS0_18inequality_wrapperINS9_8equal_toIyEEEEPmJSH_EEE10hipError_tPvRmT3_T4_T5_T6_T7_T9_mT8_P12ihipStream_tbDpT10_ENKUlT_T0_E_clISt17integral_constantIbLb1EES1C_IbLb0EEEEDaS18_S19_EUlS18_E_NS1_11comp_targetILNS1_3genE10ELNS1_11target_archE1200ELNS1_3gpuE4ELNS1_3repE0EEENS1_30default_config_static_selectorELNS0_4arch9wavefront6targetE0EEEvT1_,comdat
	.protected	_ZN7rocprim17ROCPRIM_400000_NS6detail17trampoline_kernelINS0_14default_configENS1_25partition_config_selectorILNS1_17partition_subalgoE9EyjbEEZZNS1_14partition_implILS5_9ELb0ES3_jN6thrust23THRUST_200600_302600_NS6detail15normal_iteratorINS9_10device_ptrIyEEEENSB_INSC_IjEEEEPNS0_10empty_typeENS0_5tupleIJSE_SH_EEENSJ_IJNS9_16discard_iteratorINS9_11use_defaultEEESI_EEENS0_18inequality_wrapperINS9_8equal_toIyEEEEPmJSH_EEE10hipError_tPvRmT3_T4_T5_T6_T7_T9_mT8_P12ihipStream_tbDpT10_ENKUlT_T0_E_clISt17integral_constantIbLb1EES1C_IbLb0EEEEDaS18_S19_EUlS18_E_NS1_11comp_targetILNS1_3genE10ELNS1_11target_archE1200ELNS1_3gpuE4ELNS1_3repE0EEENS1_30default_config_static_selectorELNS0_4arch9wavefront6targetE0EEEvT1_ ; -- Begin function _ZN7rocprim17ROCPRIM_400000_NS6detail17trampoline_kernelINS0_14default_configENS1_25partition_config_selectorILNS1_17partition_subalgoE9EyjbEEZZNS1_14partition_implILS5_9ELb0ES3_jN6thrust23THRUST_200600_302600_NS6detail15normal_iteratorINS9_10device_ptrIyEEEENSB_INSC_IjEEEEPNS0_10empty_typeENS0_5tupleIJSE_SH_EEENSJ_IJNS9_16discard_iteratorINS9_11use_defaultEEESI_EEENS0_18inequality_wrapperINS9_8equal_toIyEEEEPmJSH_EEE10hipError_tPvRmT3_T4_T5_T6_T7_T9_mT8_P12ihipStream_tbDpT10_ENKUlT_T0_E_clISt17integral_constantIbLb1EES1C_IbLb0EEEEDaS18_S19_EUlS18_E_NS1_11comp_targetILNS1_3genE10ELNS1_11target_archE1200ELNS1_3gpuE4ELNS1_3repE0EEENS1_30default_config_static_selectorELNS0_4arch9wavefront6targetE0EEEvT1_
	.globl	_ZN7rocprim17ROCPRIM_400000_NS6detail17trampoline_kernelINS0_14default_configENS1_25partition_config_selectorILNS1_17partition_subalgoE9EyjbEEZZNS1_14partition_implILS5_9ELb0ES3_jN6thrust23THRUST_200600_302600_NS6detail15normal_iteratorINS9_10device_ptrIyEEEENSB_INSC_IjEEEEPNS0_10empty_typeENS0_5tupleIJSE_SH_EEENSJ_IJNS9_16discard_iteratorINS9_11use_defaultEEESI_EEENS0_18inequality_wrapperINS9_8equal_toIyEEEEPmJSH_EEE10hipError_tPvRmT3_T4_T5_T6_T7_T9_mT8_P12ihipStream_tbDpT10_ENKUlT_T0_E_clISt17integral_constantIbLb1EES1C_IbLb0EEEEDaS18_S19_EUlS18_E_NS1_11comp_targetILNS1_3genE10ELNS1_11target_archE1200ELNS1_3gpuE4ELNS1_3repE0EEENS1_30default_config_static_selectorELNS0_4arch9wavefront6targetE0EEEvT1_
	.p2align	8
	.type	_ZN7rocprim17ROCPRIM_400000_NS6detail17trampoline_kernelINS0_14default_configENS1_25partition_config_selectorILNS1_17partition_subalgoE9EyjbEEZZNS1_14partition_implILS5_9ELb0ES3_jN6thrust23THRUST_200600_302600_NS6detail15normal_iteratorINS9_10device_ptrIyEEEENSB_INSC_IjEEEEPNS0_10empty_typeENS0_5tupleIJSE_SH_EEENSJ_IJNS9_16discard_iteratorINS9_11use_defaultEEESI_EEENS0_18inequality_wrapperINS9_8equal_toIyEEEEPmJSH_EEE10hipError_tPvRmT3_T4_T5_T6_T7_T9_mT8_P12ihipStream_tbDpT10_ENKUlT_T0_E_clISt17integral_constantIbLb1EES1C_IbLb0EEEEDaS18_S19_EUlS18_E_NS1_11comp_targetILNS1_3genE10ELNS1_11target_archE1200ELNS1_3gpuE4ELNS1_3repE0EEENS1_30default_config_static_selectorELNS0_4arch9wavefront6targetE0EEEvT1_,@function
_ZN7rocprim17ROCPRIM_400000_NS6detail17trampoline_kernelINS0_14default_configENS1_25partition_config_selectorILNS1_17partition_subalgoE9EyjbEEZZNS1_14partition_implILS5_9ELb0ES3_jN6thrust23THRUST_200600_302600_NS6detail15normal_iteratorINS9_10device_ptrIyEEEENSB_INSC_IjEEEEPNS0_10empty_typeENS0_5tupleIJSE_SH_EEENSJ_IJNS9_16discard_iteratorINS9_11use_defaultEEESI_EEENS0_18inequality_wrapperINS9_8equal_toIyEEEEPmJSH_EEE10hipError_tPvRmT3_T4_T5_T6_T7_T9_mT8_P12ihipStream_tbDpT10_ENKUlT_T0_E_clISt17integral_constantIbLb1EES1C_IbLb0EEEEDaS18_S19_EUlS18_E_NS1_11comp_targetILNS1_3genE10ELNS1_11target_archE1200ELNS1_3gpuE4ELNS1_3repE0EEENS1_30default_config_static_selectorELNS0_4arch9wavefront6targetE0EEEvT1_: ; @_ZN7rocprim17ROCPRIM_400000_NS6detail17trampoline_kernelINS0_14default_configENS1_25partition_config_selectorILNS1_17partition_subalgoE9EyjbEEZZNS1_14partition_implILS5_9ELb0ES3_jN6thrust23THRUST_200600_302600_NS6detail15normal_iteratorINS9_10device_ptrIyEEEENSB_INSC_IjEEEEPNS0_10empty_typeENS0_5tupleIJSE_SH_EEENSJ_IJNS9_16discard_iteratorINS9_11use_defaultEEESI_EEENS0_18inequality_wrapperINS9_8equal_toIyEEEEPmJSH_EEE10hipError_tPvRmT3_T4_T5_T6_T7_T9_mT8_P12ihipStream_tbDpT10_ENKUlT_T0_E_clISt17integral_constantIbLb1EES1C_IbLb0EEEEDaS18_S19_EUlS18_E_NS1_11comp_targetILNS1_3genE10ELNS1_11target_archE1200ELNS1_3gpuE4ELNS1_3repE0EEENS1_30default_config_static_selectorELNS0_4arch9wavefront6targetE0EEEvT1_
; %bb.0:
	.section	.rodata,"a",@progbits
	.p2align	6, 0x0
	.amdhsa_kernel _ZN7rocprim17ROCPRIM_400000_NS6detail17trampoline_kernelINS0_14default_configENS1_25partition_config_selectorILNS1_17partition_subalgoE9EyjbEEZZNS1_14partition_implILS5_9ELb0ES3_jN6thrust23THRUST_200600_302600_NS6detail15normal_iteratorINS9_10device_ptrIyEEEENSB_INSC_IjEEEEPNS0_10empty_typeENS0_5tupleIJSE_SH_EEENSJ_IJNS9_16discard_iteratorINS9_11use_defaultEEESI_EEENS0_18inequality_wrapperINS9_8equal_toIyEEEEPmJSH_EEE10hipError_tPvRmT3_T4_T5_T6_T7_T9_mT8_P12ihipStream_tbDpT10_ENKUlT_T0_E_clISt17integral_constantIbLb1EES1C_IbLb0EEEEDaS18_S19_EUlS18_E_NS1_11comp_targetILNS1_3genE10ELNS1_11target_archE1200ELNS1_3gpuE4ELNS1_3repE0EEENS1_30default_config_static_selectorELNS0_4arch9wavefront6targetE0EEEvT1_
		.amdhsa_group_segment_fixed_size 0
		.amdhsa_private_segment_fixed_size 0
		.amdhsa_kernarg_size 120
		.amdhsa_user_sgpr_count 15
		.amdhsa_user_sgpr_dispatch_ptr 0
		.amdhsa_user_sgpr_queue_ptr 0
		.amdhsa_user_sgpr_kernarg_segment_ptr 1
		.amdhsa_user_sgpr_dispatch_id 0
		.amdhsa_user_sgpr_private_segment_size 0
		.amdhsa_wavefront_size32 1
		.amdhsa_uses_dynamic_stack 0
		.amdhsa_enable_private_segment 0
		.amdhsa_system_sgpr_workgroup_id_x 1
		.amdhsa_system_sgpr_workgroup_id_y 0
		.amdhsa_system_sgpr_workgroup_id_z 0
		.amdhsa_system_sgpr_workgroup_info 0
		.amdhsa_system_vgpr_workitem_id 0
		.amdhsa_next_free_vgpr 1
		.amdhsa_next_free_sgpr 1
		.amdhsa_reserve_vcc 0
		.amdhsa_float_round_mode_32 0
		.amdhsa_float_round_mode_16_64 0
		.amdhsa_float_denorm_mode_32 3
		.amdhsa_float_denorm_mode_16_64 3
		.amdhsa_dx10_clamp 1
		.amdhsa_ieee_mode 1
		.amdhsa_fp16_overflow 0
		.amdhsa_workgroup_processor_mode 1
		.amdhsa_memory_ordered 1
		.amdhsa_forward_progress 0
		.amdhsa_shared_vgpr_count 0
		.amdhsa_exception_fp_ieee_invalid_op 0
		.amdhsa_exception_fp_denorm_src 0
		.amdhsa_exception_fp_ieee_div_zero 0
		.amdhsa_exception_fp_ieee_overflow 0
		.amdhsa_exception_fp_ieee_underflow 0
		.amdhsa_exception_fp_ieee_inexact 0
		.amdhsa_exception_int_div_zero 0
	.end_amdhsa_kernel
	.section	.text._ZN7rocprim17ROCPRIM_400000_NS6detail17trampoline_kernelINS0_14default_configENS1_25partition_config_selectorILNS1_17partition_subalgoE9EyjbEEZZNS1_14partition_implILS5_9ELb0ES3_jN6thrust23THRUST_200600_302600_NS6detail15normal_iteratorINS9_10device_ptrIyEEEENSB_INSC_IjEEEEPNS0_10empty_typeENS0_5tupleIJSE_SH_EEENSJ_IJNS9_16discard_iteratorINS9_11use_defaultEEESI_EEENS0_18inequality_wrapperINS9_8equal_toIyEEEEPmJSH_EEE10hipError_tPvRmT3_T4_T5_T6_T7_T9_mT8_P12ihipStream_tbDpT10_ENKUlT_T0_E_clISt17integral_constantIbLb1EES1C_IbLb0EEEEDaS18_S19_EUlS18_E_NS1_11comp_targetILNS1_3genE10ELNS1_11target_archE1200ELNS1_3gpuE4ELNS1_3repE0EEENS1_30default_config_static_selectorELNS0_4arch9wavefront6targetE0EEEvT1_,"axG",@progbits,_ZN7rocprim17ROCPRIM_400000_NS6detail17trampoline_kernelINS0_14default_configENS1_25partition_config_selectorILNS1_17partition_subalgoE9EyjbEEZZNS1_14partition_implILS5_9ELb0ES3_jN6thrust23THRUST_200600_302600_NS6detail15normal_iteratorINS9_10device_ptrIyEEEENSB_INSC_IjEEEEPNS0_10empty_typeENS0_5tupleIJSE_SH_EEENSJ_IJNS9_16discard_iteratorINS9_11use_defaultEEESI_EEENS0_18inequality_wrapperINS9_8equal_toIyEEEEPmJSH_EEE10hipError_tPvRmT3_T4_T5_T6_T7_T9_mT8_P12ihipStream_tbDpT10_ENKUlT_T0_E_clISt17integral_constantIbLb1EES1C_IbLb0EEEEDaS18_S19_EUlS18_E_NS1_11comp_targetILNS1_3genE10ELNS1_11target_archE1200ELNS1_3gpuE4ELNS1_3repE0EEENS1_30default_config_static_selectorELNS0_4arch9wavefront6targetE0EEEvT1_,comdat
.Lfunc_end746:
	.size	_ZN7rocprim17ROCPRIM_400000_NS6detail17trampoline_kernelINS0_14default_configENS1_25partition_config_selectorILNS1_17partition_subalgoE9EyjbEEZZNS1_14partition_implILS5_9ELb0ES3_jN6thrust23THRUST_200600_302600_NS6detail15normal_iteratorINS9_10device_ptrIyEEEENSB_INSC_IjEEEEPNS0_10empty_typeENS0_5tupleIJSE_SH_EEENSJ_IJNS9_16discard_iteratorINS9_11use_defaultEEESI_EEENS0_18inequality_wrapperINS9_8equal_toIyEEEEPmJSH_EEE10hipError_tPvRmT3_T4_T5_T6_T7_T9_mT8_P12ihipStream_tbDpT10_ENKUlT_T0_E_clISt17integral_constantIbLb1EES1C_IbLb0EEEEDaS18_S19_EUlS18_E_NS1_11comp_targetILNS1_3genE10ELNS1_11target_archE1200ELNS1_3gpuE4ELNS1_3repE0EEENS1_30default_config_static_selectorELNS0_4arch9wavefront6targetE0EEEvT1_, .Lfunc_end746-_ZN7rocprim17ROCPRIM_400000_NS6detail17trampoline_kernelINS0_14default_configENS1_25partition_config_selectorILNS1_17partition_subalgoE9EyjbEEZZNS1_14partition_implILS5_9ELb0ES3_jN6thrust23THRUST_200600_302600_NS6detail15normal_iteratorINS9_10device_ptrIyEEEENSB_INSC_IjEEEEPNS0_10empty_typeENS0_5tupleIJSE_SH_EEENSJ_IJNS9_16discard_iteratorINS9_11use_defaultEEESI_EEENS0_18inequality_wrapperINS9_8equal_toIyEEEEPmJSH_EEE10hipError_tPvRmT3_T4_T5_T6_T7_T9_mT8_P12ihipStream_tbDpT10_ENKUlT_T0_E_clISt17integral_constantIbLb1EES1C_IbLb0EEEEDaS18_S19_EUlS18_E_NS1_11comp_targetILNS1_3genE10ELNS1_11target_archE1200ELNS1_3gpuE4ELNS1_3repE0EEENS1_30default_config_static_selectorELNS0_4arch9wavefront6targetE0EEEvT1_
                                        ; -- End function
	.section	.AMDGPU.csdata,"",@progbits
; Kernel info:
; codeLenInByte = 0
; NumSgprs: 0
; NumVgprs: 0
; ScratchSize: 0
; MemoryBound: 0
; FloatMode: 240
; IeeeMode: 1
; LDSByteSize: 0 bytes/workgroup (compile time only)
; SGPRBlocks: 0
; VGPRBlocks: 0
; NumSGPRsForWavesPerEU: 1
; NumVGPRsForWavesPerEU: 1
; Occupancy: 15
; WaveLimiterHint : 0
; COMPUTE_PGM_RSRC2:SCRATCH_EN: 0
; COMPUTE_PGM_RSRC2:USER_SGPR: 15
; COMPUTE_PGM_RSRC2:TRAP_HANDLER: 0
; COMPUTE_PGM_RSRC2:TGID_X_EN: 1
; COMPUTE_PGM_RSRC2:TGID_Y_EN: 0
; COMPUTE_PGM_RSRC2:TGID_Z_EN: 0
; COMPUTE_PGM_RSRC2:TIDIG_COMP_CNT: 0
	.section	.text._ZN7rocprim17ROCPRIM_400000_NS6detail17trampoline_kernelINS0_14default_configENS1_25partition_config_selectorILNS1_17partition_subalgoE9EyjbEEZZNS1_14partition_implILS5_9ELb0ES3_jN6thrust23THRUST_200600_302600_NS6detail15normal_iteratorINS9_10device_ptrIyEEEENSB_INSC_IjEEEEPNS0_10empty_typeENS0_5tupleIJSE_SH_EEENSJ_IJNS9_16discard_iteratorINS9_11use_defaultEEESI_EEENS0_18inequality_wrapperINS9_8equal_toIyEEEEPmJSH_EEE10hipError_tPvRmT3_T4_T5_T6_T7_T9_mT8_P12ihipStream_tbDpT10_ENKUlT_T0_E_clISt17integral_constantIbLb1EES1C_IbLb0EEEEDaS18_S19_EUlS18_E_NS1_11comp_targetILNS1_3genE9ELNS1_11target_archE1100ELNS1_3gpuE3ELNS1_3repE0EEENS1_30default_config_static_selectorELNS0_4arch9wavefront6targetE0EEEvT1_,"axG",@progbits,_ZN7rocprim17ROCPRIM_400000_NS6detail17trampoline_kernelINS0_14default_configENS1_25partition_config_selectorILNS1_17partition_subalgoE9EyjbEEZZNS1_14partition_implILS5_9ELb0ES3_jN6thrust23THRUST_200600_302600_NS6detail15normal_iteratorINS9_10device_ptrIyEEEENSB_INSC_IjEEEEPNS0_10empty_typeENS0_5tupleIJSE_SH_EEENSJ_IJNS9_16discard_iteratorINS9_11use_defaultEEESI_EEENS0_18inequality_wrapperINS9_8equal_toIyEEEEPmJSH_EEE10hipError_tPvRmT3_T4_T5_T6_T7_T9_mT8_P12ihipStream_tbDpT10_ENKUlT_T0_E_clISt17integral_constantIbLb1EES1C_IbLb0EEEEDaS18_S19_EUlS18_E_NS1_11comp_targetILNS1_3genE9ELNS1_11target_archE1100ELNS1_3gpuE3ELNS1_3repE0EEENS1_30default_config_static_selectorELNS0_4arch9wavefront6targetE0EEEvT1_,comdat
	.protected	_ZN7rocprim17ROCPRIM_400000_NS6detail17trampoline_kernelINS0_14default_configENS1_25partition_config_selectorILNS1_17partition_subalgoE9EyjbEEZZNS1_14partition_implILS5_9ELb0ES3_jN6thrust23THRUST_200600_302600_NS6detail15normal_iteratorINS9_10device_ptrIyEEEENSB_INSC_IjEEEEPNS0_10empty_typeENS0_5tupleIJSE_SH_EEENSJ_IJNS9_16discard_iteratorINS9_11use_defaultEEESI_EEENS0_18inequality_wrapperINS9_8equal_toIyEEEEPmJSH_EEE10hipError_tPvRmT3_T4_T5_T6_T7_T9_mT8_P12ihipStream_tbDpT10_ENKUlT_T0_E_clISt17integral_constantIbLb1EES1C_IbLb0EEEEDaS18_S19_EUlS18_E_NS1_11comp_targetILNS1_3genE9ELNS1_11target_archE1100ELNS1_3gpuE3ELNS1_3repE0EEENS1_30default_config_static_selectorELNS0_4arch9wavefront6targetE0EEEvT1_ ; -- Begin function _ZN7rocprim17ROCPRIM_400000_NS6detail17trampoline_kernelINS0_14default_configENS1_25partition_config_selectorILNS1_17partition_subalgoE9EyjbEEZZNS1_14partition_implILS5_9ELb0ES3_jN6thrust23THRUST_200600_302600_NS6detail15normal_iteratorINS9_10device_ptrIyEEEENSB_INSC_IjEEEEPNS0_10empty_typeENS0_5tupleIJSE_SH_EEENSJ_IJNS9_16discard_iteratorINS9_11use_defaultEEESI_EEENS0_18inequality_wrapperINS9_8equal_toIyEEEEPmJSH_EEE10hipError_tPvRmT3_T4_T5_T6_T7_T9_mT8_P12ihipStream_tbDpT10_ENKUlT_T0_E_clISt17integral_constantIbLb1EES1C_IbLb0EEEEDaS18_S19_EUlS18_E_NS1_11comp_targetILNS1_3genE9ELNS1_11target_archE1100ELNS1_3gpuE3ELNS1_3repE0EEENS1_30default_config_static_selectorELNS0_4arch9wavefront6targetE0EEEvT1_
	.globl	_ZN7rocprim17ROCPRIM_400000_NS6detail17trampoline_kernelINS0_14default_configENS1_25partition_config_selectorILNS1_17partition_subalgoE9EyjbEEZZNS1_14partition_implILS5_9ELb0ES3_jN6thrust23THRUST_200600_302600_NS6detail15normal_iteratorINS9_10device_ptrIyEEEENSB_INSC_IjEEEEPNS0_10empty_typeENS0_5tupleIJSE_SH_EEENSJ_IJNS9_16discard_iteratorINS9_11use_defaultEEESI_EEENS0_18inequality_wrapperINS9_8equal_toIyEEEEPmJSH_EEE10hipError_tPvRmT3_T4_T5_T6_T7_T9_mT8_P12ihipStream_tbDpT10_ENKUlT_T0_E_clISt17integral_constantIbLb1EES1C_IbLb0EEEEDaS18_S19_EUlS18_E_NS1_11comp_targetILNS1_3genE9ELNS1_11target_archE1100ELNS1_3gpuE3ELNS1_3repE0EEENS1_30default_config_static_selectorELNS0_4arch9wavefront6targetE0EEEvT1_
	.p2align	8
	.type	_ZN7rocprim17ROCPRIM_400000_NS6detail17trampoline_kernelINS0_14default_configENS1_25partition_config_selectorILNS1_17partition_subalgoE9EyjbEEZZNS1_14partition_implILS5_9ELb0ES3_jN6thrust23THRUST_200600_302600_NS6detail15normal_iteratorINS9_10device_ptrIyEEEENSB_INSC_IjEEEEPNS0_10empty_typeENS0_5tupleIJSE_SH_EEENSJ_IJNS9_16discard_iteratorINS9_11use_defaultEEESI_EEENS0_18inequality_wrapperINS9_8equal_toIyEEEEPmJSH_EEE10hipError_tPvRmT3_T4_T5_T6_T7_T9_mT8_P12ihipStream_tbDpT10_ENKUlT_T0_E_clISt17integral_constantIbLb1EES1C_IbLb0EEEEDaS18_S19_EUlS18_E_NS1_11comp_targetILNS1_3genE9ELNS1_11target_archE1100ELNS1_3gpuE3ELNS1_3repE0EEENS1_30default_config_static_selectorELNS0_4arch9wavefront6targetE0EEEvT1_,@function
_ZN7rocprim17ROCPRIM_400000_NS6detail17trampoline_kernelINS0_14default_configENS1_25partition_config_selectorILNS1_17partition_subalgoE9EyjbEEZZNS1_14partition_implILS5_9ELb0ES3_jN6thrust23THRUST_200600_302600_NS6detail15normal_iteratorINS9_10device_ptrIyEEEENSB_INSC_IjEEEEPNS0_10empty_typeENS0_5tupleIJSE_SH_EEENSJ_IJNS9_16discard_iteratorINS9_11use_defaultEEESI_EEENS0_18inequality_wrapperINS9_8equal_toIyEEEEPmJSH_EEE10hipError_tPvRmT3_T4_T5_T6_T7_T9_mT8_P12ihipStream_tbDpT10_ENKUlT_T0_E_clISt17integral_constantIbLb1EES1C_IbLb0EEEEDaS18_S19_EUlS18_E_NS1_11comp_targetILNS1_3genE9ELNS1_11target_archE1100ELNS1_3gpuE3ELNS1_3repE0EEENS1_30default_config_static_selectorELNS0_4arch9wavefront6targetE0EEEvT1_: ; @_ZN7rocprim17ROCPRIM_400000_NS6detail17trampoline_kernelINS0_14default_configENS1_25partition_config_selectorILNS1_17partition_subalgoE9EyjbEEZZNS1_14partition_implILS5_9ELb0ES3_jN6thrust23THRUST_200600_302600_NS6detail15normal_iteratorINS9_10device_ptrIyEEEENSB_INSC_IjEEEEPNS0_10empty_typeENS0_5tupleIJSE_SH_EEENSJ_IJNS9_16discard_iteratorINS9_11use_defaultEEESI_EEENS0_18inequality_wrapperINS9_8equal_toIyEEEEPmJSH_EEE10hipError_tPvRmT3_T4_T5_T6_T7_T9_mT8_P12ihipStream_tbDpT10_ENKUlT_T0_E_clISt17integral_constantIbLb1EES1C_IbLb0EEEEDaS18_S19_EUlS18_E_NS1_11comp_targetILNS1_3genE9ELNS1_11target_archE1100ELNS1_3gpuE3ELNS1_3repE0EEENS1_30default_config_static_selectorELNS0_4arch9wavefront6targetE0EEEvT1_
; %bb.0:
	s_clause 0x4
	s_load_b128 s[4:7], s[0:1], 0x8
	s_load_b32 s14, s[0:1], 0x70
	s_load_b128 s[16:19], s[0:1], 0x48
	s_load_b64 s[2:3], s[0:1], 0x58
	s_load_b64 s[12:13], s[0:1], 0x18
	s_mov_b32 s9, 0
	v_lshlrev_b32_e32 v47, 3, v0
	v_lshrrev_b32_e32 v24, 2, v0
	v_or_b32_e32 v21, 0x200, v0
	v_or_b32_e32 v20, 0x400, v0
	;; [unrolled: 1-line block ×7, first 2 shown]
	s_waitcnt lgkmcnt(0)
	s_lshl_b64 s[10:11], s[6:7], 3
	s_delay_alu instid0(SALU_CYCLE_1)
	s_add_u32 s21, s4, s10
	s_addc_u32 s22, s5, s11
	s_add_i32 s20, s14, -1
	s_load_b64 s[10:11], s[18:19], 0x0
	s_lshl_b32 s4, s20, 12
	s_lshl_b32 s5, s14, 12
	s_add_i32 s4, s6, s4
	s_lshl_b32 s8, s15, 12
	s_sub_i32 s19, s2, s4
	s_add_u32 s4, s6, s5
	s_addc_u32 s5, s7, 0
	s_cmp_eq_u32 s15, s20
	v_cmp_ge_u64_e64 s2, s[4:5], s[2:3]
	s_cselect_b32 s14, -1, 0
	s_mov_b32 s5, -1
	s_delay_alu instid0(VALU_DEP_1)
	s_and_b32 s20, s14, s2
	s_lshl_b64 s[2:3], s[8:9], 3
	s_xor_b32 s18, s20, -1
	s_add_u32 s4, s21, s2
	s_addc_u32 s3, s22, s3
	s_and_b32 vcc_lo, exec_lo, s18
	s_cbranch_vccz .LBB747_2
; %bb.1:
	v_add_co_u32 v1, s2, s4, v47
	s_delay_alu instid0(VALU_DEP_1) | instskip(SKIP_1) | instid1(VALU_DEP_3)
	v_add_co_ci_u32_e64 v2, null, s3, 0, s2
	v_lshrrev_b32_e32 v26, 2, v21
	v_add_co_u32 v3, vcc_lo, 0x1000, v1
	s_delay_alu instid0(VALU_DEP_3)
	v_add_co_ci_u32_e32 v4, vcc_lo, 0, v2, vcc_lo
	v_add_co_u32 v5, vcc_lo, 0x2000, v1
	v_add_co_ci_u32_e32 v6, vcc_lo, 0, v2, vcc_lo
	v_add_co_u32 v7, vcc_lo, 0x3000, v1
	v_add_co_ci_u32_e32 v8, vcc_lo, 0, v2, vcc_lo
	v_add_co_u32 v9, vcc_lo, 0x4000, v1
	v_add_co_ci_u32_e32 v10, vcc_lo, 0, v2, vcc_lo
	v_add_co_u32 v11, vcc_lo, 0x5000, v1
	v_add_co_ci_u32_e32 v12, vcc_lo, 0, v2, vcc_lo
	v_add_co_u32 v13, vcc_lo, 0x6000, v1
	v_add_co_ci_u32_e32 v14, vcc_lo, 0, v2, vcc_lo
	v_add_co_u32 v15, vcc_lo, 0x7000, v1
	v_add_co_ci_u32_e32 v16, vcc_lo, 0, v2, vcc_lo
	s_clause 0x7
	flat_load_b64 v[1:2], v[1:2]
	flat_load_b64 v[3:4], v[3:4]
	;; [unrolled: 1-line block ×8, first 2 shown]
	v_lshrrev_b32_e32 v27, 2, v20
	v_lshrrev_b32_e32 v28, 2, v23
	v_lshrrev_b32_e32 v29, 2, v22
	v_and_b32_e32 v25, 0x78, v24
	v_lshrrev_b32_e32 v30, 2, v18
	v_lshrrev_b32_e32 v31, 2, v17
	;; [unrolled: 1-line block ×3, first 2 shown]
	v_and_b32_e32 v26, 0xf8, v26
	v_and_b32_e32 v27, 0x178, v27
	v_and_b32_e32 v28, 0x1f8, v28
	v_and_b32_e32 v29, 0x278, v29
	v_add_nc_u32_e32 v25, v25, v47
	v_and_b32_e32 v30, 0x2f8, v30
	v_and_b32_e32 v31, 0x378, v31
	;; [unrolled: 1-line block ×3, first 2 shown]
	v_add_nc_u32_e32 v26, v26, v47
	v_add_nc_u32_e32 v27, v27, v47
	;; [unrolled: 1-line block ×4, first 2 shown]
	s_mov_b32 s5, s9
	v_add_nc_u32_e32 v30, v30, v47
	v_add_nc_u32_e32 v31, v31, v47
	;; [unrolled: 1-line block ×3, first 2 shown]
	s_waitcnt vmcnt(7) lgkmcnt(0)
	ds_store_b64 v25, v[1:2]
	s_waitcnt vmcnt(6)
	ds_store_b64 v26, v[3:4] offset:4096
	s_waitcnt vmcnt(5)
	ds_store_b64 v27, v[5:6] offset:8192
	;; [unrolled: 2-line block ×7, first 2 shown]
	s_waitcnt lgkmcnt(0)
	s_barrier
.LBB747_2:
	v_cmp_gt_u32_e64 s2, s19, v0
	s_and_not1_b32 vcc_lo, exec_lo, s5
	s_cbranch_vccnz .LBB747_20
; %bb.3:
                                        ; implicit-def: $vgpr1_vgpr2_vgpr3_vgpr4_vgpr5_vgpr6_vgpr7_vgpr8_vgpr9_vgpr10_vgpr11_vgpr12_vgpr13_vgpr14_vgpr15_vgpr16
	s_delay_alu instid0(VALU_DEP_1)
	s_and_saveexec_b32 s5, s2
	s_cbranch_execz .LBB747_11
; %bb.4:
	v_add_co_u32 v1, s2, s4, v47
	s_delay_alu instid0(VALU_DEP_1) | instskip(SKIP_2) | instid1(SALU_CYCLE_1)
	v_add_co_ci_u32_e64 v2, null, s3, 0, s2
	flat_load_b64 v[1:2], v[1:2]
	s_or_b32 exec_lo, exec_lo, s5
	s_mov_b32 s2, exec_lo
	v_cmpx_gt_u32_e64 s19, v21
	s_cbranch_execnz .LBB747_12
.LBB747_5:
	s_or_b32 exec_lo, exec_lo, s2
	s_delay_alu instid0(SALU_CYCLE_1)
	s_mov_b32 s2, exec_lo
	v_cmpx_gt_u32_e64 s19, v20
	s_cbranch_execz .LBB747_13
.LBB747_6:
	v_lshlrev_b32_e32 v5, 3, v20
	s_delay_alu instid0(VALU_DEP_1) | instskip(NEXT) | instid1(VALU_DEP_1)
	v_add_co_u32 v5, s5, s4, v5
	v_add_co_ci_u32_e64 v6, null, s3, 0, s5
	flat_load_b64 v[5:6], v[5:6]
	s_or_b32 exec_lo, exec_lo, s2
	s_delay_alu instid0(SALU_CYCLE_1)
	s_mov_b32 s2, exec_lo
	v_cmpx_gt_u32_e64 s19, v23
	s_cbranch_execnz .LBB747_14
.LBB747_7:
	s_or_b32 exec_lo, exec_lo, s2
	s_delay_alu instid0(SALU_CYCLE_1)
	s_mov_b32 s2, exec_lo
	v_cmpx_gt_u32_e64 s19, v22
	s_cbranch_execz .LBB747_15
.LBB747_8:
	v_lshlrev_b32_e32 v9, 3, v22
	s_delay_alu instid0(VALU_DEP_1) | instskip(NEXT) | instid1(VALU_DEP_1)
	v_add_co_u32 v9, s5, s4, v9
	v_add_co_ci_u32_e64 v10, null, s3, 0, s5
	flat_load_b64 v[9:10], v[9:10]
	s_or_b32 exec_lo, exec_lo, s2
	s_delay_alu instid0(SALU_CYCLE_1)
	s_mov_b32 s2, exec_lo
	v_cmpx_gt_u32_e64 s19, v18
	s_cbranch_execnz .LBB747_16
.LBB747_9:
	s_or_b32 exec_lo, exec_lo, s2
	s_delay_alu instid0(SALU_CYCLE_1)
	s_mov_b32 s2, exec_lo
	v_cmpx_gt_u32_e64 s19, v17
	s_cbranch_execz .LBB747_17
.LBB747_10:
	v_lshlrev_b32_e32 v13, 3, v17
	s_delay_alu instid0(VALU_DEP_1) | instskip(NEXT) | instid1(VALU_DEP_1)
	v_add_co_u32 v13, s5, s4, v13
	v_add_co_ci_u32_e64 v14, null, s3, 0, s5
	flat_load_b64 v[13:14], v[13:14]
	s_or_b32 exec_lo, exec_lo, s2
	s_delay_alu instid0(SALU_CYCLE_1)
	s_mov_b32 s2, exec_lo
	v_cmpx_gt_u32_e64 s19, v19
	s_cbranch_execnz .LBB747_18
	s_branch .LBB747_19
.LBB747_11:
	s_or_b32 exec_lo, exec_lo, s5
	s_delay_alu instid0(SALU_CYCLE_1)
	s_mov_b32 s2, exec_lo
	v_cmpx_gt_u32_e64 s19, v21
	s_cbranch_execz .LBB747_5
.LBB747_12:
	v_lshlrev_b32_e32 v3, 3, v21
	s_delay_alu instid0(VALU_DEP_1) | instskip(NEXT) | instid1(VALU_DEP_1)
	v_add_co_u32 v3, s5, s4, v3
	v_add_co_ci_u32_e64 v4, null, s3, 0, s5
	flat_load_b64 v[3:4], v[3:4]
	s_or_b32 exec_lo, exec_lo, s2
	s_delay_alu instid0(SALU_CYCLE_1)
	s_mov_b32 s2, exec_lo
	v_cmpx_gt_u32_e64 s19, v20
	s_cbranch_execnz .LBB747_6
.LBB747_13:
	s_or_b32 exec_lo, exec_lo, s2
	s_delay_alu instid0(SALU_CYCLE_1)
	s_mov_b32 s2, exec_lo
	v_cmpx_gt_u32_e64 s19, v23
	s_cbranch_execz .LBB747_7
.LBB747_14:
	v_lshlrev_b32_e32 v7, 3, v23
	s_delay_alu instid0(VALU_DEP_1) | instskip(NEXT) | instid1(VALU_DEP_1)
	v_add_co_u32 v7, s5, s4, v7
	v_add_co_ci_u32_e64 v8, null, s3, 0, s5
	flat_load_b64 v[7:8], v[7:8]
	s_or_b32 exec_lo, exec_lo, s2
	s_delay_alu instid0(SALU_CYCLE_1)
	s_mov_b32 s2, exec_lo
	v_cmpx_gt_u32_e64 s19, v22
	s_cbranch_execnz .LBB747_8
.LBB747_15:
	s_or_b32 exec_lo, exec_lo, s2
	s_delay_alu instid0(SALU_CYCLE_1)
	s_mov_b32 s2, exec_lo
	v_cmpx_gt_u32_e64 s19, v18
	s_cbranch_execz .LBB747_9
.LBB747_16:
	v_lshlrev_b32_e32 v11, 3, v18
	s_delay_alu instid0(VALU_DEP_1) | instskip(NEXT) | instid1(VALU_DEP_1)
	v_add_co_u32 v11, s5, s4, v11
	v_add_co_ci_u32_e64 v12, null, s3, 0, s5
	flat_load_b64 v[11:12], v[11:12]
	s_or_b32 exec_lo, exec_lo, s2
	s_delay_alu instid0(SALU_CYCLE_1)
	s_mov_b32 s2, exec_lo
	v_cmpx_gt_u32_e64 s19, v17
	s_cbranch_execnz .LBB747_10
.LBB747_17:
	s_or_b32 exec_lo, exec_lo, s2
	s_delay_alu instid0(SALU_CYCLE_1)
	s_mov_b32 s2, exec_lo
	v_cmpx_gt_u32_e64 s19, v19
	s_cbranch_execz .LBB747_19
.LBB747_18:
	v_lshlrev_b32_e32 v15, 3, v19
	s_delay_alu instid0(VALU_DEP_1) | instskip(NEXT) | instid1(VALU_DEP_1)
	v_add_co_u32 v15, s5, s4, v15
	v_add_co_ci_u32_e64 v16, null, s3, 0, s5
	flat_load_b64 v[15:16], v[15:16]
.LBB747_19:
	s_or_b32 exec_lo, exec_lo, s2
	v_lshrrev_b32_e32 v25, 2, v21
	v_lshrrev_b32_e32 v26, 2, v20
	;; [unrolled: 1-line block ×4, first 2 shown]
	v_and_b32_e32 v27, 0x78, v24
	v_lshrrev_b32_e32 v30, 2, v18
	v_lshrrev_b32_e32 v31, 2, v17
	;; [unrolled: 1-line block ×3, first 2 shown]
	v_and_b32_e32 v25, 0xf8, v25
	v_and_b32_e32 v26, 0x1f8, v26
	;; [unrolled: 1-line block ×4, first 2 shown]
	v_add_nc_u32_e32 v27, v27, v47
	v_and_b32_e32 v30, 0x3f8, v30
	v_and_b32_e32 v31, 0x3f8, v31
	;; [unrolled: 1-line block ×3, first 2 shown]
	v_add_nc_u32_e32 v25, v25, v47
	v_add_nc_u32_e32 v26, v26, v47
	;; [unrolled: 1-line block ×7, first 2 shown]
	s_waitcnt vmcnt(0) lgkmcnt(0)
	ds_store_b64 v27, v[1:2]
	ds_store_b64 v25, v[3:4] offset:4096
	ds_store_b64 v26, v[5:6] offset:8192
	;; [unrolled: 1-line block ×7, first 2 shown]
	s_waitcnt lgkmcnt(0)
	s_barrier
.LBB747_20:
	v_add_nc_u32_e32 v24, v24, v47
	s_waitcnt lgkmcnt(0)
	buffer_gl0_inv
	s_lshl_b64 s[22:23], s[6:7], 2
	v_lshrrev_b32_e32 v26, 3, v0
	s_add_u32 s2, s12, s22
	v_lshlrev_b32_e32 v25, 3, v24
	s_addc_u32 s5, s13, s23
	s_lshl_b64 s[8:9], s[8:9], 2
	ds_load_2addr_b64 v[13:16], v25 offset1:1
	ds_load_2addr_b64 v[9:12], v25 offset0:2 offset1:3
	ds_load_2addr_b64 v[5:8], v25 offset0:4 offset1:5
	;; [unrolled: 1-line block ×3, first 2 shown]
	s_add_u32 s2, s2, s8
	s_addc_u32 s5, s5, s9
	s_and_b32 vcc_lo, exec_lo, s18
	s_mov_b32 s8, -1
	s_waitcnt lgkmcnt(0)
	s_barrier
	buffer_gl0_inv
	s_cbranch_vccz .LBB747_22
; %bb.21:
	v_lshlrev_b32_e32 v35, 2, v0
	v_lshrrev_b32_e32 v37, 3, v21
	v_lshrrev_b32_e32 v38, 3, v20
	;; [unrolled: 1-line block ×4, first 2 shown]
	v_add_co_u32 v27, s8, s2, v35
	s_delay_alu instid0(VALU_DEP_1) | instskip(SKIP_1) | instid1(VALU_DEP_3)
	v_add_co_ci_u32_e64 v28, null, s5, 0, s8
	v_lshrrev_b32_e32 v41, 3, v18
	v_add_co_u32 v29, vcc_lo, 0x1000, v27
	s_delay_alu instid0(VALU_DEP_3)
	v_add_co_ci_u32_e32 v30, vcc_lo, 0, v28, vcc_lo
	v_add_co_u32 v31, vcc_lo, 0x2000, v27
	v_add_co_ci_u32_e32 v32, vcc_lo, 0, v28, vcc_lo
	v_add_co_u32 v33, vcc_lo, 0x3000, v27
	v_add_co_ci_u32_e32 v34, vcc_lo, 0, v28, vcc_lo
	s_clause 0x7
	flat_load_b32 v36, v[27:28]
	flat_load_b32 v27, v[27:28] offset:2048
	flat_load_b32 v28, v[29:30]
	flat_load_b32 v29, v[29:30] offset:2048
	flat_load_b32 v30, v[31:32]
	flat_load_b32 v31, v[31:32] offset:2048
	flat_load_b32 v32, v[33:34]
	flat_load_b32 v33, v[33:34] offset:2048
	v_and_b32_e32 v34, 60, v26
	v_lshrrev_b32_e32 v42, 3, v17
	v_lshrrev_b32_e32 v43, 3, v19
	v_and_b32_e32 v37, 0x7c, v37
	v_and_b32_e32 v38, 0xbc, v38
	v_and_b32_e32 v39, 0xfc, v39
	v_and_b32_e32 v40, 0x13c, v40
	v_add_nc_u32_e32 v34, v34, v35
	v_and_b32_e32 v41, 0x17c, v41
	v_and_b32_e32 v42, 0x1bc, v42
	v_and_b32_e32 v43, 0x1fc, v43
	v_add_nc_u32_e32 v37, v37, v35
	v_add_nc_u32_e32 v38, v38, v35
	;; [unrolled: 1-line block ×4, first 2 shown]
	s_mov_b32 s8, 0
	v_add_nc_u32_e32 v41, v41, v35
	v_add_nc_u32_e32 v42, v42, v35
	;; [unrolled: 1-line block ×3, first 2 shown]
	s_waitcnt vmcnt(7) lgkmcnt(7)
	ds_store_b32 v34, v36
	s_waitcnt vmcnt(6) lgkmcnt(7)
	ds_store_b32 v37, v27 offset:2048
	s_waitcnt vmcnt(5) lgkmcnt(7)
	ds_store_b32 v38, v28 offset:4096
	;; [unrolled: 2-line block ×7, first 2 shown]
	s_waitcnt lgkmcnt(0)
	s_barrier
.LBB747_22:
	s_and_not1_b32 vcc_lo, exec_lo, s8
	s_cbranch_vccnz .LBB747_40
; %bb.23:
	s_mov_b32 s8, exec_lo
                                        ; implicit-def: $vgpr27
	v_cmpx_gt_u32_e64 s19, v0
	s_cbranch_execz .LBB747_25
; %bb.24:
	v_lshlrev_b32_e32 v27, 2, v0
	s_delay_alu instid0(VALU_DEP_1) | instskip(NEXT) | instid1(VALU_DEP_1)
	v_add_co_u32 v27, s9, s2, v27
	v_add_co_ci_u32_e64 v28, null, s5, 0, s9
	flat_load_b32 v27, v[27:28]
.LBB747_25:
	s_or_b32 exec_lo, exec_lo, s8
	s_delay_alu instid0(SALU_CYCLE_1)
	s_mov_b32 s8, exec_lo
                                        ; implicit-def: $vgpr28
	v_cmpx_gt_u32_e64 s19, v21
	s_cbranch_execz .LBB747_27
; %bb.26:
	v_lshlrev_b32_e32 v28, 2, v0
	s_delay_alu instid0(VALU_DEP_1) | instskip(NEXT) | instid1(VALU_DEP_1)
	v_add_co_u32 v28, s9, s2, v28
	v_add_co_ci_u32_e64 v29, null, s5, 0, s9
	flat_load_b32 v28, v[28:29] offset:2048
.LBB747_27:
	s_or_b32 exec_lo, exec_lo, s8
	s_delay_alu instid0(SALU_CYCLE_1)
	s_mov_b32 s8, exec_lo
                                        ; implicit-def: $vgpr29
	v_cmpx_gt_u32_e64 s19, v20
	s_cbranch_execz .LBB747_29
; %bb.28:
	v_lshlrev_b32_e32 v29, 2, v20
	s_delay_alu instid0(VALU_DEP_1) | instskip(NEXT) | instid1(VALU_DEP_1)
	v_add_co_u32 v29, s9, s2, v29
	v_add_co_ci_u32_e64 v30, null, s5, 0, s9
	flat_load_b32 v29, v[29:30]
.LBB747_29:
	s_or_b32 exec_lo, exec_lo, s8
	s_delay_alu instid0(SALU_CYCLE_1)
	s_mov_b32 s8, exec_lo
                                        ; implicit-def: $vgpr30
	v_cmpx_gt_u32_e64 s19, v23
	s_cbranch_execz .LBB747_31
; %bb.30:
	v_lshlrev_b32_e32 v30, 2, v23
	s_delay_alu instid0(VALU_DEP_1) | instskip(NEXT) | instid1(VALU_DEP_1)
	v_add_co_u32 v30, s9, s2, v30
	v_add_co_ci_u32_e64 v31, null, s5, 0, s9
	flat_load_b32 v30, v[30:31]
.LBB747_31:
	s_or_b32 exec_lo, exec_lo, s8
	s_delay_alu instid0(SALU_CYCLE_1)
	s_mov_b32 s8, exec_lo
                                        ; implicit-def: $vgpr31
	v_cmpx_gt_u32_e64 s19, v22
	s_cbranch_execz .LBB747_33
; %bb.32:
	v_lshlrev_b32_e32 v31, 2, v22
	s_delay_alu instid0(VALU_DEP_1) | instskip(NEXT) | instid1(VALU_DEP_1)
	v_add_co_u32 v31, s9, s2, v31
	v_add_co_ci_u32_e64 v32, null, s5, 0, s9
	flat_load_b32 v31, v[31:32]
.LBB747_33:
	s_or_b32 exec_lo, exec_lo, s8
	s_delay_alu instid0(SALU_CYCLE_1)
	s_mov_b32 s8, exec_lo
                                        ; implicit-def: $vgpr32
	v_cmpx_gt_u32_e64 s19, v18
	s_cbranch_execz .LBB747_35
; %bb.34:
	v_lshlrev_b32_e32 v32, 2, v18
	s_delay_alu instid0(VALU_DEP_1) | instskip(NEXT) | instid1(VALU_DEP_1)
	v_add_co_u32 v32, s9, s2, v32
	v_add_co_ci_u32_e64 v33, null, s5, 0, s9
	flat_load_b32 v32, v[32:33]
.LBB747_35:
	s_or_b32 exec_lo, exec_lo, s8
	s_delay_alu instid0(SALU_CYCLE_1)
	s_mov_b32 s8, exec_lo
                                        ; implicit-def: $vgpr33
	v_cmpx_gt_u32_e64 s19, v17
	s_cbranch_execz .LBB747_37
; %bb.36:
	v_lshlrev_b32_e32 v33, 2, v17
	s_delay_alu instid0(VALU_DEP_1) | instskip(NEXT) | instid1(VALU_DEP_1)
	v_add_co_u32 v33, s9, s2, v33
	v_add_co_ci_u32_e64 v34, null, s5, 0, s9
	flat_load_b32 v33, v[33:34]
.LBB747_37:
	s_or_b32 exec_lo, exec_lo, s8
	s_delay_alu instid0(SALU_CYCLE_1)
	s_mov_b32 s8, exec_lo
                                        ; implicit-def: $vgpr34
	v_cmpx_gt_u32_e64 s19, v19
	s_cbranch_execz .LBB747_39
; %bb.38:
	v_lshlrev_b32_e32 v34, 2, v19
	s_delay_alu instid0(VALU_DEP_1) | instskip(NEXT) | instid1(VALU_DEP_1)
	v_add_co_u32 v34, s2, s2, v34
	v_add_co_ci_u32_e64 v35, null, s5, 0, s2
	flat_load_b32 v34, v[34:35]
.LBB747_39:
	s_or_b32 exec_lo, exec_lo, s8
	v_lshrrev_b32_e32 v21, 3, v21
	v_lshrrev_b32_e32 v20, 3, v20
	;; [unrolled: 1-line block ×4, first 2 shown]
	v_and_b32_e32 v26, 60, v26
	v_lshlrev_b32_e32 v35, 2, v0
	v_lshrrev_b32_e32 v18, 3, v18
	v_lshrrev_b32_e32 v17, 3, v17
	;; [unrolled: 1-line block ×3, first 2 shown]
	v_and_b32_e32 v21, 0x7c, v21
	v_and_b32_e32 v20, 0xfc, v20
	v_and_b32_e32 v23, 0xfc, v23
	v_and_b32_e32 v22, 0x1fc, v22
	v_add_nc_u32_e32 v26, v26, v35
	v_and_b32_e32 v18, 0x1fc, v18
	v_and_b32_e32 v17, 0x1fc, v17
	;; [unrolled: 1-line block ×3, first 2 shown]
	v_add_nc_u32_e32 v21, v21, v35
	v_add_nc_u32_e32 v20, v20, v35
	;; [unrolled: 1-line block ×7, first 2 shown]
	s_waitcnt vmcnt(0) lgkmcnt(0)
	ds_store_b32 v26, v27
	ds_store_b32 v21, v28 offset:2048
	ds_store_b32 v20, v29 offset:4096
	;; [unrolled: 1-line block ×7, first 2 shown]
	s_waitcnt lgkmcnt(0)
	s_barrier
.LBB747_40:
	v_lshlrev_b32_e32 v17, 2, v24
	buffer_gl0_inv
	s_cmp_lg_u32 s15, 0
	s_mov_b32 s12, 0
	s_cselect_b32 s9, -1, 0
	v_sub_nc_u32_e32 v17, v25, v17
	s_cmp_lg_u64 s[6:7], 0
	ds_load_2addr_b32 v[23:24], v17 offset1:1
	ds_load_2addr_b32 v[21:22], v17 offset0:2 offset1:3
	ds_load_2addr_b32 v[19:20], v17 offset0:4 offset1:5
	;; [unrolled: 1-line block ×3, first 2 shown]
	s_cselect_b32 s2, -1, 0
	s_waitcnt lgkmcnt(0)
	s_or_b32 s2, s9, s2
	s_barrier
	s_and_b32 vcc_lo, exec_lo, s2
	buffer_gl0_inv
	s_cbranch_vccz .LBB747_45
; %bb.41:
	v_add_co_u32 v25, s2, -8, s4
	s_delay_alu instid0(VALU_DEP_1)
	v_add_co_ci_u32_e64 v26, null, -1, s3, s2
	s_mov_b32 s3, -1
	s_and_b32 vcc_lo, exec_lo, s18
	flat_load_b64 v[27:28], v[25:26]
	ds_store_b64 v47, v[3:4]
	s_cbranch_vccz .LBB747_46
; %bb.42:
	s_waitcnt vmcnt(0) lgkmcnt(1)
	v_dual_mov_b32 v25, v27 :: v_dual_mov_b32 v26, v28
	s_mov_b32 s3, 0
	s_mov_b32 s2, exec_lo
	s_waitcnt lgkmcnt(0)
	s_barrier
	buffer_gl0_inv
	v_cmpx_ne_u32_e32 0, v0
	s_cbranch_execz .LBB747_44
; %bb.43:
	v_add_nc_u32_e32 v25, -8, v47
	ds_load_b64 v[25:26], v25
.LBB747_44:
	s_or_b32 exec_lo, exec_lo, s2
	v_cmp_ne_u64_e32 vcc_lo, v[1:2], v[3:4]
	s_waitcnt lgkmcnt(0)
	v_cmp_ne_u64_e64 s2, v[25:26], v[13:14]
	v_cndmask_b32_e64 v29, 0, 1, vcc_lo
	v_cmp_ne_u64_e32 vcc_lo, v[7:8], v[1:2]
	s_delay_alu instid0(VALU_DEP_2) | instskip(SKIP_2) | instid1(VALU_DEP_2)
	v_lshlrev_b16 v29, 8, v29
	v_cndmask_b32_e64 v30, 0, 1, vcc_lo
	v_cmp_ne_u64_e32 vcc_lo, v[5:6], v[7:8]
	v_or_b32_e32 v29, v30, v29
	v_cndmask_b32_e64 v31, 0, 1, vcc_lo
	v_cmp_ne_u64_e32 vcc_lo, v[9:10], v[11:12]
	s_delay_alu instid0(VALU_DEP_3) | instskip(NEXT) | instid1(VALU_DEP_3)
	v_lshlrev_b32_e32 v29, 16, v29
	v_lshlrev_b16 v31, 8, v31
	v_cndmask_b32_e64 v32, 0, 1, vcc_lo
	v_cmp_ne_u64_e32 vcc_lo, v[11:12], v[5:6]
	s_delay_alu instid0(VALU_DEP_2) | instskip(SKIP_2) | instid1(VALU_DEP_2)
	v_lshlrev_b16 v32, 8, v32
	v_cndmask_b32_e64 v33, 0, 1, vcc_lo
	v_cmp_ne_u64_e32 vcc_lo, v[15:16], v[9:10]
	v_or_b32_e32 v31, v33, v31
	v_cndmask_b32_e64 v34, 0, 1, vcc_lo
	v_cmp_ne_u64_e32 vcc_lo, v[13:14], v[15:16]
	s_delay_alu instid0(VALU_DEP_3) | instskip(NEXT) | instid1(VALU_DEP_3)
	v_and_b32_e32 v31, 0xffff, v31
	v_or_b32_e32 v32, v34, v32
	v_cndmask_b32_e64 v35, 0, 1, vcc_lo
	s_delay_alu instid0(VALU_DEP_3) | instskip(NEXT) | instid1(VALU_DEP_3)
	v_or_b32_e32 v26, v31, v29
	v_lshlrev_b32_e32 v30, 16, v32
	s_delay_alu instid0(VALU_DEP_3) | instskip(NEXT) | instid1(VALU_DEP_1)
	v_lshlrev_b16 v34, 8, v35
	v_and_b32_e32 v32, 0xffff, v34
	s_delay_alu instid0(VALU_DEP_1)
	v_or_b32_e32 v25, v32, v30
	s_and_b32 vcc_lo, exec_lo, s3
	s_cbranch_vccnz .LBB747_47
	s_branch .LBB747_50
.LBB747_45:
                                        ; implicit-def: $sgpr2
                                        ; implicit-def: $vgpr26
	s_branch .LBB747_51
.LBB747_46:
                                        ; implicit-def: $sgpr2
                                        ; implicit-def: $vgpr26
	s_and_b32 vcc_lo, exec_lo, s3
	s_cbranch_vccz .LBB747_50
.LBB747_47:
	s_mov_b32 s2, exec_lo
	s_waitcnt vmcnt(0) lgkmcnt(0)
	s_barrier
	buffer_gl0_inv
	v_cmpx_ne_u32_e32 0, v0
	s_cbranch_execz .LBB747_49
; %bb.48:
	v_add_nc_u32_e32 v25, -8, v47
	ds_load_b64 v[27:28], v25
.LBB747_49:
	s_or_b32 exec_lo, exec_lo, s2
	v_or_b32_e32 v25, 7, v47
	v_or_b32_e32 v26, 6, v47
	v_cmp_ne_u64_e32 vcc_lo, v[1:2], v[3:4]
	v_or_b32_e32 v29, 5, v47
	v_cmp_ne_u64_e64 s3, v[7:8], v[1:2]
	v_cmp_gt_u32_e64 s2, s19, v25
	v_cmp_gt_u32_e64 s4, s19, v26
	v_cmp_ne_u64_e64 s5, v[5:6], v[7:8]
	v_cmp_gt_u32_e64 s6, s19, v29
	v_or_b32_e32 v29, 3, v47
	s_and_b32 s2, s2, vcc_lo
	v_or_b32_e32 v30, 4, v47
	v_cndmask_b32_e64 v25, 0, 1, s2
	s_and_b32 s2, s4, s3
	v_cmp_ne_u64_e32 vcc_lo, v[9:10], v[11:12]
	v_cndmask_b32_e64 v26, 0, 1, s2
	s_and_b32 s2, s6, s5
	v_cmp_gt_u32_e64 s3, s19, v30
	v_cndmask_b32_e64 v31, 0, 1, s2
	v_cmp_gt_u32_e64 s2, s19, v29
	v_or_b32_e32 v29, 2, v47
	v_or_b32_e32 v30, 1, v47
	v_cmp_ne_u64_e64 s4, v[11:12], v[5:6]
	v_cmp_ne_u64_e64 s6, v[13:14], v[15:16]
	s_and_b32 s2, s2, vcc_lo
	v_cmp_ne_u64_e32 vcc_lo, v[15:16], v[9:10]
	v_cndmask_b32_e64 v32, 0, 1, s2
	v_cmp_gt_u32_e64 s2, s19, v29
	v_cmp_gt_u32_e64 s5, s19, v30
	s_and_b32 s3, s3, s4
	v_lshlrev_b16 v31, 8, v31
	v_cndmask_b32_e64 v29, 0, 1, s3
	s_and_b32 s2, s2, vcc_lo
	v_lshlrev_b16 v32, 8, v32
	v_cndmask_b32_e64 v30, 0, 1, s2
	s_and_b32 s2, s5, s6
	v_lshlrev_b16 v25, 8, v25
	v_cndmask_b32_e64 v33, 0, 1, s2
	v_or_b32_e32 v29, v29, v31
	v_or_b32_e32 v30, v30, v32
	s_waitcnt lgkmcnt(0)
	v_cmp_ne_u64_e32 vcc_lo, v[27:28], v[13:14]
	v_or_b32_e32 v25, v26, v25
	v_lshlrev_b16 v32, 8, v33
	v_and_b32_e32 v29, 0xffff, v29
	v_lshlrev_b32_e32 v26, 16, v30
	v_cmp_gt_u32_e64 s2, s19, v47
	v_lshlrev_b32_e32 v31, 16, v25
	v_and_b32_e32 v30, 0xffff, v32
	s_delay_alu instid0(VALU_DEP_3) | instskip(NEXT) | instid1(VALU_DEP_1)
	s_and_b32 s2, s2, vcc_lo
	v_or_b32_e32 v25, v30, v26
	s_delay_alu instid0(VALU_DEP_3)
	v_or_b32_e32 v26, v29, v31
.LBB747_50:
	s_mov_b32 s12, -1
	s_cbranch_execnz .LBB747_59
.LBB747_51:
	v_cmp_ne_u64_e64 s3, v[1:2], v[3:4]
	v_cmp_ne_u64_e64 s4, v[7:8], v[1:2]
	;; [unrolled: 1-line block ×7, first 2 shown]
	s_and_b32 vcc_lo, exec_lo, s18
	ds_store_b64 v47, v[3:4]
	s_cbranch_vccz .LBB747_55
; %bb.52:
	v_cndmask_b32_e64 v25, 0, 1, s3
	s_waitcnt vmcnt(0) lgkmcnt(2)
	v_cndmask_b32_e64 v27, 0, 1, s5
	v_cndmask_b32_e64 v29, 0, 1, s7
	;; [unrolled: 1-line block ×6, first 2 shown]
	v_lshlrev_b16 v27, 8, v27
	v_lshlrev_b16 v25, 8, v25
	;; [unrolled: 1-line block ×4, first 2 shown]
	s_mov_b32 s3, 0
	v_or_b32_e32 v27, v28, v27
	v_or_b32_e32 v25, v26, v25
	;; [unrolled: 1-line block ×4, first 2 shown]
	s_mov_b32 s4, exec_lo
	v_and_b32_e32 v27, 0xffff, v27
	v_lshlrev_b32_e32 v25, 16, v25
	v_lshlrev_b32_e32 v29, 16, v26
	v_and_b32_e32 v28, 0xffff, v28
	s_waitcnt lgkmcnt(0)
	s_barrier
	v_or_b32_e32 v26, v27, v25
	buffer_gl0_inv
	v_or_b32_e32 v25, v28, v29
                                        ; implicit-def: $sgpr2
	v_cmpx_ne_u32_e32 0, v0
	s_xor_b32 s4, exec_lo, s4
	s_cbranch_execz .LBB747_54
; %bb.53:
	v_add_nc_u32_e32 v27, -8, v47
	s_or_b32 s12, s12, exec_lo
	ds_load_b64 v[27:28], v27
	s_waitcnt lgkmcnt(0)
	v_cmp_ne_u64_e32 vcc_lo, v[27:28], v[13:14]
	s_and_b32 s2, vcc_lo, exec_lo
.LBB747_54:
	s_or_b32 exec_lo, exec_lo, s4
	s_delay_alu instid0(SALU_CYCLE_1)
	s_and_b32 vcc_lo, exec_lo, s3
	s_cbranch_vccnz .LBB747_56
	s_branch .LBB747_59
.LBB747_55:
                                        ; implicit-def: $sgpr2
                                        ; implicit-def: $vgpr26
	s_cbranch_execz .LBB747_59
.LBB747_56:
	v_or_b32_e32 v25, 7, v47
	v_or_b32_e32 v26, 6, v47
	v_cmp_ne_u64_e32 vcc_lo, v[1:2], v[3:4]
	v_cmp_ne_u64_e64 s2, v[7:8], v[1:2]
	s_waitcnt vmcnt(0) lgkmcnt(2)
	v_or_b32_e32 v27, 4, v47
	v_cmp_gt_u32_e64 s3, s19, v25
	v_or_b32_e32 v25, 5, v47
	v_cmp_gt_u32_e64 s5, s19, v26
	v_cmp_ne_u64_e64 s4, v[5:6], v[7:8]
	v_cmp_ne_u64_e64 s6, v[11:12], v[5:6]
	s_and_b32 s3, s3, vcc_lo
	v_cmp_gt_u32_e32 vcc_lo, s19, v25
	v_cndmask_b32_e64 v26, 0, 1, s3
	v_cmp_gt_u32_e64 s3, s19, v27
	s_and_b32 s2, s5, s2
	v_or_b32_e32 v28, 3, v47
	v_cndmask_b32_e64 v25, 0, 1, s2
	s_and_b32 s2, vcc_lo, s4
	v_or_b32_e32 v30, 1, v47
	v_cndmask_b32_e64 v27, 0, 1, s2
	s_and_b32 s2, s3, s6
	v_cmp_ne_u64_e32 vcc_lo, v[9:10], v[11:12]
	v_cndmask_b32_e64 v29, 0, 1, s2
	v_cmp_gt_u32_e64 s2, s19, v28
	v_cmp_ne_u64_e64 s3, v[13:14], v[15:16]
	v_or_b32_e32 v31, 2, v47
	v_cmp_gt_u32_e64 s4, s19, v30
	v_cmp_ne_u64_e64 s5, v[15:16], v[9:10]
	s_and_b32 s2, s2, vcc_lo
	v_lshlrev_b16 v27, 8, v27
	v_cmp_gt_u32_e64 s6, s19, v31
	v_cndmask_b32_e64 v28, 0, 1, s2
	s_and_b32 s2, s4, s3
	v_lshlrev_b16 v26, 8, v26
	v_cndmask_b32_e64 v30, 0, 1, s2
	s_and_b32 s2, s6, s5
	v_lshlrev_b16 v28, 8, v28
	v_cndmask_b32_e64 v31, 0, 1, s2
	v_or_b32_e32 v27, v29, v27
	v_lshlrev_b16 v30, 8, v30
	v_or_b32_e32 v25, v25, v26
	s_mov_b32 s3, exec_lo
	v_or_b32_e32 v26, v31, v28
	v_and_b32_e32 v27, 0xffff, v27
	v_or_b32_e32 v28, 1, v30
	v_lshlrev_b32_e32 v25, 16, v25
	s_waitcnt lgkmcnt(0)
	v_lshlrev_b32_e32 v29, 16, v26
	s_barrier
	v_and_b32_e32 v28, 0xffff, v28
	v_or_b32_e32 v26, v27, v25
	buffer_gl0_inv
                                        ; implicit-def: $sgpr2
	v_or_b32_e32 v25, v28, v29
	v_cmpx_ne_u32_e32 0, v0
	s_cbranch_execz .LBB747_58
; %bb.57:
	v_add_nc_u32_e32 v27, -8, v47
	v_cmp_gt_u32_e64 s2, s19, v47
	s_or_b32 s12, s12, exec_lo
	ds_load_b64 v[27:28], v27
	s_waitcnt lgkmcnt(0)
	v_cmp_ne_u64_e32 vcc_lo, v[27:28], v[13:14]
	s_and_b32 s2, s2, vcc_lo
	s_delay_alu instid0(SALU_CYCLE_1)
	s_and_b32 s2, s2, exec_lo
.LBB747_58:
	s_or_b32 exec_lo, exec_lo, s3
.LBB747_59:
	s_and_saveexec_b32 s3, s12
	s_cbranch_execz .LBB747_61
; %bb.60:
	s_waitcnt vmcnt(0) lgkmcnt(1)
	v_and_b32_e32 v27, 0xffffff00, v25
	v_cndmask_b32_e64 v28, 0, 1, s2
	s_delay_alu instid0(VALU_DEP_1) | instskip(NEXT) | instid1(VALU_DEP_1)
	v_or_b32_e32 v27, v28, v27
	v_and_b32_e32 v27, 0xffff, v27
	s_delay_alu instid0(VALU_DEP_1)
	v_and_or_b32 v25, 0xffff0000, v25, v27
.LBB747_61:
	s_or_b32 exec_lo, exec_lo, s3
	s_load_b64 s[12:13], s[0:1], 0x68
	s_and_not1_b32 vcc_lo, exec_lo, s20
	s_cbranch_vccnz .LBB747_63
; %bb.62:
	v_cmp_gt_u32_e32 vcc_lo, s19, v47
	s_waitcnt vmcnt(0) lgkmcnt(0)
	v_or_b32_e32 v28, 1, v47
	v_and_b32_e32 v29, 0xffffff00, v26
	v_or_b32_e32 v30, 2, v47
	v_cndmask_b32_e32 v27, 0, v25, vcc_lo
	s_delay_alu instid0(VALU_DEP_4) | instskip(SKIP_1) | instid1(VALU_DEP_4)
	v_cmp_gt_u32_e32 vcc_lo, s19, v28
	v_or_b32_e32 v28, 4, v47
	v_cmp_gt_u32_e64 s2, s19, v30
	v_or_b32_e32 v30, 3, v47
	v_and_b32_e32 v27, 0xff, v27
	s_delay_alu instid0(VALU_DEP_2) | instskip(NEXT) | instid1(VALU_DEP_2)
	v_cmp_gt_u32_e64 s3, s19, v30
	v_cndmask_b32_e32 v27, v27, v25, vcc_lo
	v_cmp_gt_u32_e32 vcc_lo, s19, v28
	v_cndmask_b32_e32 v28, v29, v26, vcc_lo
	v_or_b32_e32 v29, 5, v47
	s_delay_alu instid0(VALU_DEP_2) | instskip(SKIP_1) | instid1(VALU_DEP_1)
	v_and_b32_e32 v28, 0xffff00ff, v28
	v_and_b32_e32 v27, 0xffff, v27
	v_cndmask_b32_e64 v27, v27, v25, s2
	s_delay_alu instid0(VALU_DEP_4) | instskip(SKIP_1) | instid1(VALU_DEP_3)
	v_cmp_gt_u32_e64 s2, s19, v29
	v_or_b32_e32 v29, 6, v47
	v_and_b32_e32 v27, 0xffffff, v27
	s_delay_alu instid0(VALU_DEP_3) | instskip(NEXT) | instid1(VALU_DEP_2)
	v_cndmask_b32_e64 v28, v28, v26, s2
	v_cndmask_b32_e64 v27, v27, v25, s3
	s_delay_alu instid0(VALU_DEP_1) | instskip(SKIP_2) | instid1(VALU_DEP_3)
	v_dual_cndmask_b32 v27, v27, v25 :: v_dual_and_b32 v28, 0xff00ffff, v28
	v_cmp_gt_u32_e32 vcc_lo, s19, v29
	v_or_b32_e32 v29, 7, v47
	v_cndmask_b32_e64 v27, v27, v25, s2
	s_delay_alu instid0(VALU_DEP_1) | instskip(NEXT) | instid1(VALU_DEP_1)
	v_dual_cndmask_b32 v28, v28, v26 :: v_dual_cndmask_b32 v27, v27, v25
	v_and_b32_e32 v28, 0xffffff, v28
	s_delay_alu instid0(VALU_DEP_4) | instskip(NEXT) | instid1(VALU_DEP_2)
	v_cmp_gt_u32_e32 vcc_lo, s19, v29
	v_dual_cndmask_b32 v26, v28, v26 :: v_dual_cndmask_b32 v25, v27, v25
.LBB747_63:
	s_delay_alu instid0(VALU_DEP_1) | instskip(SKIP_1) | instid1(VALU_DEP_2)
	v_and_b32_e32 v36, 0xff, v25
	s_waitcnt vmcnt(0) lgkmcnt(0)
	v_alignbit_b32 v27, v26, v25, 24
	v_bfe_u32 v38, v25, 8, 8
	v_bfe_u32 v40, v25, 16, 8
	v_and_b32_e32 v44, 0xff, v26
	v_bfe_u32 v46, v26, 8, 8
	v_and_b32_e32 v42, 0xff, v27
	v_add_nc_u32_e32 v27, v38, v36
	v_mbcnt_lo_u32_b32 v50, -1, 0
	v_bfe_u32 v49, v26, 16, 8
	v_lshrrev_b32_e32 v48, 24, v26
	v_lshrrev_b32_e32 v51, 5, v0
	v_add3_u32 v27, v27, v40, v42
	v_and_b32_e32 v28, 15, v50
	v_and_b32_e32 v29, 16, v50
	s_and_b32 vcc_lo, exec_lo, s9
	s_mov_b32 s19, -1
	v_add3_u32 v27, v27, v44, v46
	v_cmp_eq_u32_e64 s4, 0, v28
	v_cmp_lt_u32_e64 s2, 1, v28
	v_cmp_lt_u32_e64 s5, 3, v28
	;; [unrolled: 1-line block ×3, first 2 shown]
	v_add3_u32 v52, v27, v49, v48
	v_or_b32_e32 v27, 31, v0
	v_cmp_eq_u32_e64 s7, 0, v29
	s_barrier
	buffer_gl0_inv
	v_cmp_eq_u32_e64 s6, v27, v0
	s_cbranch_vccz .LBB747_94
; %bb.64:
	v_mov_b32_dpp v27, v52 row_shr:1 row_mask:0xf bank_mask:0xf
	s_delay_alu instid0(VALU_DEP_1) | instskip(NEXT) | instid1(VALU_DEP_1)
	v_cndmask_b32_e64 v27, v27, 0, s4
	v_add_nc_u32_e32 v27, v27, v52
	s_delay_alu instid0(VALU_DEP_1) | instskip(NEXT) | instid1(VALU_DEP_1)
	v_mov_b32_dpp v28, v27 row_shr:2 row_mask:0xf bank_mask:0xf
	v_cndmask_b32_e64 v28, 0, v28, s2
	s_delay_alu instid0(VALU_DEP_1) | instskip(NEXT) | instid1(VALU_DEP_1)
	v_add_nc_u32_e32 v27, v27, v28
	v_mov_b32_dpp v28, v27 row_shr:4 row_mask:0xf bank_mask:0xf
	s_delay_alu instid0(VALU_DEP_1) | instskip(NEXT) | instid1(VALU_DEP_1)
	v_cndmask_b32_e64 v28, 0, v28, s5
	v_add_nc_u32_e32 v27, v27, v28
	s_delay_alu instid0(VALU_DEP_1) | instskip(NEXT) | instid1(VALU_DEP_1)
	v_mov_b32_dpp v28, v27 row_shr:8 row_mask:0xf bank_mask:0xf
	v_cndmask_b32_e64 v28, 0, v28, s3
	s_delay_alu instid0(VALU_DEP_1) | instskip(SKIP_3) | instid1(VALU_DEP_1)
	v_add_nc_u32_e32 v27, v27, v28
	ds_swizzle_b32 v28, v27 offset:swizzle(BROADCAST,32,15)
	s_waitcnt lgkmcnt(0)
	v_cndmask_b32_e64 v28, v28, 0, s7
	v_add_nc_u32_e32 v27, v27, v28
	s_and_saveexec_b32 s8, s6
	s_cbranch_execz .LBB747_66
; %bb.65:
	v_lshlrev_b32_e32 v28, 2, v51
	ds_store_b32 v28, v27
.LBB747_66:
	s_or_b32 exec_lo, exec_lo, s8
	s_delay_alu instid0(SALU_CYCLE_1)
	s_mov_b32 s8, exec_lo
	s_waitcnt lgkmcnt(0)
	s_barrier
	buffer_gl0_inv
	v_cmpx_gt_u32_e32 16, v0
	s_cbranch_execz .LBB747_68
; %bb.67:
	v_lshlrev_b32_e32 v28, 2, v0
	ds_load_b32 v29, v28
	s_waitcnt lgkmcnt(0)
	v_mov_b32_dpp v30, v29 row_shr:1 row_mask:0xf bank_mask:0xf
	s_delay_alu instid0(VALU_DEP_1) | instskip(NEXT) | instid1(VALU_DEP_1)
	v_cndmask_b32_e64 v30, v30, 0, s4
	v_add_nc_u32_e32 v29, v30, v29
	s_delay_alu instid0(VALU_DEP_1) | instskip(NEXT) | instid1(VALU_DEP_1)
	v_mov_b32_dpp v30, v29 row_shr:2 row_mask:0xf bank_mask:0xf
	v_cndmask_b32_e64 v30, 0, v30, s2
	s_delay_alu instid0(VALU_DEP_1) | instskip(NEXT) | instid1(VALU_DEP_1)
	v_add_nc_u32_e32 v29, v29, v30
	v_mov_b32_dpp v30, v29 row_shr:4 row_mask:0xf bank_mask:0xf
	s_delay_alu instid0(VALU_DEP_1) | instskip(NEXT) | instid1(VALU_DEP_1)
	v_cndmask_b32_e64 v30, 0, v30, s5
	v_add_nc_u32_e32 v29, v29, v30
	s_delay_alu instid0(VALU_DEP_1) | instskip(NEXT) | instid1(VALU_DEP_1)
	v_mov_b32_dpp v30, v29 row_shr:8 row_mask:0xf bank_mask:0xf
	v_cndmask_b32_e64 v30, 0, v30, s3
	s_delay_alu instid0(VALU_DEP_1)
	v_add_nc_u32_e32 v29, v29, v30
	ds_store_b32 v28, v29
.LBB747_68:
	s_or_b32 exec_lo, exec_lo, s8
	v_cmp_gt_u32_e32 vcc_lo, 32, v0
	s_mov_b32 s9, exec_lo
	s_waitcnt lgkmcnt(0)
	s_barrier
	buffer_gl0_inv
                                        ; implicit-def: $vgpr35
	v_cmpx_lt_u32_e32 31, v0
	s_cbranch_execz .LBB747_70
; %bb.69:
	v_lshl_add_u32 v28, v51, 2, -4
	ds_load_b32 v35, v28
	s_waitcnt lgkmcnt(0)
	v_add_nc_u32_e32 v27, v35, v27
.LBB747_70:
	s_or_b32 exec_lo, exec_lo, s9
	v_add_nc_u32_e32 v28, -1, v50
	s_delay_alu instid0(VALU_DEP_1) | instskip(NEXT) | instid1(VALU_DEP_1)
	v_cmp_gt_i32_e64 s8, 0, v28
	v_cndmask_b32_e64 v28, v28, v50, s8
	v_cmp_eq_u32_e64 s8, 0, v50
	s_delay_alu instid0(VALU_DEP_2)
	v_lshlrev_b32_e32 v28, 2, v28
	ds_bpermute_b32 v37, v28, v27
	s_and_saveexec_b32 s9, vcc_lo
	s_cbranch_execz .LBB747_93
; %bb.71:
	v_mov_b32_e32 v31, 0
	ds_load_b32 v27, v31 offset:60
	s_and_saveexec_b32 s19, s8
	s_cbranch_execz .LBB747_73
; %bb.72:
	s_add_i32 s20, s15, 32
	s_mov_b32 s21, 0
	v_mov_b32_e32 v28, 1
	s_lshl_b64 s[20:21], s[20:21], 3
	s_delay_alu instid0(SALU_CYCLE_1)
	s_add_u32 s20, s12, s20
	s_addc_u32 s21, s13, s21
	s_waitcnt lgkmcnt(0)
	global_store_b64 v31, v[27:28], s[20:21]
.LBB747_73:
	s_or_b32 exec_lo, exec_lo, s19
	v_xad_u32 v29, v50, -1, s15
	s_mov_b32 s20, 0
	s_mov_b32 s19, exec_lo
	s_delay_alu instid0(VALU_DEP_1) | instskip(NEXT) | instid1(VALU_DEP_1)
	v_add_nc_u32_e32 v30, 32, v29
	v_lshlrev_b64 v[30:31], 3, v[30:31]
	s_delay_alu instid0(VALU_DEP_1) | instskip(NEXT) | instid1(VALU_DEP_2)
	v_add_co_u32 v33, vcc_lo, s12, v30
	v_add_co_ci_u32_e32 v34, vcc_lo, s13, v31, vcc_lo
	global_load_b64 v[31:32], v[33:34], off glc
	s_waitcnt vmcnt(0)
	v_and_b32_e32 v28, 0xff, v32
	s_delay_alu instid0(VALU_DEP_1)
	v_cmpx_eq_u16_e32 0, v28
	s_cbranch_execz .LBB747_79
; %bb.74:
	s_mov_b32 s21, 1
	.p2align	6
.LBB747_75:                             ; =>This Loop Header: Depth=1
                                        ;     Child Loop BB747_76 Depth 2
	s_delay_alu instid0(SALU_CYCLE_1)
	s_max_u32 s22, s21, 1
.LBB747_76:                             ;   Parent Loop BB747_75 Depth=1
                                        ; =>  This Inner Loop Header: Depth=2
	s_delay_alu instid0(SALU_CYCLE_1)
	s_add_i32 s22, s22, -1
	s_sleep 1
	s_cmp_eq_u32 s22, 0
	s_cbranch_scc0 .LBB747_76
; %bb.77:                               ;   in Loop: Header=BB747_75 Depth=1
	global_load_b64 v[31:32], v[33:34], off glc
	s_cmp_lt_u32 s21, 32
	s_cselect_b32 s22, -1, 0
	s_delay_alu instid0(SALU_CYCLE_1) | instskip(SKIP_3) | instid1(VALU_DEP_1)
	s_cmp_lg_u32 s22, 0
	s_addc_u32 s21, s21, 0
	s_waitcnt vmcnt(0)
	v_and_b32_e32 v28, 0xff, v32
	v_cmp_ne_u16_e32 vcc_lo, 0, v28
	s_or_b32 s20, vcc_lo, s20
	s_delay_alu instid0(SALU_CYCLE_1)
	s_and_not1_b32 exec_lo, exec_lo, s20
	s_cbranch_execnz .LBB747_75
; %bb.78:
	s_or_b32 exec_lo, exec_lo, s20
.LBB747_79:
	s_delay_alu instid0(SALU_CYCLE_1)
	s_or_b32 exec_lo, exec_lo, s19
	v_cmp_ne_u32_e32 vcc_lo, 31, v50
	v_lshlrev_b32_e64 v41, v50, -1
	v_add_nc_u32_e32 v45, 2, v50
	v_add_nc_u32_e32 v58, 16, v50
	v_add_co_ci_u32_e32 v28, vcc_lo, 0, v50, vcc_lo
	s_delay_alu instid0(VALU_DEP_1)
	v_lshlrev_b32_e32 v39, 2, v28
	v_and_b32_e32 v28, 0xff, v32
	ds_bpermute_b32 v30, v39, v31
	v_cmp_eq_u16_e32 vcc_lo, 2, v28
	v_and_or_b32 v28, vcc_lo, v41, 0x80000000
	v_cmp_gt_u32_e32 vcc_lo, 30, v50
	s_delay_alu instid0(VALU_DEP_2) | instskip(SKIP_1) | instid1(VALU_DEP_2)
	v_ctz_i32_b32_e32 v28, v28
	v_cndmask_b32_e64 v33, 0, 1, vcc_lo
	v_cmp_lt_u32_e32 vcc_lo, v50, v28
	s_waitcnt lgkmcnt(0)
	s_delay_alu instid0(VALU_DEP_2) | instskip(NEXT) | instid1(VALU_DEP_1)
	v_dual_cndmask_b32 v30, 0, v30 :: v_dual_lshlrev_b32 v33, 1, v33
	v_add_lshl_u32 v43, v33, v50, 2
	v_cmp_gt_u32_e32 vcc_lo, 28, v50
	s_delay_alu instid0(VALU_DEP_3) | instskip(SKIP_4) | instid1(VALU_DEP_1)
	v_add_nc_u32_e32 v30, v30, v31
	v_cndmask_b32_e64 v33, 0, 1, vcc_lo
	v_cmp_le_u32_e32 vcc_lo, v45, v28
	ds_bpermute_b32 v31, v43, v30
	v_lshlrev_b32_e32 v33, 2, v33
	v_add_lshl_u32 v53, v33, v50, 2
	s_waitcnt lgkmcnt(0)
	v_cndmask_b32_e32 v31, 0, v31, vcc_lo
	v_cmp_gt_u32_e32 vcc_lo, 24, v50
	s_delay_alu instid0(VALU_DEP_2) | instskip(SKIP_4) | instid1(VALU_DEP_2)
	v_add_nc_u32_e32 v30, v30, v31
	v_cndmask_b32_e64 v33, 0, 1, vcc_lo
	ds_bpermute_b32 v31, v53, v30
	v_add_nc_u32_e32 v54, 4, v50
	v_lshlrev_b32_e32 v33, 3, v33
	v_cmp_le_u32_e32 vcc_lo, v54, v28
	s_delay_alu instid0(VALU_DEP_2) | instskip(SKIP_3) | instid1(VALU_DEP_2)
	v_add_lshl_u32 v55, v33, v50, 2
	s_waitcnt lgkmcnt(0)
	v_cndmask_b32_e32 v31, 0, v31, vcc_lo
	v_cmp_gt_u32_e32 vcc_lo, 16, v50
	v_add_nc_u32_e32 v30, v30, v31
	v_cndmask_b32_e64 v33, 0, 1, vcc_lo
	ds_bpermute_b32 v31, v55, v30
	v_add_nc_u32_e32 v56, 8, v50
	v_lshlrev_b32_e32 v33, 4, v33
	s_delay_alu instid0(VALU_DEP_2) | instskip(NEXT) | instid1(VALU_DEP_2)
	v_cmp_le_u32_e32 vcc_lo, v56, v28
	v_add_lshl_u32 v57, v33, v50, 2
	s_waitcnt lgkmcnt(0)
	v_cndmask_b32_e32 v31, 0, v31, vcc_lo
	v_cmp_le_u32_e32 vcc_lo, v58, v28
	s_delay_alu instid0(VALU_DEP_2) | instskip(SKIP_3) | instid1(VALU_DEP_1)
	v_add_nc_u32_e32 v30, v30, v31
	ds_bpermute_b32 v31, v57, v30
	s_waitcnt lgkmcnt(0)
	v_cndmask_b32_e32 v28, 0, v31, vcc_lo
	v_dual_mov_b32 v30, 0 :: v_dual_add_nc_u32 v31, v30, v28
	s_branch .LBB747_81
.LBB747_80:                             ;   in Loop: Header=BB747_81 Depth=1
	s_or_b32 exec_lo, exec_lo, s19
	ds_bpermute_b32 v34, v39, v31
	v_and_b32_e32 v33, 0xff, v32
	v_subrev_nc_u32_e32 v29, 32, v29
	s_delay_alu instid0(VALU_DEP_2) | instskip(SKIP_1) | instid1(VALU_DEP_1)
	v_cmp_eq_u16_e32 vcc_lo, 2, v33
	v_and_or_b32 v33, vcc_lo, v41, 0x80000000
	v_ctz_i32_b32_e32 v33, v33
	s_delay_alu instid0(VALU_DEP_1) | instskip(SKIP_3) | instid1(VALU_DEP_2)
	v_cmp_lt_u32_e32 vcc_lo, v50, v33
	s_waitcnt lgkmcnt(0)
	v_cndmask_b32_e32 v34, 0, v34, vcc_lo
	v_cmp_le_u32_e32 vcc_lo, v45, v33
	v_add_nc_u32_e32 v31, v34, v31
	ds_bpermute_b32 v34, v43, v31
	s_waitcnt lgkmcnt(0)
	v_cndmask_b32_e32 v34, 0, v34, vcc_lo
	v_cmp_le_u32_e32 vcc_lo, v54, v33
	s_delay_alu instid0(VALU_DEP_2) | instskip(SKIP_4) | instid1(VALU_DEP_2)
	v_add_nc_u32_e32 v31, v31, v34
	ds_bpermute_b32 v34, v53, v31
	s_waitcnt lgkmcnt(0)
	v_cndmask_b32_e32 v34, 0, v34, vcc_lo
	v_cmp_le_u32_e32 vcc_lo, v56, v33
	v_add_nc_u32_e32 v31, v31, v34
	ds_bpermute_b32 v34, v55, v31
	s_waitcnt lgkmcnt(0)
	v_cndmask_b32_e32 v34, 0, v34, vcc_lo
	v_cmp_le_u32_e32 vcc_lo, v58, v33
	s_delay_alu instid0(VALU_DEP_2) | instskip(SKIP_3) | instid1(VALU_DEP_1)
	v_add_nc_u32_e32 v31, v31, v34
	ds_bpermute_b32 v34, v57, v31
	s_waitcnt lgkmcnt(0)
	v_cndmask_b32_e32 v33, 0, v34, vcc_lo
	v_add3_u32 v31, v33, v28, v31
.LBB747_81:                             ; =>This Loop Header: Depth=1
                                        ;     Child Loop BB747_84 Depth 2
                                        ;       Child Loop BB747_85 Depth 3
	v_and_b32_e32 v28, 0xff, v32
	s_delay_alu instid0(VALU_DEP_1) | instskip(SKIP_2) | instid1(VALU_DEP_1)
	v_cmp_ne_u16_e32 vcc_lo, 2, v28
	v_cndmask_b32_e64 v28, 0, 1, vcc_lo
	;;#ASMSTART
	;;#ASMEND
	v_cmp_ne_u32_e32 vcc_lo, 0, v28
	v_mov_b32_e32 v28, v31
	s_cmp_lg_u32 vcc_lo, exec_lo
	s_cbranch_scc1 .LBB747_88
; %bb.82:                               ;   in Loop: Header=BB747_81 Depth=1
	v_lshlrev_b64 v[31:32], 3, v[29:30]
	s_mov_b32 s19, exec_lo
	s_delay_alu instid0(VALU_DEP_1) | instskip(NEXT) | instid1(VALU_DEP_2)
	v_add_co_u32 v33, vcc_lo, s12, v31
	v_add_co_ci_u32_e32 v34, vcc_lo, s13, v32, vcc_lo
	global_load_b64 v[31:32], v[33:34], off glc
	s_waitcnt vmcnt(0)
	v_and_b32_e32 v59, 0xff, v32
	s_delay_alu instid0(VALU_DEP_1)
	v_cmpx_eq_u16_e32 0, v59
	s_cbranch_execz .LBB747_80
; %bb.83:                               ;   in Loop: Header=BB747_81 Depth=1
	s_mov_b32 s21, 1
	s_mov_b32 s20, 0
	.p2align	6
.LBB747_84:                             ;   Parent Loop BB747_81 Depth=1
                                        ; =>  This Loop Header: Depth=2
                                        ;       Child Loop BB747_85 Depth 3
	s_max_u32 s22, s21, 1
.LBB747_85:                             ;   Parent Loop BB747_81 Depth=1
                                        ;     Parent Loop BB747_84 Depth=2
                                        ; =>    This Inner Loop Header: Depth=3
	s_delay_alu instid0(SALU_CYCLE_1)
	s_add_i32 s22, s22, -1
	s_sleep 1
	s_cmp_eq_u32 s22, 0
	s_cbranch_scc0 .LBB747_85
; %bb.86:                               ;   in Loop: Header=BB747_84 Depth=2
	global_load_b64 v[31:32], v[33:34], off glc
	s_cmp_lt_u32 s21, 32
	s_cselect_b32 s22, -1, 0
	s_delay_alu instid0(SALU_CYCLE_1) | instskip(SKIP_3) | instid1(VALU_DEP_1)
	s_cmp_lg_u32 s22, 0
	s_addc_u32 s21, s21, 0
	s_waitcnt vmcnt(0)
	v_and_b32_e32 v59, 0xff, v32
	v_cmp_ne_u16_e32 vcc_lo, 0, v59
	s_or_b32 s20, vcc_lo, s20
	s_delay_alu instid0(SALU_CYCLE_1)
	s_and_not1_b32 exec_lo, exec_lo, s20
	s_cbranch_execnz .LBB747_84
; %bb.87:                               ;   in Loop: Header=BB747_81 Depth=1
	s_or_b32 exec_lo, exec_lo, s20
	s_branch .LBB747_80
.LBB747_88:                             ;   in Loop: Header=BB747_81 Depth=1
                                        ; implicit-def: $vgpr31
                                        ; implicit-def: $vgpr32
	s_cbranch_execz .LBB747_81
; %bb.89:
	s_and_saveexec_b32 s19, s8
	s_cbranch_execz .LBB747_91
; %bb.90:
	s_add_i32 s20, s15, 32
	s_mov_b32 s21, 0
	v_dual_mov_b32 v30, 2 :: v_dual_add_nc_u32 v29, v28, v27
	s_lshl_b64 s[20:21], s[20:21], 3
	v_mov_b32_e32 v31, 0
	s_add_u32 s20, s12, s20
	s_addc_u32 s21, s13, s21
	global_store_b64 v31, v[29:30], s[20:21]
	ds_store_b64 v31, v[27:28] offset:33792
.LBB747_91:
	s_or_b32 exec_lo, exec_lo, s19
	v_cmp_eq_u32_e32 vcc_lo, 0, v0
	s_and_b32 exec_lo, exec_lo, vcc_lo
	s_cbranch_execz .LBB747_93
; %bb.92:
	v_mov_b32_e32 v27, 0
	ds_store_b32 v27, v28 offset:60
.LBB747_93:
	s_or_b32 exec_lo, exec_lo, s9
	v_mov_b32_e32 v27, 0
	s_waitcnt lgkmcnt(0)
	s_waitcnt_vscnt null, 0x0
	s_barrier
	buffer_gl0_inv
	v_cndmask_b32_e64 v29, v37, v35, s8
	ds_load_b32 v28, v27 offset:60
	v_cmp_ne_u32_e32 vcc_lo, 0, v0
	s_waitcnt lgkmcnt(0)
	s_barrier
	buffer_gl0_inv
	v_cndmask_b32_e32 v29, 0, v29, vcc_lo
	s_delay_alu instid0(VALU_DEP_1) | instskip(SKIP_2) | instid1(VALU_DEP_1)
	v_add_nc_u32_e32 v45, v28, v29
	ds_load_b64 v[27:28], v27 offset:33792
	v_add_nc_u32_e32 v43, v45, v36
	v_add_nc_u32_e32 v41, v43, v38
	s_delay_alu instid0(VALU_DEP_1) | instskip(NEXT) | instid1(VALU_DEP_1)
	v_add_nc_u32_e32 v39, v41, v40
	v_add_nc_u32_e32 v37, v39, v42
	s_delay_alu instid0(VALU_DEP_1) | instskip(NEXT) | instid1(VALU_DEP_1)
	v_add_nc_u32_e32 v35, v37, v44
	v_add_nc_u32_e32 v33, v35, v46
	s_delay_alu instid0(VALU_DEP_1)
	v_add_nc_u32_e32 v31, v33, v49
	s_load_b64 s[8:9], s[0:1], 0x28
	v_lshrrev_b64 v[29:30], 24, v[25:26]
	s_branch .LBB747_104
.LBB747_94:
                                        ; implicit-def: $vgpr31
                                        ; implicit-def: $vgpr33
                                        ; implicit-def: $vgpr35
                                        ; implicit-def: $vgpr37
                                        ; implicit-def: $vgpr39
                                        ; implicit-def: $vgpr41
                                        ; implicit-def: $vgpr43
                                        ; implicit-def: $vgpr45
                                        ; implicit-def: $vgpr28
	s_load_b64 s[8:9], s[0:1], 0x28
	v_lshrrev_b64 v[29:30], 24, v[25:26]
	s_and_b32 vcc_lo, exec_lo, s19
	s_cbranch_vccz .LBB747_104
; %bb.95:
	s_waitcnt lgkmcnt(0)
	v_mov_b32_dpp v27, v52 row_shr:1 row_mask:0xf bank_mask:0xf
	s_delay_alu instid0(VALU_DEP_1) | instskip(NEXT) | instid1(VALU_DEP_1)
	v_cndmask_b32_e64 v27, v27, 0, s4
	v_add_nc_u32_e32 v27, v27, v52
	s_delay_alu instid0(VALU_DEP_1) | instskip(NEXT) | instid1(VALU_DEP_1)
	v_mov_b32_dpp v28, v27 row_shr:2 row_mask:0xf bank_mask:0xf
	v_cndmask_b32_e64 v28, 0, v28, s2
	s_delay_alu instid0(VALU_DEP_1) | instskip(NEXT) | instid1(VALU_DEP_1)
	v_add_nc_u32_e32 v27, v27, v28
	v_mov_b32_dpp v28, v27 row_shr:4 row_mask:0xf bank_mask:0xf
	s_delay_alu instid0(VALU_DEP_1) | instskip(NEXT) | instid1(VALU_DEP_1)
	v_cndmask_b32_e64 v28, 0, v28, s5
	v_add_nc_u32_e32 v27, v27, v28
	s_delay_alu instid0(VALU_DEP_1) | instskip(NEXT) | instid1(VALU_DEP_1)
	v_mov_b32_dpp v28, v27 row_shr:8 row_mask:0xf bank_mask:0xf
	v_cndmask_b32_e64 v28, 0, v28, s3
	s_delay_alu instid0(VALU_DEP_1) | instskip(SKIP_3) | instid1(VALU_DEP_1)
	v_add_nc_u32_e32 v27, v27, v28
	ds_swizzle_b32 v28, v27 offset:swizzle(BROADCAST,32,15)
	s_waitcnt lgkmcnt(0)
	v_cndmask_b32_e64 v28, v28, 0, s7
	v_add_nc_u32_e32 v27, v27, v28
	s_and_saveexec_b32 s0, s6
	s_cbranch_execz .LBB747_97
; %bb.96:
	v_lshlrev_b32_e32 v28, 2, v51
	ds_store_b32 v28, v27
.LBB747_97:
	s_or_b32 exec_lo, exec_lo, s0
	s_delay_alu instid0(SALU_CYCLE_1)
	s_mov_b32 s0, exec_lo
	s_waitcnt lgkmcnt(0)
	s_barrier
	buffer_gl0_inv
	v_cmpx_gt_u32_e32 16, v0
	s_cbranch_execz .LBB747_99
; %bb.98:
	v_lshlrev_b32_e32 v28, 2, v0
	ds_load_b32 v30, v28
	s_waitcnt lgkmcnt(0)
	v_mov_b32_dpp v31, v30 row_shr:1 row_mask:0xf bank_mask:0xf
	s_delay_alu instid0(VALU_DEP_1) | instskip(NEXT) | instid1(VALU_DEP_1)
	v_cndmask_b32_e64 v31, v31, 0, s4
	v_add_nc_u32_e32 v30, v31, v30
	s_delay_alu instid0(VALU_DEP_1) | instskip(NEXT) | instid1(VALU_DEP_1)
	v_mov_b32_dpp v31, v30 row_shr:2 row_mask:0xf bank_mask:0xf
	v_cndmask_b32_e64 v31, 0, v31, s2
	s_delay_alu instid0(VALU_DEP_1) | instskip(NEXT) | instid1(VALU_DEP_1)
	v_add_nc_u32_e32 v30, v30, v31
	v_mov_b32_dpp v31, v30 row_shr:4 row_mask:0xf bank_mask:0xf
	s_delay_alu instid0(VALU_DEP_1) | instskip(NEXT) | instid1(VALU_DEP_1)
	v_cndmask_b32_e64 v31, 0, v31, s5
	v_add_nc_u32_e32 v30, v30, v31
	s_delay_alu instid0(VALU_DEP_1) | instskip(NEXT) | instid1(VALU_DEP_1)
	v_mov_b32_dpp v31, v30 row_shr:8 row_mask:0xf bank_mask:0xf
	v_cndmask_b32_e64 v31, 0, v31, s3
	s_delay_alu instid0(VALU_DEP_1)
	v_add_nc_u32_e32 v30, v30, v31
	ds_store_b32 v28, v30
.LBB747_99:
	s_or_b32 exec_lo, exec_lo, s0
	v_mov_b32_e32 v28, 0
	v_mov_b32_e32 v30, 0
	s_mov_b32 s0, exec_lo
	s_waitcnt lgkmcnt(0)
	s_barrier
	buffer_gl0_inv
	v_cmpx_lt_u32_e32 31, v0
	s_cbranch_execz .LBB747_101
; %bb.100:
	v_lshl_add_u32 v30, v51, 2, -4
	ds_load_b32 v30, v30
.LBB747_101:
	s_or_b32 exec_lo, exec_lo, s0
	v_add_nc_u32_e32 v31, -1, v50
	s_waitcnt lgkmcnt(0)
	v_add_nc_u32_e32 v27, v30, v27
	s_delay_alu instid0(VALU_DEP_2) | instskip(SKIP_2) | instid1(VALU_DEP_2)
	v_cmp_gt_i32_e32 vcc_lo, 0, v31
	v_cndmask_b32_e32 v31, v31, v50, vcc_lo
	v_cmp_eq_u32_e32 vcc_lo, 0, v0
	v_lshlrev_b32_e32 v31, 2, v31
	ds_bpermute_b32 v31, v31, v27
	ds_load_b32 v27, v28 offset:60
	s_and_saveexec_b32 s0, vcc_lo
	s_cbranch_execz .LBB747_103
; %bb.102:
	v_mov_b32_e32 v32, 0
	v_mov_b32_e32 v28, 2
	s_waitcnt lgkmcnt(0)
	global_store_b64 v32, v[27:28], s[12:13] offset:256
.LBB747_103:
	s_or_b32 exec_lo, exec_lo, s0
	v_cmp_eq_u32_e64 s0, 0, v50
	s_waitcnt lgkmcnt(0)
	s_waitcnt_vscnt null, 0x0
	s_barrier
	buffer_gl0_inv
	v_cndmask_b32_e64 v28, v31, v30, s0
	s_delay_alu instid0(VALU_DEP_1) | instskip(NEXT) | instid1(VALU_DEP_1)
	v_cndmask_b32_e64 v45, v28, 0, vcc_lo
	v_dual_mov_b32 v28, 0 :: v_dual_add_nc_u32 v43, v45, v36
	s_delay_alu instid0(VALU_DEP_1) | instskip(NEXT) | instid1(VALU_DEP_1)
	v_add_nc_u32_e32 v41, v43, v38
	v_add_nc_u32_e32 v39, v41, v40
	s_delay_alu instid0(VALU_DEP_1) | instskip(NEXT) | instid1(VALU_DEP_1)
	v_add_nc_u32_e32 v37, v39, v42
	v_add_nc_u32_e32 v35, v37, v44
	;; [unrolled: 3-line block ×3, first 2 shown]
.LBB747_104:
	s_waitcnt lgkmcnt(0)
	v_cmp_gt_u32_e32 vcc_lo, 0x201, v27
	v_lshrrev_b32_e32 v51, 8, v25
	v_lshrrev_b32_e32 v50, 16, v25
	;; [unrolled: 1-line block ×4, first 2 shown]
	v_cmp_lt_u32_e64 s0, 0x200, v27
	s_mov_b32 s1, -1
	s_cbranch_vccz .LBB747_130
; %bb.105:
	v_add_nc_u32_e32 v32, v28, v27
	s_lshl_b64 s[2:3], s[10:11], 3
	s_delay_alu instid0(SALU_CYCLE_1) | instskip(SKIP_1) | instid1(VALU_DEP_1)
	s_add_u32 s1, s8, s2
	s_addc_u32 s2, s9, s3
	v_cmp_lt_u32_e32 vcc_lo, v45, v32
	s_or_b32 s4, s18, vcc_lo
	s_delay_alu instid0(SALU_CYCLE_1)
	s_and_saveexec_b32 s3, s4
	s_cbranch_execz .LBB747_108
; %bb.106:
	v_and_b32_e32 v34, 1, v25
	s_delay_alu instid0(VALU_DEP_1)
	v_cmp_eq_u32_e32 vcc_lo, 1, v34
	s_and_b32 exec_lo, exec_lo, vcc_lo
	s_cbranch_execz .LBB747_108
; %bb.107:
	v_mov_b32_e32 v46, 0
	s_delay_alu instid0(VALU_DEP_1) | instskip(NEXT) | instid1(VALU_DEP_1)
	v_lshlrev_b64 v[52:53], 3, v[45:46]
	v_add_co_u32 v52, vcc_lo, s1, v52
	s_delay_alu instid0(VALU_DEP_2)
	v_add_co_ci_u32_e32 v53, vcc_lo, s2, v53, vcc_lo
	global_store_b64 v[52:53], v[13:14], off
.LBB747_108:
	s_or_b32 exec_lo, exec_lo, s3
	v_cmp_lt_u32_e32 vcc_lo, v43, v32
	s_or_b32 s4, s18, vcc_lo
	s_delay_alu instid0(SALU_CYCLE_1)
	s_and_saveexec_b32 s3, s4
	s_cbranch_execz .LBB747_111
; %bb.109:
	v_and_b32_e32 v34, 1, v51
	s_delay_alu instid0(VALU_DEP_1)
	v_cmp_eq_u32_e32 vcc_lo, 1, v34
	s_and_b32 exec_lo, exec_lo, vcc_lo
	s_cbranch_execz .LBB747_111
; %bb.110:
	v_mov_b32_e32 v44, 0
	s_delay_alu instid0(VALU_DEP_1) | instskip(NEXT) | instid1(VALU_DEP_1)
	v_lshlrev_b64 v[52:53], 3, v[43:44]
	v_add_co_u32 v52, vcc_lo, s1, v52
	s_delay_alu instid0(VALU_DEP_2)
	v_add_co_ci_u32_e32 v53, vcc_lo, s2, v53, vcc_lo
	global_store_b64 v[52:53], v[15:16], off
.LBB747_111:
	s_or_b32 exec_lo, exec_lo, s3
	;; [unrolled: 21-line block ×8, first 2 shown]
	s_mov_b32 s1, 0
.LBB747_130:
	v_and_b32_e32 v25, 1, v25
	s_and_b32 vcc_lo, exec_lo, s1
	s_delay_alu instid0(VALU_DEP_1)
	v_cmp_eq_u32_e64 s1, 1, v25
	s_cbranch_vccz .LBB747_151
; %bb.131:
	s_delay_alu instid0(VALU_DEP_1)
	s_and_saveexec_b32 s2, s1
	s_cbranch_execz .LBB747_133
; %bb.132:
	v_sub_nc_u32_e32 v32, v45, v28
	s_delay_alu instid0(VALU_DEP_1)
	v_lshlrev_b32_e32 v32, 3, v32
	ds_store_b64 v32, v[13:14]
.LBB747_133:
	s_or_b32 exec_lo, exec_lo, s2
	v_and_b32_e32 v13, 1, v51
	s_mov_b32 s1, exec_lo
	s_delay_alu instid0(VALU_DEP_1)
	v_cmpx_eq_u32_e32 1, v13
	s_cbranch_execz .LBB747_135
; %bb.134:
	v_sub_nc_u32_e32 v13, v43, v28
	s_delay_alu instid0(VALU_DEP_1)
	v_lshlrev_b32_e32 v13, 3, v13
	ds_store_b64 v13, v[15:16]
.LBB747_135:
	s_or_b32 exec_lo, exec_lo, s1
	v_and_b32_e32 v13, 1, v50
	s_mov_b32 s1, exec_lo
	s_delay_alu instid0(VALU_DEP_1)
	v_cmpx_eq_u32_e32 1, v13
	s_cbranch_execz .LBB747_137
; %bb.136:
	v_sub_nc_u32_e32 v13, v41, v28
	s_delay_alu instid0(VALU_DEP_1)
	v_lshlrev_b32_e32 v13, 3, v13
	ds_store_b64 v13, v[9:10]
.LBB747_137:
	s_or_b32 exec_lo, exec_lo, s1
	v_and_b32_e32 v9, 1, v29
	s_mov_b32 s1, exec_lo
	s_delay_alu instid0(VALU_DEP_1)
	v_cmpx_eq_u32_e32 1, v9
	s_cbranch_execz .LBB747_139
; %bb.138:
	v_sub_nc_u32_e32 v9, v39, v28
	s_delay_alu instid0(VALU_DEP_1)
	v_lshlrev_b32_e32 v9, 3, v9
	ds_store_b64 v9, v[11:12]
.LBB747_139:
	s_or_b32 exec_lo, exec_lo, s1
	v_and_b32_e32 v9, 1, v26
	s_mov_b32 s1, exec_lo
	s_delay_alu instid0(VALU_DEP_1)
	v_cmpx_eq_u32_e32 1, v9
	s_cbranch_execz .LBB747_141
; %bb.140:
	v_sub_nc_u32_e32 v9, v37, v28
	s_delay_alu instid0(VALU_DEP_1)
	v_lshlrev_b32_e32 v9, 3, v9
	ds_store_b64 v9, v[5:6]
.LBB747_141:
	s_or_b32 exec_lo, exec_lo, s1
	v_and_b32_e32 v5, 1, v49
	s_mov_b32 s1, exec_lo
	s_delay_alu instid0(VALU_DEP_1)
	v_cmpx_eq_u32_e32 1, v5
	s_cbranch_execz .LBB747_143
; %bb.142:
	v_sub_nc_u32_e32 v5, v35, v28
	s_delay_alu instid0(VALU_DEP_1)
	v_lshlrev_b32_e32 v5, 3, v5
	ds_store_b64 v5, v[7:8]
.LBB747_143:
	s_or_b32 exec_lo, exec_lo, s1
	v_and_b32_e32 v5, 1, v30
	s_mov_b32 s1, exec_lo
	s_delay_alu instid0(VALU_DEP_1)
	v_cmpx_eq_u32_e32 1, v5
	s_cbranch_execz .LBB747_145
; %bb.144:
	v_sub_nc_u32_e32 v5, v33, v28
	s_delay_alu instid0(VALU_DEP_1)
	v_lshlrev_b32_e32 v5, 3, v5
	ds_store_b64 v5, v[1:2]
.LBB747_145:
	s_or_b32 exec_lo, exec_lo, s1
	v_and_b32_e32 v1, 1, v48
	s_mov_b32 s1, exec_lo
	s_delay_alu instid0(VALU_DEP_1)
	v_cmpx_eq_u32_e32 1, v1
	s_cbranch_execz .LBB747_147
; %bb.146:
	v_sub_nc_u32_e32 v1, v31, v28
	s_delay_alu instid0(VALU_DEP_1)
	v_lshlrev_b32_e32 v1, 3, v1
	ds_store_b64 v1, v[3:4]
.LBB747_147:
	s_or_b32 exec_lo, exec_lo, s1
	s_delay_alu instid0(SALU_CYCLE_1)
	s_mov_b32 s2, exec_lo
	s_waitcnt lgkmcnt(0)
	s_waitcnt_vscnt null, 0x0
	s_barrier
	buffer_gl0_inv
	v_cmpx_lt_u32_e64 v0, v27
	s_cbranch_execz .LBB747_150
; %bb.148:
	v_dual_mov_b32 v2, 0 :: v_dual_mov_b32 v1, v28
	s_lshl_b64 s[4:5], s[10:11], 3
	v_mov_b32_e32 v3, v0
	s_mov_b32 s3, 0
	s_delay_alu instid0(VALU_DEP_2) | instskip(NEXT) | instid1(VALU_DEP_1)
	v_lshlrev_b64 v[1:2], 3, v[1:2]
	v_add_co_u32 v1, vcc_lo, s4, v1
	s_delay_alu instid0(VALU_DEP_2) | instskip(NEXT) | instid1(VALU_DEP_2)
	v_add_co_ci_u32_e32 v2, vcc_lo, s5, v2, vcc_lo
	v_add_co_u32 v1, vcc_lo, s8, v1
	s_delay_alu instid0(VALU_DEP_2) | instskip(NEXT) | instid1(VALU_DEP_2)
	v_add_co_ci_u32_e32 v2, vcc_lo, s9, v2, vcc_lo
	v_add_co_u32 v1, vcc_lo, v1, v47
	s_delay_alu instid0(VALU_DEP_2)
	v_add_co_ci_u32_e32 v2, vcc_lo, 0, v2, vcc_lo
	.p2align	6
.LBB747_149:                            ; =>This Inner Loop Header: Depth=1
	ds_load_b64 v[4:5], v47
	v_add_nc_u32_e32 v3, 0x200, v3
	v_add_nc_u32_e32 v47, 0x1000, v47
	s_delay_alu instid0(VALU_DEP_2) | instskip(SKIP_4) | instid1(VALU_DEP_1)
	v_cmp_ge_u32_e32 vcc_lo, v3, v27
	s_or_b32 s3, vcc_lo, s3
	s_waitcnt lgkmcnt(0)
	global_store_b64 v[1:2], v[4:5], off
	v_add_co_u32 v1, s1, 0x1000, v1
	v_add_co_ci_u32_e64 v2, s1, 0, v2, s1
	s_and_not1_b32 exec_lo, exec_lo, s3
	s_cbranch_execnz .LBB747_149
.LBB747_150:
	s_or_b32 exec_lo, exec_lo, s2
.LBB747_151:
	s_delay_alu instid0(SALU_CYCLE_1)
	s_and_not1_b32 vcc_lo, exec_lo, s0
	s_waitcnt_vscnt null, 0x0
	s_barrier
	buffer_gl0_inv
	s_cbranch_vccnz .LBB747_170
; %bb.152:
	s_mov_b32 s0, exec_lo
	v_cmpx_eq_u32_e32 1, v25
	s_cbranch_execz .LBB747_154
; %bb.153:
	v_sub_nc_u32_e32 v1, v45, v28
	s_delay_alu instid0(VALU_DEP_1)
	v_lshlrev_b32_e32 v1, 2, v1
	ds_store_b32 v1, v23
.LBB747_154:
	s_or_b32 exec_lo, exec_lo, s0
	v_and_b32_e32 v1, 1, v51
	s_mov_b32 s0, exec_lo
	s_delay_alu instid0(VALU_DEP_1)
	v_cmpx_eq_u32_e32 1, v1
	s_cbranch_execz .LBB747_156
; %bb.155:
	v_sub_nc_u32_e32 v1, v43, v28
	s_delay_alu instid0(VALU_DEP_1)
	v_lshlrev_b32_e32 v1, 2, v1
	ds_store_b32 v1, v24
.LBB747_156:
	s_or_b32 exec_lo, exec_lo, s0
	v_and_b32_e32 v1, 1, v50
	s_mov_b32 s0, exec_lo
	s_delay_alu instid0(VALU_DEP_1)
	;; [unrolled: 12-line block ×7, first 2 shown]
	v_cmpx_eq_u32_e32 1, v1
	s_cbranch_execz .LBB747_168
; %bb.167:
	v_sub_nc_u32_e32 v1, v31, v28
	s_delay_alu instid0(VALU_DEP_1)
	v_lshlrev_b32_e32 v1, 2, v1
	ds_store_b32 v1, v18
.LBB747_168:
	s_or_b32 exec_lo, exec_lo, s0
	s_waitcnt lgkmcnt(0)
	s_barrier
	buffer_gl0_inv
	v_cmp_eq_u32_e32 vcc_lo, 0, v0
	s_and_b32 s0, vcc_lo, s14
	s_delay_alu instid0(SALU_CYCLE_1)
	s_and_saveexec_b32 s1, s0
	s_cbranch_execnz .LBB747_171
.LBB747_169:
	s_endpgm
.LBB747_170:
	v_cmp_eq_u32_e32 vcc_lo, 0, v0
	s_and_b32 s0, vcc_lo, s14
	s_delay_alu instid0(SALU_CYCLE_1)
	s_and_saveexec_b32 s1, s0
	s_cbranch_execz .LBB747_169
.LBB747_171:
	v_add_co_u32 v0, s0, s10, v27
	s_delay_alu instid0(VALU_DEP_1) | instskip(SKIP_1) | instid1(VALU_DEP_3)
	v_add_co_ci_u32_e64 v1, null, s11, 0, s0
	v_mov_b32_e32 v2, 0
	v_add_co_u32 v0, vcc_lo, v0, v28
	s_delay_alu instid0(VALU_DEP_3)
	v_add_co_ci_u32_e32 v1, vcc_lo, 0, v1, vcc_lo
	global_store_b64 v2, v[0:1], s[16:17]
	s_nop 0
	s_sendmsg sendmsg(MSG_DEALLOC_VGPRS)
	s_endpgm
	.section	.rodata,"a",@progbits
	.p2align	6, 0x0
	.amdhsa_kernel _ZN7rocprim17ROCPRIM_400000_NS6detail17trampoline_kernelINS0_14default_configENS1_25partition_config_selectorILNS1_17partition_subalgoE9EyjbEEZZNS1_14partition_implILS5_9ELb0ES3_jN6thrust23THRUST_200600_302600_NS6detail15normal_iteratorINS9_10device_ptrIyEEEENSB_INSC_IjEEEEPNS0_10empty_typeENS0_5tupleIJSE_SH_EEENSJ_IJNS9_16discard_iteratorINS9_11use_defaultEEESI_EEENS0_18inequality_wrapperINS9_8equal_toIyEEEEPmJSH_EEE10hipError_tPvRmT3_T4_T5_T6_T7_T9_mT8_P12ihipStream_tbDpT10_ENKUlT_T0_E_clISt17integral_constantIbLb1EES1C_IbLb0EEEEDaS18_S19_EUlS18_E_NS1_11comp_targetILNS1_3genE9ELNS1_11target_archE1100ELNS1_3gpuE3ELNS1_3repE0EEENS1_30default_config_static_selectorELNS0_4arch9wavefront6targetE0EEEvT1_
		.amdhsa_group_segment_fixed_size 33800
		.amdhsa_private_segment_fixed_size 0
		.amdhsa_kernarg_size 120
		.amdhsa_user_sgpr_count 15
		.amdhsa_user_sgpr_dispatch_ptr 0
		.amdhsa_user_sgpr_queue_ptr 0
		.amdhsa_user_sgpr_kernarg_segment_ptr 1
		.amdhsa_user_sgpr_dispatch_id 0
		.amdhsa_user_sgpr_private_segment_size 0
		.amdhsa_wavefront_size32 1
		.amdhsa_uses_dynamic_stack 0
		.amdhsa_enable_private_segment 0
		.amdhsa_system_sgpr_workgroup_id_x 1
		.amdhsa_system_sgpr_workgroup_id_y 0
		.amdhsa_system_sgpr_workgroup_id_z 0
		.amdhsa_system_sgpr_workgroup_info 0
		.amdhsa_system_vgpr_workitem_id 0
		.amdhsa_next_free_vgpr 60
		.amdhsa_next_free_sgpr 24
		.amdhsa_reserve_vcc 1
		.amdhsa_float_round_mode_32 0
		.amdhsa_float_round_mode_16_64 0
		.amdhsa_float_denorm_mode_32 3
		.amdhsa_float_denorm_mode_16_64 3
		.amdhsa_dx10_clamp 1
		.amdhsa_ieee_mode 1
		.amdhsa_fp16_overflow 0
		.amdhsa_workgroup_processor_mode 1
		.amdhsa_memory_ordered 1
		.amdhsa_forward_progress 0
		.amdhsa_shared_vgpr_count 0
		.amdhsa_exception_fp_ieee_invalid_op 0
		.amdhsa_exception_fp_denorm_src 0
		.amdhsa_exception_fp_ieee_div_zero 0
		.amdhsa_exception_fp_ieee_overflow 0
		.amdhsa_exception_fp_ieee_underflow 0
		.amdhsa_exception_fp_ieee_inexact 0
		.amdhsa_exception_int_div_zero 0
	.end_amdhsa_kernel
	.section	.text._ZN7rocprim17ROCPRIM_400000_NS6detail17trampoline_kernelINS0_14default_configENS1_25partition_config_selectorILNS1_17partition_subalgoE9EyjbEEZZNS1_14partition_implILS5_9ELb0ES3_jN6thrust23THRUST_200600_302600_NS6detail15normal_iteratorINS9_10device_ptrIyEEEENSB_INSC_IjEEEEPNS0_10empty_typeENS0_5tupleIJSE_SH_EEENSJ_IJNS9_16discard_iteratorINS9_11use_defaultEEESI_EEENS0_18inequality_wrapperINS9_8equal_toIyEEEEPmJSH_EEE10hipError_tPvRmT3_T4_T5_T6_T7_T9_mT8_P12ihipStream_tbDpT10_ENKUlT_T0_E_clISt17integral_constantIbLb1EES1C_IbLb0EEEEDaS18_S19_EUlS18_E_NS1_11comp_targetILNS1_3genE9ELNS1_11target_archE1100ELNS1_3gpuE3ELNS1_3repE0EEENS1_30default_config_static_selectorELNS0_4arch9wavefront6targetE0EEEvT1_,"axG",@progbits,_ZN7rocprim17ROCPRIM_400000_NS6detail17trampoline_kernelINS0_14default_configENS1_25partition_config_selectorILNS1_17partition_subalgoE9EyjbEEZZNS1_14partition_implILS5_9ELb0ES3_jN6thrust23THRUST_200600_302600_NS6detail15normal_iteratorINS9_10device_ptrIyEEEENSB_INSC_IjEEEEPNS0_10empty_typeENS0_5tupleIJSE_SH_EEENSJ_IJNS9_16discard_iteratorINS9_11use_defaultEEESI_EEENS0_18inequality_wrapperINS9_8equal_toIyEEEEPmJSH_EEE10hipError_tPvRmT3_T4_T5_T6_T7_T9_mT8_P12ihipStream_tbDpT10_ENKUlT_T0_E_clISt17integral_constantIbLb1EES1C_IbLb0EEEEDaS18_S19_EUlS18_E_NS1_11comp_targetILNS1_3genE9ELNS1_11target_archE1100ELNS1_3gpuE3ELNS1_3repE0EEENS1_30default_config_static_selectorELNS0_4arch9wavefront6targetE0EEEvT1_,comdat
.Lfunc_end747:
	.size	_ZN7rocprim17ROCPRIM_400000_NS6detail17trampoline_kernelINS0_14default_configENS1_25partition_config_selectorILNS1_17partition_subalgoE9EyjbEEZZNS1_14partition_implILS5_9ELb0ES3_jN6thrust23THRUST_200600_302600_NS6detail15normal_iteratorINS9_10device_ptrIyEEEENSB_INSC_IjEEEEPNS0_10empty_typeENS0_5tupleIJSE_SH_EEENSJ_IJNS9_16discard_iteratorINS9_11use_defaultEEESI_EEENS0_18inequality_wrapperINS9_8equal_toIyEEEEPmJSH_EEE10hipError_tPvRmT3_T4_T5_T6_T7_T9_mT8_P12ihipStream_tbDpT10_ENKUlT_T0_E_clISt17integral_constantIbLb1EES1C_IbLb0EEEEDaS18_S19_EUlS18_E_NS1_11comp_targetILNS1_3genE9ELNS1_11target_archE1100ELNS1_3gpuE3ELNS1_3repE0EEENS1_30default_config_static_selectorELNS0_4arch9wavefront6targetE0EEEvT1_, .Lfunc_end747-_ZN7rocprim17ROCPRIM_400000_NS6detail17trampoline_kernelINS0_14default_configENS1_25partition_config_selectorILNS1_17partition_subalgoE9EyjbEEZZNS1_14partition_implILS5_9ELb0ES3_jN6thrust23THRUST_200600_302600_NS6detail15normal_iteratorINS9_10device_ptrIyEEEENSB_INSC_IjEEEEPNS0_10empty_typeENS0_5tupleIJSE_SH_EEENSJ_IJNS9_16discard_iteratorINS9_11use_defaultEEESI_EEENS0_18inequality_wrapperINS9_8equal_toIyEEEEPmJSH_EEE10hipError_tPvRmT3_T4_T5_T6_T7_T9_mT8_P12ihipStream_tbDpT10_ENKUlT_T0_E_clISt17integral_constantIbLb1EES1C_IbLb0EEEEDaS18_S19_EUlS18_E_NS1_11comp_targetILNS1_3genE9ELNS1_11target_archE1100ELNS1_3gpuE3ELNS1_3repE0EEENS1_30default_config_static_selectorELNS0_4arch9wavefront6targetE0EEEvT1_
                                        ; -- End function
	.section	.AMDGPU.csdata,"",@progbits
; Kernel info:
; codeLenInByte = 8572
; NumSgprs: 26
; NumVgprs: 60
; ScratchSize: 0
; MemoryBound: 0
; FloatMode: 240
; IeeeMode: 1
; LDSByteSize: 33800 bytes/workgroup (compile time only)
; SGPRBlocks: 3
; VGPRBlocks: 7
; NumSGPRsForWavesPerEU: 26
; NumVGPRsForWavesPerEU: 60
; Occupancy: 12
; WaveLimiterHint : 1
; COMPUTE_PGM_RSRC2:SCRATCH_EN: 0
; COMPUTE_PGM_RSRC2:USER_SGPR: 15
; COMPUTE_PGM_RSRC2:TRAP_HANDLER: 0
; COMPUTE_PGM_RSRC2:TGID_X_EN: 1
; COMPUTE_PGM_RSRC2:TGID_Y_EN: 0
; COMPUTE_PGM_RSRC2:TGID_Z_EN: 0
; COMPUTE_PGM_RSRC2:TIDIG_COMP_CNT: 0
	.section	.text._ZN7rocprim17ROCPRIM_400000_NS6detail17trampoline_kernelINS0_14default_configENS1_25partition_config_selectorILNS1_17partition_subalgoE9EyjbEEZZNS1_14partition_implILS5_9ELb0ES3_jN6thrust23THRUST_200600_302600_NS6detail15normal_iteratorINS9_10device_ptrIyEEEENSB_INSC_IjEEEEPNS0_10empty_typeENS0_5tupleIJSE_SH_EEENSJ_IJNS9_16discard_iteratorINS9_11use_defaultEEESI_EEENS0_18inequality_wrapperINS9_8equal_toIyEEEEPmJSH_EEE10hipError_tPvRmT3_T4_T5_T6_T7_T9_mT8_P12ihipStream_tbDpT10_ENKUlT_T0_E_clISt17integral_constantIbLb1EES1C_IbLb0EEEEDaS18_S19_EUlS18_E_NS1_11comp_targetILNS1_3genE8ELNS1_11target_archE1030ELNS1_3gpuE2ELNS1_3repE0EEENS1_30default_config_static_selectorELNS0_4arch9wavefront6targetE0EEEvT1_,"axG",@progbits,_ZN7rocprim17ROCPRIM_400000_NS6detail17trampoline_kernelINS0_14default_configENS1_25partition_config_selectorILNS1_17partition_subalgoE9EyjbEEZZNS1_14partition_implILS5_9ELb0ES3_jN6thrust23THRUST_200600_302600_NS6detail15normal_iteratorINS9_10device_ptrIyEEEENSB_INSC_IjEEEEPNS0_10empty_typeENS0_5tupleIJSE_SH_EEENSJ_IJNS9_16discard_iteratorINS9_11use_defaultEEESI_EEENS0_18inequality_wrapperINS9_8equal_toIyEEEEPmJSH_EEE10hipError_tPvRmT3_T4_T5_T6_T7_T9_mT8_P12ihipStream_tbDpT10_ENKUlT_T0_E_clISt17integral_constantIbLb1EES1C_IbLb0EEEEDaS18_S19_EUlS18_E_NS1_11comp_targetILNS1_3genE8ELNS1_11target_archE1030ELNS1_3gpuE2ELNS1_3repE0EEENS1_30default_config_static_selectorELNS0_4arch9wavefront6targetE0EEEvT1_,comdat
	.protected	_ZN7rocprim17ROCPRIM_400000_NS6detail17trampoline_kernelINS0_14default_configENS1_25partition_config_selectorILNS1_17partition_subalgoE9EyjbEEZZNS1_14partition_implILS5_9ELb0ES3_jN6thrust23THRUST_200600_302600_NS6detail15normal_iteratorINS9_10device_ptrIyEEEENSB_INSC_IjEEEEPNS0_10empty_typeENS0_5tupleIJSE_SH_EEENSJ_IJNS9_16discard_iteratorINS9_11use_defaultEEESI_EEENS0_18inequality_wrapperINS9_8equal_toIyEEEEPmJSH_EEE10hipError_tPvRmT3_T4_T5_T6_T7_T9_mT8_P12ihipStream_tbDpT10_ENKUlT_T0_E_clISt17integral_constantIbLb1EES1C_IbLb0EEEEDaS18_S19_EUlS18_E_NS1_11comp_targetILNS1_3genE8ELNS1_11target_archE1030ELNS1_3gpuE2ELNS1_3repE0EEENS1_30default_config_static_selectorELNS0_4arch9wavefront6targetE0EEEvT1_ ; -- Begin function _ZN7rocprim17ROCPRIM_400000_NS6detail17trampoline_kernelINS0_14default_configENS1_25partition_config_selectorILNS1_17partition_subalgoE9EyjbEEZZNS1_14partition_implILS5_9ELb0ES3_jN6thrust23THRUST_200600_302600_NS6detail15normal_iteratorINS9_10device_ptrIyEEEENSB_INSC_IjEEEEPNS0_10empty_typeENS0_5tupleIJSE_SH_EEENSJ_IJNS9_16discard_iteratorINS9_11use_defaultEEESI_EEENS0_18inequality_wrapperINS9_8equal_toIyEEEEPmJSH_EEE10hipError_tPvRmT3_T4_T5_T6_T7_T9_mT8_P12ihipStream_tbDpT10_ENKUlT_T0_E_clISt17integral_constantIbLb1EES1C_IbLb0EEEEDaS18_S19_EUlS18_E_NS1_11comp_targetILNS1_3genE8ELNS1_11target_archE1030ELNS1_3gpuE2ELNS1_3repE0EEENS1_30default_config_static_selectorELNS0_4arch9wavefront6targetE0EEEvT1_
	.globl	_ZN7rocprim17ROCPRIM_400000_NS6detail17trampoline_kernelINS0_14default_configENS1_25partition_config_selectorILNS1_17partition_subalgoE9EyjbEEZZNS1_14partition_implILS5_9ELb0ES3_jN6thrust23THRUST_200600_302600_NS6detail15normal_iteratorINS9_10device_ptrIyEEEENSB_INSC_IjEEEEPNS0_10empty_typeENS0_5tupleIJSE_SH_EEENSJ_IJNS9_16discard_iteratorINS9_11use_defaultEEESI_EEENS0_18inequality_wrapperINS9_8equal_toIyEEEEPmJSH_EEE10hipError_tPvRmT3_T4_T5_T6_T7_T9_mT8_P12ihipStream_tbDpT10_ENKUlT_T0_E_clISt17integral_constantIbLb1EES1C_IbLb0EEEEDaS18_S19_EUlS18_E_NS1_11comp_targetILNS1_3genE8ELNS1_11target_archE1030ELNS1_3gpuE2ELNS1_3repE0EEENS1_30default_config_static_selectorELNS0_4arch9wavefront6targetE0EEEvT1_
	.p2align	8
	.type	_ZN7rocprim17ROCPRIM_400000_NS6detail17trampoline_kernelINS0_14default_configENS1_25partition_config_selectorILNS1_17partition_subalgoE9EyjbEEZZNS1_14partition_implILS5_9ELb0ES3_jN6thrust23THRUST_200600_302600_NS6detail15normal_iteratorINS9_10device_ptrIyEEEENSB_INSC_IjEEEEPNS0_10empty_typeENS0_5tupleIJSE_SH_EEENSJ_IJNS9_16discard_iteratorINS9_11use_defaultEEESI_EEENS0_18inequality_wrapperINS9_8equal_toIyEEEEPmJSH_EEE10hipError_tPvRmT3_T4_T5_T6_T7_T9_mT8_P12ihipStream_tbDpT10_ENKUlT_T0_E_clISt17integral_constantIbLb1EES1C_IbLb0EEEEDaS18_S19_EUlS18_E_NS1_11comp_targetILNS1_3genE8ELNS1_11target_archE1030ELNS1_3gpuE2ELNS1_3repE0EEENS1_30default_config_static_selectorELNS0_4arch9wavefront6targetE0EEEvT1_,@function
_ZN7rocprim17ROCPRIM_400000_NS6detail17trampoline_kernelINS0_14default_configENS1_25partition_config_selectorILNS1_17partition_subalgoE9EyjbEEZZNS1_14partition_implILS5_9ELb0ES3_jN6thrust23THRUST_200600_302600_NS6detail15normal_iteratorINS9_10device_ptrIyEEEENSB_INSC_IjEEEEPNS0_10empty_typeENS0_5tupleIJSE_SH_EEENSJ_IJNS9_16discard_iteratorINS9_11use_defaultEEESI_EEENS0_18inequality_wrapperINS9_8equal_toIyEEEEPmJSH_EEE10hipError_tPvRmT3_T4_T5_T6_T7_T9_mT8_P12ihipStream_tbDpT10_ENKUlT_T0_E_clISt17integral_constantIbLb1EES1C_IbLb0EEEEDaS18_S19_EUlS18_E_NS1_11comp_targetILNS1_3genE8ELNS1_11target_archE1030ELNS1_3gpuE2ELNS1_3repE0EEENS1_30default_config_static_selectorELNS0_4arch9wavefront6targetE0EEEvT1_: ; @_ZN7rocprim17ROCPRIM_400000_NS6detail17trampoline_kernelINS0_14default_configENS1_25partition_config_selectorILNS1_17partition_subalgoE9EyjbEEZZNS1_14partition_implILS5_9ELb0ES3_jN6thrust23THRUST_200600_302600_NS6detail15normal_iteratorINS9_10device_ptrIyEEEENSB_INSC_IjEEEEPNS0_10empty_typeENS0_5tupleIJSE_SH_EEENSJ_IJNS9_16discard_iteratorINS9_11use_defaultEEESI_EEENS0_18inequality_wrapperINS9_8equal_toIyEEEEPmJSH_EEE10hipError_tPvRmT3_T4_T5_T6_T7_T9_mT8_P12ihipStream_tbDpT10_ENKUlT_T0_E_clISt17integral_constantIbLb1EES1C_IbLb0EEEEDaS18_S19_EUlS18_E_NS1_11comp_targetILNS1_3genE8ELNS1_11target_archE1030ELNS1_3gpuE2ELNS1_3repE0EEENS1_30default_config_static_selectorELNS0_4arch9wavefront6targetE0EEEvT1_
; %bb.0:
	.section	.rodata,"a",@progbits
	.p2align	6, 0x0
	.amdhsa_kernel _ZN7rocprim17ROCPRIM_400000_NS6detail17trampoline_kernelINS0_14default_configENS1_25partition_config_selectorILNS1_17partition_subalgoE9EyjbEEZZNS1_14partition_implILS5_9ELb0ES3_jN6thrust23THRUST_200600_302600_NS6detail15normal_iteratorINS9_10device_ptrIyEEEENSB_INSC_IjEEEEPNS0_10empty_typeENS0_5tupleIJSE_SH_EEENSJ_IJNS9_16discard_iteratorINS9_11use_defaultEEESI_EEENS0_18inequality_wrapperINS9_8equal_toIyEEEEPmJSH_EEE10hipError_tPvRmT3_T4_T5_T6_T7_T9_mT8_P12ihipStream_tbDpT10_ENKUlT_T0_E_clISt17integral_constantIbLb1EES1C_IbLb0EEEEDaS18_S19_EUlS18_E_NS1_11comp_targetILNS1_3genE8ELNS1_11target_archE1030ELNS1_3gpuE2ELNS1_3repE0EEENS1_30default_config_static_selectorELNS0_4arch9wavefront6targetE0EEEvT1_
		.amdhsa_group_segment_fixed_size 0
		.amdhsa_private_segment_fixed_size 0
		.amdhsa_kernarg_size 120
		.amdhsa_user_sgpr_count 15
		.amdhsa_user_sgpr_dispatch_ptr 0
		.amdhsa_user_sgpr_queue_ptr 0
		.amdhsa_user_sgpr_kernarg_segment_ptr 1
		.amdhsa_user_sgpr_dispatch_id 0
		.amdhsa_user_sgpr_private_segment_size 0
		.amdhsa_wavefront_size32 1
		.amdhsa_uses_dynamic_stack 0
		.amdhsa_enable_private_segment 0
		.amdhsa_system_sgpr_workgroup_id_x 1
		.amdhsa_system_sgpr_workgroup_id_y 0
		.amdhsa_system_sgpr_workgroup_id_z 0
		.amdhsa_system_sgpr_workgroup_info 0
		.amdhsa_system_vgpr_workitem_id 0
		.amdhsa_next_free_vgpr 1
		.amdhsa_next_free_sgpr 1
		.amdhsa_reserve_vcc 0
		.amdhsa_float_round_mode_32 0
		.amdhsa_float_round_mode_16_64 0
		.amdhsa_float_denorm_mode_32 3
		.amdhsa_float_denorm_mode_16_64 3
		.amdhsa_dx10_clamp 1
		.amdhsa_ieee_mode 1
		.amdhsa_fp16_overflow 0
		.amdhsa_workgroup_processor_mode 1
		.amdhsa_memory_ordered 1
		.amdhsa_forward_progress 0
		.amdhsa_shared_vgpr_count 0
		.amdhsa_exception_fp_ieee_invalid_op 0
		.amdhsa_exception_fp_denorm_src 0
		.amdhsa_exception_fp_ieee_div_zero 0
		.amdhsa_exception_fp_ieee_overflow 0
		.amdhsa_exception_fp_ieee_underflow 0
		.amdhsa_exception_fp_ieee_inexact 0
		.amdhsa_exception_int_div_zero 0
	.end_amdhsa_kernel
	.section	.text._ZN7rocprim17ROCPRIM_400000_NS6detail17trampoline_kernelINS0_14default_configENS1_25partition_config_selectorILNS1_17partition_subalgoE9EyjbEEZZNS1_14partition_implILS5_9ELb0ES3_jN6thrust23THRUST_200600_302600_NS6detail15normal_iteratorINS9_10device_ptrIyEEEENSB_INSC_IjEEEEPNS0_10empty_typeENS0_5tupleIJSE_SH_EEENSJ_IJNS9_16discard_iteratorINS9_11use_defaultEEESI_EEENS0_18inequality_wrapperINS9_8equal_toIyEEEEPmJSH_EEE10hipError_tPvRmT3_T4_T5_T6_T7_T9_mT8_P12ihipStream_tbDpT10_ENKUlT_T0_E_clISt17integral_constantIbLb1EES1C_IbLb0EEEEDaS18_S19_EUlS18_E_NS1_11comp_targetILNS1_3genE8ELNS1_11target_archE1030ELNS1_3gpuE2ELNS1_3repE0EEENS1_30default_config_static_selectorELNS0_4arch9wavefront6targetE0EEEvT1_,"axG",@progbits,_ZN7rocprim17ROCPRIM_400000_NS6detail17trampoline_kernelINS0_14default_configENS1_25partition_config_selectorILNS1_17partition_subalgoE9EyjbEEZZNS1_14partition_implILS5_9ELb0ES3_jN6thrust23THRUST_200600_302600_NS6detail15normal_iteratorINS9_10device_ptrIyEEEENSB_INSC_IjEEEEPNS0_10empty_typeENS0_5tupleIJSE_SH_EEENSJ_IJNS9_16discard_iteratorINS9_11use_defaultEEESI_EEENS0_18inequality_wrapperINS9_8equal_toIyEEEEPmJSH_EEE10hipError_tPvRmT3_T4_T5_T6_T7_T9_mT8_P12ihipStream_tbDpT10_ENKUlT_T0_E_clISt17integral_constantIbLb1EES1C_IbLb0EEEEDaS18_S19_EUlS18_E_NS1_11comp_targetILNS1_3genE8ELNS1_11target_archE1030ELNS1_3gpuE2ELNS1_3repE0EEENS1_30default_config_static_selectorELNS0_4arch9wavefront6targetE0EEEvT1_,comdat
.Lfunc_end748:
	.size	_ZN7rocprim17ROCPRIM_400000_NS6detail17trampoline_kernelINS0_14default_configENS1_25partition_config_selectorILNS1_17partition_subalgoE9EyjbEEZZNS1_14partition_implILS5_9ELb0ES3_jN6thrust23THRUST_200600_302600_NS6detail15normal_iteratorINS9_10device_ptrIyEEEENSB_INSC_IjEEEEPNS0_10empty_typeENS0_5tupleIJSE_SH_EEENSJ_IJNS9_16discard_iteratorINS9_11use_defaultEEESI_EEENS0_18inequality_wrapperINS9_8equal_toIyEEEEPmJSH_EEE10hipError_tPvRmT3_T4_T5_T6_T7_T9_mT8_P12ihipStream_tbDpT10_ENKUlT_T0_E_clISt17integral_constantIbLb1EES1C_IbLb0EEEEDaS18_S19_EUlS18_E_NS1_11comp_targetILNS1_3genE8ELNS1_11target_archE1030ELNS1_3gpuE2ELNS1_3repE0EEENS1_30default_config_static_selectorELNS0_4arch9wavefront6targetE0EEEvT1_, .Lfunc_end748-_ZN7rocprim17ROCPRIM_400000_NS6detail17trampoline_kernelINS0_14default_configENS1_25partition_config_selectorILNS1_17partition_subalgoE9EyjbEEZZNS1_14partition_implILS5_9ELb0ES3_jN6thrust23THRUST_200600_302600_NS6detail15normal_iteratorINS9_10device_ptrIyEEEENSB_INSC_IjEEEEPNS0_10empty_typeENS0_5tupleIJSE_SH_EEENSJ_IJNS9_16discard_iteratorINS9_11use_defaultEEESI_EEENS0_18inequality_wrapperINS9_8equal_toIyEEEEPmJSH_EEE10hipError_tPvRmT3_T4_T5_T6_T7_T9_mT8_P12ihipStream_tbDpT10_ENKUlT_T0_E_clISt17integral_constantIbLb1EES1C_IbLb0EEEEDaS18_S19_EUlS18_E_NS1_11comp_targetILNS1_3genE8ELNS1_11target_archE1030ELNS1_3gpuE2ELNS1_3repE0EEENS1_30default_config_static_selectorELNS0_4arch9wavefront6targetE0EEEvT1_
                                        ; -- End function
	.section	.AMDGPU.csdata,"",@progbits
; Kernel info:
; codeLenInByte = 0
; NumSgprs: 0
; NumVgprs: 0
; ScratchSize: 0
; MemoryBound: 0
; FloatMode: 240
; IeeeMode: 1
; LDSByteSize: 0 bytes/workgroup (compile time only)
; SGPRBlocks: 0
; VGPRBlocks: 0
; NumSGPRsForWavesPerEU: 1
; NumVGPRsForWavesPerEU: 1
; Occupancy: 16
; WaveLimiterHint : 0
; COMPUTE_PGM_RSRC2:SCRATCH_EN: 0
; COMPUTE_PGM_RSRC2:USER_SGPR: 15
; COMPUTE_PGM_RSRC2:TRAP_HANDLER: 0
; COMPUTE_PGM_RSRC2:TGID_X_EN: 1
; COMPUTE_PGM_RSRC2:TGID_Y_EN: 0
; COMPUTE_PGM_RSRC2:TGID_Z_EN: 0
; COMPUTE_PGM_RSRC2:TIDIG_COMP_CNT: 0
	.section	.text._ZN7rocprim17ROCPRIM_400000_NS6detail17trampoline_kernelINS0_14default_configENS1_25partition_config_selectorILNS1_17partition_subalgoE9EyjbEEZZNS1_14partition_implILS5_9ELb0ES3_jN6thrust23THRUST_200600_302600_NS6detail15normal_iteratorINS9_10device_ptrIyEEEENSB_INSC_IjEEEEPNS0_10empty_typeENS0_5tupleIJSE_SH_EEENSJ_IJNS9_16discard_iteratorINS9_11use_defaultEEESI_EEENS0_18inequality_wrapperINS9_8equal_toIyEEEEPmJSH_EEE10hipError_tPvRmT3_T4_T5_T6_T7_T9_mT8_P12ihipStream_tbDpT10_ENKUlT_T0_E_clISt17integral_constantIbLb0EES1C_IbLb1EEEEDaS18_S19_EUlS18_E_NS1_11comp_targetILNS1_3genE0ELNS1_11target_archE4294967295ELNS1_3gpuE0ELNS1_3repE0EEENS1_30default_config_static_selectorELNS0_4arch9wavefront6targetE0EEEvT1_,"axG",@progbits,_ZN7rocprim17ROCPRIM_400000_NS6detail17trampoline_kernelINS0_14default_configENS1_25partition_config_selectorILNS1_17partition_subalgoE9EyjbEEZZNS1_14partition_implILS5_9ELb0ES3_jN6thrust23THRUST_200600_302600_NS6detail15normal_iteratorINS9_10device_ptrIyEEEENSB_INSC_IjEEEEPNS0_10empty_typeENS0_5tupleIJSE_SH_EEENSJ_IJNS9_16discard_iteratorINS9_11use_defaultEEESI_EEENS0_18inequality_wrapperINS9_8equal_toIyEEEEPmJSH_EEE10hipError_tPvRmT3_T4_T5_T6_T7_T9_mT8_P12ihipStream_tbDpT10_ENKUlT_T0_E_clISt17integral_constantIbLb0EES1C_IbLb1EEEEDaS18_S19_EUlS18_E_NS1_11comp_targetILNS1_3genE0ELNS1_11target_archE4294967295ELNS1_3gpuE0ELNS1_3repE0EEENS1_30default_config_static_selectorELNS0_4arch9wavefront6targetE0EEEvT1_,comdat
	.protected	_ZN7rocprim17ROCPRIM_400000_NS6detail17trampoline_kernelINS0_14default_configENS1_25partition_config_selectorILNS1_17partition_subalgoE9EyjbEEZZNS1_14partition_implILS5_9ELb0ES3_jN6thrust23THRUST_200600_302600_NS6detail15normal_iteratorINS9_10device_ptrIyEEEENSB_INSC_IjEEEEPNS0_10empty_typeENS0_5tupleIJSE_SH_EEENSJ_IJNS9_16discard_iteratorINS9_11use_defaultEEESI_EEENS0_18inequality_wrapperINS9_8equal_toIyEEEEPmJSH_EEE10hipError_tPvRmT3_T4_T5_T6_T7_T9_mT8_P12ihipStream_tbDpT10_ENKUlT_T0_E_clISt17integral_constantIbLb0EES1C_IbLb1EEEEDaS18_S19_EUlS18_E_NS1_11comp_targetILNS1_3genE0ELNS1_11target_archE4294967295ELNS1_3gpuE0ELNS1_3repE0EEENS1_30default_config_static_selectorELNS0_4arch9wavefront6targetE0EEEvT1_ ; -- Begin function _ZN7rocprim17ROCPRIM_400000_NS6detail17trampoline_kernelINS0_14default_configENS1_25partition_config_selectorILNS1_17partition_subalgoE9EyjbEEZZNS1_14partition_implILS5_9ELb0ES3_jN6thrust23THRUST_200600_302600_NS6detail15normal_iteratorINS9_10device_ptrIyEEEENSB_INSC_IjEEEEPNS0_10empty_typeENS0_5tupleIJSE_SH_EEENSJ_IJNS9_16discard_iteratorINS9_11use_defaultEEESI_EEENS0_18inequality_wrapperINS9_8equal_toIyEEEEPmJSH_EEE10hipError_tPvRmT3_T4_T5_T6_T7_T9_mT8_P12ihipStream_tbDpT10_ENKUlT_T0_E_clISt17integral_constantIbLb0EES1C_IbLb1EEEEDaS18_S19_EUlS18_E_NS1_11comp_targetILNS1_3genE0ELNS1_11target_archE4294967295ELNS1_3gpuE0ELNS1_3repE0EEENS1_30default_config_static_selectorELNS0_4arch9wavefront6targetE0EEEvT1_
	.globl	_ZN7rocprim17ROCPRIM_400000_NS6detail17trampoline_kernelINS0_14default_configENS1_25partition_config_selectorILNS1_17partition_subalgoE9EyjbEEZZNS1_14partition_implILS5_9ELb0ES3_jN6thrust23THRUST_200600_302600_NS6detail15normal_iteratorINS9_10device_ptrIyEEEENSB_INSC_IjEEEEPNS0_10empty_typeENS0_5tupleIJSE_SH_EEENSJ_IJNS9_16discard_iteratorINS9_11use_defaultEEESI_EEENS0_18inequality_wrapperINS9_8equal_toIyEEEEPmJSH_EEE10hipError_tPvRmT3_T4_T5_T6_T7_T9_mT8_P12ihipStream_tbDpT10_ENKUlT_T0_E_clISt17integral_constantIbLb0EES1C_IbLb1EEEEDaS18_S19_EUlS18_E_NS1_11comp_targetILNS1_3genE0ELNS1_11target_archE4294967295ELNS1_3gpuE0ELNS1_3repE0EEENS1_30default_config_static_selectorELNS0_4arch9wavefront6targetE0EEEvT1_
	.p2align	8
	.type	_ZN7rocprim17ROCPRIM_400000_NS6detail17trampoline_kernelINS0_14default_configENS1_25partition_config_selectorILNS1_17partition_subalgoE9EyjbEEZZNS1_14partition_implILS5_9ELb0ES3_jN6thrust23THRUST_200600_302600_NS6detail15normal_iteratorINS9_10device_ptrIyEEEENSB_INSC_IjEEEEPNS0_10empty_typeENS0_5tupleIJSE_SH_EEENSJ_IJNS9_16discard_iteratorINS9_11use_defaultEEESI_EEENS0_18inequality_wrapperINS9_8equal_toIyEEEEPmJSH_EEE10hipError_tPvRmT3_T4_T5_T6_T7_T9_mT8_P12ihipStream_tbDpT10_ENKUlT_T0_E_clISt17integral_constantIbLb0EES1C_IbLb1EEEEDaS18_S19_EUlS18_E_NS1_11comp_targetILNS1_3genE0ELNS1_11target_archE4294967295ELNS1_3gpuE0ELNS1_3repE0EEENS1_30default_config_static_selectorELNS0_4arch9wavefront6targetE0EEEvT1_,@function
_ZN7rocprim17ROCPRIM_400000_NS6detail17trampoline_kernelINS0_14default_configENS1_25partition_config_selectorILNS1_17partition_subalgoE9EyjbEEZZNS1_14partition_implILS5_9ELb0ES3_jN6thrust23THRUST_200600_302600_NS6detail15normal_iteratorINS9_10device_ptrIyEEEENSB_INSC_IjEEEEPNS0_10empty_typeENS0_5tupleIJSE_SH_EEENSJ_IJNS9_16discard_iteratorINS9_11use_defaultEEESI_EEENS0_18inequality_wrapperINS9_8equal_toIyEEEEPmJSH_EEE10hipError_tPvRmT3_T4_T5_T6_T7_T9_mT8_P12ihipStream_tbDpT10_ENKUlT_T0_E_clISt17integral_constantIbLb0EES1C_IbLb1EEEEDaS18_S19_EUlS18_E_NS1_11comp_targetILNS1_3genE0ELNS1_11target_archE4294967295ELNS1_3gpuE0ELNS1_3repE0EEENS1_30default_config_static_selectorELNS0_4arch9wavefront6targetE0EEEvT1_: ; @_ZN7rocprim17ROCPRIM_400000_NS6detail17trampoline_kernelINS0_14default_configENS1_25partition_config_selectorILNS1_17partition_subalgoE9EyjbEEZZNS1_14partition_implILS5_9ELb0ES3_jN6thrust23THRUST_200600_302600_NS6detail15normal_iteratorINS9_10device_ptrIyEEEENSB_INSC_IjEEEEPNS0_10empty_typeENS0_5tupleIJSE_SH_EEENSJ_IJNS9_16discard_iteratorINS9_11use_defaultEEESI_EEENS0_18inequality_wrapperINS9_8equal_toIyEEEEPmJSH_EEE10hipError_tPvRmT3_T4_T5_T6_T7_T9_mT8_P12ihipStream_tbDpT10_ENKUlT_T0_E_clISt17integral_constantIbLb0EES1C_IbLb1EEEEDaS18_S19_EUlS18_E_NS1_11comp_targetILNS1_3genE0ELNS1_11target_archE4294967295ELNS1_3gpuE0ELNS1_3repE0EEENS1_30default_config_static_selectorELNS0_4arch9wavefront6targetE0EEEvT1_
; %bb.0:
	.section	.rodata,"a",@progbits
	.p2align	6, 0x0
	.amdhsa_kernel _ZN7rocprim17ROCPRIM_400000_NS6detail17trampoline_kernelINS0_14default_configENS1_25partition_config_selectorILNS1_17partition_subalgoE9EyjbEEZZNS1_14partition_implILS5_9ELb0ES3_jN6thrust23THRUST_200600_302600_NS6detail15normal_iteratorINS9_10device_ptrIyEEEENSB_INSC_IjEEEEPNS0_10empty_typeENS0_5tupleIJSE_SH_EEENSJ_IJNS9_16discard_iteratorINS9_11use_defaultEEESI_EEENS0_18inequality_wrapperINS9_8equal_toIyEEEEPmJSH_EEE10hipError_tPvRmT3_T4_T5_T6_T7_T9_mT8_P12ihipStream_tbDpT10_ENKUlT_T0_E_clISt17integral_constantIbLb0EES1C_IbLb1EEEEDaS18_S19_EUlS18_E_NS1_11comp_targetILNS1_3genE0ELNS1_11target_archE4294967295ELNS1_3gpuE0ELNS1_3repE0EEENS1_30default_config_static_selectorELNS0_4arch9wavefront6targetE0EEEvT1_
		.amdhsa_group_segment_fixed_size 0
		.amdhsa_private_segment_fixed_size 0
		.amdhsa_kernarg_size 136
		.amdhsa_user_sgpr_count 15
		.amdhsa_user_sgpr_dispatch_ptr 0
		.amdhsa_user_sgpr_queue_ptr 0
		.amdhsa_user_sgpr_kernarg_segment_ptr 1
		.amdhsa_user_sgpr_dispatch_id 0
		.amdhsa_user_sgpr_private_segment_size 0
		.amdhsa_wavefront_size32 1
		.amdhsa_uses_dynamic_stack 0
		.amdhsa_enable_private_segment 0
		.amdhsa_system_sgpr_workgroup_id_x 1
		.amdhsa_system_sgpr_workgroup_id_y 0
		.amdhsa_system_sgpr_workgroup_id_z 0
		.amdhsa_system_sgpr_workgroup_info 0
		.amdhsa_system_vgpr_workitem_id 0
		.amdhsa_next_free_vgpr 1
		.amdhsa_next_free_sgpr 1
		.amdhsa_reserve_vcc 0
		.amdhsa_float_round_mode_32 0
		.amdhsa_float_round_mode_16_64 0
		.amdhsa_float_denorm_mode_32 3
		.amdhsa_float_denorm_mode_16_64 3
		.amdhsa_dx10_clamp 1
		.amdhsa_ieee_mode 1
		.amdhsa_fp16_overflow 0
		.amdhsa_workgroup_processor_mode 1
		.amdhsa_memory_ordered 1
		.amdhsa_forward_progress 0
		.amdhsa_shared_vgpr_count 0
		.amdhsa_exception_fp_ieee_invalid_op 0
		.amdhsa_exception_fp_denorm_src 0
		.amdhsa_exception_fp_ieee_div_zero 0
		.amdhsa_exception_fp_ieee_overflow 0
		.amdhsa_exception_fp_ieee_underflow 0
		.amdhsa_exception_fp_ieee_inexact 0
		.amdhsa_exception_int_div_zero 0
	.end_amdhsa_kernel
	.section	.text._ZN7rocprim17ROCPRIM_400000_NS6detail17trampoline_kernelINS0_14default_configENS1_25partition_config_selectorILNS1_17partition_subalgoE9EyjbEEZZNS1_14partition_implILS5_9ELb0ES3_jN6thrust23THRUST_200600_302600_NS6detail15normal_iteratorINS9_10device_ptrIyEEEENSB_INSC_IjEEEEPNS0_10empty_typeENS0_5tupleIJSE_SH_EEENSJ_IJNS9_16discard_iteratorINS9_11use_defaultEEESI_EEENS0_18inequality_wrapperINS9_8equal_toIyEEEEPmJSH_EEE10hipError_tPvRmT3_T4_T5_T6_T7_T9_mT8_P12ihipStream_tbDpT10_ENKUlT_T0_E_clISt17integral_constantIbLb0EES1C_IbLb1EEEEDaS18_S19_EUlS18_E_NS1_11comp_targetILNS1_3genE0ELNS1_11target_archE4294967295ELNS1_3gpuE0ELNS1_3repE0EEENS1_30default_config_static_selectorELNS0_4arch9wavefront6targetE0EEEvT1_,"axG",@progbits,_ZN7rocprim17ROCPRIM_400000_NS6detail17trampoline_kernelINS0_14default_configENS1_25partition_config_selectorILNS1_17partition_subalgoE9EyjbEEZZNS1_14partition_implILS5_9ELb0ES3_jN6thrust23THRUST_200600_302600_NS6detail15normal_iteratorINS9_10device_ptrIyEEEENSB_INSC_IjEEEEPNS0_10empty_typeENS0_5tupleIJSE_SH_EEENSJ_IJNS9_16discard_iteratorINS9_11use_defaultEEESI_EEENS0_18inequality_wrapperINS9_8equal_toIyEEEEPmJSH_EEE10hipError_tPvRmT3_T4_T5_T6_T7_T9_mT8_P12ihipStream_tbDpT10_ENKUlT_T0_E_clISt17integral_constantIbLb0EES1C_IbLb1EEEEDaS18_S19_EUlS18_E_NS1_11comp_targetILNS1_3genE0ELNS1_11target_archE4294967295ELNS1_3gpuE0ELNS1_3repE0EEENS1_30default_config_static_selectorELNS0_4arch9wavefront6targetE0EEEvT1_,comdat
.Lfunc_end749:
	.size	_ZN7rocprim17ROCPRIM_400000_NS6detail17trampoline_kernelINS0_14default_configENS1_25partition_config_selectorILNS1_17partition_subalgoE9EyjbEEZZNS1_14partition_implILS5_9ELb0ES3_jN6thrust23THRUST_200600_302600_NS6detail15normal_iteratorINS9_10device_ptrIyEEEENSB_INSC_IjEEEEPNS0_10empty_typeENS0_5tupleIJSE_SH_EEENSJ_IJNS9_16discard_iteratorINS9_11use_defaultEEESI_EEENS0_18inequality_wrapperINS9_8equal_toIyEEEEPmJSH_EEE10hipError_tPvRmT3_T4_T5_T6_T7_T9_mT8_P12ihipStream_tbDpT10_ENKUlT_T0_E_clISt17integral_constantIbLb0EES1C_IbLb1EEEEDaS18_S19_EUlS18_E_NS1_11comp_targetILNS1_3genE0ELNS1_11target_archE4294967295ELNS1_3gpuE0ELNS1_3repE0EEENS1_30default_config_static_selectorELNS0_4arch9wavefront6targetE0EEEvT1_, .Lfunc_end749-_ZN7rocprim17ROCPRIM_400000_NS6detail17trampoline_kernelINS0_14default_configENS1_25partition_config_selectorILNS1_17partition_subalgoE9EyjbEEZZNS1_14partition_implILS5_9ELb0ES3_jN6thrust23THRUST_200600_302600_NS6detail15normal_iteratorINS9_10device_ptrIyEEEENSB_INSC_IjEEEEPNS0_10empty_typeENS0_5tupleIJSE_SH_EEENSJ_IJNS9_16discard_iteratorINS9_11use_defaultEEESI_EEENS0_18inequality_wrapperINS9_8equal_toIyEEEEPmJSH_EEE10hipError_tPvRmT3_T4_T5_T6_T7_T9_mT8_P12ihipStream_tbDpT10_ENKUlT_T0_E_clISt17integral_constantIbLb0EES1C_IbLb1EEEEDaS18_S19_EUlS18_E_NS1_11comp_targetILNS1_3genE0ELNS1_11target_archE4294967295ELNS1_3gpuE0ELNS1_3repE0EEENS1_30default_config_static_selectorELNS0_4arch9wavefront6targetE0EEEvT1_
                                        ; -- End function
	.section	.AMDGPU.csdata,"",@progbits
; Kernel info:
; codeLenInByte = 0
; NumSgprs: 0
; NumVgprs: 0
; ScratchSize: 0
; MemoryBound: 0
; FloatMode: 240
; IeeeMode: 1
; LDSByteSize: 0 bytes/workgroup (compile time only)
; SGPRBlocks: 0
; VGPRBlocks: 0
; NumSGPRsForWavesPerEU: 1
; NumVGPRsForWavesPerEU: 1
; Occupancy: 16
; WaveLimiterHint : 0
; COMPUTE_PGM_RSRC2:SCRATCH_EN: 0
; COMPUTE_PGM_RSRC2:USER_SGPR: 15
; COMPUTE_PGM_RSRC2:TRAP_HANDLER: 0
; COMPUTE_PGM_RSRC2:TGID_X_EN: 1
; COMPUTE_PGM_RSRC2:TGID_Y_EN: 0
; COMPUTE_PGM_RSRC2:TGID_Z_EN: 0
; COMPUTE_PGM_RSRC2:TIDIG_COMP_CNT: 0
	.section	.text._ZN7rocprim17ROCPRIM_400000_NS6detail17trampoline_kernelINS0_14default_configENS1_25partition_config_selectorILNS1_17partition_subalgoE9EyjbEEZZNS1_14partition_implILS5_9ELb0ES3_jN6thrust23THRUST_200600_302600_NS6detail15normal_iteratorINS9_10device_ptrIyEEEENSB_INSC_IjEEEEPNS0_10empty_typeENS0_5tupleIJSE_SH_EEENSJ_IJNS9_16discard_iteratorINS9_11use_defaultEEESI_EEENS0_18inequality_wrapperINS9_8equal_toIyEEEEPmJSH_EEE10hipError_tPvRmT3_T4_T5_T6_T7_T9_mT8_P12ihipStream_tbDpT10_ENKUlT_T0_E_clISt17integral_constantIbLb0EES1C_IbLb1EEEEDaS18_S19_EUlS18_E_NS1_11comp_targetILNS1_3genE5ELNS1_11target_archE942ELNS1_3gpuE9ELNS1_3repE0EEENS1_30default_config_static_selectorELNS0_4arch9wavefront6targetE0EEEvT1_,"axG",@progbits,_ZN7rocprim17ROCPRIM_400000_NS6detail17trampoline_kernelINS0_14default_configENS1_25partition_config_selectorILNS1_17partition_subalgoE9EyjbEEZZNS1_14partition_implILS5_9ELb0ES3_jN6thrust23THRUST_200600_302600_NS6detail15normal_iteratorINS9_10device_ptrIyEEEENSB_INSC_IjEEEEPNS0_10empty_typeENS0_5tupleIJSE_SH_EEENSJ_IJNS9_16discard_iteratorINS9_11use_defaultEEESI_EEENS0_18inequality_wrapperINS9_8equal_toIyEEEEPmJSH_EEE10hipError_tPvRmT3_T4_T5_T6_T7_T9_mT8_P12ihipStream_tbDpT10_ENKUlT_T0_E_clISt17integral_constantIbLb0EES1C_IbLb1EEEEDaS18_S19_EUlS18_E_NS1_11comp_targetILNS1_3genE5ELNS1_11target_archE942ELNS1_3gpuE9ELNS1_3repE0EEENS1_30default_config_static_selectorELNS0_4arch9wavefront6targetE0EEEvT1_,comdat
	.protected	_ZN7rocprim17ROCPRIM_400000_NS6detail17trampoline_kernelINS0_14default_configENS1_25partition_config_selectorILNS1_17partition_subalgoE9EyjbEEZZNS1_14partition_implILS5_9ELb0ES3_jN6thrust23THRUST_200600_302600_NS6detail15normal_iteratorINS9_10device_ptrIyEEEENSB_INSC_IjEEEEPNS0_10empty_typeENS0_5tupleIJSE_SH_EEENSJ_IJNS9_16discard_iteratorINS9_11use_defaultEEESI_EEENS0_18inequality_wrapperINS9_8equal_toIyEEEEPmJSH_EEE10hipError_tPvRmT3_T4_T5_T6_T7_T9_mT8_P12ihipStream_tbDpT10_ENKUlT_T0_E_clISt17integral_constantIbLb0EES1C_IbLb1EEEEDaS18_S19_EUlS18_E_NS1_11comp_targetILNS1_3genE5ELNS1_11target_archE942ELNS1_3gpuE9ELNS1_3repE0EEENS1_30default_config_static_selectorELNS0_4arch9wavefront6targetE0EEEvT1_ ; -- Begin function _ZN7rocprim17ROCPRIM_400000_NS6detail17trampoline_kernelINS0_14default_configENS1_25partition_config_selectorILNS1_17partition_subalgoE9EyjbEEZZNS1_14partition_implILS5_9ELb0ES3_jN6thrust23THRUST_200600_302600_NS6detail15normal_iteratorINS9_10device_ptrIyEEEENSB_INSC_IjEEEEPNS0_10empty_typeENS0_5tupleIJSE_SH_EEENSJ_IJNS9_16discard_iteratorINS9_11use_defaultEEESI_EEENS0_18inequality_wrapperINS9_8equal_toIyEEEEPmJSH_EEE10hipError_tPvRmT3_T4_T5_T6_T7_T9_mT8_P12ihipStream_tbDpT10_ENKUlT_T0_E_clISt17integral_constantIbLb0EES1C_IbLb1EEEEDaS18_S19_EUlS18_E_NS1_11comp_targetILNS1_3genE5ELNS1_11target_archE942ELNS1_3gpuE9ELNS1_3repE0EEENS1_30default_config_static_selectorELNS0_4arch9wavefront6targetE0EEEvT1_
	.globl	_ZN7rocprim17ROCPRIM_400000_NS6detail17trampoline_kernelINS0_14default_configENS1_25partition_config_selectorILNS1_17partition_subalgoE9EyjbEEZZNS1_14partition_implILS5_9ELb0ES3_jN6thrust23THRUST_200600_302600_NS6detail15normal_iteratorINS9_10device_ptrIyEEEENSB_INSC_IjEEEEPNS0_10empty_typeENS0_5tupleIJSE_SH_EEENSJ_IJNS9_16discard_iteratorINS9_11use_defaultEEESI_EEENS0_18inequality_wrapperINS9_8equal_toIyEEEEPmJSH_EEE10hipError_tPvRmT3_T4_T5_T6_T7_T9_mT8_P12ihipStream_tbDpT10_ENKUlT_T0_E_clISt17integral_constantIbLb0EES1C_IbLb1EEEEDaS18_S19_EUlS18_E_NS1_11comp_targetILNS1_3genE5ELNS1_11target_archE942ELNS1_3gpuE9ELNS1_3repE0EEENS1_30default_config_static_selectorELNS0_4arch9wavefront6targetE0EEEvT1_
	.p2align	8
	.type	_ZN7rocprim17ROCPRIM_400000_NS6detail17trampoline_kernelINS0_14default_configENS1_25partition_config_selectorILNS1_17partition_subalgoE9EyjbEEZZNS1_14partition_implILS5_9ELb0ES3_jN6thrust23THRUST_200600_302600_NS6detail15normal_iteratorINS9_10device_ptrIyEEEENSB_INSC_IjEEEEPNS0_10empty_typeENS0_5tupleIJSE_SH_EEENSJ_IJNS9_16discard_iteratorINS9_11use_defaultEEESI_EEENS0_18inequality_wrapperINS9_8equal_toIyEEEEPmJSH_EEE10hipError_tPvRmT3_T4_T5_T6_T7_T9_mT8_P12ihipStream_tbDpT10_ENKUlT_T0_E_clISt17integral_constantIbLb0EES1C_IbLb1EEEEDaS18_S19_EUlS18_E_NS1_11comp_targetILNS1_3genE5ELNS1_11target_archE942ELNS1_3gpuE9ELNS1_3repE0EEENS1_30default_config_static_selectorELNS0_4arch9wavefront6targetE0EEEvT1_,@function
_ZN7rocprim17ROCPRIM_400000_NS6detail17trampoline_kernelINS0_14default_configENS1_25partition_config_selectorILNS1_17partition_subalgoE9EyjbEEZZNS1_14partition_implILS5_9ELb0ES3_jN6thrust23THRUST_200600_302600_NS6detail15normal_iteratorINS9_10device_ptrIyEEEENSB_INSC_IjEEEEPNS0_10empty_typeENS0_5tupleIJSE_SH_EEENSJ_IJNS9_16discard_iteratorINS9_11use_defaultEEESI_EEENS0_18inequality_wrapperINS9_8equal_toIyEEEEPmJSH_EEE10hipError_tPvRmT3_T4_T5_T6_T7_T9_mT8_P12ihipStream_tbDpT10_ENKUlT_T0_E_clISt17integral_constantIbLb0EES1C_IbLb1EEEEDaS18_S19_EUlS18_E_NS1_11comp_targetILNS1_3genE5ELNS1_11target_archE942ELNS1_3gpuE9ELNS1_3repE0EEENS1_30default_config_static_selectorELNS0_4arch9wavefront6targetE0EEEvT1_: ; @_ZN7rocprim17ROCPRIM_400000_NS6detail17trampoline_kernelINS0_14default_configENS1_25partition_config_selectorILNS1_17partition_subalgoE9EyjbEEZZNS1_14partition_implILS5_9ELb0ES3_jN6thrust23THRUST_200600_302600_NS6detail15normal_iteratorINS9_10device_ptrIyEEEENSB_INSC_IjEEEEPNS0_10empty_typeENS0_5tupleIJSE_SH_EEENSJ_IJNS9_16discard_iteratorINS9_11use_defaultEEESI_EEENS0_18inequality_wrapperINS9_8equal_toIyEEEEPmJSH_EEE10hipError_tPvRmT3_T4_T5_T6_T7_T9_mT8_P12ihipStream_tbDpT10_ENKUlT_T0_E_clISt17integral_constantIbLb0EES1C_IbLb1EEEEDaS18_S19_EUlS18_E_NS1_11comp_targetILNS1_3genE5ELNS1_11target_archE942ELNS1_3gpuE9ELNS1_3repE0EEENS1_30default_config_static_selectorELNS0_4arch9wavefront6targetE0EEEvT1_
; %bb.0:
	.section	.rodata,"a",@progbits
	.p2align	6, 0x0
	.amdhsa_kernel _ZN7rocprim17ROCPRIM_400000_NS6detail17trampoline_kernelINS0_14default_configENS1_25partition_config_selectorILNS1_17partition_subalgoE9EyjbEEZZNS1_14partition_implILS5_9ELb0ES3_jN6thrust23THRUST_200600_302600_NS6detail15normal_iteratorINS9_10device_ptrIyEEEENSB_INSC_IjEEEEPNS0_10empty_typeENS0_5tupleIJSE_SH_EEENSJ_IJNS9_16discard_iteratorINS9_11use_defaultEEESI_EEENS0_18inequality_wrapperINS9_8equal_toIyEEEEPmJSH_EEE10hipError_tPvRmT3_T4_T5_T6_T7_T9_mT8_P12ihipStream_tbDpT10_ENKUlT_T0_E_clISt17integral_constantIbLb0EES1C_IbLb1EEEEDaS18_S19_EUlS18_E_NS1_11comp_targetILNS1_3genE5ELNS1_11target_archE942ELNS1_3gpuE9ELNS1_3repE0EEENS1_30default_config_static_selectorELNS0_4arch9wavefront6targetE0EEEvT1_
		.amdhsa_group_segment_fixed_size 0
		.amdhsa_private_segment_fixed_size 0
		.amdhsa_kernarg_size 136
		.amdhsa_user_sgpr_count 15
		.amdhsa_user_sgpr_dispatch_ptr 0
		.amdhsa_user_sgpr_queue_ptr 0
		.amdhsa_user_sgpr_kernarg_segment_ptr 1
		.amdhsa_user_sgpr_dispatch_id 0
		.amdhsa_user_sgpr_private_segment_size 0
		.amdhsa_wavefront_size32 1
		.amdhsa_uses_dynamic_stack 0
		.amdhsa_enable_private_segment 0
		.amdhsa_system_sgpr_workgroup_id_x 1
		.amdhsa_system_sgpr_workgroup_id_y 0
		.amdhsa_system_sgpr_workgroup_id_z 0
		.amdhsa_system_sgpr_workgroup_info 0
		.amdhsa_system_vgpr_workitem_id 0
		.amdhsa_next_free_vgpr 1
		.amdhsa_next_free_sgpr 1
		.amdhsa_reserve_vcc 0
		.amdhsa_float_round_mode_32 0
		.amdhsa_float_round_mode_16_64 0
		.amdhsa_float_denorm_mode_32 3
		.amdhsa_float_denorm_mode_16_64 3
		.amdhsa_dx10_clamp 1
		.amdhsa_ieee_mode 1
		.amdhsa_fp16_overflow 0
		.amdhsa_workgroup_processor_mode 1
		.amdhsa_memory_ordered 1
		.amdhsa_forward_progress 0
		.amdhsa_shared_vgpr_count 0
		.amdhsa_exception_fp_ieee_invalid_op 0
		.amdhsa_exception_fp_denorm_src 0
		.amdhsa_exception_fp_ieee_div_zero 0
		.amdhsa_exception_fp_ieee_overflow 0
		.amdhsa_exception_fp_ieee_underflow 0
		.amdhsa_exception_fp_ieee_inexact 0
		.amdhsa_exception_int_div_zero 0
	.end_amdhsa_kernel
	.section	.text._ZN7rocprim17ROCPRIM_400000_NS6detail17trampoline_kernelINS0_14default_configENS1_25partition_config_selectorILNS1_17partition_subalgoE9EyjbEEZZNS1_14partition_implILS5_9ELb0ES3_jN6thrust23THRUST_200600_302600_NS6detail15normal_iteratorINS9_10device_ptrIyEEEENSB_INSC_IjEEEEPNS0_10empty_typeENS0_5tupleIJSE_SH_EEENSJ_IJNS9_16discard_iteratorINS9_11use_defaultEEESI_EEENS0_18inequality_wrapperINS9_8equal_toIyEEEEPmJSH_EEE10hipError_tPvRmT3_T4_T5_T6_T7_T9_mT8_P12ihipStream_tbDpT10_ENKUlT_T0_E_clISt17integral_constantIbLb0EES1C_IbLb1EEEEDaS18_S19_EUlS18_E_NS1_11comp_targetILNS1_3genE5ELNS1_11target_archE942ELNS1_3gpuE9ELNS1_3repE0EEENS1_30default_config_static_selectorELNS0_4arch9wavefront6targetE0EEEvT1_,"axG",@progbits,_ZN7rocprim17ROCPRIM_400000_NS6detail17trampoline_kernelINS0_14default_configENS1_25partition_config_selectorILNS1_17partition_subalgoE9EyjbEEZZNS1_14partition_implILS5_9ELb0ES3_jN6thrust23THRUST_200600_302600_NS6detail15normal_iteratorINS9_10device_ptrIyEEEENSB_INSC_IjEEEEPNS0_10empty_typeENS0_5tupleIJSE_SH_EEENSJ_IJNS9_16discard_iteratorINS9_11use_defaultEEESI_EEENS0_18inequality_wrapperINS9_8equal_toIyEEEEPmJSH_EEE10hipError_tPvRmT3_T4_T5_T6_T7_T9_mT8_P12ihipStream_tbDpT10_ENKUlT_T0_E_clISt17integral_constantIbLb0EES1C_IbLb1EEEEDaS18_S19_EUlS18_E_NS1_11comp_targetILNS1_3genE5ELNS1_11target_archE942ELNS1_3gpuE9ELNS1_3repE0EEENS1_30default_config_static_selectorELNS0_4arch9wavefront6targetE0EEEvT1_,comdat
.Lfunc_end750:
	.size	_ZN7rocprim17ROCPRIM_400000_NS6detail17trampoline_kernelINS0_14default_configENS1_25partition_config_selectorILNS1_17partition_subalgoE9EyjbEEZZNS1_14partition_implILS5_9ELb0ES3_jN6thrust23THRUST_200600_302600_NS6detail15normal_iteratorINS9_10device_ptrIyEEEENSB_INSC_IjEEEEPNS0_10empty_typeENS0_5tupleIJSE_SH_EEENSJ_IJNS9_16discard_iteratorINS9_11use_defaultEEESI_EEENS0_18inequality_wrapperINS9_8equal_toIyEEEEPmJSH_EEE10hipError_tPvRmT3_T4_T5_T6_T7_T9_mT8_P12ihipStream_tbDpT10_ENKUlT_T0_E_clISt17integral_constantIbLb0EES1C_IbLb1EEEEDaS18_S19_EUlS18_E_NS1_11comp_targetILNS1_3genE5ELNS1_11target_archE942ELNS1_3gpuE9ELNS1_3repE0EEENS1_30default_config_static_selectorELNS0_4arch9wavefront6targetE0EEEvT1_, .Lfunc_end750-_ZN7rocprim17ROCPRIM_400000_NS6detail17trampoline_kernelINS0_14default_configENS1_25partition_config_selectorILNS1_17partition_subalgoE9EyjbEEZZNS1_14partition_implILS5_9ELb0ES3_jN6thrust23THRUST_200600_302600_NS6detail15normal_iteratorINS9_10device_ptrIyEEEENSB_INSC_IjEEEEPNS0_10empty_typeENS0_5tupleIJSE_SH_EEENSJ_IJNS9_16discard_iteratorINS9_11use_defaultEEESI_EEENS0_18inequality_wrapperINS9_8equal_toIyEEEEPmJSH_EEE10hipError_tPvRmT3_T4_T5_T6_T7_T9_mT8_P12ihipStream_tbDpT10_ENKUlT_T0_E_clISt17integral_constantIbLb0EES1C_IbLb1EEEEDaS18_S19_EUlS18_E_NS1_11comp_targetILNS1_3genE5ELNS1_11target_archE942ELNS1_3gpuE9ELNS1_3repE0EEENS1_30default_config_static_selectorELNS0_4arch9wavefront6targetE0EEEvT1_
                                        ; -- End function
	.section	.AMDGPU.csdata,"",@progbits
; Kernel info:
; codeLenInByte = 0
; NumSgprs: 0
; NumVgprs: 0
; ScratchSize: 0
; MemoryBound: 0
; FloatMode: 240
; IeeeMode: 1
; LDSByteSize: 0 bytes/workgroup (compile time only)
; SGPRBlocks: 0
; VGPRBlocks: 0
; NumSGPRsForWavesPerEU: 1
; NumVGPRsForWavesPerEU: 1
; Occupancy: 16
; WaveLimiterHint : 0
; COMPUTE_PGM_RSRC2:SCRATCH_EN: 0
; COMPUTE_PGM_RSRC2:USER_SGPR: 15
; COMPUTE_PGM_RSRC2:TRAP_HANDLER: 0
; COMPUTE_PGM_RSRC2:TGID_X_EN: 1
; COMPUTE_PGM_RSRC2:TGID_Y_EN: 0
; COMPUTE_PGM_RSRC2:TGID_Z_EN: 0
; COMPUTE_PGM_RSRC2:TIDIG_COMP_CNT: 0
	.section	.text._ZN7rocprim17ROCPRIM_400000_NS6detail17trampoline_kernelINS0_14default_configENS1_25partition_config_selectorILNS1_17partition_subalgoE9EyjbEEZZNS1_14partition_implILS5_9ELb0ES3_jN6thrust23THRUST_200600_302600_NS6detail15normal_iteratorINS9_10device_ptrIyEEEENSB_INSC_IjEEEEPNS0_10empty_typeENS0_5tupleIJSE_SH_EEENSJ_IJNS9_16discard_iteratorINS9_11use_defaultEEESI_EEENS0_18inequality_wrapperINS9_8equal_toIyEEEEPmJSH_EEE10hipError_tPvRmT3_T4_T5_T6_T7_T9_mT8_P12ihipStream_tbDpT10_ENKUlT_T0_E_clISt17integral_constantIbLb0EES1C_IbLb1EEEEDaS18_S19_EUlS18_E_NS1_11comp_targetILNS1_3genE4ELNS1_11target_archE910ELNS1_3gpuE8ELNS1_3repE0EEENS1_30default_config_static_selectorELNS0_4arch9wavefront6targetE0EEEvT1_,"axG",@progbits,_ZN7rocprim17ROCPRIM_400000_NS6detail17trampoline_kernelINS0_14default_configENS1_25partition_config_selectorILNS1_17partition_subalgoE9EyjbEEZZNS1_14partition_implILS5_9ELb0ES3_jN6thrust23THRUST_200600_302600_NS6detail15normal_iteratorINS9_10device_ptrIyEEEENSB_INSC_IjEEEEPNS0_10empty_typeENS0_5tupleIJSE_SH_EEENSJ_IJNS9_16discard_iteratorINS9_11use_defaultEEESI_EEENS0_18inequality_wrapperINS9_8equal_toIyEEEEPmJSH_EEE10hipError_tPvRmT3_T4_T5_T6_T7_T9_mT8_P12ihipStream_tbDpT10_ENKUlT_T0_E_clISt17integral_constantIbLb0EES1C_IbLb1EEEEDaS18_S19_EUlS18_E_NS1_11comp_targetILNS1_3genE4ELNS1_11target_archE910ELNS1_3gpuE8ELNS1_3repE0EEENS1_30default_config_static_selectorELNS0_4arch9wavefront6targetE0EEEvT1_,comdat
	.protected	_ZN7rocprim17ROCPRIM_400000_NS6detail17trampoline_kernelINS0_14default_configENS1_25partition_config_selectorILNS1_17partition_subalgoE9EyjbEEZZNS1_14partition_implILS5_9ELb0ES3_jN6thrust23THRUST_200600_302600_NS6detail15normal_iteratorINS9_10device_ptrIyEEEENSB_INSC_IjEEEEPNS0_10empty_typeENS0_5tupleIJSE_SH_EEENSJ_IJNS9_16discard_iteratorINS9_11use_defaultEEESI_EEENS0_18inequality_wrapperINS9_8equal_toIyEEEEPmJSH_EEE10hipError_tPvRmT3_T4_T5_T6_T7_T9_mT8_P12ihipStream_tbDpT10_ENKUlT_T0_E_clISt17integral_constantIbLb0EES1C_IbLb1EEEEDaS18_S19_EUlS18_E_NS1_11comp_targetILNS1_3genE4ELNS1_11target_archE910ELNS1_3gpuE8ELNS1_3repE0EEENS1_30default_config_static_selectorELNS0_4arch9wavefront6targetE0EEEvT1_ ; -- Begin function _ZN7rocprim17ROCPRIM_400000_NS6detail17trampoline_kernelINS0_14default_configENS1_25partition_config_selectorILNS1_17partition_subalgoE9EyjbEEZZNS1_14partition_implILS5_9ELb0ES3_jN6thrust23THRUST_200600_302600_NS6detail15normal_iteratorINS9_10device_ptrIyEEEENSB_INSC_IjEEEEPNS0_10empty_typeENS0_5tupleIJSE_SH_EEENSJ_IJNS9_16discard_iteratorINS9_11use_defaultEEESI_EEENS0_18inequality_wrapperINS9_8equal_toIyEEEEPmJSH_EEE10hipError_tPvRmT3_T4_T5_T6_T7_T9_mT8_P12ihipStream_tbDpT10_ENKUlT_T0_E_clISt17integral_constantIbLb0EES1C_IbLb1EEEEDaS18_S19_EUlS18_E_NS1_11comp_targetILNS1_3genE4ELNS1_11target_archE910ELNS1_3gpuE8ELNS1_3repE0EEENS1_30default_config_static_selectorELNS0_4arch9wavefront6targetE0EEEvT1_
	.globl	_ZN7rocprim17ROCPRIM_400000_NS6detail17trampoline_kernelINS0_14default_configENS1_25partition_config_selectorILNS1_17partition_subalgoE9EyjbEEZZNS1_14partition_implILS5_9ELb0ES3_jN6thrust23THRUST_200600_302600_NS6detail15normal_iteratorINS9_10device_ptrIyEEEENSB_INSC_IjEEEEPNS0_10empty_typeENS0_5tupleIJSE_SH_EEENSJ_IJNS9_16discard_iteratorINS9_11use_defaultEEESI_EEENS0_18inequality_wrapperINS9_8equal_toIyEEEEPmJSH_EEE10hipError_tPvRmT3_T4_T5_T6_T7_T9_mT8_P12ihipStream_tbDpT10_ENKUlT_T0_E_clISt17integral_constantIbLb0EES1C_IbLb1EEEEDaS18_S19_EUlS18_E_NS1_11comp_targetILNS1_3genE4ELNS1_11target_archE910ELNS1_3gpuE8ELNS1_3repE0EEENS1_30default_config_static_selectorELNS0_4arch9wavefront6targetE0EEEvT1_
	.p2align	8
	.type	_ZN7rocprim17ROCPRIM_400000_NS6detail17trampoline_kernelINS0_14default_configENS1_25partition_config_selectorILNS1_17partition_subalgoE9EyjbEEZZNS1_14partition_implILS5_9ELb0ES3_jN6thrust23THRUST_200600_302600_NS6detail15normal_iteratorINS9_10device_ptrIyEEEENSB_INSC_IjEEEEPNS0_10empty_typeENS0_5tupleIJSE_SH_EEENSJ_IJNS9_16discard_iteratorINS9_11use_defaultEEESI_EEENS0_18inequality_wrapperINS9_8equal_toIyEEEEPmJSH_EEE10hipError_tPvRmT3_T4_T5_T6_T7_T9_mT8_P12ihipStream_tbDpT10_ENKUlT_T0_E_clISt17integral_constantIbLb0EES1C_IbLb1EEEEDaS18_S19_EUlS18_E_NS1_11comp_targetILNS1_3genE4ELNS1_11target_archE910ELNS1_3gpuE8ELNS1_3repE0EEENS1_30default_config_static_selectorELNS0_4arch9wavefront6targetE0EEEvT1_,@function
_ZN7rocprim17ROCPRIM_400000_NS6detail17trampoline_kernelINS0_14default_configENS1_25partition_config_selectorILNS1_17partition_subalgoE9EyjbEEZZNS1_14partition_implILS5_9ELb0ES3_jN6thrust23THRUST_200600_302600_NS6detail15normal_iteratorINS9_10device_ptrIyEEEENSB_INSC_IjEEEEPNS0_10empty_typeENS0_5tupleIJSE_SH_EEENSJ_IJNS9_16discard_iteratorINS9_11use_defaultEEESI_EEENS0_18inequality_wrapperINS9_8equal_toIyEEEEPmJSH_EEE10hipError_tPvRmT3_T4_T5_T6_T7_T9_mT8_P12ihipStream_tbDpT10_ENKUlT_T0_E_clISt17integral_constantIbLb0EES1C_IbLb1EEEEDaS18_S19_EUlS18_E_NS1_11comp_targetILNS1_3genE4ELNS1_11target_archE910ELNS1_3gpuE8ELNS1_3repE0EEENS1_30default_config_static_selectorELNS0_4arch9wavefront6targetE0EEEvT1_: ; @_ZN7rocprim17ROCPRIM_400000_NS6detail17trampoline_kernelINS0_14default_configENS1_25partition_config_selectorILNS1_17partition_subalgoE9EyjbEEZZNS1_14partition_implILS5_9ELb0ES3_jN6thrust23THRUST_200600_302600_NS6detail15normal_iteratorINS9_10device_ptrIyEEEENSB_INSC_IjEEEEPNS0_10empty_typeENS0_5tupleIJSE_SH_EEENSJ_IJNS9_16discard_iteratorINS9_11use_defaultEEESI_EEENS0_18inequality_wrapperINS9_8equal_toIyEEEEPmJSH_EEE10hipError_tPvRmT3_T4_T5_T6_T7_T9_mT8_P12ihipStream_tbDpT10_ENKUlT_T0_E_clISt17integral_constantIbLb0EES1C_IbLb1EEEEDaS18_S19_EUlS18_E_NS1_11comp_targetILNS1_3genE4ELNS1_11target_archE910ELNS1_3gpuE8ELNS1_3repE0EEENS1_30default_config_static_selectorELNS0_4arch9wavefront6targetE0EEEvT1_
; %bb.0:
	.section	.rodata,"a",@progbits
	.p2align	6, 0x0
	.amdhsa_kernel _ZN7rocprim17ROCPRIM_400000_NS6detail17trampoline_kernelINS0_14default_configENS1_25partition_config_selectorILNS1_17partition_subalgoE9EyjbEEZZNS1_14partition_implILS5_9ELb0ES3_jN6thrust23THRUST_200600_302600_NS6detail15normal_iteratorINS9_10device_ptrIyEEEENSB_INSC_IjEEEEPNS0_10empty_typeENS0_5tupleIJSE_SH_EEENSJ_IJNS9_16discard_iteratorINS9_11use_defaultEEESI_EEENS0_18inequality_wrapperINS9_8equal_toIyEEEEPmJSH_EEE10hipError_tPvRmT3_T4_T5_T6_T7_T9_mT8_P12ihipStream_tbDpT10_ENKUlT_T0_E_clISt17integral_constantIbLb0EES1C_IbLb1EEEEDaS18_S19_EUlS18_E_NS1_11comp_targetILNS1_3genE4ELNS1_11target_archE910ELNS1_3gpuE8ELNS1_3repE0EEENS1_30default_config_static_selectorELNS0_4arch9wavefront6targetE0EEEvT1_
		.amdhsa_group_segment_fixed_size 0
		.amdhsa_private_segment_fixed_size 0
		.amdhsa_kernarg_size 136
		.amdhsa_user_sgpr_count 15
		.amdhsa_user_sgpr_dispatch_ptr 0
		.amdhsa_user_sgpr_queue_ptr 0
		.amdhsa_user_sgpr_kernarg_segment_ptr 1
		.amdhsa_user_sgpr_dispatch_id 0
		.amdhsa_user_sgpr_private_segment_size 0
		.amdhsa_wavefront_size32 1
		.amdhsa_uses_dynamic_stack 0
		.amdhsa_enable_private_segment 0
		.amdhsa_system_sgpr_workgroup_id_x 1
		.amdhsa_system_sgpr_workgroup_id_y 0
		.amdhsa_system_sgpr_workgroup_id_z 0
		.amdhsa_system_sgpr_workgroup_info 0
		.amdhsa_system_vgpr_workitem_id 0
		.amdhsa_next_free_vgpr 1
		.amdhsa_next_free_sgpr 1
		.amdhsa_reserve_vcc 0
		.amdhsa_float_round_mode_32 0
		.amdhsa_float_round_mode_16_64 0
		.amdhsa_float_denorm_mode_32 3
		.amdhsa_float_denorm_mode_16_64 3
		.amdhsa_dx10_clamp 1
		.amdhsa_ieee_mode 1
		.amdhsa_fp16_overflow 0
		.amdhsa_workgroup_processor_mode 1
		.amdhsa_memory_ordered 1
		.amdhsa_forward_progress 0
		.amdhsa_shared_vgpr_count 0
		.amdhsa_exception_fp_ieee_invalid_op 0
		.amdhsa_exception_fp_denorm_src 0
		.amdhsa_exception_fp_ieee_div_zero 0
		.amdhsa_exception_fp_ieee_overflow 0
		.amdhsa_exception_fp_ieee_underflow 0
		.amdhsa_exception_fp_ieee_inexact 0
		.amdhsa_exception_int_div_zero 0
	.end_amdhsa_kernel
	.section	.text._ZN7rocprim17ROCPRIM_400000_NS6detail17trampoline_kernelINS0_14default_configENS1_25partition_config_selectorILNS1_17partition_subalgoE9EyjbEEZZNS1_14partition_implILS5_9ELb0ES3_jN6thrust23THRUST_200600_302600_NS6detail15normal_iteratorINS9_10device_ptrIyEEEENSB_INSC_IjEEEEPNS0_10empty_typeENS0_5tupleIJSE_SH_EEENSJ_IJNS9_16discard_iteratorINS9_11use_defaultEEESI_EEENS0_18inequality_wrapperINS9_8equal_toIyEEEEPmJSH_EEE10hipError_tPvRmT3_T4_T5_T6_T7_T9_mT8_P12ihipStream_tbDpT10_ENKUlT_T0_E_clISt17integral_constantIbLb0EES1C_IbLb1EEEEDaS18_S19_EUlS18_E_NS1_11comp_targetILNS1_3genE4ELNS1_11target_archE910ELNS1_3gpuE8ELNS1_3repE0EEENS1_30default_config_static_selectorELNS0_4arch9wavefront6targetE0EEEvT1_,"axG",@progbits,_ZN7rocprim17ROCPRIM_400000_NS6detail17trampoline_kernelINS0_14default_configENS1_25partition_config_selectorILNS1_17partition_subalgoE9EyjbEEZZNS1_14partition_implILS5_9ELb0ES3_jN6thrust23THRUST_200600_302600_NS6detail15normal_iteratorINS9_10device_ptrIyEEEENSB_INSC_IjEEEEPNS0_10empty_typeENS0_5tupleIJSE_SH_EEENSJ_IJNS9_16discard_iteratorINS9_11use_defaultEEESI_EEENS0_18inequality_wrapperINS9_8equal_toIyEEEEPmJSH_EEE10hipError_tPvRmT3_T4_T5_T6_T7_T9_mT8_P12ihipStream_tbDpT10_ENKUlT_T0_E_clISt17integral_constantIbLb0EES1C_IbLb1EEEEDaS18_S19_EUlS18_E_NS1_11comp_targetILNS1_3genE4ELNS1_11target_archE910ELNS1_3gpuE8ELNS1_3repE0EEENS1_30default_config_static_selectorELNS0_4arch9wavefront6targetE0EEEvT1_,comdat
.Lfunc_end751:
	.size	_ZN7rocprim17ROCPRIM_400000_NS6detail17trampoline_kernelINS0_14default_configENS1_25partition_config_selectorILNS1_17partition_subalgoE9EyjbEEZZNS1_14partition_implILS5_9ELb0ES3_jN6thrust23THRUST_200600_302600_NS6detail15normal_iteratorINS9_10device_ptrIyEEEENSB_INSC_IjEEEEPNS0_10empty_typeENS0_5tupleIJSE_SH_EEENSJ_IJNS9_16discard_iteratorINS9_11use_defaultEEESI_EEENS0_18inequality_wrapperINS9_8equal_toIyEEEEPmJSH_EEE10hipError_tPvRmT3_T4_T5_T6_T7_T9_mT8_P12ihipStream_tbDpT10_ENKUlT_T0_E_clISt17integral_constantIbLb0EES1C_IbLb1EEEEDaS18_S19_EUlS18_E_NS1_11comp_targetILNS1_3genE4ELNS1_11target_archE910ELNS1_3gpuE8ELNS1_3repE0EEENS1_30default_config_static_selectorELNS0_4arch9wavefront6targetE0EEEvT1_, .Lfunc_end751-_ZN7rocprim17ROCPRIM_400000_NS6detail17trampoline_kernelINS0_14default_configENS1_25partition_config_selectorILNS1_17partition_subalgoE9EyjbEEZZNS1_14partition_implILS5_9ELb0ES3_jN6thrust23THRUST_200600_302600_NS6detail15normal_iteratorINS9_10device_ptrIyEEEENSB_INSC_IjEEEEPNS0_10empty_typeENS0_5tupleIJSE_SH_EEENSJ_IJNS9_16discard_iteratorINS9_11use_defaultEEESI_EEENS0_18inequality_wrapperINS9_8equal_toIyEEEEPmJSH_EEE10hipError_tPvRmT3_T4_T5_T6_T7_T9_mT8_P12ihipStream_tbDpT10_ENKUlT_T0_E_clISt17integral_constantIbLb0EES1C_IbLb1EEEEDaS18_S19_EUlS18_E_NS1_11comp_targetILNS1_3genE4ELNS1_11target_archE910ELNS1_3gpuE8ELNS1_3repE0EEENS1_30default_config_static_selectorELNS0_4arch9wavefront6targetE0EEEvT1_
                                        ; -- End function
	.section	.AMDGPU.csdata,"",@progbits
; Kernel info:
; codeLenInByte = 0
; NumSgprs: 0
; NumVgprs: 0
; ScratchSize: 0
; MemoryBound: 0
; FloatMode: 240
; IeeeMode: 1
; LDSByteSize: 0 bytes/workgroup (compile time only)
; SGPRBlocks: 0
; VGPRBlocks: 0
; NumSGPRsForWavesPerEU: 1
; NumVGPRsForWavesPerEU: 1
; Occupancy: 15
; WaveLimiterHint : 0
; COMPUTE_PGM_RSRC2:SCRATCH_EN: 0
; COMPUTE_PGM_RSRC2:USER_SGPR: 15
; COMPUTE_PGM_RSRC2:TRAP_HANDLER: 0
; COMPUTE_PGM_RSRC2:TGID_X_EN: 1
; COMPUTE_PGM_RSRC2:TGID_Y_EN: 0
; COMPUTE_PGM_RSRC2:TGID_Z_EN: 0
; COMPUTE_PGM_RSRC2:TIDIG_COMP_CNT: 0
	.section	.text._ZN7rocprim17ROCPRIM_400000_NS6detail17trampoline_kernelINS0_14default_configENS1_25partition_config_selectorILNS1_17partition_subalgoE9EyjbEEZZNS1_14partition_implILS5_9ELb0ES3_jN6thrust23THRUST_200600_302600_NS6detail15normal_iteratorINS9_10device_ptrIyEEEENSB_INSC_IjEEEEPNS0_10empty_typeENS0_5tupleIJSE_SH_EEENSJ_IJNS9_16discard_iteratorINS9_11use_defaultEEESI_EEENS0_18inequality_wrapperINS9_8equal_toIyEEEEPmJSH_EEE10hipError_tPvRmT3_T4_T5_T6_T7_T9_mT8_P12ihipStream_tbDpT10_ENKUlT_T0_E_clISt17integral_constantIbLb0EES1C_IbLb1EEEEDaS18_S19_EUlS18_E_NS1_11comp_targetILNS1_3genE3ELNS1_11target_archE908ELNS1_3gpuE7ELNS1_3repE0EEENS1_30default_config_static_selectorELNS0_4arch9wavefront6targetE0EEEvT1_,"axG",@progbits,_ZN7rocprim17ROCPRIM_400000_NS6detail17trampoline_kernelINS0_14default_configENS1_25partition_config_selectorILNS1_17partition_subalgoE9EyjbEEZZNS1_14partition_implILS5_9ELb0ES3_jN6thrust23THRUST_200600_302600_NS6detail15normal_iteratorINS9_10device_ptrIyEEEENSB_INSC_IjEEEEPNS0_10empty_typeENS0_5tupleIJSE_SH_EEENSJ_IJNS9_16discard_iteratorINS9_11use_defaultEEESI_EEENS0_18inequality_wrapperINS9_8equal_toIyEEEEPmJSH_EEE10hipError_tPvRmT3_T4_T5_T6_T7_T9_mT8_P12ihipStream_tbDpT10_ENKUlT_T0_E_clISt17integral_constantIbLb0EES1C_IbLb1EEEEDaS18_S19_EUlS18_E_NS1_11comp_targetILNS1_3genE3ELNS1_11target_archE908ELNS1_3gpuE7ELNS1_3repE0EEENS1_30default_config_static_selectorELNS0_4arch9wavefront6targetE0EEEvT1_,comdat
	.protected	_ZN7rocprim17ROCPRIM_400000_NS6detail17trampoline_kernelINS0_14default_configENS1_25partition_config_selectorILNS1_17partition_subalgoE9EyjbEEZZNS1_14partition_implILS5_9ELb0ES3_jN6thrust23THRUST_200600_302600_NS6detail15normal_iteratorINS9_10device_ptrIyEEEENSB_INSC_IjEEEEPNS0_10empty_typeENS0_5tupleIJSE_SH_EEENSJ_IJNS9_16discard_iteratorINS9_11use_defaultEEESI_EEENS0_18inequality_wrapperINS9_8equal_toIyEEEEPmJSH_EEE10hipError_tPvRmT3_T4_T5_T6_T7_T9_mT8_P12ihipStream_tbDpT10_ENKUlT_T0_E_clISt17integral_constantIbLb0EES1C_IbLb1EEEEDaS18_S19_EUlS18_E_NS1_11comp_targetILNS1_3genE3ELNS1_11target_archE908ELNS1_3gpuE7ELNS1_3repE0EEENS1_30default_config_static_selectorELNS0_4arch9wavefront6targetE0EEEvT1_ ; -- Begin function _ZN7rocprim17ROCPRIM_400000_NS6detail17trampoline_kernelINS0_14default_configENS1_25partition_config_selectorILNS1_17partition_subalgoE9EyjbEEZZNS1_14partition_implILS5_9ELb0ES3_jN6thrust23THRUST_200600_302600_NS6detail15normal_iteratorINS9_10device_ptrIyEEEENSB_INSC_IjEEEEPNS0_10empty_typeENS0_5tupleIJSE_SH_EEENSJ_IJNS9_16discard_iteratorINS9_11use_defaultEEESI_EEENS0_18inequality_wrapperINS9_8equal_toIyEEEEPmJSH_EEE10hipError_tPvRmT3_T4_T5_T6_T7_T9_mT8_P12ihipStream_tbDpT10_ENKUlT_T0_E_clISt17integral_constantIbLb0EES1C_IbLb1EEEEDaS18_S19_EUlS18_E_NS1_11comp_targetILNS1_3genE3ELNS1_11target_archE908ELNS1_3gpuE7ELNS1_3repE0EEENS1_30default_config_static_selectorELNS0_4arch9wavefront6targetE0EEEvT1_
	.globl	_ZN7rocprim17ROCPRIM_400000_NS6detail17trampoline_kernelINS0_14default_configENS1_25partition_config_selectorILNS1_17partition_subalgoE9EyjbEEZZNS1_14partition_implILS5_9ELb0ES3_jN6thrust23THRUST_200600_302600_NS6detail15normal_iteratorINS9_10device_ptrIyEEEENSB_INSC_IjEEEEPNS0_10empty_typeENS0_5tupleIJSE_SH_EEENSJ_IJNS9_16discard_iteratorINS9_11use_defaultEEESI_EEENS0_18inequality_wrapperINS9_8equal_toIyEEEEPmJSH_EEE10hipError_tPvRmT3_T4_T5_T6_T7_T9_mT8_P12ihipStream_tbDpT10_ENKUlT_T0_E_clISt17integral_constantIbLb0EES1C_IbLb1EEEEDaS18_S19_EUlS18_E_NS1_11comp_targetILNS1_3genE3ELNS1_11target_archE908ELNS1_3gpuE7ELNS1_3repE0EEENS1_30default_config_static_selectorELNS0_4arch9wavefront6targetE0EEEvT1_
	.p2align	8
	.type	_ZN7rocprim17ROCPRIM_400000_NS6detail17trampoline_kernelINS0_14default_configENS1_25partition_config_selectorILNS1_17partition_subalgoE9EyjbEEZZNS1_14partition_implILS5_9ELb0ES3_jN6thrust23THRUST_200600_302600_NS6detail15normal_iteratorINS9_10device_ptrIyEEEENSB_INSC_IjEEEEPNS0_10empty_typeENS0_5tupleIJSE_SH_EEENSJ_IJNS9_16discard_iteratorINS9_11use_defaultEEESI_EEENS0_18inequality_wrapperINS9_8equal_toIyEEEEPmJSH_EEE10hipError_tPvRmT3_T4_T5_T6_T7_T9_mT8_P12ihipStream_tbDpT10_ENKUlT_T0_E_clISt17integral_constantIbLb0EES1C_IbLb1EEEEDaS18_S19_EUlS18_E_NS1_11comp_targetILNS1_3genE3ELNS1_11target_archE908ELNS1_3gpuE7ELNS1_3repE0EEENS1_30default_config_static_selectorELNS0_4arch9wavefront6targetE0EEEvT1_,@function
_ZN7rocprim17ROCPRIM_400000_NS6detail17trampoline_kernelINS0_14default_configENS1_25partition_config_selectorILNS1_17partition_subalgoE9EyjbEEZZNS1_14partition_implILS5_9ELb0ES3_jN6thrust23THRUST_200600_302600_NS6detail15normal_iteratorINS9_10device_ptrIyEEEENSB_INSC_IjEEEEPNS0_10empty_typeENS0_5tupleIJSE_SH_EEENSJ_IJNS9_16discard_iteratorINS9_11use_defaultEEESI_EEENS0_18inequality_wrapperINS9_8equal_toIyEEEEPmJSH_EEE10hipError_tPvRmT3_T4_T5_T6_T7_T9_mT8_P12ihipStream_tbDpT10_ENKUlT_T0_E_clISt17integral_constantIbLb0EES1C_IbLb1EEEEDaS18_S19_EUlS18_E_NS1_11comp_targetILNS1_3genE3ELNS1_11target_archE908ELNS1_3gpuE7ELNS1_3repE0EEENS1_30default_config_static_selectorELNS0_4arch9wavefront6targetE0EEEvT1_: ; @_ZN7rocprim17ROCPRIM_400000_NS6detail17trampoline_kernelINS0_14default_configENS1_25partition_config_selectorILNS1_17partition_subalgoE9EyjbEEZZNS1_14partition_implILS5_9ELb0ES3_jN6thrust23THRUST_200600_302600_NS6detail15normal_iteratorINS9_10device_ptrIyEEEENSB_INSC_IjEEEEPNS0_10empty_typeENS0_5tupleIJSE_SH_EEENSJ_IJNS9_16discard_iteratorINS9_11use_defaultEEESI_EEENS0_18inequality_wrapperINS9_8equal_toIyEEEEPmJSH_EEE10hipError_tPvRmT3_T4_T5_T6_T7_T9_mT8_P12ihipStream_tbDpT10_ENKUlT_T0_E_clISt17integral_constantIbLb0EES1C_IbLb1EEEEDaS18_S19_EUlS18_E_NS1_11comp_targetILNS1_3genE3ELNS1_11target_archE908ELNS1_3gpuE7ELNS1_3repE0EEENS1_30default_config_static_selectorELNS0_4arch9wavefront6targetE0EEEvT1_
; %bb.0:
	.section	.rodata,"a",@progbits
	.p2align	6, 0x0
	.amdhsa_kernel _ZN7rocprim17ROCPRIM_400000_NS6detail17trampoline_kernelINS0_14default_configENS1_25partition_config_selectorILNS1_17partition_subalgoE9EyjbEEZZNS1_14partition_implILS5_9ELb0ES3_jN6thrust23THRUST_200600_302600_NS6detail15normal_iteratorINS9_10device_ptrIyEEEENSB_INSC_IjEEEEPNS0_10empty_typeENS0_5tupleIJSE_SH_EEENSJ_IJNS9_16discard_iteratorINS9_11use_defaultEEESI_EEENS0_18inequality_wrapperINS9_8equal_toIyEEEEPmJSH_EEE10hipError_tPvRmT3_T4_T5_T6_T7_T9_mT8_P12ihipStream_tbDpT10_ENKUlT_T0_E_clISt17integral_constantIbLb0EES1C_IbLb1EEEEDaS18_S19_EUlS18_E_NS1_11comp_targetILNS1_3genE3ELNS1_11target_archE908ELNS1_3gpuE7ELNS1_3repE0EEENS1_30default_config_static_selectorELNS0_4arch9wavefront6targetE0EEEvT1_
		.amdhsa_group_segment_fixed_size 0
		.amdhsa_private_segment_fixed_size 0
		.amdhsa_kernarg_size 136
		.amdhsa_user_sgpr_count 15
		.amdhsa_user_sgpr_dispatch_ptr 0
		.amdhsa_user_sgpr_queue_ptr 0
		.amdhsa_user_sgpr_kernarg_segment_ptr 1
		.amdhsa_user_sgpr_dispatch_id 0
		.amdhsa_user_sgpr_private_segment_size 0
		.amdhsa_wavefront_size32 1
		.amdhsa_uses_dynamic_stack 0
		.amdhsa_enable_private_segment 0
		.amdhsa_system_sgpr_workgroup_id_x 1
		.amdhsa_system_sgpr_workgroup_id_y 0
		.amdhsa_system_sgpr_workgroup_id_z 0
		.amdhsa_system_sgpr_workgroup_info 0
		.amdhsa_system_vgpr_workitem_id 0
		.amdhsa_next_free_vgpr 1
		.amdhsa_next_free_sgpr 1
		.amdhsa_reserve_vcc 0
		.amdhsa_float_round_mode_32 0
		.amdhsa_float_round_mode_16_64 0
		.amdhsa_float_denorm_mode_32 3
		.amdhsa_float_denorm_mode_16_64 3
		.amdhsa_dx10_clamp 1
		.amdhsa_ieee_mode 1
		.amdhsa_fp16_overflow 0
		.amdhsa_workgroup_processor_mode 1
		.amdhsa_memory_ordered 1
		.amdhsa_forward_progress 0
		.amdhsa_shared_vgpr_count 0
		.amdhsa_exception_fp_ieee_invalid_op 0
		.amdhsa_exception_fp_denorm_src 0
		.amdhsa_exception_fp_ieee_div_zero 0
		.amdhsa_exception_fp_ieee_overflow 0
		.amdhsa_exception_fp_ieee_underflow 0
		.amdhsa_exception_fp_ieee_inexact 0
		.amdhsa_exception_int_div_zero 0
	.end_amdhsa_kernel
	.section	.text._ZN7rocprim17ROCPRIM_400000_NS6detail17trampoline_kernelINS0_14default_configENS1_25partition_config_selectorILNS1_17partition_subalgoE9EyjbEEZZNS1_14partition_implILS5_9ELb0ES3_jN6thrust23THRUST_200600_302600_NS6detail15normal_iteratorINS9_10device_ptrIyEEEENSB_INSC_IjEEEEPNS0_10empty_typeENS0_5tupleIJSE_SH_EEENSJ_IJNS9_16discard_iteratorINS9_11use_defaultEEESI_EEENS0_18inequality_wrapperINS9_8equal_toIyEEEEPmJSH_EEE10hipError_tPvRmT3_T4_T5_T6_T7_T9_mT8_P12ihipStream_tbDpT10_ENKUlT_T0_E_clISt17integral_constantIbLb0EES1C_IbLb1EEEEDaS18_S19_EUlS18_E_NS1_11comp_targetILNS1_3genE3ELNS1_11target_archE908ELNS1_3gpuE7ELNS1_3repE0EEENS1_30default_config_static_selectorELNS0_4arch9wavefront6targetE0EEEvT1_,"axG",@progbits,_ZN7rocprim17ROCPRIM_400000_NS6detail17trampoline_kernelINS0_14default_configENS1_25partition_config_selectorILNS1_17partition_subalgoE9EyjbEEZZNS1_14partition_implILS5_9ELb0ES3_jN6thrust23THRUST_200600_302600_NS6detail15normal_iteratorINS9_10device_ptrIyEEEENSB_INSC_IjEEEEPNS0_10empty_typeENS0_5tupleIJSE_SH_EEENSJ_IJNS9_16discard_iteratorINS9_11use_defaultEEESI_EEENS0_18inequality_wrapperINS9_8equal_toIyEEEEPmJSH_EEE10hipError_tPvRmT3_T4_T5_T6_T7_T9_mT8_P12ihipStream_tbDpT10_ENKUlT_T0_E_clISt17integral_constantIbLb0EES1C_IbLb1EEEEDaS18_S19_EUlS18_E_NS1_11comp_targetILNS1_3genE3ELNS1_11target_archE908ELNS1_3gpuE7ELNS1_3repE0EEENS1_30default_config_static_selectorELNS0_4arch9wavefront6targetE0EEEvT1_,comdat
.Lfunc_end752:
	.size	_ZN7rocprim17ROCPRIM_400000_NS6detail17trampoline_kernelINS0_14default_configENS1_25partition_config_selectorILNS1_17partition_subalgoE9EyjbEEZZNS1_14partition_implILS5_9ELb0ES3_jN6thrust23THRUST_200600_302600_NS6detail15normal_iteratorINS9_10device_ptrIyEEEENSB_INSC_IjEEEEPNS0_10empty_typeENS0_5tupleIJSE_SH_EEENSJ_IJNS9_16discard_iteratorINS9_11use_defaultEEESI_EEENS0_18inequality_wrapperINS9_8equal_toIyEEEEPmJSH_EEE10hipError_tPvRmT3_T4_T5_T6_T7_T9_mT8_P12ihipStream_tbDpT10_ENKUlT_T0_E_clISt17integral_constantIbLb0EES1C_IbLb1EEEEDaS18_S19_EUlS18_E_NS1_11comp_targetILNS1_3genE3ELNS1_11target_archE908ELNS1_3gpuE7ELNS1_3repE0EEENS1_30default_config_static_selectorELNS0_4arch9wavefront6targetE0EEEvT1_, .Lfunc_end752-_ZN7rocprim17ROCPRIM_400000_NS6detail17trampoline_kernelINS0_14default_configENS1_25partition_config_selectorILNS1_17partition_subalgoE9EyjbEEZZNS1_14partition_implILS5_9ELb0ES3_jN6thrust23THRUST_200600_302600_NS6detail15normal_iteratorINS9_10device_ptrIyEEEENSB_INSC_IjEEEEPNS0_10empty_typeENS0_5tupleIJSE_SH_EEENSJ_IJNS9_16discard_iteratorINS9_11use_defaultEEESI_EEENS0_18inequality_wrapperINS9_8equal_toIyEEEEPmJSH_EEE10hipError_tPvRmT3_T4_T5_T6_T7_T9_mT8_P12ihipStream_tbDpT10_ENKUlT_T0_E_clISt17integral_constantIbLb0EES1C_IbLb1EEEEDaS18_S19_EUlS18_E_NS1_11comp_targetILNS1_3genE3ELNS1_11target_archE908ELNS1_3gpuE7ELNS1_3repE0EEENS1_30default_config_static_selectorELNS0_4arch9wavefront6targetE0EEEvT1_
                                        ; -- End function
	.section	.AMDGPU.csdata,"",@progbits
; Kernel info:
; codeLenInByte = 0
; NumSgprs: 0
; NumVgprs: 0
; ScratchSize: 0
; MemoryBound: 0
; FloatMode: 240
; IeeeMode: 1
; LDSByteSize: 0 bytes/workgroup (compile time only)
; SGPRBlocks: 0
; VGPRBlocks: 0
; NumSGPRsForWavesPerEU: 1
; NumVGPRsForWavesPerEU: 1
; Occupancy: 16
; WaveLimiterHint : 0
; COMPUTE_PGM_RSRC2:SCRATCH_EN: 0
; COMPUTE_PGM_RSRC2:USER_SGPR: 15
; COMPUTE_PGM_RSRC2:TRAP_HANDLER: 0
; COMPUTE_PGM_RSRC2:TGID_X_EN: 1
; COMPUTE_PGM_RSRC2:TGID_Y_EN: 0
; COMPUTE_PGM_RSRC2:TGID_Z_EN: 0
; COMPUTE_PGM_RSRC2:TIDIG_COMP_CNT: 0
	.section	.text._ZN7rocprim17ROCPRIM_400000_NS6detail17trampoline_kernelINS0_14default_configENS1_25partition_config_selectorILNS1_17partition_subalgoE9EyjbEEZZNS1_14partition_implILS5_9ELb0ES3_jN6thrust23THRUST_200600_302600_NS6detail15normal_iteratorINS9_10device_ptrIyEEEENSB_INSC_IjEEEEPNS0_10empty_typeENS0_5tupleIJSE_SH_EEENSJ_IJNS9_16discard_iteratorINS9_11use_defaultEEESI_EEENS0_18inequality_wrapperINS9_8equal_toIyEEEEPmJSH_EEE10hipError_tPvRmT3_T4_T5_T6_T7_T9_mT8_P12ihipStream_tbDpT10_ENKUlT_T0_E_clISt17integral_constantIbLb0EES1C_IbLb1EEEEDaS18_S19_EUlS18_E_NS1_11comp_targetILNS1_3genE2ELNS1_11target_archE906ELNS1_3gpuE6ELNS1_3repE0EEENS1_30default_config_static_selectorELNS0_4arch9wavefront6targetE0EEEvT1_,"axG",@progbits,_ZN7rocprim17ROCPRIM_400000_NS6detail17trampoline_kernelINS0_14default_configENS1_25partition_config_selectorILNS1_17partition_subalgoE9EyjbEEZZNS1_14partition_implILS5_9ELb0ES3_jN6thrust23THRUST_200600_302600_NS6detail15normal_iteratorINS9_10device_ptrIyEEEENSB_INSC_IjEEEEPNS0_10empty_typeENS0_5tupleIJSE_SH_EEENSJ_IJNS9_16discard_iteratorINS9_11use_defaultEEESI_EEENS0_18inequality_wrapperINS9_8equal_toIyEEEEPmJSH_EEE10hipError_tPvRmT3_T4_T5_T6_T7_T9_mT8_P12ihipStream_tbDpT10_ENKUlT_T0_E_clISt17integral_constantIbLb0EES1C_IbLb1EEEEDaS18_S19_EUlS18_E_NS1_11comp_targetILNS1_3genE2ELNS1_11target_archE906ELNS1_3gpuE6ELNS1_3repE0EEENS1_30default_config_static_selectorELNS0_4arch9wavefront6targetE0EEEvT1_,comdat
	.protected	_ZN7rocprim17ROCPRIM_400000_NS6detail17trampoline_kernelINS0_14default_configENS1_25partition_config_selectorILNS1_17partition_subalgoE9EyjbEEZZNS1_14partition_implILS5_9ELb0ES3_jN6thrust23THRUST_200600_302600_NS6detail15normal_iteratorINS9_10device_ptrIyEEEENSB_INSC_IjEEEEPNS0_10empty_typeENS0_5tupleIJSE_SH_EEENSJ_IJNS9_16discard_iteratorINS9_11use_defaultEEESI_EEENS0_18inequality_wrapperINS9_8equal_toIyEEEEPmJSH_EEE10hipError_tPvRmT3_T4_T5_T6_T7_T9_mT8_P12ihipStream_tbDpT10_ENKUlT_T0_E_clISt17integral_constantIbLb0EES1C_IbLb1EEEEDaS18_S19_EUlS18_E_NS1_11comp_targetILNS1_3genE2ELNS1_11target_archE906ELNS1_3gpuE6ELNS1_3repE0EEENS1_30default_config_static_selectorELNS0_4arch9wavefront6targetE0EEEvT1_ ; -- Begin function _ZN7rocprim17ROCPRIM_400000_NS6detail17trampoline_kernelINS0_14default_configENS1_25partition_config_selectorILNS1_17partition_subalgoE9EyjbEEZZNS1_14partition_implILS5_9ELb0ES3_jN6thrust23THRUST_200600_302600_NS6detail15normal_iteratorINS9_10device_ptrIyEEEENSB_INSC_IjEEEEPNS0_10empty_typeENS0_5tupleIJSE_SH_EEENSJ_IJNS9_16discard_iteratorINS9_11use_defaultEEESI_EEENS0_18inequality_wrapperINS9_8equal_toIyEEEEPmJSH_EEE10hipError_tPvRmT3_T4_T5_T6_T7_T9_mT8_P12ihipStream_tbDpT10_ENKUlT_T0_E_clISt17integral_constantIbLb0EES1C_IbLb1EEEEDaS18_S19_EUlS18_E_NS1_11comp_targetILNS1_3genE2ELNS1_11target_archE906ELNS1_3gpuE6ELNS1_3repE0EEENS1_30default_config_static_selectorELNS0_4arch9wavefront6targetE0EEEvT1_
	.globl	_ZN7rocprim17ROCPRIM_400000_NS6detail17trampoline_kernelINS0_14default_configENS1_25partition_config_selectorILNS1_17partition_subalgoE9EyjbEEZZNS1_14partition_implILS5_9ELb0ES3_jN6thrust23THRUST_200600_302600_NS6detail15normal_iteratorINS9_10device_ptrIyEEEENSB_INSC_IjEEEEPNS0_10empty_typeENS0_5tupleIJSE_SH_EEENSJ_IJNS9_16discard_iteratorINS9_11use_defaultEEESI_EEENS0_18inequality_wrapperINS9_8equal_toIyEEEEPmJSH_EEE10hipError_tPvRmT3_T4_T5_T6_T7_T9_mT8_P12ihipStream_tbDpT10_ENKUlT_T0_E_clISt17integral_constantIbLb0EES1C_IbLb1EEEEDaS18_S19_EUlS18_E_NS1_11comp_targetILNS1_3genE2ELNS1_11target_archE906ELNS1_3gpuE6ELNS1_3repE0EEENS1_30default_config_static_selectorELNS0_4arch9wavefront6targetE0EEEvT1_
	.p2align	8
	.type	_ZN7rocprim17ROCPRIM_400000_NS6detail17trampoline_kernelINS0_14default_configENS1_25partition_config_selectorILNS1_17partition_subalgoE9EyjbEEZZNS1_14partition_implILS5_9ELb0ES3_jN6thrust23THRUST_200600_302600_NS6detail15normal_iteratorINS9_10device_ptrIyEEEENSB_INSC_IjEEEEPNS0_10empty_typeENS0_5tupleIJSE_SH_EEENSJ_IJNS9_16discard_iteratorINS9_11use_defaultEEESI_EEENS0_18inequality_wrapperINS9_8equal_toIyEEEEPmJSH_EEE10hipError_tPvRmT3_T4_T5_T6_T7_T9_mT8_P12ihipStream_tbDpT10_ENKUlT_T0_E_clISt17integral_constantIbLb0EES1C_IbLb1EEEEDaS18_S19_EUlS18_E_NS1_11comp_targetILNS1_3genE2ELNS1_11target_archE906ELNS1_3gpuE6ELNS1_3repE0EEENS1_30default_config_static_selectorELNS0_4arch9wavefront6targetE0EEEvT1_,@function
_ZN7rocprim17ROCPRIM_400000_NS6detail17trampoline_kernelINS0_14default_configENS1_25partition_config_selectorILNS1_17partition_subalgoE9EyjbEEZZNS1_14partition_implILS5_9ELb0ES3_jN6thrust23THRUST_200600_302600_NS6detail15normal_iteratorINS9_10device_ptrIyEEEENSB_INSC_IjEEEEPNS0_10empty_typeENS0_5tupleIJSE_SH_EEENSJ_IJNS9_16discard_iteratorINS9_11use_defaultEEESI_EEENS0_18inequality_wrapperINS9_8equal_toIyEEEEPmJSH_EEE10hipError_tPvRmT3_T4_T5_T6_T7_T9_mT8_P12ihipStream_tbDpT10_ENKUlT_T0_E_clISt17integral_constantIbLb0EES1C_IbLb1EEEEDaS18_S19_EUlS18_E_NS1_11comp_targetILNS1_3genE2ELNS1_11target_archE906ELNS1_3gpuE6ELNS1_3repE0EEENS1_30default_config_static_selectorELNS0_4arch9wavefront6targetE0EEEvT1_: ; @_ZN7rocprim17ROCPRIM_400000_NS6detail17trampoline_kernelINS0_14default_configENS1_25partition_config_selectorILNS1_17partition_subalgoE9EyjbEEZZNS1_14partition_implILS5_9ELb0ES3_jN6thrust23THRUST_200600_302600_NS6detail15normal_iteratorINS9_10device_ptrIyEEEENSB_INSC_IjEEEEPNS0_10empty_typeENS0_5tupleIJSE_SH_EEENSJ_IJNS9_16discard_iteratorINS9_11use_defaultEEESI_EEENS0_18inequality_wrapperINS9_8equal_toIyEEEEPmJSH_EEE10hipError_tPvRmT3_T4_T5_T6_T7_T9_mT8_P12ihipStream_tbDpT10_ENKUlT_T0_E_clISt17integral_constantIbLb0EES1C_IbLb1EEEEDaS18_S19_EUlS18_E_NS1_11comp_targetILNS1_3genE2ELNS1_11target_archE906ELNS1_3gpuE6ELNS1_3repE0EEENS1_30default_config_static_selectorELNS0_4arch9wavefront6targetE0EEEvT1_
; %bb.0:
	.section	.rodata,"a",@progbits
	.p2align	6, 0x0
	.amdhsa_kernel _ZN7rocprim17ROCPRIM_400000_NS6detail17trampoline_kernelINS0_14default_configENS1_25partition_config_selectorILNS1_17partition_subalgoE9EyjbEEZZNS1_14partition_implILS5_9ELb0ES3_jN6thrust23THRUST_200600_302600_NS6detail15normal_iteratorINS9_10device_ptrIyEEEENSB_INSC_IjEEEEPNS0_10empty_typeENS0_5tupleIJSE_SH_EEENSJ_IJNS9_16discard_iteratorINS9_11use_defaultEEESI_EEENS0_18inequality_wrapperINS9_8equal_toIyEEEEPmJSH_EEE10hipError_tPvRmT3_T4_T5_T6_T7_T9_mT8_P12ihipStream_tbDpT10_ENKUlT_T0_E_clISt17integral_constantIbLb0EES1C_IbLb1EEEEDaS18_S19_EUlS18_E_NS1_11comp_targetILNS1_3genE2ELNS1_11target_archE906ELNS1_3gpuE6ELNS1_3repE0EEENS1_30default_config_static_selectorELNS0_4arch9wavefront6targetE0EEEvT1_
		.amdhsa_group_segment_fixed_size 0
		.amdhsa_private_segment_fixed_size 0
		.amdhsa_kernarg_size 136
		.amdhsa_user_sgpr_count 15
		.amdhsa_user_sgpr_dispatch_ptr 0
		.amdhsa_user_sgpr_queue_ptr 0
		.amdhsa_user_sgpr_kernarg_segment_ptr 1
		.amdhsa_user_sgpr_dispatch_id 0
		.amdhsa_user_sgpr_private_segment_size 0
		.amdhsa_wavefront_size32 1
		.amdhsa_uses_dynamic_stack 0
		.amdhsa_enable_private_segment 0
		.amdhsa_system_sgpr_workgroup_id_x 1
		.amdhsa_system_sgpr_workgroup_id_y 0
		.amdhsa_system_sgpr_workgroup_id_z 0
		.amdhsa_system_sgpr_workgroup_info 0
		.amdhsa_system_vgpr_workitem_id 0
		.amdhsa_next_free_vgpr 1
		.amdhsa_next_free_sgpr 1
		.amdhsa_reserve_vcc 0
		.amdhsa_float_round_mode_32 0
		.amdhsa_float_round_mode_16_64 0
		.amdhsa_float_denorm_mode_32 3
		.amdhsa_float_denorm_mode_16_64 3
		.amdhsa_dx10_clamp 1
		.amdhsa_ieee_mode 1
		.amdhsa_fp16_overflow 0
		.amdhsa_workgroup_processor_mode 1
		.amdhsa_memory_ordered 1
		.amdhsa_forward_progress 0
		.amdhsa_shared_vgpr_count 0
		.amdhsa_exception_fp_ieee_invalid_op 0
		.amdhsa_exception_fp_denorm_src 0
		.amdhsa_exception_fp_ieee_div_zero 0
		.amdhsa_exception_fp_ieee_overflow 0
		.amdhsa_exception_fp_ieee_underflow 0
		.amdhsa_exception_fp_ieee_inexact 0
		.amdhsa_exception_int_div_zero 0
	.end_amdhsa_kernel
	.section	.text._ZN7rocprim17ROCPRIM_400000_NS6detail17trampoline_kernelINS0_14default_configENS1_25partition_config_selectorILNS1_17partition_subalgoE9EyjbEEZZNS1_14partition_implILS5_9ELb0ES3_jN6thrust23THRUST_200600_302600_NS6detail15normal_iteratorINS9_10device_ptrIyEEEENSB_INSC_IjEEEEPNS0_10empty_typeENS0_5tupleIJSE_SH_EEENSJ_IJNS9_16discard_iteratorINS9_11use_defaultEEESI_EEENS0_18inequality_wrapperINS9_8equal_toIyEEEEPmJSH_EEE10hipError_tPvRmT3_T4_T5_T6_T7_T9_mT8_P12ihipStream_tbDpT10_ENKUlT_T0_E_clISt17integral_constantIbLb0EES1C_IbLb1EEEEDaS18_S19_EUlS18_E_NS1_11comp_targetILNS1_3genE2ELNS1_11target_archE906ELNS1_3gpuE6ELNS1_3repE0EEENS1_30default_config_static_selectorELNS0_4arch9wavefront6targetE0EEEvT1_,"axG",@progbits,_ZN7rocprim17ROCPRIM_400000_NS6detail17trampoline_kernelINS0_14default_configENS1_25partition_config_selectorILNS1_17partition_subalgoE9EyjbEEZZNS1_14partition_implILS5_9ELb0ES3_jN6thrust23THRUST_200600_302600_NS6detail15normal_iteratorINS9_10device_ptrIyEEEENSB_INSC_IjEEEEPNS0_10empty_typeENS0_5tupleIJSE_SH_EEENSJ_IJNS9_16discard_iteratorINS9_11use_defaultEEESI_EEENS0_18inequality_wrapperINS9_8equal_toIyEEEEPmJSH_EEE10hipError_tPvRmT3_T4_T5_T6_T7_T9_mT8_P12ihipStream_tbDpT10_ENKUlT_T0_E_clISt17integral_constantIbLb0EES1C_IbLb1EEEEDaS18_S19_EUlS18_E_NS1_11comp_targetILNS1_3genE2ELNS1_11target_archE906ELNS1_3gpuE6ELNS1_3repE0EEENS1_30default_config_static_selectorELNS0_4arch9wavefront6targetE0EEEvT1_,comdat
.Lfunc_end753:
	.size	_ZN7rocprim17ROCPRIM_400000_NS6detail17trampoline_kernelINS0_14default_configENS1_25partition_config_selectorILNS1_17partition_subalgoE9EyjbEEZZNS1_14partition_implILS5_9ELb0ES3_jN6thrust23THRUST_200600_302600_NS6detail15normal_iteratorINS9_10device_ptrIyEEEENSB_INSC_IjEEEEPNS0_10empty_typeENS0_5tupleIJSE_SH_EEENSJ_IJNS9_16discard_iteratorINS9_11use_defaultEEESI_EEENS0_18inequality_wrapperINS9_8equal_toIyEEEEPmJSH_EEE10hipError_tPvRmT3_T4_T5_T6_T7_T9_mT8_P12ihipStream_tbDpT10_ENKUlT_T0_E_clISt17integral_constantIbLb0EES1C_IbLb1EEEEDaS18_S19_EUlS18_E_NS1_11comp_targetILNS1_3genE2ELNS1_11target_archE906ELNS1_3gpuE6ELNS1_3repE0EEENS1_30default_config_static_selectorELNS0_4arch9wavefront6targetE0EEEvT1_, .Lfunc_end753-_ZN7rocprim17ROCPRIM_400000_NS6detail17trampoline_kernelINS0_14default_configENS1_25partition_config_selectorILNS1_17partition_subalgoE9EyjbEEZZNS1_14partition_implILS5_9ELb0ES3_jN6thrust23THRUST_200600_302600_NS6detail15normal_iteratorINS9_10device_ptrIyEEEENSB_INSC_IjEEEEPNS0_10empty_typeENS0_5tupleIJSE_SH_EEENSJ_IJNS9_16discard_iteratorINS9_11use_defaultEEESI_EEENS0_18inequality_wrapperINS9_8equal_toIyEEEEPmJSH_EEE10hipError_tPvRmT3_T4_T5_T6_T7_T9_mT8_P12ihipStream_tbDpT10_ENKUlT_T0_E_clISt17integral_constantIbLb0EES1C_IbLb1EEEEDaS18_S19_EUlS18_E_NS1_11comp_targetILNS1_3genE2ELNS1_11target_archE906ELNS1_3gpuE6ELNS1_3repE0EEENS1_30default_config_static_selectorELNS0_4arch9wavefront6targetE0EEEvT1_
                                        ; -- End function
	.section	.AMDGPU.csdata,"",@progbits
; Kernel info:
; codeLenInByte = 0
; NumSgprs: 0
; NumVgprs: 0
; ScratchSize: 0
; MemoryBound: 0
; FloatMode: 240
; IeeeMode: 1
; LDSByteSize: 0 bytes/workgroup (compile time only)
; SGPRBlocks: 0
; VGPRBlocks: 0
; NumSGPRsForWavesPerEU: 1
; NumVGPRsForWavesPerEU: 1
; Occupancy: 16
; WaveLimiterHint : 0
; COMPUTE_PGM_RSRC2:SCRATCH_EN: 0
; COMPUTE_PGM_RSRC2:USER_SGPR: 15
; COMPUTE_PGM_RSRC2:TRAP_HANDLER: 0
; COMPUTE_PGM_RSRC2:TGID_X_EN: 1
; COMPUTE_PGM_RSRC2:TGID_Y_EN: 0
; COMPUTE_PGM_RSRC2:TGID_Z_EN: 0
; COMPUTE_PGM_RSRC2:TIDIG_COMP_CNT: 0
	.section	.text._ZN7rocprim17ROCPRIM_400000_NS6detail17trampoline_kernelINS0_14default_configENS1_25partition_config_selectorILNS1_17partition_subalgoE9EyjbEEZZNS1_14partition_implILS5_9ELb0ES3_jN6thrust23THRUST_200600_302600_NS6detail15normal_iteratorINS9_10device_ptrIyEEEENSB_INSC_IjEEEEPNS0_10empty_typeENS0_5tupleIJSE_SH_EEENSJ_IJNS9_16discard_iteratorINS9_11use_defaultEEESI_EEENS0_18inequality_wrapperINS9_8equal_toIyEEEEPmJSH_EEE10hipError_tPvRmT3_T4_T5_T6_T7_T9_mT8_P12ihipStream_tbDpT10_ENKUlT_T0_E_clISt17integral_constantIbLb0EES1C_IbLb1EEEEDaS18_S19_EUlS18_E_NS1_11comp_targetILNS1_3genE10ELNS1_11target_archE1200ELNS1_3gpuE4ELNS1_3repE0EEENS1_30default_config_static_selectorELNS0_4arch9wavefront6targetE0EEEvT1_,"axG",@progbits,_ZN7rocprim17ROCPRIM_400000_NS6detail17trampoline_kernelINS0_14default_configENS1_25partition_config_selectorILNS1_17partition_subalgoE9EyjbEEZZNS1_14partition_implILS5_9ELb0ES3_jN6thrust23THRUST_200600_302600_NS6detail15normal_iteratorINS9_10device_ptrIyEEEENSB_INSC_IjEEEEPNS0_10empty_typeENS0_5tupleIJSE_SH_EEENSJ_IJNS9_16discard_iteratorINS9_11use_defaultEEESI_EEENS0_18inequality_wrapperINS9_8equal_toIyEEEEPmJSH_EEE10hipError_tPvRmT3_T4_T5_T6_T7_T9_mT8_P12ihipStream_tbDpT10_ENKUlT_T0_E_clISt17integral_constantIbLb0EES1C_IbLb1EEEEDaS18_S19_EUlS18_E_NS1_11comp_targetILNS1_3genE10ELNS1_11target_archE1200ELNS1_3gpuE4ELNS1_3repE0EEENS1_30default_config_static_selectorELNS0_4arch9wavefront6targetE0EEEvT1_,comdat
	.protected	_ZN7rocprim17ROCPRIM_400000_NS6detail17trampoline_kernelINS0_14default_configENS1_25partition_config_selectorILNS1_17partition_subalgoE9EyjbEEZZNS1_14partition_implILS5_9ELb0ES3_jN6thrust23THRUST_200600_302600_NS6detail15normal_iteratorINS9_10device_ptrIyEEEENSB_INSC_IjEEEEPNS0_10empty_typeENS0_5tupleIJSE_SH_EEENSJ_IJNS9_16discard_iteratorINS9_11use_defaultEEESI_EEENS0_18inequality_wrapperINS9_8equal_toIyEEEEPmJSH_EEE10hipError_tPvRmT3_T4_T5_T6_T7_T9_mT8_P12ihipStream_tbDpT10_ENKUlT_T0_E_clISt17integral_constantIbLb0EES1C_IbLb1EEEEDaS18_S19_EUlS18_E_NS1_11comp_targetILNS1_3genE10ELNS1_11target_archE1200ELNS1_3gpuE4ELNS1_3repE0EEENS1_30default_config_static_selectorELNS0_4arch9wavefront6targetE0EEEvT1_ ; -- Begin function _ZN7rocprim17ROCPRIM_400000_NS6detail17trampoline_kernelINS0_14default_configENS1_25partition_config_selectorILNS1_17partition_subalgoE9EyjbEEZZNS1_14partition_implILS5_9ELb0ES3_jN6thrust23THRUST_200600_302600_NS6detail15normal_iteratorINS9_10device_ptrIyEEEENSB_INSC_IjEEEEPNS0_10empty_typeENS0_5tupleIJSE_SH_EEENSJ_IJNS9_16discard_iteratorINS9_11use_defaultEEESI_EEENS0_18inequality_wrapperINS9_8equal_toIyEEEEPmJSH_EEE10hipError_tPvRmT3_T4_T5_T6_T7_T9_mT8_P12ihipStream_tbDpT10_ENKUlT_T0_E_clISt17integral_constantIbLb0EES1C_IbLb1EEEEDaS18_S19_EUlS18_E_NS1_11comp_targetILNS1_3genE10ELNS1_11target_archE1200ELNS1_3gpuE4ELNS1_3repE0EEENS1_30default_config_static_selectorELNS0_4arch9wavefront6targetE0EEEvT1_
	.globl	_ZN7rocprim17ROCPRIM_400000_NS6detail17trampoline_kernelINS0_14default_configENS1_25partition_config_selectorILNS1_17partition_subalgoE9EyjbEEZZNS1_14partition_implILS5_9ELb0ES3_jN6thrust23THRUST_200600_302600_NS6detail15normal_iteratorINS9_10device_ptrIyEEEENSB_INSC_IjEEEEPNS0_10empty_typeENS0_5tupleIJSE_SH_EEENSJ_IJNS9_16discard_iteratorINS9_11use_defaultEEESI_EEENS0_18inequality_wrapperINS9_8equal_toIyEEEEPmJSH_EEE10hipError_tPvRmT3_T4_T5_T6_T7_T9_mT8_P12ihipStream_tbDpT10_ENKUlT_T0_E_clISt17integral_constantIbLb0EES1C_IbLb1EEEEDaS18_S19_EUlS18_E_NS1_11comp_targetILNS1_3genE10ELNS1_11target_archE1200ELNS1_3gpuE4ELNS1_3repE0EEENS1_30default_config_static_selectorELNS0_4arch9wavefront6targetE0EEEvT1_
	.p2align	8
	.type	_ZN7rocprim17ROCPRIM_400000_NS6detail17trampoline_kernelINS0_14default_configENS1_25partition_config_selectorILNS1_17partition_subalgoE9EyjbEEZZNS1_14partition_implILS5_9ELb0ES3_jN6thrust23THRUST_200600_302600_NS6detail15normal_iteratorINS9_10device_ptrIyEEEENSB_INSC_IjEEEEPNS0_10empty_typeENS0_5tupleIJSE_SH_EEENSJ_IJNS9_16discard_iteratorINS9_11use_defaultEEESI_EEENS0_18inequality_wrapperINS9_8equal_toIyEEEEPmJSH_EEE10hipError_tPvRmT3_T4_T5_T6_T7_T9_mT8_P12ihipStream_tbDpT10_ENKUlT_T0_E_clISt17integral_constantIbLb0EES1C_IbLb1EEEEDaS18_S19_EUlS18_E_NS1_11comp_targetILNS1_3genE10ELNS1_11target_archE1200ELNS1_3gpuE4ELNS1_3repE0EEENS1_30default_config_static_selectorELNS0_4arch9wavefront6targetE0EEEvT1_,@function
_ZN7rocprim17ROCPRIM_400000_NS6detail17trampoline_kernelINS0_14default_configENS1_25partition_config_selectorILNS1_17partition_subalgoE9EyjbEEZZNS1_14partition_implILS5_9ELb0ES3_jN6thrust23THRUST_200600_302600_NS6detail15normal_iteratorINS9_10device_ptrIyEEEENSB_INSC_IjEEEEPNS0_10empty_typeENS0_5tupleIJSE_SH_EEENSJ_IJNS9_16discard_iteratorINS9_11use_defaultEEESI_EEENS0_18inequality_wrapperINS9_8equal_toIyEEEEPmJSH_EEE10hipError_tPvRmT3_T4_T5_T6_T7_T9_mT8_P12ihipStream_tbDpT10_ENKUlT_T0_E_clISt17integral_constantIbLb0EES1C_IbLb1EEEEDaS18_S19_EUlS18_E_NS1_11comp_targetILNS1_3genE10ELNS1_11target_archE1200ELNS1_3gpuE4ELNS1_3repE0EEENS1_30default_config_static_selectorELNS0_4arch9wavefront6targetE0EEEvT1_: ; @_ZN7rocprim17ROCPRIM_400000_NS6detail17trampoline_kernelINS0_14default_configENS1_25partition_config_selectorILNS1_17partition_subalgoE9EyjbEEZZNS1_14partition_implILS5_9ELb0ES3_jN6thrust23THRUST_200600_302600_NS6detail15normal_iteratorINS9_10device_ptrIyEEEENSB_INSC_IjEEEEPNS0_10empty_typeENS0_5tupleIJSE_SH_EEENSJ_IJNS9_16discard_iteratorINS9_11use_defaultEEESI_EEENS0_18inequality_wrapperINS9_8equal_toIyEEEEPmJSH_EEE10hipError_tPvRmT3_T4_T5_T6_T7_T9_mT8_P12ihipStream_tbDpT10_ENKUlT_T0_E_clISt17integral_constantIbLb0EES1C_IbLb1EEEEDaS18_S19_EUlS18_E_NS1_11comp_targetILNS1_3genE10ELNS1_11target_archE1200ELNS1_3gpuE4ELNS1_3repE0EEENS1_30default_config_static_selectorELNS0_4arch9wavefront6targetE0EEEvT1_
; %bb.0:
	.section	.rodata,"a",@progbits
	.p2align	6, 0x0
	.amdhsa_kernel _ZN7rocprim17ROCPRIM_400000_NS6detail17trampoline_kernelINS0_14default_configENS1_25partition_config_selectorILNS1_17partition_subalgoE9EyjbEEZZNS1_14partition_implILS5_9ELb0ES3_jN6thrust23THRUST_200600_302600_NS6detail15normal_iteratorINS9_10device_ptrIyEEEENSB_INSC_IjEEEEPNS0_10empty_typeENS0_5tupleIJSE_SH_EEENSJ_IJNS9_16discard_iteratorINS9_11use_defaultEEESI_EEENS0_18inequality_wrapperINS9_8equal_toIyEEEEPmJSH_EEE10hipError_tPvRmT3_T4_T5_T6_T7_T9_mT8_P12ihipStream_tbDpT10_ENKUlT_T0_E_clISt17integral_constantIbLb0EES1C_IbLb1EEEEDaS18_S19_EUlS18_E_NS1_11comp_targetILNS1_3genE10ELNS1_11target_archE1200ELNS1_3gpuE4ELNS1_3repE0EEENS1_30default_config_static_selectorELNS0_4arch9wavefront6targetE0EEEvT1_
		.amdhsa_group_segment_fixed_size 0
		.amdhsa_private_segment_fixed_size 0
		.amdhsa_kernarg_size 136
		.amdhsa_user_sgpr_count 15
		.amdhsa_user_sgpr_dispatch_ptr 0
		.amdhsa_user_sgpr_queue_ptr 0
		.amdhsa_user_sgpr_kernarg_segment_ptr 1
		.amdhsa_user_sgpr_dispatch_id 0
		.amdhsa_user_sgpr_private_segment_size 0
		.amdhsa_wavefront_size32 1
		.amdhsa_uses_dynamic_stack 0
		.amdhsa_enable_private_segment 0
		.amdhsa_system_sgpr_workgroup_id_x 1
		.amdhsa_system_sgpr_workgroup_id_y 0
		.amdhsa_system_sgpr_workgroup_id_z 0
		.amdhsa_system_sgpr_workgroup_info 0
		.amdhsa_system_vgpr_workitem_id 0
		.amdhsa_next_free_vgpr 1
		.amdhsa_next_free_sgpr 1
		.amdhsa_reserve_vcc 0
		.amdhsa_float_round_mode_32 0
		.amdhsa_float_round_mode_16_64 0
		.amdhsa_float_denorm_mode_32 3
		.amdhsa_float_denorm_mode_16_64 3
		.amdhsa_dx10_clamp 1
		.amdhsa_ieee_mode 1
		.amdhsa_fp16_overflow 0
		.amdhsa_workgroup_processor_mode 1
		.amdhsa_memory_ordered 1
		.amdhsa_forward_progress 0
		.amdhsa_shared_vgpr_count 0
		.amdhsa_exception_fp_ieee_invalid_op 0
		.amdhsa_exception_fp_denorm_src 0
		.amdhsa_exception_fp_ieee_div_zero 0
		.amdhsa_exception_fp_ieee_overflow 0
		.amdhsa_exception_fp_ieee_underflow 0
		.amdhsa_exception_fp_ieee_inexact 0
		.amdhsa_exception_int_div_zero 0
	.end_amdhsa_kernel
	.section	.text._ZN7rocprim17ROCPRIM_400000_NS6detail17trampoline_kernelINS0_14default_configENS1_25partition_config_selectorILNS1_17partition_subalgoE9EyjbEEZZNS1_14partition_implILS5_9ELb0ES3_jN6thrust23THRUST_200600_302600_NS6detail15normal_iteratorINS9_10device_ptrIyEEEENSB_INSC_IjEEEEPNS0_10empty_typeENS0_5tupleIJSE_SH_EEENSJ_IJNS9_16discard_iteratorINS9_11use_defaultEEESI_EEENS0_18inequality_wrapperINS9_8equal_toIyEEEEPmJSH_EEE10hipError_tPvRmT3_T4_T5_T6_T7_T9_mT8_P12ihipStream_tbDpT10_ENKUlT_T0_E_clISt17integral_constantIbLb0EES1C_IbLb1EEEEDaS18_S19_EUlS18_E_NS1_11comp_targetILNS1_3genE10ELNS1_11target_archE1200ELNS1_3gpuE4ELNS1_3repE0EEENS1_30default_config_static_selectorELNS0_4arch9wavefront6targetE0EEEvT1_,"axG",@progbits,_ZN7rocprim17ROCPRIM_400000_NS6detail17trampoline_kernelINS0_14default_configENS1_25partition_config_selectorILNS1_17partition_subalgoE9EyjbEEZZNS1_14partition_implILS5_9ELb0ES3_jN6thrust23THRUST_200600_302600_NS6detail15normal_iteratorINS9_10device_ptrIyEEEENSB_INSC_IjEEEEPNS0_10empty_typeENS0_5tupleIJSE_SH_EEENSJ_IJNS9_16discard_iteratorINS9_11use_defaultEEESI_EEENS0_18inequality_wrapperINS9_8equal_toIyEEEEPmJSH_EEE10hipError_tPvRmT3_T4_T5_T6_T7_T9_mT8_P12ihipStream_tbDpT10_ENKUlT_T0_E_clISt17integral_constantIbLb0EES1C_IbLb1EEEEDaS18_S19_EUlS18_E_NS1_11comp_targetILNS1_3genE10ELNS1_11target_archE1200ELNS1_3gpuE4ELNS1_3repE0EEENS1_30default_config_static_selectorELNS0_4arch9wavefront6targetE0EEEvT1_,comdat
.Lfunc_end754:
	.size	_ZN7rocprim17ROCPRIM_400000_NS6detail17trampoline_kernelINS0_14default_configENS1_25partition_config_selectorILNS1_17partition_subalgoE9EyjbEEZZNS1_14partition_implILS5_9ELb0ES3_jN6thrust23THRUST_200600_302600_NS6detail15normal_iteratorINS9_10device_ptrIyEEEENSB_INSC_IjEEEEPNS0_10empty_typeENS0_5tupleIJSE_SH_EEENSJ_IJNS9_16discard_iteratorINS9_11use_defaultEEESI_EEENS0_18inequality_wrapperINS9_8equal_toIyEEEEPmJSH_EEE10hipError_tPvRmT3_T4_T5_T6_T7_T9_mT8_P12ihipStream_tbDpT10_ENKUlT_T0_E_clISt17integral_constantIbLb0EES1C_IbLb1EEEEDaS18_S19_EUlS18_E_NS1_11comp_targetILNS1_3genE10ELNS1_11target_archE1200ELNS1_3gpuE4ELNS1_3repE0EEENS1_30default_config_static_selectorELNS0_4arch9wavefront6targetE0EEEvT1_, .Lfunc_end754-_ZN7rocprim17ROCPRIM_400000_NS6detail17trampoline_kernelINS0_14default_configENS1_25partition_config_selectorILNS1_17partition_subalgoE9EyjbEEZZNS1_14partition_implILS5_9ELb0ES3_jN6thrust23THRUST_200600_302600_NS6detail15normal_iteratorINS9_10device_ptrIyEEEENSB_INSC_IjEEEEPNS0_10empty_typeENS0_5tupleIJSE_SH_EEENSJ_IJNS9_16discard_iteratorINS9_11use_defaultEEESI_EEENS0_18inequality_wrapperINS9_8equal_toIyEEEEPmJSH_EEE10hipError_tPvRmT3_T4_T5_T6_T7_T9_mT8_P12ihipStream_tbDpT10_ENKUlT_T0_E_clISt17integral_constantIbLb0EES1C_IbLb1EEEEDaS18_S19_EUlS18_E_NS1_11comp_targetILNS1_3genE10ELNS1_11target_archE1200ELNS1_3gpuE4ELNS1_3repE0EEENS1_30default_config_static_selectorELNS0_4arch9wavefront6targetE0EEEvT1_
                                        ; -- End function
	.section	.AMDGPU.csdata,"",@progbits
; Kernel info:
; codeLenInByte = 0
; NumSgprs: 0
; NumVgprs: 0
; ScratchSize: 0
; MemoryBound: 0
; FloatMode: 240
; IeeeMode: 1
; LDSByteSize: 0 bytes/workgroup (compile time only)
; SGPRBlocks: 0
; VGPRBlocks: 0
; NumSGPRsForWavesPerEU: 1
; NumVGPRsForWavesPerEU: 1
; Occupancy: 15
; WaveLimiterHint : 0
; COMPUTE_PGM_RSRC2:SCRATCH_EN: 0
; COMPUTE_PGM_RSRC2:USER_SGPR: 15
; COMPUTE_PGM_RSRC2:TRAP_HANDLER: 0
; COMPUTE_PGM_RSRC2:TGID_X_EN: 1
; COMPUTE_PGM_RSRC2:TGID_Y_EN: 0
; COMPUTE_PGM_RSRC2:TGID_Z_EN: 0
; COMPUTE_PGM_RSRC2:TIDIG_COMP_CNT: 0
	.section	.text._ZN7rocprim17ROCPRIM_400000_NS6detail17trampoline_kernelINS0_14default_configENS1_25partition_config_selectorILNS1_17partition_subalgoE9EyjbEEZZNS1_14partition_implILS5_9ELb0ES3_jN6thrust23THRUST_200600_302600_NS6detail15normal_iteratorINS9_10device_ptrIyEEEENSB_INSC_IjEEEEPNS0_10empty_typeENS0_5tupleIJSE_SH_EEENSJ_IJNS9_16discard_iteratorINS9_11use_defaultEEESI_EEENS0_18inequality_wrapperINS9_8equal_toIyEEEEPmJSH_EEE10hipError_tPvRmT3_T4_T5_T6_T7_T9_mT8_P12ihipStream_tbDpT10_ENKUlT_T0_E_clISt17integral_constantIbLb0EES1C_IbLb1EEEEDaS18_S19_EUlS18_E_NS1_11comp_targetILNS1_3genE9ELNS1_11target_archE1100ELNS1_3gpuE3ELNS1_3repE0EEENS1_30default_config_static_selectorELNS0_4arch9wavefront6targetE0EEEvT1_,"axG",@progbits,_ZN7rocprim17ROCPRIM_400000_NS6detail17trampoline_kernelINS0_14default_configENS1_25partition_config_selectorILNS1_17partition_subalgoE9EyjbEEZZNS1_14partition_implILS5_9ELb0ES3_jN6thrust23THRUST_200600_302600_NS6detail15normal_iteratorINS9_10device_ptrIyEEEENSB_INSC_IjEEEEPNS0_10empty_typeENS0_5tupleIJSE_SH_EEENSJ_IJNS9_16discard_iteratorINS9_11use_defaultEEESI_EEENS0_18inequality_wrapperINS9_8equal_toIyEEEEPmJSH_EEE10hipError_tPvRmT3_T4_T5_T6_T7_T9_mT8_P12ihipStream_tbDpT10_ENKUlT_T0_E_clISt17integral_constantIbLb0EES1C_IbLb1EEEEDaS18_S19_EUlS18_E_NS1_11comp_targetILNS1_3genE9ELNS1_11target_archE1100ELNS1_3gpuE3ELNS1_3repE0EEENS1_30default_config_static_selectorELNS0_4arch9wavefront6targetE0EEEvT1_,comdat
	.protected	_ZN7rocprim17ROCPRIM_400000_NS6detail17trampoline_kernelINS0_14default_configENS1_25partition_config_selectorILNS1_17partition_subalgoE9EyjbEEZZNS1_14partition_implILS5_9ELb0ES3_jN6thrust23THRUST_200600_302600_NS6detail15normal_iteratorINS9_10device_ptrIyEEEENSB_INSC_IjEEEEPNS0_10empty_typeENS0_5tupleIJSE_SH_EEENSJ_IJNS9_16discard_iteratorINS9_11use_defaultEEESI_EEENS0_18inequality_wrapperINS9_8equal_toIyEEEEPmJSH_EEE10hipError_tPvRmT3_T4_T5_T6_T7_T9_mT8_P12ihipStream_tbDpT10_ENKUlT_T0_E_clISt17integral_constantIbLb0EES1C_IbLb1EEEEDaS18_S19_EUlS18_E_NS1_11comp_targetILNS1_3genE9ELNS1_11target_archE1100ELNS1_3gpuE3ELNS1_3repE0EEENS1_30default_config_static_selectorELNS0_4arch9wavefront6targetE0EEEvT1_ ; -- Begin function _ZN7rocprim17ROCPRIM_400000_NS6detail17trampoline_kernelINS0_14default_configENS1_25partition_config_selectorILNS1_17partition_subalgoE9EyjbEEZZNS1_14partition_implILS5_9ELb0ES3_jN6thrust23THRUST_200600_302600_NS6detail15normal_iteratorINS9_10device_ptrIyEEEENSB_INSC_IjEEEEPNS0_10empty_typeENS0_5tupleIJSE_SH_EEENSJ_IJNS9_16discard_iteratorINS9_11use_defaultEEESI_EEENS0_18inequality_wrapperINS9_8equal_toIyEEEEPmJSH_EEE10hipError_tPvRmT3_T4_T5_T6_T7_T9_mT8_P12ihipStream_tbDpT10_ENKUlT_T0_E_clISt17integral_constantIbLb0EES1C_IbLb1EEEEDaS18_S19_EUlS18_E_NS1_11comp_targetILNS1_3genE9ELNS1_11target_archE1100ELNS1_3gpuE3ELNS1_3repE0EEENS1_30default_config_static_selectorELNS0_4arch9wavefront6targetE0EEEvT1_
	.globl	_ZN7rocprim17ROCPRIM_400000_NS6detail17trampoline_kernelINS0_14default_configENS1_25partition_config_selectorILNS1_17partition_subalgoE9EyjbEEZZNS1_14partition_implILS5_9ELb0ES3_jN6thrust23THRUST_200600_302600_NS6detail15normal_iteratorINS9_10device_ptrIyEEEENSB_INSC_IjEEEEPNS0_10empty_typeENS0_5tupleIJSE_SH_EEENSJ_IJNS9_16discard_iteratorINS9_11use_defaultEEESI_EEENS0_18inequality_wrapperINS9_8equal_toIyEEEEPmJSH_EEE10hipError_tPvRmT3_T4_T5_T6_T7_T9_mT8_P12ihipStream_tbDpT10_ENKUlT_T0_E_clISt17integral_constantIbLb0EES1C_IbLb1EEEEDaS18_S19_EUlS18_E_NS1_11comp_targetILNS1_3genE9ELNS1_11target_archE1100ELNS1_3gpuE3ELNS1_3repE0EEENS1_30default_config_static_selectorELNS0_4arch9wavefront6targetE0EEEvT1_
	.p2align	8
	.type	_ZN7rocprim17ROCPRIM_400000_NS6detail17trampoline_kernelINS0_14default_configENS1_25partition_config_selectorILNS1_17partition_subalgoE9EyjbEEZZNS1_14partition_implILS5_9ELb0ES3_jN6thrust23THRUST_200600_302600_NS6detail15normal_iteratorINS9_10device_ptrIyEEEENSB_INSC_IjEEEEPNS0_10empty_typeENS0_5tupleIJSE_SH_EEENSJ_IJNS9_16discard_iteratorINS9_11use_defaultEEESI_EEENS0_18inequality_wrapperINS9_8equal_toIyEEEEPmJSH_EEE10hipError_tPvRmT3_T4_T5_T6_T7_T9_mT8_P12ihipStream_tbDpT10_ENKUlT_T0_E_clISt17integral_constantIbLb0EES1C_IbLb1EEEEDaS18_S19_EUlS18_E_NS1_11comp_targetILNS1_3genE9ELNS1_11target_archE1100ELNS1_3gpuE3ELNS1_3repE0EEENS1_30default_config_static_selectorELNS0_4arch9wavefront6targetE0EEEvT1_,@function
_ZN7rocprim17ROCPRIM_400000_NS6detail17trampoline_kernelINS0_14default_configENS1_25partition_config_selectorILNS1_17partition_subalgoE9EyjbEEZZNS1_14partition_implILS5_9ELb0ES3_jN6thrust23THRUST_200600_302600_NS6detail15normal_iteratorINS9_10device_ptrIyEEEENSB_INSC_IjEEEEPNS0_10empty_typeENS0_5tupleIJSE_SH_EEENSJ_IJNS9_16discard_iteratorINS9_11use_defaultEEESI_EEENS0_18inequality_wrapperINS9_8equal_toIyEEEEPmJSH_EEE10hipError_tPvRmT3_T4_T5_T6_T7_T9_mT8_P12ihipStream_tbDpT10_ENKUlT_T0_E_clISt17integral_constantIbLb0EES1C_IbLb1EEEEDaS18_S19_EUlS18_E_NS1_11comp_targetILNS1_3genE9ELNS1_11target_archE1100ELNS1_3gpuE3ELNS1_3repE0EEENS1_30default_config_static_selectorELNS0_4arch9wavefront6targetE0EEEvT1_: ; @_ZN7rocprim17ROCPRIM_400000_NS6detail17trampoline_kernelINS0_14default_configENS1_25partition_config_selectorILNS1_17partition_subalgoE9EyjbEEZZNS1_14partition_implILS5_9ELb0ES3_jN6thrust23THRUST_200600_302600_NS6detail15normal_iteratorINS9_10device_ptrIyEEEENSB_INSC_IjEEEEPNS0_10empty_typeENS0_5tupleIJSE_SH_EEENSJ_IJNS9_16discard_iteratorINS9_11use_defaultEEESI_EEENS0_18inequality_wrapperINS9_8equal_toIyEEEEPmJSH_EEE10hipError_tPvRmT3_T4_T5_T6_T7_T9_mT8_P12ihipStream_tbDpT10_ENKUlT_T0_E_clISt17integral_constantIbLb0EES1C_IbLb1EEEEDaS18_S19_EUlS18_E_NS1_11comp_targetILNS1_3genE9ELNS1_11target_archE1100ELNS1_3gpuE3ELNS1_3repE0EEENS1_30default_config_static_selectorELNS0_4arch9wavefront6targetE0EEEvT1_
; %bb.0:
	s_clause 0x5
	s_load_b128 s[4:7], s[0:1], 0x8
	s_load_b64 s[8:9], s[0:1], 0x18
	s_load_b64 s[10:11], s[0:1], 0x28
	s_load_b128 s[12:15], s[0:1], 0x48
	s_load_b64 s[18:19], s[0:1], 0x58
	s_load_b64 s[16:17], s[0:1], 0x68
	v_cmp_ne_u32_e64 s3, 0, v0
	v_cmp_eq_u32_e64 s2, 0, v0
	s_delay_alu instid0(VALU_DEP_1)
	s_and_saveexec_b32 s20, s2
	s_cbranch_execz .LBB755_4
; %bb.1:
	s_mov_b32 s22, exec_lo
	s_mov_b32 s21, exec_lo
	v_mbcnt_lo_u32_b32 v1, s22, 0
                                        ; implicit-def: $vgpr2
	s_delay_alu instid0(VALU_DEP_1)
	v_cmpx_eq_u32_e32 0, v1
	s_cbranch_execz .LBB755_3
; %bb.2:
	s_load_b64 s[24:25], s[0:1], 0x78
	s_bcnt1_i32_b32 s22, s22
	s_delay_alu instid0(SALU_CYCLE_1)
	v_dual_mov_b32 v2, 0 :: v_dual_mov_b32 v3, s22
	s_waitcnt lgkmcnt(0)
	global_atomic_add_u32 v2, v2, v3, s[24:25] glc
.LBB755_3:
	s_or_b32 exec_lo, exec_lo, s21
	s_waitcnt vmcnt(0)
	v_readfirstlane_b32 s21, v2
	s_delay_alu instid0(VALU_DEP_1)
	v_dual_mov_b32 v2, 0 :: v_dual_add_nc_u32 v1, s21, v1
	ds_store_b32 v2, v1
.LBB755_4:
	s_or_b32 exec_lo, exec_lo, s20
	v_mov_b32_e32 v1, 0
	s_waitcnt lgkmcnt(0)
	s_barrier
	buffer_gl0_inv
	s_load_b32 s0, s[0:1], 0x70
	ds_load_b32 v2, v1
	s_waitcnt lgkmcnt(0)
	s_barrier
	buffer_gl0_inv
	global_load_b64 v[17:18], v1, s[14:15]
	s_lshl_b64 s[14:15], s[6:7], 3
	v_lshlrev_b32_e32 v49, 3, v0
	s_add_u32 s22, s4, s14
	s_addc_u32 s23, s5, s15
	v_lshrrev_b32_e32 v26, 2, v0
	v_or_b32_e32 v25, 0x200, v0
	v_or_b32_e32 v24, 0x400, v0
	;; [unrolled: 1-line block ×7, first 2 shown]
	s_add_i32 s5, s0, -1
	v_readfirstlane_b32 s20, v2
	s_lshl_b32 s1, s5, 12
	s_lshl_b32 s0, s0, 12
	s_add_i32 s1, s6, s1
	s_delay_alu instid0(SALU_CYCLE_1)
	s_sub_i32 s21, s18, s1
	s_lshl_b32 s4, s20, 12
	s_add_u32 s0, s6, s0
	s_addc_u32 s1, s7, 0
	s_cmp_eq_u32 s20, s5
	v_cmp_ge_u64_e64 s0, s[0:1], s[18:19]
	s_cselect_b32 s14, -1, 0
	s_mov_b32 s5, 0
	s_delay_alu instid0(VALU_DEP_1)
	s_and_b32 s18, s0, s14
	s_lshl_b64 s[0:1], s[4:5], 3
	s_xor_b32 s15, s18, -1
	s_add_u32 s19, s22, s0
	s_addc_u32 s1, s23, s1
	s_and_b32 vcc_lo, exec_lo, s15
	s_mov_b32 s22, -1
	s_cbranch_vccz .LBB755_6
; %bb.5:
	v_add_co_u32 v1, s0, s19, v49
	s_delay_alu instid0(VALU_DEP_1) | instskip(SKIP_1) | instid1(VALU_DEP_3)
	v_add_co_ci_u32_e64 v2, null, s1, 0, s0
	v_lshrrev_b32_e32 v28, 2, v25
	v_add_co_u32 v3, vcc_lo, 0x1000, v1
	s_delay_alu instid0(VALU_DEP_3)
	v_add_co_ci_u32_e32 v4, vcc_lo, 0, v2, vcc_lo
	v_add_co_u32 v5, vcc_lo, 0x2000, v1
	v_add_co_ci_u32_e32 v6, vcc_lo, 0, v2, vcc_lo
	v_add_co_u32 v7, vcc_lo, 0x3000, v1
	;; [unrolled: 2-line block ×6, first 2 shown]
	v_add_co_ci_u32_e32 v16, vcc_lo, 0, v2, vcc_lo
	s_clause 0x7
	flat_load_b64 v[1:2], v[1:2]
	flat_load_b64 v[3:4], v[3:4]
	;; [unrolled: 1-line block ×8, first 2 shown]
	v_lshrrev_b32_e32 v29, 2, v24
	v_lshrrev_b32_e32 v30, 2, v23
	;; [unrolled: 1-line block ×3, first 2 shown]
	v_and_b32_e32 v27, 0x78, v26
	v_lshrrev_b32_e32 v32, 2, v21
	v_lshrrev_b32_e32 v33, 2, v20
	;; [unrolled: 1-line block ×3, first 2 shown]
	v_and_b32_e32 v28, 0xf8, v28
	v_and_b32_e32 v29, 0x178, v29
	;; [unrolled: 1-line block ×4, first 2 shown]
	v_add_nc_u32_e32 v27, v27, v49
	v_and_b32_e32 v32, 0x2f8, v32
	v_and_b32_e32 v33, 0x378, v33
	;; [unrolled: 1-line block ×3, first 2 shown]
	v_add_nc_u32_e32 v28, v28, v49
	v_add_nc_u32_e32 v29, v29, v49
	;; [unrolled: 1-line block ×4, first 2 shown]
	s_mov_b32 s22, s5
	v_add_nc_u32_e32 v32, v32, v49
	v_add_nc_u32_e32 v33, v33, v49
	;; [unrolled: 1-line block ×3, first 2 shown]
	s_waitcnt vmcnt(7) lgkmcnt(7)
	ds_store_b64 v27, v[1:2]
	s_waitcnt vmcnt(6) lgkmcnt(7)
	ds_store_b64 v28, v[3:4] offset:4096
	s_waitcnt vmcnt(5) lgkmcnt(7)
	ds_store_b64 v29, v[5:6] offset:8192
	;; [unrolled: 2-line block ×7, first 2 shown]
	s_waitcnt lgkmcnt(0)
	s_barrier
.LBB755_6:
	v_cmp_gt_u32_e64 s0, s21, v0
	s_and_not1_b32 vcc_lo, exec_lo, s22
	s_cbranch_vccnz .LBB755_24
; %bb.7:
                                        ; implicit-def: $vgpr1_vgpr2_vgpr3_vgpr4_vgpr5_vgpr6_vgpr7_vgpr8_vgpr9_vgpr10_vgpr11_vgpr12_vgpr13_vgpr14_vgpr15_vgpr16
	s_delay_alu instid0(VALU_DEP_1)
	s_and_saveexec_b32 s22, s0
	s_cbranch_execz .LBB755_15
; %bb.8:
	v_add_co_u32 v1, s0, s19, v49
	s_delay_alu instid0(VALU_DEP_1) | instskip(SKIP_2) | instid1(SALU_CYCLE_1)
	v_add_co_ci_u32_e64 v2, null, s1, 0, s0
	flat_load_b64 v[1:2], v[1:2]
	s_or_b32 exec_lo, exec_lo, s22
	s_mov_b32 s0, exec_lo
	v_cmpx_gt_u32_e64 s21, v25
	s_cbranch_execnz .LBB755_16
.LBB755_9:
	s_or_b32 exec_lo, exec_lo, s0
	s_delay_alu instid0(SALU_CYCLE_1)
	s_mov_b32 s0, exec_lo
	v_cmpx_gt_u32_e64 s21, v24
	s_cbranch_execz .LBB755_17
.LBB755_10:
	v_lshlrev_b32_e32 v5, 3, v24
	s_delay_alu instid0(VALU_DEP_1) | instskip(NEXT) | instid1(VALU_DEP_1)
	v_add_co_u32 v5, s22, s19, v5
	v_add_co_ci_u32_e64 v6, null, s1, 0, s22
	flat_load_b64 v[5:6], v[5:6]
	s_or_b32 exec_lo, exec_lo, s0
	s_delay_alu instid0(SALU_CYCLE_1)
	s_mov_b32 s0, exec_lo
	v_cmpx_gt_u32_e64 s21, v23
	s_cbranch_execnz .LBB755_18
.LBB755_11:
	s_or_b32 exec_lo, exec_lo, s0
	s_delay_alu instid0(SALU_CYCLE_1)
	s_mov_b32 s0, exec_lo
	v_cmpx_gt_u32_e64 s21, v22
	s_cbranch_execz .LBB755_19
.LBB755_12:
	v_lshlrev_b32_e32 v9, 3, v22
	s_delay_alu instid0(VALU_DEP_1) | instskip(NEXT) | instid1(VALU_DEP_1)
	v_add_co_u32 v9, s22, s19, v9
	v_add_co_ci_u32_e64 v10, null, s1, 0, s22
	flat_load_b64 v[9:10], v[9:10]
	s_or_b32 exec_lo, exec_lo, s0
	s_delay_alu instid0(SALU_CYCLE_1)
	s_mov_b32 s0, exec_lo
	v_cmpx_gt_u32_e64 s21, v21
	s_cbranch_execnz .LBB755_20
.LBB755_13:
	s_or_b32 exec_lo, exec_lo, s0
	s_delay_alu instid0(SALU_CYCLE_1)
	s_mov_b32 s0, exec_lo
	v_cmpx_gt_u32_e64 s21, v20
	s_cbranch_execz .LBB755_21
.LBB755_14:
	v_lshlrev_b32_e32 v13, 3, v20
	s_delay_alu instid0(VALU_DEP_1) | instskip(NEXT) | instid1(VALU_DEP_1)
	v_add_co_u32 v13, s22, s19, v13
	v_add_co_ci_u32_e64 v14, null, s1, 0, s22
	flat_load_b64 v[13:14], v[13:14]
	s_or_b32 exec_lo, exec_lo, s0
	s_delay_alu instid0(SALU_CYCLE_1)
	s_mov_b32 s0, exec_lo
	v_cmpx_gt_u32_e64 s21, v19
	s_cbranch_execnz .LBB755_22
	s_branch .LBB755_23
.LBB755_15:
	s_or_b32 exec_lo, exec_lo, s22
	s_delay_alu instid0(SALU_CYCLE_1)
	s_mov_b32 s0, exec_lo
	v_cmpx_gt_u32_e64 s21, v25
	s_cbranch_execz .LBB755_9
.LBB755_16:
	v_lshlrev_b32_e32 v3, 3, v25
	s_delay_alu instid0(VALU_DEP_1) | instskip(NEXT) | instid1(VALU_DEP_1)
	v_add_co_u32 v3, s22, s19, v3
	v_add_co_ci_u32_e64 v4, null, s1, 0, s22
	flat_load_b64 v[3:4], v[3:4]
	s_or_b32 exec_lo, exec_lo, s0
	s_delay_alu instid0(SALU_CYCLE_1)
	s_mov_b32 s0, exec_lo
	v_cmpx_gt_u32_e64 s21, v24
	s_cbranch_execnz .LBB755_10
.LBB755_17:
	s_or_b32 exec_lo, exec_lo, s0
	s_delay_alu instid0(SALU_CYCLE_1)
	s_mov_b32 s0, exec_lo
	v_cmpx_gt_u32_e64 s21, v23
	s_cbranch_execz .LBB755_11
.LBB755_18:
	v_lshlrev_b32_e32 v7, 3, v23
	s_delay_alu instid0(VALU_DEP_1) | instskip(NEXT) | instid1(VALU_DEP_1)
	v_add_co_u32 v7, s22, s19, v7
	v_add_co_ci_u32_e64 v8, null, s1, 0, s22
	flat_load_b64 v[7:8], v[7:8]
	s_or_b32 exec_lo, exec_lo, s0
	s_delay_alu instid0(SALU_CYCLE_1)
	s_mov_b32 s0, exec_lo
	v_cmpx_gt_u32_e64 s21, v22
	s_cbranch_execnz .LBB755_12
.LBB755_19:
	s_or_b32 exec_lo, exec_lo, s0
	s_delay_alu instid0(SALU_CYCLE_1)
	s_mov_b32 s0, exec_lo
	v_cmpx_gt_u32_e64 s21, v21
	s_cbranch_execz .LBB755_13
.LBB755_20:
	v_lshlrev_b32_e32 v11, 3, v21
	s_delay_alu instid0(VALU_DEP_1) | instskip(NEXT) | instid1(VALU_DEP_1)
	v_add_co_u32 v11, s22, s19, v11
	v_add_co_ci_u32_e64 v12, null, s1, 0, s22
	flat_load_b64 v[11:12], v[11:12]
	s_or_b32 exec_lo, exec_lo, s0
	s_delay_alu instid0(SALU_CYCLE_1)
	s_mov_b32 s0, exec_lo
	v_cmpx_gt_u32_e64 s21, v20
	s_cbranch_execnz .LBB755_14
.LBB755_21:
	s_or_b32 exec_lo, exec_lo, s0
	s_delay_alu instid0(SALU_CYCLE_1)
	s_mov_b32 s0, exec_lo
	v_cmpx_gt_u32_e64 s21, v19
	s_cbranch_execz .LBB755_23
.LBB755_22:
	v_lshlrev_b32_e32 v15, 3, v19
	s_delay_alu instid0(VALU_DEP_1) | instskip(NEXT) | instid1(VALU_DEP_1)
	v_add_co_u32 v15, s22, s19, v15
	v_add_co_ci_u32_e64 v16, null, s1, 0, s22
	flat_load_b64 v[15:16], v[15:16]
.LBB755_23:
	s_or_b32 exec_lo, exec_lo, s0
	v_lshrrev_b32_e32 v27, 2, v25
	v_lshrrev_b32_e32 v28, 2, v24
	;; [unrolled: 1-line block ×4, first 2 shown]
	v_and_b32_e32 v29, 0x78, v26
	v_lshrrev_b32_e32 v32, 2, v21
	v_lshrrev_b32_e32 v33, 2, v20
	;; [unrolled: 1-line block ×3, first 2 shown]
	v_and_b32_e32 v27, 0xf8, v27
	v_and_b32_e32 v28, 0x1f8, v28
	;; [unrolled: 1-line block ×4, first 2 shown]
	v_add_nc_u32_e32 v29, v29, v49
	v_and_b32_e32 v32, 0x3f8, v32
	v_and_b32_e32 v33, 0x3f8, v33
	;; [unrolled: 1-line block ×3, first 2 shown]
	v_add_nc_u32_e32 v27, v27, v49
	v_add_nc_u32_e32 v28, v28, v49
	;; [unrolled: 1-line block ×7, first 2 shown]
	s_waitcnt vmcnt(0) lgkmcnt(0)
	ds_store_b64 v29, v[1:2]
	ds_store_b64 v27, v[3:4] offset:4096
	ds_store_b64 v28, v[5:6] offset:8192
	;; [unrolled: 1-line block ×7, first 2 shown]
	s_waitcnt lgkmcnt(0)
	s_barrier
.LBB755_24:
	v_add_nc_u32_e32 v26, v26, v49
	s_waitcnt vmcnt(0)
	buffer_gl0_inv
	s_lshl_b64 s[22:23], s[6:7], 2
	v_lshrrev_b32_e32 v28, 3, v0
	s_add_u32 s0, s8, s22
	v_lshlrev_b32_e32 v27, 3, v26
	s_addc_u32 s8, s9, s23
	s_lshl_b64 s[4:5], s[4:5], 2
	ds_load_2addr_b64 v[13:16], v27 offset1:1
	ds_load_2addr_b64 v[9:12], v27 offset0:2 offset1:3
	ds_load_2addr_b64 v[5:8], v27 offset0:4 offset1:5
	;; [unrolled: 1-line block ×3, first 2 shown]
	s_add_u32 s0, s0, s4
	s_addc_u32 s4, s8, s5
	s_and_b32 vcc_lo, exec_lo, s15
	s_mov_b32 s5, -1
	s_waitcnt lgkmcnt(0)
	s_barrier
	buffer_gl0_inv
	s_cbranch_vccz .LBB755_26
; %bb.25:
	v_lshlrev_b32_e32 v37, 2, v0
	v_lshrrev_b32_e32 v39, 3, v25
	v_lshrrev_b32_e32 v40, 3, v24
	;; [unrolled: 1-line block ×4, first 2 shown]
	v_add_co_u32 v29, s5, s0, v37
	s_delay_alu instid0(VALU_DEP_1) | instskip(SKIP_1) | instid1(VALU_DEP_3)
	v_add_co_ci_u32_e64 v30, null, s4, 0, s5
	v_lshrrev_b32_e32 v43, 3, v21
	v_add_co_u32 v31, vcc_lo, 0x1000, v29
	s_delay_alu instid0(VALU_DEP_3)
	v_add_co_ci_u32_e32 v32, vcc_lo, 0, v30, vcc_lo
	v_add_co_u32 v33, vcc_lo, 0x2000, v29
	v_add_co_ci_u32_e32 v34, vcc_lo, 0, v30, vcc_lo
	v_add_co_u32 v35, vcc_lo, 0x3000, v29
	v_add_co_ci_u32_e32 v36, vcc_lo, 0, v30, vcc_lo
	s_clause 0x7
	flat_load_b32 v38, v[29:30]
	flat_load_b32 v29, v[29:30] offset:2048
	flat_load_b32 v30, v[31:32]
	flat_load_b32 v31, v[31:32] offset:2048
	;; [unrolled: 2-line block ×4, first 2 shown]
	v_and_b32_e32 v36, 60, v28
	v_lshrrev_b32_e32 v44, 3, v20
	v_lshrrev_b32_e32 v45, 3, v19
	v_and_b32_e32 v39, 0x7c, v39
	v_and_b32_e32 v40, 0xbc, v40
	;; [unrolled: 1-line block ×4, first 2 shown]
	v_add_nc_u32_e32 v36, v36, v37
	v_and_b32_e32 v43, 0x17c, v43
	v_and_b32_e32 v44, 0x1bc, v44
	;; [unrolled: 1-line block ×3, first 2 shown]
	v_add_nc_u32_e32 v39, v39, v37
	v_add_nc_u32_e32 v40, v40, v37
	;; [unrolled: 1-line block ×4, first 2 shown]
	s_mov_b32 s5, 0
	v_add_nc_u32_e32 v43, v43, v37
	v_add_nc_u32_e32 v44, v44, v37
	v_add_nc_u32_e32 v37, v45, v37
	s_waitcnt vmcnt(7) lgkmcnt(7)
	ds_store_b32 v36, v38
	s_waitcnt vmcnt(6) lgkmcnt(7)
	ds_store_b32 v39, v29 offset:2048
	s_waitcnt vmcnt(5) lgkmcnt(7)
	ds_store_b32 v40, v30 offset:4096
	;; [unrolled: 2-line block ×7, first 2 shown]
	s_waitcnt lgkmcnt(0)
	s_barrier
.LBB755_26:
	s_and_not1_b32 vcc_lo, exec_lo, s5
	s_cbranch_vccnz .LBB755_44
; %bb.27:
	s_mov_b32 s5, exec_lo
                                        ; implicit-def: $vgpr29
	v_cmpx_gt_u32_e64 s21, v0
	s_cbranch_execz .LBB755_29
; %bb.28:
	v_lshlrev_b32_e32 v29, 2, v0
	s_delay_alu instid0(VALU_DEP_1) | instskip(NEXT) | instid1(VALU_DEP_1)
	v_add_co_u32 v29, s8, s0, v29
	v_add_co_ci_u32_e64 v30, null, s4, 0, s8
	flat_load_b32 v29, v[29:30]
.LBB755_29:
	s_or_b32 exec_lo, exec_lo, s5
	s_delay_alu instid0(SALU_CYCLE_1)
	s_mov_b32 s5, exec_lo
                                        ; implicit-def: $vgpr30
	v_cmpx_gt_u32_e64 s21, v25
	s_cbranch_execz .LBB755_31
; %bb.30:
	v_lshlrev_b32_e32 v30, 2, v0
	s_delay_alu instid0(VALU_DEP_1) | instskip(NEXT) | instid1(VALU_DEP_1)
	v_add_co_u32 v30, s8, s0, v30
	v_add_co_ci_u32_e64 v31, null, s4, 0, s8
	flat_load_b32 v30, v[30:31] offset:2048
.LBB755_31:
	s_or_b32 exec_lo, exec_lo, s5
	s_delay_alu instid0(SALU_CYCLE_1)
	s_mov_b32 s5, exec_lo
                                        ; implicit-def: $vgpr31
	v_cmpx_gt_u32_e64 s21, v24
	s_cbranch_execz .LBB755_33
; %bb.32:
	v_lshlrev_b32_e32 v31, 2, v24
	s_delay_alu instid0(VALU_DEP_1) | instskip(NEXT) | instid1(VALU_DEP_1)
	v_add_co_u32 v31, s8, s0, v31
	v_add_co_ci_u32_e64 v32, null, s4, 0, s8
	flat_load_b32 v31, v[31:32]
.LBB755_33:
	s_or_b32 exec_lo, exec_lo, s5
	s_delay_alu instid0(SALU_CYCLE_1)
	s_mov_b32 s5, exec_lo
                                        ; implicit-def: $vgpr32
	v_cmpx_gt_u32_e64 s21, v23
	s_cbranch_execz .LBB755_35
; %bb.34:
	v_lshlrev_b32_e32 v32, 2, v23
	s_delay_alu instid0(VALU_DEP_1) | instskip(NEXT) | instid1(VALU_DEP_1)
	v_add_co_u32 v32, s8, s0, v32
	v_add_co_ci_u32_e64 v33, null, s4, 0, s8
	flat_load_b32 v32, v[32:33]
.LBB755_35:
	s_or_b32 exec_lo, exec_lo, s5
	s_delay_alu instid0(SALU_CYCLE_1)
	s_mov_b32 s5, exec_lo
                                        ; implicit-def: $vgpr33
	v_cmpx_gt_u32_e64 s21, v22
	s_cbranch_execz .LBB755_37
; %bb.36:
	v_lshlrev_b32_e32 v33, 2, v22
	s_delay_alu instid0(VALU_DEP_1) | instskip(NEXT) | instid1(VALU_DEP_1)
	v_add_co_u32 v33, s8, s0, v33
	v_add_co_ci_u32_e64 v34, null, s4, 0, s8
	flat_load_b32 v33, v[33:34]
.LBB755_37:
	s_or_b32 exec_lo, exec_lo, s5
	s_delay_alu instid0(SALU_CYCLE_1)
	s_mov_b32 s5, exec_lo
                                        ; implicit-def: $vgpr34
	v_cmpx_gt_u32_e64 s21, v21
	s_cbranch_execz .LBB755_39
; %bb.38:
	v_lshlrev_b32_e32 v34, 2, v21
	s_delay_alu instid0(VALU_DEP_1) | instskip(NEXT) | instid1(VALU_DEP_1)
	v_add_co_u32 v34, s8, s0, v34
	v_add_co_ci_u32_e64 v35, null, s4, 0, s8
	flat_load_b32 v34, v[34:35]
.LBB755_39:
	s_or_b32 exec_lo, exec_lo, s5
	s_delay_alu instid0(SALU_CYCLE_1)
	s_mov_b32 s5, exec_lo
                                        ; implicit-def: $vgpr35
	v_cmpx_gt_u32_e64 s21, v20
	s_cbranch_execz .LBB755_41
; %bb.40:
	v_lshlrev_b32_e32 v35, 2, v20
	s_delay_alu instid0(VALU_DEP_1) | instskip(NEXT) | instid1(VALU_DEP_1)
	v_add_co_u32 v35, s8, s0, v35
	v_add_co_ci_u32_e64 v36, null, s4, 0, s8
	flat_load_b32 v35, v[35:36]
.LBB755_41:
	s_or_b32 exec_lo, exec_lo, s5
	s_delay_alu instid0(SALU_CYCLE_1)
	s_mov_b32 s5, exec_lo
                                        ; implicit-def: $vgpr36
	v_cmpx_gt_u32_e64 s21, v19
	s_cbranch_execz .LBB755_43
; %bb.42:
	v_lshlrev_b32_e32 v36, 2, v19
	s_delay_alu instid0(VALU_DEP_1) | instskip(NEXT) | instid1(VALU_DEP_1)
	v_add_co_u32 v36, s0, s0, v36
	v_add_co_ci_u32_e64 v37, null, s4, 0, s0
	flat_load_b32 v36, v[36:37]
.LBB755_43:
	s_or_b32 exec_lo, exec_lo, s5
	v_lshrrev_b32_e32 v25, 3, v25
	v_lshrrev_b32_e32 v24, 3, v24
	;; [unrolled: 1-line block ×4, first 2 shown]
	v_and_b32_e32 v28, 60, v28
	v_lshlrev_b32_e32 v37, 2, v0
	v_lshrrev_b32_e32 v21, 3, v21
	v_lshrrev_b32_e32 v20, 3, v20
	;; [unrolled: 1-line block ×3, first 2 shown]
	v_and_b32_e32 v25, 0x7c, v25
	v_and_b32_e32 v24, 0xfc, v24
	;; [unrolled: 1-line block ×4, first 2 shown]
	v_add_nc_u32_e32 v28, v28, v37
	v_and_b32_e32 v21, 0x1fc, v21
	v_and_b32_e32 v20, 0x1fc, v20
	;; [unrolled: 1-line block ×3, first 2 shown]
	v_add_nc_u32_e32 v25, v25, v37
	v_add_nc_u32_e32 v24, v24, v37
	;; [unrolled: 1-line block ×7, first 2 shown]
	s_waitcnt vmcnt(0) lgkmcnt(0)
	ds_store_b32 v28, v29
	ds_store_b32 v25, v30 offset:2048
	ds_store_b32 v24, v31 offset:4096
	;; [unrolled: 1-line block ×7, first 2 shown]
	s_waitcnt lgkmcnt(0)
	s_barrier
.LBB755_44:
	v_lshlrev_b32_e32 v19, 2, v26
	buffer_gl0_inv
	s_cmp_lg_u32 s20, 0
	s_mov_b32 s22, 0
	s_cselect_b32 s9, -1, 0
	v_sub_nc_u32_e32 v19, v27, v19
	s_cmp_lg_u64 s[6:7], 0
	ds_load_2addr_b32 v[25:26], v19 offset1:1
	ds_load_2addr_b32 v[23:24], v19 offset0:2 offset1:3
	ds_load_2addr_b32 v[21:22], v19 offset0:4 offset1:5
	;; [unrolled: 1-line block ×3, first 2 shown]
	s_cselect_b32 s0, -1, 0
	s_waitcnt lgkmcnt(0)
	s_or_b32 s0, s0, s9
	s_barrier
	s_and_b32 vcc_lo, exec_lo, s0
	buffer_gl0_inv
	s_cbranch_vccz .LBB755_49
; %bb.45:
	v_add_co_u32 v27, s0, -8, s19
	s_delay_alu instid0(VALU_DEP_1)
	v_add_co_ci_u32_e64 v28, null, -1, s1, s0
	s_mov_b32 s1, -1
	s_and_b32 vcc_lo, exec_lo, s15
	flat_load_b64 v[29:30], v[27:28]
	ds_store_b64 v49, v[3:4]
	s_cbranch_vccz .LBB755_50
; %bb.46:
	s_waitcnt vmcnt(0) lgkmcnt(1)
	v_dual_mov_b32 v27, v29 :: v_dual_mov_b32 v28, v30
	s_waitcnt lgkmcnt(0)
	s_barrier
	buffer_gl0_inv
	s_and_saveexec_b32 s0, s3
	s_cbranch_execz .LBB755_48
; %bb.47:
	v_add_nc_u32_e32 v27, -8, v49
	ds_load_b64 v[27:28], v27
.LBB755_48:
	s_or_b32 exec_lo, exec_lo, s0
	v_cmp_ne_u64_e32 vcc_lo, v[1:2], v[3:4]
	s_waitcnt lgkmcnt(0)
	v_cmp_ne_u64_e64 s0, v[27:28], v[13:14]
	v_cndmask_b32_e64 v31, 0, 1, vcc_lo
	v_cmp_ne_u64_e32 vcc_lo, v[7:8], v[1:2]
	s_delay_alu instid0(VALU_DEP_2) | instskip(SKIP_2) | instid1(VALU_DEP_2)
	v_lshlrev_b16 v31, 8, v31
	v_cndmask_b32_e64 v32, 0, 1, vcc_lo
	v_cmp_ne_u64_e32 vcc_lo, v[5:6], v[7:8]
	v_or_b32_e32 v31, v32, v31
	v_cndmask_b32_e64 v33, 0, 1, vcc_lo
	v_cmp_ne_u64_e32 vcc_lo, v[9:10], v[11:12]
	s_delay_alu instid0(VALU_DEP_3) | instskip(NEXT) | instid1(VALU_DEP_3)
	v_lshlrev_b32_e32 v31, 16, v31
	v_lshlrev_b16 v33, 8, v33
	v_cndmask_b32_e64 v34, 0, 1, vcc_lo
	v_cmp_ne_u64_e32 vcc_lo, v[11:12], v[5:6]
	s_delay_alu instid0(VALU_DEP_2) | instskip(SKIP_2) | instid1(VALU_DEP_2)
	v_lshlrev_b16 v34, 8, v34
	v_cndmask_b32_e64 v35, 0, 1, vcc_lo
	v_cmp_ne_u64_e32 vcc_lo, v[15:16], v[9:10]
	v_or_b32_e32 v33, v35, v33
	v_cndmask_b32_e64 v36, 0, 1, vcc_lo
	v_cmp_ne_u64_e32 vcc_lo, v[13:14], v[15:16]
	s_delay_alu instid0(VALU_DEP_3) | instskip(NEXT) | instid1(VALU_DEP_3)
	v_and_b32_e32 v33, 0xffff, v33
	v_or_b32_e32 v34, v36, v34
	v_cndmask_b32_e64 v37, 0, 1, vcc_lo
	s_delay_alu instid0(VALU_DEP_3) | instskip(NEXT) | instid1(VALU_DEP_3)
	v_or_b32_e32 v28, v33, v31
	v_lshlrev_b32_e32 v32, 16, v34
	s_delay_alu instid0(VALU_DEP_3) | instskip(NEXT) | instid1(VALU_DEP_1)
	v_lshlrev_b16 v36, 8, v37
	v_and_b32_e32 v34, 0xffff, v36
	s_delay_alu instid0(VALU_DEP_1)
	v_or_b32_e32 v27, v34, v32
	s_branch .LBB755_54
.LBB755_49:
                                        ; implicit-def: $sgpr0
                                        ; implicit-def: $vgpr28
	s_branch .LBB755_55
.LBB755_50:
                                        ; implicit-def: $sgpr0
                                        ; implicit-def: $vgpr28
	s_and_b32 vcc_lo, exec_lo, s1
	s_cbranch_vccz .LBB755_54
; %bb.51:
	s_waitcnt vmcnt(0) lgkmcnt(0)
	s_barrier
	buffer_gl0_inv
	s_and_saveexec_b32 s0, s3
	s_cbranch_execz .LBB755_53
; %bb.52:
	v_add_nc_u32_e32 v27, -8, v49
	ds_load_b64 v[29:30], v27
.LBB755_53:
	s_or_b32 exec_lo, exec_lo, s0
	v_or_b32_e32 v27, 7, v49
	v_or_b32_e32 v28, 6, v49
	v_cmp_ne_u64_e32 vcc_lo, v[1:2], v[3:4]
	v_or_b32_e32 v31, 5, v49
	v_cmp_ne_u64_e64 s1, v[7:8], v[1:2]
	v_cmp_gt_u32_e64 s0, s21, v27
	v_cmp_gt_u32_e64 s4, s21, v28
	v_cmp_ne_u64_e64 s5, v[5:6], v[7:8]
	v_cmp_gt_u32_e64 s6, s21, v31
	v_or_b32_e32 v31, 3, v49
	s_and_b32 s0, s0, vcc_lo
	v_or_b32_e32 v32, 4, v49
	v_cndmask_b32_e64 v27, 0, 1, s0
	s_and_b32 s0, s4, s1
	v_cmp_ne_u64_e32 vcc_lo, v[9:10], v[11:12]
	v_cndmask_b32_e64 v28, 0, 1, s0
	s_and_b32 s0, s6, s5
	v_cmp_gt_u32_e64 s1, s21, v32
	v_cndmask_b32_e64 v33, 0, 1, s0
	v_cmp_gt_u32_e64 s0, s21, v31
	v_or_b32_e32 v31, 2, v49
	v_or_b32_e32 v32, 1, v49
	v_cmp_ne_u64_e64 s4, v[11:12], v[5:6]
	v_cmp_ne_u64_e64 s6, v[13:14], v[15:16]
	s_and_b32 s0, s0, vcc_lo
	v_cmp_ne_u64_e32 vcc_lo, v[15:16], v[9:10]
	v_cndmask_b32_e64 v34, 0, 1, s0
	v_cmp_gt_u32_e64 s0, s21, v31
	v_cmp_gt_u32_e64 s5, s21, v32
	s_and_b32 s1, s1, s4
	v_lshlrev_b16 v33, 8, v33
	v_cndmask_b32_e64 v31, 0, 1, s1
	s_and_b32 s0, s0, vcc_lo
	v_lshlrev_b16 v34, 8, v34
	v_cndmask_b32_e64 v32, 0, 1, s0
	s_and_b32 s0, s5, s6
	v_lshlrev_b16 v27, 8, v27
	v_cndmask_b32_e64 v35, 0, 1, s0
	v_or_b32_e32 v31, v31, v33
	v_or_b32_e32 v32, v32, v34
	s_waitcnt lgkmcnt(0)
	v_cmp_ne_u64_e32 vcc_lo, v[29:30], v[13:14]
	v_or_b32_e32 v27, v28, v27
	v_lshlrev_b16 v34, 8, v35
	v_and_b32_e32 v31, 0xffff, v31
	v_lshlrev_b32_e32 v28, 16, v32
	v_cmp_gt_u32_e64 s0, s21, v49
	v_lshlrev_b32_e32 v33, 16, v27
	v_and_b32_e32 v32, 0xffff, v34
	s_delay_alu instid0(VALU_DEP_3) | instskip(NEXT) | instid1(VALU_DEP_1)
	s_and_b32 s0, s0, vcc_lo
	v_or_b32_e32 v27, v32, v28
	s_delay_alu instid0(VALU_DEP_3)
	v_or_b32_e32 v28, v31, v33
.LBB755_54:
	s_mov_b32 s22, -1
	s_cbranch_execnz .LBB755_63
.LBB755_55:
	v_cmp_ne_u64_e64 s1, v[1:2], v[3:4]
	v_cmp_ne_u64_e64 s4, v[7:8], v[1:2]
	;; [unrolled: 1-line block ×7, first 2 shown]
	s_and_b32 vcc_lo, exec_lo, s15
	ds_store_b64 v49, v[3:4]
	s_cbranch_vccz .LBB755_59
; %bb.56:
	v_cndmask_b32_e64 v27, 0, 1, s1
	s_waitcnt vmcnt(0) lgkmcnt(2)
	v_cndmask_b32_e64 v29, 0, 1, s5
	v_cndmask_b32_e64 v31, 0, 1, s7
	;; [unrolled: 1-line block ×6, first 2 shown]
	v_lshlrev_b16 v29, 8, v29
	v_lshlrev_b16 v27, 8, v27
	;; [unrolled: 1-line block ×4, first 2 shown]
	s_waitcnt lgkmcnt(0)
	v_or_b32_e32 v29, v30, v29
	v_or_b32_e32 v27, v28, v27
	;; [unrolled: 1-line block ×4, first 2 shown]
	s_barrier
	v_and_b32_e32 v29, 0xffff, v29
	v_lshlrev_b32_e32 v27, 16, v27
	v_lshlrev_b32_e32 v31, 16, v28
	v_and_b32_e32 v30, 0xffff, v30
	buffer_gl0_inv
                                        ; implicit-def: $sgpr0
	v_or_b32_e32 v28, v29, v27
	v_or_b32_e32 v27, v30, v31
	s_and_saveexec_b32 s1, s3
	s_delay_alu instid0(SALU_CYCLE_1)
	s_xor_b32 s1, exec_lo, s1
	s_cbranch_execz .LBB755_58
; %bb.57:
	v_add_nc_u32_e32 v29, -8, v49
	s_or_b32 s22, s22, exec_lo
	ds_load_b64 v[29:30], v29
	s_waitcnt lgkmcnt(0)
	v_cmp_ne_u64_e32 vcc_lo, v[29:30], v[13:14]
	s_and_b32 s0, vcc_lo, exec_lo
.LBB755_58:
	s_or_b32 exec_lo, exec_lo, s1
	s_branch .LBB755_63
.LBB755_59:
                                        ; implicit-def: $sgpr0
                                        ; implicit-def: $vgpr28
	s_cbranch_execz .LBB755_63
; %bb.60:
	v_or_b32_e32 v27, 7, v49
	v_or_b32_e32 v28, 6, v49
	v_cmp_ne_u64_e32 vcc_lo, v[1:2], v[3:4]
	v_cmp_ne_u64_e64 s0, v[7:8], v[1:2]
	s_waitcnt vmcnt(0) lgkmcnt(2)
	v_or_b32_e32 v29, 4, v49
	v_cmp_gt_u32_e64 s1, s21, v27
	v_or_b32_e32 v27, 5, v49
	v_cmp_gt_u32_e64 s5, s21, v28
	v_cmp_ne_u64_e64 s4, v[5:6], v[7:8]
	v_cmp_ne_u64_e64 s6, v[11:12], v[5:6]
	s_and_b32 s1, s1, vcc_lo
	v_cmp_gt_u32_e32 vcc_lo, s21, v27
	v_cndmask_b32_e64 v28, 0, 1, s1
	v_cmp_gt_u32_e64 s1, s21, v29
	s_and_b32 s0, s5, s0
	v_or_b32_e32 v30, 3, v49
	v_cndmask_b32_e64 v27, 0, 1, s0
	s_and_b32 s0, vcc_lo, s4
	v_or_b32_e32 v32, 1, v49
	v_cndmask_b32_e64 v29, 0, 1, s0
	s_and_b32 s0, s1, s6
	v_cmp_ne_u64_e32 vcc_lo, v[9:10], v[11:12]
	v_cndmask_b32_e64 v31, 0, 1, s0
	v_cmp_gt_u32_e64 s0, s21, v30
	v_cmp_ne_u64_e64 s1, v[13:14], v[15:16]
	v_or_b32_e32 v33, 2, v49
	v_cmp_gt_u32_e64 s4, s21, v32
	v_cmp_ne_u64_e64 s5, v[15:16], v[9:10]
	s_and_b32 s0, s0, vcc_lo
	v_lshlrev_b16 v29, 8, v29
	v_cmp_gt_u32_e64 s6, s21, v33
	v_cndmask_b32_e64 v30, 0, 1, s0
	s_and_b32 s0, s4, s1
	v_lshlrev_b16 v28, 8, v28
	v_cndmask_b32_e64 v32, 0, 1, s0
	s_and_b32 s0, s6, s5
	v_lshlrev_b16 v30, 8, v30
	v_cndmask_b32_e64 v33, 0, 1, s0
	v_or_b32_e32 v29, v31, v29
	v_lshlrev_b16 v32, 8, v32
	v_or_b32_e32 v27, v27, v28
	s_waitcnt lgkmcnt(0)
	v_or_b32_e32 v28, v33, v30
	v_and_b32_e32 v29, 0xffff, v29
	v_or_b32_e32 v30, 1, v32
	v_lshlrev_b32_e32 v27, 16, v27
	s_barrier
	v_lshlrev_b32_e32 v31, 16, v28
	buffer_gl0_inv
	v_and_b32_e32 v30, 0xffff, v30
	v_or_b32_e32 v28, v29, v27
                                        ; implicit-def: $sgpr0
	s_delay_alu instid0(VALU_DEP_2)
	v_or_b32_e32 v27, v30, v31
	s_and_saveexec_b32 s1, s3
	s_cbranch_execz .LBB755_62
; %bb.61:
	v_add_nc_u32_e32 v29, -8, v49
	v_cmp_gt_u32_e64 s0, s21, v49
	s_or_b32 s22, s22, exec_lo
	ds_load_b64 v[29:30], v29
	s_waitcnt lgkmcnt(0)
	v_cmp_ne_u64_e32 vcc_lo, v[29:30], v[13:14]
	s_and_b32 s0, s0, vcc_lo
	s_delay_alu instid0(SALU_CYCLE_1)
	s_and_b32 s0, s0, exec_lo
.LBB755_62:
	s_or_b32 exec_lo, exec_lo, s1
.LBB755_63:
	s_and_saveexec_b32 s1, s22
	s_cbranch_execz .LBB755_65
; %bb.64:
	s_waitcnt vmcnt(0) lgkmcnt(1)
	v_and_b32_e32 v29, 0xffffff00, v27
	v_cndmask_b32_e64 v30, 0, 1, s0
	s_delay_alu instid0(VALU_DEP_1) | instskip(NEXT) | instid1(VALU_DEP_1)
	v_or_b32_e32 v29, v30, v29
	v_and_b32_e32 v29, 0xffff, v29
	s_delay_alu instid0(VALU_DEP_1)
	v_and_or_b32 v27, 0xffff0000, v27, v29
.LBB755_65:
	s_or_b32 exec_lo, exec_lo, s1
	s_delay_alu instid0(SALU_CYCLE_1)
	s_and_not1_b32 vcc_lo, exec_lo, s18
	s_cbranch_vccnz .LBB755_67
; %bb.66:
	v_cmp_gt_u32_e32 vcc_lo, s21, v49
	s_waitcnt vmcnt(0) lgkmcnt(1)
	v_or_b32_e32 v30, 1, v49
	v_and_b32_e32 v31, 0xffffff00, v28
	v_or_b32_e32 v32, 2, v49
	v_cndmask_b32_e32 v29, 0, v27, vcc_lo
	s_delay_alu instid0(VALU_DEP_4) | instskip(SKIP_1) | instid1(VALU_DEP_4)
	v_cmp_gt_u32_e32 vcc_lo, s21, v30
	v_or_b32_e32 v30, 4, v49
	v_cmp_gt_u32_e64 s0, s21, v32
	v_or_b32_e32 v32, 3, v49
	v_and_b32_e32 v29, 0xff, v29
	s_delay_alu instid0(VALU_DEP_2) | instskip(NEXT) | instid1(VALU_DEP_2)
	v_cmp_gt_u32_e64 s1, s21, v32
	v_cndmask_b32_e32 v29, v29, v27, vcc_lo
	v_cmp_gt_u32_e32 vcc_lo, s21, v30
	v_cndmask_b32_e32 v30, v31, v28, vcc_lo
	v_or_b32_e32 v31, 5, v49
	s_delay_alu instid0(VALU_DEP_2) | instskip(SKIP_1) | instid1(VALU_DEP_1)
	v_and_b32_e32 v30, 0xffff00ff, v30
	v_and_b32_e32 v29, 0xffff, v29
	v_cndmask_b32_e64 v29, v29, v27, s0
	s_delay_alu instid0(VALU_DEP_4) | instskip(SKIP_1) | instid1(VALU_DEP_3)
	v_cmp_gt_u32_e64 s0, s21, v31
	v_or_b32_e32 v31, 6, v49
	v_and_b32_e32 v29, 0xffffff, v29
	s_delay_alu instid0(VALU_DEP_3) | instskip(NEXT) | instid1(VALU_DEP_2)
	v_cndmask_b32_e64 v30, v30, v28, s0
	v_cndmask_b32_e64 v29, v29, v27, s1
	s_delay_alu instid0(VALU_DEP_1) | instskip(SKIP_2) | instid1(VALU_DEP_3)
	v_dual_cndmask_b32 v29, v29, v27 :: v_dual_and_b32 v30, 0xff00ffff, v30
	v_cmp_gt_u32_e32 vcc_lo, s21, v31
	v_or_b32_e32 v31, 7, v49
	v_cndmask_b32_e64 v29, v29, v27, s0
	s_delay_alu instid0(VALU_DEP_1) | instskip(NEXT) | instid1(VALU_DEP_1)
	v_dual_cndmask_b32 v30, v30, v28 :: v_dual_cndmask_b32 v29, v29, v27
	v_and_b32_e32 v30, 0xffffff, v30
	s_delay_alu instid0(VALU_DEP_4) | instskip(NEXT) | instid1(VALU_DEP_2)
	v_cmp_gt_u32_e32 vcc_lo, s21, v31
	v_dual_cndmask_b32 v28, v30, v28 :: v_dual_cndmask_b32 v27, v29, v27
.LBB755_67:
	s_delay_alu instid0(VALU_DEP_1) | instskip(SKIP_1) | instid1(VALU_DEP_2)
	v_and_b32_e32 v38, 0xff, v27
	s_waitcnt vmcnt(0) lgkmcnt(1)
	v_alignbit_b32 v29, v28, v27, 24
	v_bfe_u32 v40, v27, 8, 8
	v_bfe_u32 v42, v27, 16, 8
	v_and_b32_e32 v46, 0xff, v28
	v_bfe_u32 v48, v28, 8, 8
	v_and_b32_e32 v44, 0xff, v29
	v_add_nc_u32_e32 v29, v40, v38
	v_mbcnt_lo_u32_b32 v52, -1, 0
	v_bfe_u32 v51, v28, 16, 8
	v_lshrrev_b32_e32 v50, 24, v28
	v_lshrrev_b32_e32 v53, 5, v0
	v_add3_u32 v29, v29, v42, v44
	v_and_b32_e32 v30, 15, v52
	v_and_b32_e32 v31, 16, v52
	s_and_b32 vcc_lo, exec_lo, s9
	s_mov_b32 s7, -1
	v_add3_u32 v29, v29, v46, v48
	v_cmp_eq_u32_e64 s3, 0, v30
	v_cmp_lt_u32_e64 s0, 1, v30
	v_cmp_lt_u32_e64 s4, 3, v30
	;; [unrolled: 1-line block ×3, first 2 shown]
	v_add3_u32 v54, v29, v51, v50
	v_or_b32_e32 v29, 31, v0
	v_cmp_eq_u32_e64 s6, 0, v31
	s_waitcnt lgkmcnt(0)
	s_barrier
	buffer_gl0_inv
	v_cmp_eq_u32_e64 s5, v29, v0
	s_cbranch_vccz .LBB755_93
; %bb.68:
	v_mov_b32_dpp v29, v54 row_shr:1 row_mask:0xf bank_mask:0xf
	s_delay_alu instid0(VALU_DEP_1) | instskip(NEXT) | instid1(VALU_DEP_1)
	v_cndmask_b32_e64 v29, v29, 0, s3
	v_add_nc_u32_e32 v29, v29, v54
	s_delay_alu instid0(VALU_DEP_1) | instskip(NEXT) | instid1(VALU_DEP_1)
	v_mov_b32_dpp v30, v29 row_shr:2 row_mask:0xf bank_mask:0xf
	v_cndmask_b32_e64 v30, 0, v30, s0
	s_delay_alu instid0(VALU_DEP_1) | instskip(NEXT) | instid1(VALU_DEP_1)
	v_add_nc_u32_e32 v29, v29, v30
	v_mov_b32_dpp v30, v29 row_shr:4 row_mask:0xf bank_mask:0xf
	s_delay_alu instid0(VALU_DEP_1) | instskip(NEXT) | instid1(VALU_DEP_1)
	v_cndmask_b32_e64 v30, 0, v30, s4
	v_add_nc_u32_e32 v29, v29, v30
	s_delay_alu instid0(VALU_DEP_1) | instskip(NEXT) | instid1(VALU_DEP_1)
	v_mov_b32_dpp v30, v29 row_shr:8 row_mask:0xf bank_mask:0xf
	v_cndmask_b32_e64 v30, 0, v30, s1
	s_delay_alu instid0(VALU_DEP_1) | instskip(SKIP_3) | instid1(VALU_DEP_1)
	v_add_nc_u32_e32 v29, v29, v30
	ds_swizzle_b32 v30, v29 offset:swizzle(BROADCAST,32,15)
	s_waitcnt lgkmcnt(0)
	v_cndmask_b32_e64 v30, v30, 0, s6
	v_add_nc_u32_e32 v29, v29, v30
	s_and_saveexec_b32 s7, s5
	s_cbranch_execz .LBB755_70
; %bb.69:
	v_lshlrev_b32_e32 v30, 2, v53
	ds_store_b32 v30, v29
.LBB755_70:
	s_or_b32 exec_lo, exec_lo, s7
	s_delay_alu instid0(SALU_CYCLE_1)
	s_mov_b32 s7, exec_lo
	s_waitcnt lgkmcnt(0)
	s_barrier
	buffer_gl0_inv
	v_cmpx_gt_u32_e32 16, v0
	s_cbranch_execz .LBB755_72
; %bb.71:
	v_lshlrev_b32_e32 v30, 2, v0
	ds_load_b32 v31, v30
	s_waitcnt lgkmcnt(0)
	v_mov_b32_dpp v32, v31 row_shr:1 row_mask:0xf bank_mask:0xf
	s_delay_alu instid0(VALU_DEP_1) | instskip(NEXT) | instid1(VALU_DEP_1)
	v_cndmask_b32_e64 v32, v32, 0, s3
	v_add_nc_u32_e32 v31, v32, v31
	s_delay_alu instid0(VALU_DEP_1) | instskip(NEXT) | instid1(VALU_DEP_1)
	v_mov_b32_dpp v32, v31 row_shr:2 row_mask:0xf bank_mask:0xf
	v_cndmask_b32_e64 v32, 0, v32, s0
	s_delay_alu instid0(VALU_DEP_1) | instskip(NEXT) | instid1(VALU_DEP_1)
	v_add_nc_u32_e32 v31, v31, v32
	v_mov_b32_dpp v32, v31 row_shr:4 row_mask:0xf bank_mask:0xf
	s_delay_alu instid0(VALU_DEP_1) | instskip(NEXT) | instid1(VALU_DEP_1)
	v_cndmask_b32_e64 v32, 0, v32, s4
	v_add_nc_u32_e32 v31, v31, v32
	s_delay_alu instid0(VALU_DEP_1) | instskip(NEXT) | instid1(VALU_DEP_1)
	v_mov_b32_dpp v32, v31 row_shr:8 row_mask:0xf bank_mask:0xf
	v_cndmask_b32_e64 v32, 0, v32, s1
	s_delay_alu instid0(VALU_DEP_1)
	v_add_nc_u32_e32 v31, v31, v32
	ds_store_b32 v30, v31
.LBB755_72:
	s_or_b32 exec_lo, exec_lo, s7
	v_cmp_gt_u32_e32 vcc_lo, 32, v0
	s_mov_b32 s8, exec_lo
	s_waitcnt lgkmcnt(0)
	s_barrier
	buffer_gl0_inv
                                        ; implicit-def: $vgpr37
	v_cmpx_lt_u32_e32 31, v0
	s_cbranch_execz .LBB755_74
; %bb.73:
	v_lshl_add_u32 v30, v53, 2, -4
	ds_load_b32 v37, v30
	s_waitcnt lgkmcnt(0)
	v_add_nc_u32_e32 v29, v37, v29
.LBB755_74:
	s_or_b32 exec_lo, exec_lo, s8
	v_add_nc_u32_e32 v30, -1, v52
	s_delay_alu instid0(VALU_DEP_1) | instskip(NEXT) | instid1(VALU_DEP_1)
	v_cmp_gt_i32_e64 s7, 0, v30
	v_cndmask_b32_e64 v30, v30, v52, s7
	v_cmp_eq_u32_e64 s7, 0, v52
	s_delay_alu instid0(VALU_DEP_2)
	v_lshlrev_b32_e32 v30, 2, v30
	ds_bpermute_b32 v39, v30, v29
	s_and_saveexec_b32 s8, vcc_lo
	s_cbranch_execz .LBB755_92
; %bb.75:
	v_mov_b32_e32 v33, 0
	ds_load_b32 v29, v33 offset:60
	s_and_saveexec_b32 s9, s7
	s_cbranch_execz .LBB755_77
; %bb.76:
	s_add_i32 s18, s20, 32
	s_mov_b32 s19, 0
	v_mov_b32_e32 v30, 1
	s_lshl_b64 s[18:19], s[18:19], 3
	s_delay_alu instid0(SALU_CYCLE_1)
	s_add_u32 s18, s16, s18
	s_addc_u32 s19, s17, s19
	s_waitcnt lgkmcnt(0)
	global_store_b64 v33, v[29:30], s[18:19]
.LBB755_77:
	s_or_b32 exec_lo, exec_lo, s9
	v_xad_u32 v31, v52, -1, s20
	s_mov_b32 s18, 0
	s_mov_b32 s9, exec_lo
	s_delay_alu instid0(VALU_DEP_1) | instskip(NEXT) | instid1(VALU_DEP_1)
	v_add_nc_u32_e32 v32, 32, v31
	v_lshlrev_b64 v[32:33], 3, v[32:33]
	s_delay_alu instid0(VALU_DEP_1) | instskip(NEXT) | instid1(VALU_DEP_2)
	v_add_co_u32 v35, vcc_lo, s16, v32
	v_add_co_ci_u32_e32 v36, vcc_lo, s17, v33, vcc_lo
	global_load_b64 v[33:34], v[35:36], off glc
	s_waitcnt vmcnt(0)
	v_and_b32_e32 v30, 0xff, v34
	s_delay_alu instid0(VALU_DEP_1)
	v_cmpx_eq_u16_e32 0, v30
	s_cbranch_execz .LBB755_80
.LBB755_78:                             ; =>This Inner Loop Header: Depth=1
	global_load_b64 v[33:34], v[35:36], off glc
	s_waitcnt vmcnt(0)
	v_and_b32_e32 v30, 0xff, v34
	s_delay_alu instid0(VALU_DEP_1) | instskip(SKIP_1) | instid1(SALU_CYCLE_1)
	v_cmp_ne_u16_e32 vcc_lo, 0, v30
	s_or_b32 s18, vcc_lo, s18
	s_and_not1_b32 exec_lo, exec_lo, s18
	s_cbranch_execnz .LBB755_78
; %bb.79:
	s_or_b32 exec_lo, exec_lo, s18
.LBB755_80:
	s_delay_alu instid0(SALU_CYCLE_1)
	s_or_b32 exec_lo, exec_lo, s9
	v_cmp_ne_u32_e32 vcc_lo, 31, v52
	v_lshlrev_b32_e64 v43, v52, -1
	v_add_nc_u32_e32 v47, 2, v52
	v_add_nc_u32_e32 v60, 16, v52
	v_add_co_ci_u32_e32 v30, vcc_lo, 0, v52, vcc_lo
	s_delay_alu instid0(VALU_DEP_1)
	v_lshlrev_b32_e32 v41, 2, v30
	v_and_b32_e32 v30, 0xff, v34
	ds_bpermute_b32 v32, v41, v33
	v_cmp_eq_u16_e32 vcc_lo, 2, v30
	v_and_or_b32 v30, vcc_lo, v43, 0x80000000
	v_cmp_gt_u32_e32 vcc_lo, 30, v52
	s_delay_alu instid0(VALU_DEP_2) | instskip(SKIP_1) | instid1(VALU_DEP_2)
	v_ctz_i32_b32_e32 v30, v30
	v_cndmask_b32_e64 v35, 0, 1, vcc_lo
	v_cmp_lt_u32_e32 vcc_lo, v52, v30
	s_waitcnt lgkmcnt(0)
	s_delay_alu instid0(VALU_DEP_2) | instskip(NEXT) | instid1(VALU_DEP_1)
	v_dual_cndmask_b32 v32, 0, v32 :: v_dual_lshlrev_b32 v35, 1, v35
	v_add_lshl_u32 v45, v35, v52, 2
	v_cmp_gt_u32_e32 vcc_lo, 28, v52
	s_delay_alu instid0(VALU_DEP_3) | instskip(SKIP_4) | instid1(VALU_DEP_1)
	v_add_nc_u32_e32 v32, v32, v33
	v_cndmask_b32_e64 v35, 0, 1, vcc_lo
	v_cmp_le_u32_e32 vcc_lo, v47, v30
	ds_bpermute_b32 v33, v45, v32
	v_lshlrev_b32_e32 v35, 2, v35
	v_add_lshl_u32 v55, v35, v52, 2
	s_waitcnt lgkmcnt(0)
	v_cndmask_b32_e32 v33, 0, v33, vcc_lo
	v_cmp_gt_u32_e32 vcc_lo, 24, v52
	s_delay_alu instid0(VALU_DEP_2) | instskip(SKIP_4) | instid1(VALU_DEP_2)
	v_add_nc_u32_e32 v32, v32, v33
	v_cndmask_b32_e64 v35, 0, 1, vcc_lo
	ds_bpermute_b32 v33, v55, v32
	v_add_nc_u32_e32 v56, 4, v52
	v_lshlrev_b32_e32 v35, 3, v35
	v_cmp_le_u32_e32 vcc_lo, v56, v30
	s_delay_alu instid0(VALU_DEP_2) | instskip(SKIP_3) | instid1(VALU_DEP_2)
	v_add_lshl_u32 v57, v35, v52, 2
	s_waitcnt lgkmcnt(0)
	v_cndmask_b32_e32 v33, 0, v33, vcc_lo
	v_cmp_gt_u32_e32 vcc_lo, 16, v52
	v_add_nc_u32_e32 v32, v32, v33
	v_cndmask_b32_e64 v35, 0, 1, vcc_lo
	ds_bpermute_b32 v33, v57, v32
	v_add_nc_u32_e32 v58, 8, v52
	v_lshlrev_b32_e32 v35, 4, v35
	s_delay_alu instid0(VALU_DEP_2) | instskip(NEXT) | instid1(VALU_DEP_2)
	v_cmp_le_u32_e32 vcc_lo, v58, v30
	v_add_lshl_u32 v59, v35, v52, 2
	s_waitcnt lgkmcnt(0)
	v_cndmask_b32_e32 v33, 0, v33, vcc_lo
	v_cmp_le_u32_e32 vcc_lo, v60, v30
	s_delay_alu instid0(VALU_DEP_2) | instskip(SKIP_3) | instid1(VALU_DEP_1)
	v_add_nc_u32_e32 v32, v32, v33
	ds_bpermute_b32 v33, v59, v32
	s_waitcnt lgkmcnt(0)
	v_cndmask_b32_e32 v30, 0, v33, vcc_lo
	v_dual_mov_b32 v32, 0 :: v_dual_add_nc_u32 v33, v32, v30
	s_branch .LBB755_82
.LBB755_81:                             ;   in Loop: Header=BB755_82 Depth=1
	s_or_b32 exec_lo, exec_lo, s9
	ds_bpermute_b32 v36, v41, v33
	v_and_b32_e32 v35, 0xff, v34
	v_subrev_nc_u32_e32 v31, 32, v31
	s_delay_alu instid0(VALU_DEP_2) | instskip(SKIP_1) | instid1(VALU_DEP_1)
	v_cmp_eq_u16_e32 vcc_lo, 2, v35
	v_and_or_b32 v35, vcc_lo, v43, 0x80000000
	v_ctz_i32_b32_e32 v35, v35
	s_delay_alu instid0(VALU_DEP_1) | instskip(SKIP_3) | instid1(VALU_DEP_2)
	v_cmp_lt_u32_e32 vcc_lo, v52, v35
	s_waitcnt lgkmcnt(0)
	v_cndmask_b32_e32 v36, 0, v36, vcc_lo
	v_cmp_le_u32_e32 vcc_lo, v47, v35
	v_add_nc_u32_e32 v33, v36, v33
	ds_bpermute_b32 v36, v45, v33
	s_waitcnt lgkmcnt(0)
	v_cndmask_b32_e32 v36, 0, v36, vcc_lo
	v_cmp_le_u32_e32 vcc_lo, v56, v35
	s_delay_alu instid0(VALU_DEP_2) | instskip(SKIP_4) | instid1(VALU_DEP_2)
	v_add_nc_u32_e32 v33, v33, v36
	ds_bpermute_b32 v36, v55, v33
	s_waitcnt lgkmcnt(0)
	v_cndmask_b32_e32 v36, 0, v36, vcc_lo
	v_cmp_le_u32_e32 vcc_lo, v58, v35
	v_add_nc_u32_e32 v33, v33, v36
	ds_bpermute_b32 v36, v57, v33
	s_waitcnt lgkmcnt(0)
	v_cndmask_b32_e32 v36, 0, v36, vcc_lo
	v_cmp_le_u32_e32 vcc_lo, v60, v35
	s_delay_alu instid0(VALU_DEP_2) | instskip(SKIP_3) | instid1(VALU_DEP_1)
	v_add_nc_u32_e32 v33, v33, v36
	ds_bpermute_b32 v36, v59, v33
	s_waitcnt lgkmcnt(0)
	v_cndmask_b32_e32 v35, 0, v36, vcc_lo
	v_add3_u32 v33, v35, v30, v33
.LBB755_82:                             ; =>This Loop Header: Depth=1
                                        ;     Child Loop BB755_85 Depth 2
	v_and_b32_e32 v30, 0xff, v34
	s_delay_alu instid0(VALU_DEP_1) | instskip(SKIP_2) | instid1(VALU_DEP_1)
	v_cmp_ne_u16_e32 vcc_lo, 2, v30
	v_cndmask_b32_e64 v30, 0, 1, vcc_lo
	;;#ASMSTART
	;;#ASMEND
	v_cmp_ne_u32_e32 vcc_lo, 0, v30
	v_mov_b32_e32 v30, v33
	s_cmp_lg_u32 vcc_lo, exec_lo
	s_cbranch_scc1 .LBB755_87
; %bb.83:                               ;   in Loop: Header=BB755_82 Depth=1
	v_lshlrev_b64 v[33:34], 3, v[31:32]
	s_mov_b32 s9, exec_lo
	s_delay_alu instid0(VALU_DEP_1) | instskip(NEXT) | instid1(VALU_DEP_2)
	v_add_co_u32 v35, vcc_lo, s16, v33
	v_add_co_ci_u32_e32 v36, vcc_lo, s17, v34, vcc_lo
	global_load_b64 v[33:34], v[35:36], off glc
	s_waitcnt vmcnt(0)
	v_and_b32_e32 v61, 0xff, v34
	s_delay_alu instid0(VALU_DEP_1)
	v_cmpx_eq_u16_e32 0, v61
	s_cbranch_execz .LBB755_81
; %bb.84:                               ;   in Loop: Header=BB755_82 Depth=1
	s_mov_b32 s18, 0
.LBB755_85:                             ;   Parent Loop BB755_82 Depth=1
                                        ; =>  This Inner Loop Header: Depth=2
	global_load_b64 v[33:34], v[35:36], off glc
	s_waitcnt vmcnt(0)
	v_and_b32_e32 v61, 0xff, v34
	s_delay_alu instid0(VALU_DEP_1) | instskip(SKIP_1) | instid1(SALU_CYCLE_1)
	v_cmp_ne_u16_e32 vcc_lo, 0, v61
	s_or_b32 s18, vcc_lo, s18
	s_and_not1_b32 exec_lo, exec_lo, s18
	s_cbranch_execnz .LBB755_85
; %bb.86:                               ;   in Loop: Header=BB755_82 Depth=1
	s_or_b32 exec_lo, exec_lo, s18
	s_branch .LBB755_81
.LBB755_87:                             ;   in Loop: Header=BB755_82 Depth=1
                                        ; implicit-def: $vgpr33
                                        ; implicit-def: $vgpr34
	s_cbranch_execz .LBB755_82
; %bb.88:
	s_and_saveexec_b32 s9, s7
	s_cbranch_execz .LBB755_90
; %bb.89:
	s_add_i32 s18, s20, 32
	s_mov_b32 s19, 0
	v_dual_mov_b32 v32, 2 :: v_dual_add_nc_u32 v31, v30, v29
	s_lshl_b64 s[18:19], s[18:19], 3
	v_mov_b32_e32 v33, 0
	s_add_u32 s18, s16, s18
	s_addc_u32 s19, s17, s19
	global_store_b64 v33, v[31:32], s[18:19]
	ds_store_b64 v33, v[29:30] offset:33792
.LBB755_90:
	s_or_b32 exec_lo, exec_lo, s9
	s_delay_alu instid0(SALU_CYCLE_1)
	s_and_b32 exec_lo, exec_lo, s2
	s_cbranch_execz .LBB755_92
; %bb.91:
	v_mov_b32_e32 v29, 0
	ds_store_b32 v29, v30 offset:60
.LBB755_92:
	s_or_b32 exec_lo, exec_lo, s8
	v_mov_b32_e32 v29, 0
	s_waitcnt lgkmcnt(0)
	s_waitcnt_vscnt null, 0x0
	s_barrier
	buffer_gl0_inv
	v_cndmask_b32_e64 v31, v39, v37, s7
	ds_load_b32 v30, v29 offset:60
	s_waitcnt lgkmcnt(0)
	s_barrier
	buffer_gl0_inv
	v_cndmask_b32_e64 v31, v31, 0, s2
	s_delay_alu instid0(VALU_DEP_1) | instskip(SKIP_2) | instid1(VALU_DEP_1)
	v_add_nc_u32_e32 v47, v30, v31
	ds_load_b64 v[29:30], v29 offset:33792
	v_add_nc_u32_e32 v45, v47, v38
	v_add_nc_u32_e32 v43, v45, v40
	s_delay_alu instid0(VALU_DEP_1) | instskip(NEXT) | instid1(VALU_DEP_1)
	v_add_nc_u32_e32 v41, v43, v42
	v_add_nc_u32_e32 v39, v41, v44
	s_delay_alu instid0(VALU_DEP_1) | instskip(NEXT) | instid1(VALU_DEP_1)
	v_add_nc_u32_e32 v37, v39, v46
	v_add_nc_u32_e32 v35, v37, v48
	s_delay_alu instid0(VALU_DEP_1)
	v_add_nc_u32_e32 v33, v35, v51
	v_lshrrev_b64 v[31:32], 24, v[27:28]
	s_branch .LBB755_103
.LBB755_93:
                                        ; implicit-def: $vgpr33
                                        ; implicit-def: $vgpr35
                                        ; implicit-def: $vgpr37
                                        ; implicit-def: $vgpr39
                                        ; implicit-def: $vgpr41
                                        ; implicit-def: $vgpr43
                                        ; implicit-def: $vgpr45
                                        ; implicit-def: $vgpr47
                                        ; implicit-def: $vgpr30
	v_lshrrev_b64 v[31:32], 24, v[27:28]
	s_and_b32 vcc_lo, exec_lo, s7
	s_cbranch_vccz .LBB755_103
; %bb.94:
	s_waitcnt lgkmcnt(0)
	v_mov_b32_dpp v29, v54 row_shr:1 row_mask:0xf bank_mask:0xf
	s_delay_alu instid0(VALU_DEP_1) | instskip(NEXT) | instid1(VALU_DEP_1)
	v_cndmask_b32_e64 v29, v29, 0, s3
	v_add_nc_u32_e32 v29, v29, v54
	s_delay_alu instid0(VALU_DEP_1) | instskip(NEXT) | instid1(VALU_DEP_1)
	v_mov_b32_dpp v30, v29 row_shr:2 row_mask:0xf bank_mask:0xf
	v_cndmask_b32_e64 v30, 0, v30, s0
	s_delay_alu instid0(VALU_DEP_1) | instskip(NEXT) | instid1(VALU_DEP_1)
	v_add_nc_u32_e32 v29, v29, v30
	v_mov_b32_dpp v30, v29 row_shr:4 row_mask:0xf bank_mask:0xf
	s_delay_alu instid0(VALU_DEP_1) | instskip(NEXT) | instid1(VALU_DEP_1)
	v_cndmask_b32_e64 v30, 0, v30, s4
	v_add_nc_u32_e32 v29, v29, v30
	s_delay_alu instid0(VALU_DEP_1) | instskip(NEXT) | instid1(VALU_DEP_1)
	v_mov_b32_dpp v30, v29 row_shr:8 row_mask:0xf bank_mask:0xf
	v_cndmask_b32_e64 v30, 0, v30, s1
	s_delay_alu instid0(VALU_DEP_1) | instskip(SKIP_3) | instid1(VALU_DEP_1)
	v_add_nc_u32_e32 v29, v29, v30
	ds_swizzle_b32 v30, v29 offset:swizzle(BROADCAST,32,15)
	s_waitcnt lgkmcnt(0)
	v_cndmask_b32_e64 v30, v30, 0, s6
	v_add_nc_u32_e32 v29, v29, v30
	s_and_saveexec_b32 s6, s5
	s_cbranch_execz .LBB755_96
; %bb.95:
	v_lshlrev_b32_e32 v30, 2, v53
	ds_store_b32 v30, v29
.LBB755_96:
	s_or_b32 exec_lo, exec_lo, s6
	s_delay_alu instid0(SALU_CYCLE_1)
	s_mov_b32 s5, exec_lo
	s_waitcnt lgkmcnt(0)
	s_barrier
	buffer_gl0_inv
	v_cmpx_gt_u32_e32 16, v0
	s_cbranch_execz .LBB755_98
; %bb.97:
	v_lshlrev_b32_e32 v30, 2, v0
	ds_load_b32 v32, v30
	s_waitcnt lgkmcnt(0)
	v_mov_b32_dpp v33, v32 row_shr:1 row_mask:0xf bank_mask:0xf
	s_delay_alu instid0(VALU_DEP_1) | instskip(NEXT) | instid1(VALU_DEP_1)
	v_cndmask_b32_e64 v33, v33, 0, s3
	v_add_nc_u32_e32 v32, v33, v32
	s_delay_alu instid0(VALU_DEP_1) | instskip(NEXT) | instid1(VALU_DEP_1)
	v_mov_b32_dpp v33, v32 row_shr:2 row_mask:0xf bank_mask:0xf
	v_cndmask_b32_e64 v33, 0, v33, s0
	s_delay_alu instid0(VALU_DEP_1) | instskip(NEXT) | instid1(VALU_DEP_1)
	v_add_nc_u32_e32 v32, v32, v33
	v_mov_b32_dpp v33, v32 row_shr:4 row_mask:0xf bank_mask:0xf
	s_delay_alu instid0(VALU_DEP_1) | instskip(NEXT) | instid1(VALU_DEP_1)
	v_cndmask_b32_e64 v33, 0, v33, s4
	v_add_nc_u32_e32 v32, v32, v33
	s_delay_alu instid0(VALU_DEP_1) | instskip(NEXT) | instid1(VALU_DEP_1)
	v_mov_b32_dpp v33, v32 row_shr:8 row_mask:0xf bank_mask:0xf
	v_cndmask_b32_e64 v33, 0, v33, s1
	s_delay_alu instid0(VALU_DEP_1)
	v_add_nc_u32_e32 v32, v32, v33
	ds_store_b32 v30, v32
.LBB755_98:
	s_or_b32 exec_lo, exec_lo, s5
	v_mov_b32_e32 v30, 0
	v_mov_b32_e32 v32, 0
	s_mov_b32 s0, exec_lo
	s_waitcnt lgkmcnt(0)
	s_barrier
	buffer_gl0_inv
	v_cmpx_lt_u32_e32 31, v0
	s_cbranch_execz .LBB755_100
; %bb.99:
	v_lshl_add_u32 v32, v53, 2, -4
	ds_load_b32 v32, v32
.LBB755_100:
	s_or_b32 exec_lo, exec_lo, s0
	v_add_nc_u32_e32 v33, -1, v52
	s_waitcnt lgkmcnt(0)
	v_add_nc_u32_e32 v29, v32, v29
	s_delay_alu instid0(VALU_DEP_2) | instskip(SKIP_1) | instid1(VALU_DEP_1)
	v_cmp_gt_i32_e32 vcc_lo, 0, v33
	v_cndmask_b32_e32 v33, v33, v52, vcc_lo
	v_lshlrev_b32_e32 v33, 2, v33
	ds_bpermute_b32 v33, v33, v29
	ds_load_b32 v29, v30 offset:60
	s_and_saveexec_b32 s0, s2
	s_cbranch_execz .LBB755_102
; %bb.101:
	v_mov_b32_e32 v34, 0
	v_mov_b32_e32 v30, 2
	s_waitcnt lgkmcnt(0)
	global_store_b64 v34, v[29:30], s[16:17] offset:256
.LBB755_102:
	s_or_b32 exec_lo, exec_lo, s0
	v_cmp_eq_u32_e32 vcc_lo, 0, v52
	s_waitcnt lgkmcnt(0)
	s_waitcnt_vscnt null, 0x0
	s_barrier
	buffer_gl0_inv
	v_cndmask_b32_e32 v30, v33, v32, vcc_lo
	s_delay_alu instid0(VALU_DEP_1) | instskip(NEXT) | instid1(VALU_DEP_1)
	v_cndmask_b32_e64 v47, v30, 0, s2
	v_dual_mov_b32 v30, 0 :: v_dual_add_nc_u32 v45, v47, v38
	s_delay_alu instid0(VALU_DEP_1) | instskip(NEXT) | instid1(VALU_DEP_1)
	v_add_nc_u32_e32 v43, v45, v40
	v_add_nc_u32_e32 v41, v43, v42
	s_delay_alu instid0(VALU_DEP_1) | instskip(NEXT) | instid1(VALU_DEP_1)
	v_add_nc_u32_e32 v39, v41, v44
	v_add_nc_u32_e32 v37, v39, v46
	;; [unrolled: 3-line block ×3, first 2 shown]
.LBB755_103:
	s_waitcnt lgkmcnt(0)
	v_cmp_gt_u32_e32 vcc_lo, 0x201, v29
	v_lshrrev_b32_e32 v53, 8, v27
	v_lshrrev_b32_e32 v52, 16, v27
	;; [unrolled: 1-line block ×4, first 2 shown]
	v_cmp_lt_u32_e64 s0, 0x200, v29
	s_mov_b32 s1, -1
	s_cbranch_vccz .LBB755_129
; %bb.104:
	v_lshlrev_b64 v[54:55], 3, v[17:18]
	v_add_nc_u32_e32 v34, v30, v29
	s_delay_alu instid0(VALU_DEP_1) | instskip(NEXT) | instid1(VALU_DEP_3)
	v_cmp_lt_u32_e32 vcc_lo, v47, v34
	v_add_co_u32 v54, s1, s10, v54
	s_delay_alu instid0(VALU_DEP_1) | instskip(SKIP_1) | instid1(SALU_CYCLE_1)
	v_add_co_ci_u32_e64 v55, s1, s11, v55, s1
	s_or_b32 s3, s15, vcc_lo
	s_and_saveexec_b32 s1, s3
	s_cbranch_execz .LBB755_107
; %bb.105:
	v_and_b32_e32 v36, 1, v27
	s_delay_alu instid0(VALU_DEP_1)
	v_cmp_eq_u32_e32 vcc_lo, 1, v36
	s_and_b32 exec_lo, exec_lo, vcc_lo
	s_cbranch_execz .LBB755_107
; %bb.106:
	v_mov_b32_e32 v48, 0
	s_delay_alu instid0(VALU_DEP_1) | instskip(NEXT) | instid1(VALU_DEP_1)
	v_lshlrev_b64 v[56:57], 3, v[47:48]
	v_add_co_u32 v56, vcc_lo, v54, v56
	s_delay_alu instid0(VALU_DEP_2)
	v_add_co_ci_u32_e32 v57, vcc_lo, v55, v57, vcc_lo
	global_store_b64 v[56:57], v[13:14], off
.LBB755_107:
	s_or_b32 exec_lo, exec_lo, s1
	v_cmp_lt_u32_e32 vcc_lo, v45, v34
	s_or_b32 s3, s15, vcc_lo
	s_delay_alu instid0(SALU_CYCLE_1)
	s_and_saveexec_b32 s1, s3
	s_cbranch_execz .LBB755_110
; %bb.108:
	v_and_b32_e32 v36, 1, v53
	s_delay_alu instid0(VALU_DEP_1)
	v_cmp_eq_u32_e32 vcc_lo, 1, v36
	s_and_b32 exec_lo, exec_lo, vcc_lo
	s_cbranch_execz .LBB755_110
; %bb.109:
	v_mov_b32_e32 v46, 0
	s_delay_alu instid0(VALU_DEP_1) | instskip(NEXT) | instid1(VALU_DEP_1)
	v_lshlrev_b64 v[56:57], 3, v[45:46]
	v_add_co_u32 v56, vcc_lo, v54, v56
	s_delay_alu instid0(VALU_DEP_2)
	v_add_co_ci_u32_e32 v57, vcc_lo, v55, v57, vcc_lo
	global_store_b64 v[56:57], v[15:16], off
.LBB755_110:
	s_or_b32 exec_lo, exec_lo, s1
	v_cmp_lt_u32_e32 vcc_lo, v43, v34
	s_or_b32 s3, s15, vcc_lo
	s_delay_alu instid0(SALU_CYCLE_1)
	s_and_saveexec_b32 s1, s3
	s_cbranch_execz .LBB755_113
; %bb.111:
	v_and_b32_e32 v36, 1, v52
	s_delay_alu instid0(VALU_DEP_1)
	v_cmp_eq_u32_e32 vcc_lo, 1, v36
	s_and_b32 exec_lo, exec_lo, vcc_lo
	s_cbranch_execz .LBB755_113
; %bb.112:
	v_mov_b32_e32 v44, 0
	s_delay_alu instid0(VALU_DEP_1) | instskip(NEXT) | instid1(VALU_DEP_1)
	v_lshlrev_b64 v[56:57], 3, v[43:44]
	v_add_co_u32 v56, vcc_lo, v54, v56
	s_delay_alu instid0(VALU_DEP_2)
	v_add_co_ci_u32_e32 v57, vcc_lo, v55, v57, vcc_lo
	global_store_b64 v[56:57], v[9:10], off
.LBB755_113:
	s_or_b32 exec_lo, exec_lo, s1
	v_cmp_lt_u32_e32 vcc_lo, v41, v34
	s_or_b32 s3, s15, vcc_lo
	s_delay_alu instid0(SALU_CYCLE_1)
	s_and_saveexec_b32 s1, s3
	s_cbranch_execz .LBB755_116
; %bb.114:
	v_and_b32_e32 v36, 1, v31
	s_delay_alu instid0(VALU_DEP_1)
	v_cmp_eq_u32_e32 vcc_lo, 1, v36
	s_and_b32 exec_lo, exec_lo, vcc_lo
	s_cbranch_execz .LBB755_116
; %bb.115:
	v_mov_b32_e32 v42, 0
	s_delay_alu instid0(VALU_DEP_1) | instskip(NEXT) | instid1(VALU_DEP_1)
	v_lshlrev_b64 v[56:57], 3, v[41:42]
	v_add_co_u32 v56, vcc_lo, v54, v56
	s_delay_alu instid0(VALU_DEP_2)
	v_add_co_ci_u32_e32 v57, vcc_lo, v55, v57, vcc_lo
	global_store_b64 v[56:57], v[11:12], off
.LBB755_116:
	s_or_b32 exec_lo, exec_lo, s1
	v_cmp_lt_u32_e32 vcc_lo, v39, v34
	s_or_b32 s3, s15, vcc_lo
	s_delay_alu instid0(SALU_CYCLE_1)
	s_and_saveexec_b32 s1, s3
	s_cbranch_execz .LBB755_119
; %bb.117:
	v_and_b32_e32 v36, 1, v28
	s_delay_alu instid0(VALU_DEP_1)
	v_cmp_eq_u32_e32 vcc_lo, 1, v36
	s_and_b32 exec_lo, exec_lo, vcc_lo
	s_cbranch_execz .LBB755_119
; %bb.118:
	v_mov_b32_e32 v40, 0
	s_delay_alu instid0(VALU_DEP_1) | instskip(NEXT) | instid1(VALU_DEP_1)
	v_lshlrev_b64 v[56:57], 3, v[39:40]
	v_add_co_u32 v56, vcc_lo, v54, v56
	s_delay_alu instid0(VALU_DEP_2)
	v_add_co_ci_u32_e32 v57, vcc_lo, v55, v57, vcc_lo
	global_store_b64 v[56:57], v[5:6], off
.LBB755_119:
	s_or_b32 exec_lo, exec_lo, s1
	v_cmp_lt_u32_e32 vcc_lo, v37, v34
	s_or_b32 s3, s15, vcc_lo
	s_delay_alu instid0(SALU_CYCLE_1)
	s_and_saveexec_b32 s1, s3
	s_cbranch_execz .LBB755_122
; %bb.120:
	v_and_b32_e32 v36, 1, v51
	s_delay_alu instid0(VALU_DEP_1)
	v_cmp_eq_u32_e32 vcc_lo, 1, v36
	s_and_b32 exec_lo, exec_lo, vcc_lo
	s_cbranch_execz .LBB755_122
; %bb.121:
	v_mov_b32_e32 v38, 0
	s_delay_alu instid0(VALU_DEP_1) | instskip(NEXT) | instid1(VALU_DEP_1)
	v_lshlrev_b64 v[56:57], 3, v[37:38]
	v_add_co_u32 v56, vcc_lo, v54, v56
	s_delay_alu instid0(VALU_DEP_2)
	v_add_co_ci_u32_e32 v57, vcc_lo, v55, v57, vcc_lo
	global_store_b64 v[56:57], v[7:8], off
.LBB755_122:
	s_or_b32 exec_lo, exec_lo, s1
	v_cmp_lt_u32_e32 vcc_lo, v35, v34
	s_or_b32 s3, s15, vcc_lo
	s_delay_alu instid0(SALU_CYCLE_1)
	s_and_saveexec_b32 s1, s3
	s_cbranch_execz .LBB755_125
; %bb.123:
	v_and_b32_e32 v36, 1, v32
	s_delay_alu instid0(VALU_DEP_1)
	v_cmp_eq_u32_e32 vcc_lo, 1, v36
	s_and_b32 exec_lo, exec_lo, vcc_lo
	s_cbranch_execz .LBB755_125
; %bb.124:
	v_mov_b32_e32 v36, 0
	s_delay_alu instid0(VALU_DEP_1) | instskip(NEXT) | instid1(VALU_DEP_1)
	v_lshlrev_b64 v[56:57], 3, v[35:36]
	v_add_co_u32 v56, vcc_lo, v54, v56
	s_delay_alu instid0(VALU_DEP_2)
	v_add_co_ci_u32_e32 v57, vcc_lo, v55, v57, vcc_lo
	global_store_b64 v[56:57], v[1:2], off
.LBB755_125:
	s_or_b32 exec_lo, exec_lo, s1
	v_cmp_lt_u32_e32 vcc_lo, v33, v34
	s_or_b32 s3, s15, vcc_lo
	s_delay_alu instid0(SALU_CYCLE_1)
	s_and_saveexec_b32 s1, s3
	s_cbranch_execz .LBB755_128
; %bb.126:
	v_and_b32_e32 v34, 1, v50
	s_delay_alu instid0(VALU_DEP_1)
	v_cmp_eq_u32_e32 vcc_lo, 1, v34
	s_and_b32 exec_lo, exec_lo, vcc_lo
	s_cbranch_execz .LBB755_128
; %bb.127:
	v_mov_b32_e32 v34, 0
	s_delay_alu instid0(VALU_DEP_1) | instskip(NEXT) | instid1(VALU_DEP_1)
	v_lshlrev_b64 v[56:57], 3, v[33:34]
	v_add_co_u32 v54, vcc_lo, v54, v56
	s_delay_alu instid0(VALU_DEP_2)
	v_add_co_ci_u32_e32 v55, vcc_lo, v55, v57, vcc_lo
	global_store_b64 v[54:55], v[3:4], off
.LBB755_128:
	s_or_b32 exec_lo, exec_lo, s1
	s_mov_b32 s1, 0
.LBB755_129:
	v_and_b32_e32 v27, 1, v27
	s_and_b32 vcc_lo, exec_lo, s1
	s_delay_alu instid0(VALU_DEP_1)
	v_cmp_eq_u32_e64 s1, 1, v27
	s_cbranch_vccz .LBB755_150
; %bb.130:
	s_delay_alu instid0(VALU_DEP_1)
	s_and_saveexec_b32 s3, s1
	s_cbranch_execz .LBB755_132
; %bb.131:
	v_sub_nc_u32_e32 v34, v47, v30
	s_delay_alu instid0(VALU_DEP_1)
	v_lshlrev_b32_e32 v34, 3, v34
	ds_store_b64 v34, v[13:14]
.LBB755_132:
	s_or_b32 exec_lo, exec_lo, s3
	v_and_b32_e32 v13, 1, v53
	s_mov_b32 s1, exec_lo
	s_delay_alu instid0(VALU_DEP_1)
	v_cmpx_eq_u32_e32 1, v13
	s_cbranch_execz .LBB755_134
; %bb.133:
	v_sub_nc_u32_e32 v13, v45, v30
	s_delay_alu instid0(VALU_DEP_1)
	v_lshlrev_b32_e32 v13, 3, v13
	ds_store_b64 v13, v[15:16]
.LBB755_134:
	s_or_b32 exec_lo, exec_lo, s1
	v_and_b32_e32 v13, 1, v52
	s_mov_b32 s1, exec_lo
	s_delay_alu instid0(VALU_DEP_1)
	v_cmpx_eq_u32_e32 1, v13
	;; [unrolled: 12-line block ×7, first 2 shown]
	s_cbranch_execz .LBB755_146
; %bb.145:
	v_sub_nc_u32_e32 v1, v33, v30
	s_delay_alu instid0(VALU_DEP_1)
	v_lshlrev_b32_e32 v1, 3, v1
	ds_store_b64 v1, v[3:4]
.LBB755_146:
	s_or_b32 exec_lo, exec_lo, s1
	s_delay_alu instid0(SALU_CYCLE_1)
	s_mov_b32 s3, exec_lo
	s_waitcnt lgkmcnt(0)
	s_waitcnt_vscnt null, 0x0
	s_barrier
	buffer_gl0_inv
	v_cmpx_lt_u32_e64 v0, v29
	s_cbranch_execz .LBB755_149
; %bb.147:
	v_dual_mov_b32 v2, 0 :: v_dual_mov_b32 v1, v30
	v_lshlrev_b64 v[3:4], 3, v[17:18]
	s_mov_b32 s4, 0
	s_delay_alu instid0(VALU_DEP_2) | instskip(NEXT) | instid1(VALU_DEP_1)
	v_lshlrev_b64 v[1:2], 3, v[1:2]
	v_add_co_u32 v1, vcc_lo, v3, v1
	s_delay_alu instid0(VALU_DEP_2) | instskip(NEXT) | instid1(VALU_DEP_2)
	v_add_co_ci_u32_e32 v2, vcc_lo, v4, v2, vcc_lo
	v_add_co_u32 v1, vcc_lo, s10, v1
	s_delay_alu instid0(VALU_DEP_2) | instskip(NEXT) | instid1(VALU_DEP_2)
	v_add_co_ci_u32_e32 v2, vcc_lo, s11, v2, vcc_lo
	v_add_co_u32 v1, vcc_lo, v1, v49
	s_delay_alu instid0(VALU_DEP_2)
	v_add_co_ci_u32_e32 v2, vcc_lo, 0, v2, vcc_lo
	.p2align	6
.LBB755_148:                            ; =>This Inner Loop Header: Depth=1
	ds_load_b64 v[3:4], v49
	v_add_nc_u32_e32 v0, 0x200, v0
	v_add_nc_u32_e32 v49, 0x1000, v49
	s_delay_alu instid0(VALU_DEP_2) | instskip(SKIP_4) | instid1(VALU_DEP_1)
	v_cmp_ge_u32_e32 vcc_lo, v0, v29
	s_or_b32 s4, vcc_lo, s4
	s_waitcnt lgkmcnt(0)
	global_store_b64 v[1:2], v[3:4], off
	v_add_co_u32 v1, s1, 0x1000, v1
	v_add_co_ci_u32_e64 v2, s1, 0, v2, s1
	s_and_not1_b32 exec_lo, exec_lo, s4
	s_cbranch_execnz .LBB755_148
.LBB755_149:
	s_or_b32 exec_lo, exec_lo, s3
.LBB755_150:
	s_delay_alu instid0(SALU_CYCLE_1)
	s_and_not1_b32 vcc_lo, exec_lo, s0
	s_waitcnt_vscnt null, 0x0
	s_barrier
	buffer_gl0_inv
	s_cbranch_vccnz .LBB755_169
; %bb.151:
	s_mov_b32 s0, exec_lo
	v_cmpx_eq_u32_e32 1, v27
	s_cbranch_execz .LBB755_153
; %bb.152:
	v_sub_nc_u32_e32 v0, v47, v30
	s_delay_alu instid0(VALU_DEP_1)
	v_lshlrev_b32_e32 v0, 2, v0
	ds_store_b32 v0, v25
.LBB755_153:
	s_or_b32 exec_lo, exec_lo, s0
	v_and_b32_e32 v0, 1, v53
	s_mov_b32 s0, exec_lo
	s_delay_alu instid0(VALU_DEP_1)
	v_cmpx_eq_u32_e32 1, v0
	s_cbranch_execz .LBB755_155
; %bb.154:
	v_sub_nc_u32_e32 v0, v45, v30
	s_delay_alu instid0(VALU_DEP_1)
	v_lshlrev_b32_e32 v0, 2, v0
	ds_store_b32 v0, v26
.LBB755_155:
	s_or_b32 exec_lo, exec_lo, s0
	v_and_b32_e32 v0, 1, v52
	s_mov_b32 s0, exec_lo
	s_delay_alu instid0(VALU_DEP_1)
	;; [unrolled: 12-line block ×7, first 2 shown]
	v_cmpx_eq_u32_e32 1, v0
	s_cbranch_execz .LBB755_167
; %bb.166:
	v_sub_nc_u32_e32 v0, v33, v30
	s_delay_alu instid0(VALU_DEP_1)
	v_lshlrev_b32_e32 v0, 2, v0
	ds_store_b32 v0, v20
.LBB755_167:
	s_or_b32 exec_lo, exec_lo, s0
	s_waitcnt lgkmcnt(0)
	s_barrier
	buffer_gl0_inv
	s_and_b32 s0, s2, s14
	s_delay_alu instid0(SALU_CYCLE_1)
	s_and_saveexec_b32 s1, s0
	s_cbranch_execnz .LBB755_170
.LBB755_168:
	s_endpgm
.LBB755_169:
	s_and_b32 s0, s2, s14
	s_delay_alu instid0(SALU_CYCLE_1)
	s_and_saveexec_b32 s1, s0
	s_cbranch_execz .LBB755_168
.LBB755_170:
	v_add_co_u32 v0, vcc_lo, v17, v29
	v_add_co_ci_u32_e32 v1, vcc_lo, 0, v18, vcc_lo
	v_mov_b32_e32 v2, 0
	s_delay_alu instid0(VALU_DEP_3) | instskip(NEXT) | instid1(VALU_DEP_3)
	v_add_co_u32 v0, vcc_lo, v0, v30
	v_add_co_ci_u32_e32 v1, vcc_lo, 0, v1, vcc_lo
	global_store_b64 v2, v[0:1], s[12:13]
	s_nop 0
	s_sendmsg sendmsg(MSG_DEALLOC_VGPRS)
	s_endpgm
	.section	.rodata,"a",@progbits
	.p2align	6, 0x0
	.amdhsa_kernel _ZN7rocprim17ROCPRIM_400000_NS6detail17trampoline_kernelINS0_14default_configENS1_25partition_config_selectorILNS1_17partition_subalgoE9EyjbEEZZNS1_14partition_implILS5_9ELb0ES3_jN6thrust23THRUST_200600_302600_NS6detail15normal_iteratorINS9_10device_ptrIyEEEENSB_INSC_IjEEEEPNS0_10empty_typeENS0_5tupleIJSE_SH_EEENSJ_IJNS9_16discard_iteratorINS9_11use_defaultEEESI_EEENS0_18inequality_wrapperINS9_8equal_toIyEEEEPmJSH_EEE10hipError_tPvRmT3_T4_T5_T6_T7_T9_mT8_P12ihipStream_tbDpT10_ENKUlT_T0_E_clISt17integral_constantIbLb0EES1C_IbLb1EEEEDaS18_S19_EUlS18_E_NS1_11comp_targetILNS1_3genE9ELNS1_11target_archE1100ELNS1_3gpuE3ELNS1_3repE0EEENS1_30default_config_static_selectorELNS0_4arch9wavefront6targetE0EEEvT1_
		.amdhsa_group_segment_fixed_size 33800
		.amdhsa_private_segment_fixed_size 0
		.amdhsa_kernarg_size 136
		.amdhsa_user_sgpr_count 15
		.amdhsa_user_sgpr_dispatch_ptr 0
		.amdhsa_user_sgpr_queue_ptr 0
		.amdhsa_user_sgpr_kernarg_segment_ptr 1
		.amdhsa_user_sgpr_dispatch_id 0
		.amdhsa_user_sgpr_private_segment_size 0
		.amdhsa_wavefront_size32 1
		.amdhsa_uses_dynamic_stack 0
		.amdhsa_enable_private_segment 0
		.amdhsa_system_sgpr_workgroup_id_x 1
		.amdhsa_system_sgpr_workgroup_id_y 0
		.amdhsa_system_sgpr_workgroup_id_z 0
		.amdhsa_system_sgpr_workgroup_info 0
		.amdhsa_system_vgpr_workitem_id 0
		.amdhsa_next_free_vgpr 62
		.amdhsa_next_free_sgpr 26
		.amdhsa_reserve_vcc 1
		.amdhsa_float_round_mode_32 0
		.amdhsa_float_round_mode_16_64 0
		.amdhsa_float_denorm_mode_32 3
		.amdhsa_float_denorm_mode_16_64 3
		.amdhsa_dx10_clamp 1
		.amdhsa_ieee_mode 1
		.amdhsa_fp16_overflow 0
		.amdhsa_workgroup_processor_mode 1
		.amdhsa_memory_ordered 1
		.amdhsa_forward_progress 0
		.amdhsa_shared_vgpr_count 0
		.amdhsa_exception_fp_ieee_invalid_op 0
		.amdhsa_exception_fp_denorm_src 0
		.amdhsa_exception_fp_ieee_div_zero 0
		.amdhsa_exception_fp_ieee_overflow 0
		.amdhsa_exception_fp_ieee_underflow 0
		.amdhsa_exception_fp_ieee_inexact 0
		.amdhsa_exception_int_div_zero 0
	.end_amdhsa_kernel
	.section	.text._ZN7rocprim17ROCPRIM_400000_NS6detail17trampoline_kernelINS0_14default_configENS1_25partition_config_selectorILNS1_17partition_subalgoE9EyjbEEZZNS1_14partition_implILS5_9ELb0ES3_jN6thrust23THRUST_200600_302600_NS6detail15normal_iteratorINS9_10device_ptrIyEEEENSB_INSC_IjEEEEPNS0_10empty_typeENS0_5tupleIJSE_SH_EEENSJ_IJNS9_16discard_iteratorINS9_11use_defaultEEESI_EEENS0_18inequality_wrapperINS9_8equal_toIyEEEEPmJSH_EEE10hipError_tPvRmT3_T4_T5_T6_T7_T9_mT8_P12ihipStream_tbDpT10_ENKUlT_T0_E_clISt17integral_constantIbLb0EES1C_IbLb1EEEEDaS18_S19_EUlS18_E_NS1_11comp_targetILNS1_3genE9ELNS1_11target_archE1100ELNS1_3gpuE3ELNS1_3repE0EEENS1_30default_config_static_selectorELNS0_4arch9wavefront6targetE0EEEvT1_,"axG",@progbits,_ZN7rocprim17ROCPRIM_400000_NS6detail17trampoline_kernelINS0_14default_configENS1_25partition_config_selectorILNS1_17partition_subalgoE9EyjbEEZZNS1_14partition_implILS5_9ELb0ES3_jN6thrust23THRUST_200600_302600_NS6detail15normal_iteratorINS9_10device_ptrIyEEEENSB_INSC_IjEEEEPNS0_10empty_typeENS0_5tupleIJSE_SH_EEENSJ_IJNS9_16discard_iteratorINS9_11use_defaultEEESI_EEENS0_18inequality_wrapperINS9_8equal_toIyEEEEPmJSH_EEE10hipError_tPvRmT3_T4_T5_T6_T7_T9_mT8_P12ihipStream_tbDpT10_ENKUlT_T0_E_clISt17integral_constantIbLb0EES1C_IbLb1EEEEDaS18_S19_EUlS18_E_NS1_11comp_targetILNS1_3genE9ELNS1_11target_archE1100ELNS1_3gpuE3ELNS1_3repE0EEENS1_30default_config_static_selectorELNS0_4arch9wavefront6targetE0EEEvT1_,comdat
.Lfunc_end755:
	.size	_ZN7rocprim17ROCPRIM_400000_NS6detail17trampoline_kernelINS0_14default_configENS1_25partition_config_selectorILNS1_17partition_subalgoE9EyjbEEZZNS1_14partition_implILS5_9ELb0ES3_jN6thrust23THRUST_200600_302600_NS6detail15normal_iteratorINS9_10device_ptrIyEEEENSB_INSC_IjEEEEPNS0_10empty_typeENS0_5tupleIJSE_SH_EEENSJ_IJNS9_16discard_iteratorINS9_11use_defaultEEESI_EEENS0_18inequality_wrapperINS9_8equal_toIyEEEEPmJSH_EEE10hipError_tPvRmT3_T4_T5_T6_T7_T9_mT8_P12ihipStream_tbDpT10_ENKUlT_T0_E_clISt17integral_constantIbLb0EES1C_IbLb1EEEEDaS18_S19_EUlS18_E_NS1_11comp_targetILNS1_3genE9ELNS1_11target_archE1100ELNS1_3gpuE3ELNS1_3repE0EEENS1_30default_config_static_selectorELNS0_4arch9wavefront6targetE0EEEvT1_, .Lfunc_end755-_ZN7rocprim17ROCPRIM_400000_NS6detail17trampoline_kernelINS0_14default_configENS1_25partition_config_selectorILNS1_17partition_subalgoE9EyjbEEZZNS1_14partition_implILS5_9ELb0ES3_jN6thrust23THRUST_200600_302600_NS6detail15normal_iteratorINS9_10device_ptrIyEEEENSB_INSC_IjEEEEPNS0_10empty_typeENS0_5tupleIJSE_SH_EEENSJ_IJNS9_16discard_iteratorINS9_11use_defaultEEESI_EEENS0_18inequality_wrapperINS9_8equal_toIyEEEEPmJSH_EEE10hipError_tPvRmT3_T4_T5_T6_T7_T9_mT8_P12ihipStream_tbDpT10_ENKUlT_T0_E_clISt17integral_constantIbLb0EES1C_IbLb1EEEEDaS18_S19_EUlS18_E_NS1_11comp_targetILNS1_3genE9ELNS1_11target_archE1100ELNS1_3gpuE3ELNS1_3repE0EEENS1_30default_config_static_selectorELNS0_4arch9wavefront6targetE0EEEvT1_
                                        ; -- End function
	.section	.AMDGPU.csdata,"",@progbits
; Kernel info:
; codeLenInByte = 8592
; NumSgprs: 28
; NumVgprs: 62
; ScratchSize: 0
; MemoryBound: 0
; FloatMode: 240
; IeeeMode: 1
; LDSByteSize: 33800 bytes/workgroup (compile time only)
; SGPRBlocks: 3
; VGPRBlocks: 7
; NumSGPRsForWavesPerEU: 28
; NumVGPRsForWavesPerEU: 62
; Occupancy: 12
; WaveLimiterHint : 1
; COMPUTE_PGM_RSRC2:SCRATCH_EN: 0
; COMPUTE_PGM_RSRC2:USER_SGPR: 15
; COMPUTE_PGM_RSRC2:TRAP_HANDLER: 0
; COMPUTE_PGM_RSRC2:TGID_X_EN: 1
; COMPUTE_PGM_RSRC2:TGID_Y_EN: 0
; COMPUTE_PGM_RSRC2:TGID_Z_EN: 0
; COMPUTE_PGM_RSRC2:TIDIG_COMP_CNT: 0
	.section	.text._ZN7rocprim17ROCPRIM_400000_NS6detail17trampoline_kernelINS0_14default_configENS1_25partition_config_selectorILNS1_17partition_subalgoE9EyjbEEZZNS1_14partition_implILS5_9ELb0ES3_jN6thrust23THRUST_200600_302600_NS6detail15normal_iteratorINS9_10device_ptrIyEEEENSB_INSC_IjEEEEPNS0_10empty_typeENS0_5tupleIJSE_SH_EEENSJ_IJNS9_16discard_iteratorINS9_11use_defaultEEESI_EEENS0_18inequality_wrapperINS9_8equal_toIyEEEEPmJSH_EEE10hipError_tPvRmT3_T4_T5_T6_T7_T9_mT8_P12ihipStream_tbDpT10_ENKUlT_T0_E_clISt17integral_constantIbLb0EES1C_IbLb1EEEEDaS18_S19_EUlS18_E_NS1_11comp_targetILNS1_3genE8ELNS1_11target_archE1030ELNS1_3gpuE2ELNS1_3repE0EEENS1_30default_config_static_selectorELNS0_4arch9wavefront6targetE0EEEvT1_,"axG",@progbits,_ZN7rocprim17ROCPRIM_400000_NS6detail17trampoline_kernelINS0_14default_configENS1_25partition_config_selectorILNS1_17partition_subalgoE9EyjbEEZZNS1_14partition_implILS5_9ELb0ES3_jN6thrust23THRUST_200600_302600_NS6detail15normal_iteratorINS9_10device_ptrIyEEEENSB_INSC_IjEEEEPNS0_10empty_typeENS0_5tupleIJSE_SH_EEENSJ_IJNS9_16discard_iteratorINS9_11use_defaultEEESI_EEENS0_18inequality_wrapperINS9_8equal_toIyEEEEPmJSH_EEE10hipError_tPvRmT3_T4_T5_T6_T7_T9_mT8_P12ihipStream_tbDpT10_ENKUlT_T0_E_clISt17integral_constantIbLb0EES1C_IbLb1EEEEDaS18_S19_EUlS18_E_NS1_11comp_targetILNS1_3genE8ELNS1_11target_archE1030ELNS1_3gpuE2ELNS1_3repE0EEENS1_30default_config_static_selectorELNS0_4arch9wavefront6targetE0EEEvT1_,comdat
	.protected	_ZN7rocprim17ROCPRIM_400000_NS6detail17trampoline_kernelINS0_14default_configENS1_25partition_config_selectorILNS1_17partition_subalgoE9EyjbEEZZNS1_14partition_implILS5_9ELb0ES3_jN6thrust23THRUST_200600_302600_NS6detail15normal_iteratorINS9_10device_ptrIyEEEENSB_INSC_IjEEEEPNS0_10empty_typeENS0_5tupleIJSE_SH_EEENSJ_IJNS9_16discard_iteratorINS9_11use_defaultEEESI_EEENS0_18inequality_wrapperINS9_8equal_toIyEEEEPmJSH_EEE10hipError_tPvRmT3_T4_T5_T6_T7_T9_mT8_P12ihipStream_tbDpT10_ENKUlT_T0_E_clISt17integral_constantIbLb0EES1C_IbLb1EEEEDaS18_S19_EUlS18_E_NS1_11comp_targetILNS1_3genE8ELNS1_11target_archE1030ELNS1_3gpuE2ELNS1_3repE0EEENS1_30default_config_static_selectorELNS0_4arch9wavefront6targetE0EEEvT1_ ; -- Begin function _ZN7rocprim17ROCPRIM_400000_NS6detail17trampoline_kernelINS0_14default_configENS1_25partition_config_selectorILNS1_17partition_subalgoE9EyjbEEZZNS1_14partition_implILS5_9ELb0ES3_jN6thrust23THRUST_200600_302600_NS6detail15normal_iteratorINS9_10device_ptrIyEEEENSB_INSC_IjEEEEPNS0_10empty_typeENS0_5tupleIJSE_SH_EEENSJ_IJNS9_16discard_iteratorINS9_11use_defaultEEESI_EEENS0_18inequality_wrapperINS9_8equal_toIyEEEEPmJSH_EEE10hipError_tPvRmT3_T4_T5_T6_T7_T9_mT8_P12ihipStream_tbDpT10_ENKUlT_T0_E_clISt17integral_constantIbLb0EES1C_IbLb1EEEEDaS18_S19_EUlS18_E_NS1_11comp_targetILNS1_3genE8ELNS1_11target_archE1030ELNS1_3gpuE2ELNS1_3repE0EEENS1_30default_config_static_selectorELNS0_4arch9wavefront6targetE0EEEvT1_
	.globl	_ZN7rocprim17ROCPRIM_400000_NS6detail17trampoline_kernelINS0_14default_configENS1_25partition_config_selectorILNS1_17partition_subalgoE9EyjbEEZZNS1_14partition_implILS5_9ELb0ES3_jN6thrust23THRUST_200600_302600_NS6detail15normal_iteratorINS9_10device_ptrIyEEEENSB_INSC_IjEEEEPNS0_10empty_typeENS0_5tupleIJSE_SH_EEENSJ_IJNS9_16discard_iteratorINS9_11use_defaultEEESI_EEENS0_18inequality_wrapperINS9_8equal_toIyEEEEPmJSH_EEE10hipError_tPvRmT3_T4_T5_T6_T7_T9_mT8_P12ihipStream_tbDpT10_ENKUlT_T0_E_clISt17integral_constantIbLb0EES1C_IbLb1EEEEDaS18_S19_EUlS18_E_NS1_11comp_targetILNS1_3genE8ELNS1_11target_archE1030ELNS1_3gpuE2ELNS1_3repE0EEENS1_30default_config_static_selectorELNS0_4arch9wavefront6targetE0EEEvT1_
	.p2align	8
	.type	_ZN7rocprim17ROCPRIM_400000_NS6detail17trampoline_kernelINS0_14default_configENS1_25partition_config_selectorILNS1_17partition_subalgoE9EyjbEEZZNS1_14partition_implILS5_9ELb0ES3_jN6thrust23THRUST_200600_302600_NS6detail15normal_iteratorINS9_10device_ptrIyEEEENSB_INSC_IjEEEEPNS0_10empty_typeENS0_5tupleIJSE_SH_EEENSJ_IJNS9_16discard_iteratorINS9_11use_defaultEEESI_EEENS0_18inequality_wrapperINS9_8equal_toIyEEEEPmJSH_EEE10hipError_tPvRmT3_T4_T5_T6_T7_T9_mT8_P12ihipStream_tbDpT10_ENKUlT_T0_E_clISt17integral_constantIbLb0EES1C_IbLb1EEEEDaS18_S19_EUlS18_E_NS1_11comp_targetILNS1_3genE8ELNS1_11target_archE1030ELNS1_3gpuE2ELNS1_3repE0EEENS1_30default_config_static_selectorELNS0_4arch9wavefront6targetE0EEEvT1_,@function
_ZN7rocprim17ROCPRIM_400000_NS6detail17trampoline_kernelINS0_14default_configENS1_25partition_config_selectorILNS1_17partition_subalgoE9EyjbEEZZNS1_14partition_implILS5_9ELb0ES3_jN6thrust23THRUST_200600_302600_NS6detail15normal_iteratorINS9_10device_ptrIyEEEENSB_INSC_IjEEEEPNS0_10empty_typeENS0_5tupleIJSE_SH_EEENSJ_IJNS9_16discard_iteratorINS9_11use_defaultEEESI_EEENS0_18inequality_wrapperINS9_8equal_toIyEEEEPmJSH_EEE10hipError_tPvRmT3_T4_T5_T6_T7_T9_mT8_P12ihipStream_tbDpT10_ENKUlT_T0_E_clISt17integral_constantIbLb0EES1C_IbLb1EEEEDaS18_S19_EUlS18_E_NS1_11comp_targetILNS1_3genE8ELNS1_11target_archE1030ELNS1_3gpuE2ELNS1_3repE0EEENS1_30default_config_static_selectorELNS0_4arch9wavefront6targetE0EEEvT1_: ; @_ZN7rocprim17ROCPRIM_400000_NS6detail17trampoline_kernelINS0_14default_configENS1_25partition_config_selectorILNS1_17partition_subalgoE9EyjbEEZZNS1_14partition_implILS5_9ELb0ES3_jN6thrust23THRUST_200600_302600_NS6detail15normal_iteratorINS9_10device_ptrIyEEEENSB_INSC_IjEEEEPNS0_10empty_typeENS0_5tupleIJSE_SH_EEENSJ_IJNS9_16discard_iteratorINS9_11use_defaultEEESI_EEENS0_18inequality_wrapperINS9_8equal_toIyEEEEPmJSH_EEE10hipError_tPvRmT3_T4_T5_T6_T7_T9_mT8_P12ihipStream_tbDpT10_ENKUlT_T0_E_clISt17integral_constantIbLb0EES1C_IbLb1EEEEDaS18_S19_EUlS18_E_NS1_11comp_targetILNS1_3genE8ELNS1_11target_archE1030ELNS1_3gpuE2ELNS1_3repE0EEENS1_30default_config_static_selectorELNS0_4arch9wavefront6targetE0EEEvT1_
; %bb.0:
	.section	.rodata,"a",@progbits
	.p2align	6, 0x0
	.amdhsa_kernel _ZN7rocprim17ROCPRIM_400000_NS6detail17trampoline_kernelINS0_14default_configENS1_25partition_config_selectorILNS1_17partition_subalgoE9EyjbEEZZNS1_14partition_implILS5_9ELb0ES3_jN6thrust23THRUST_200600_302600_NS6detail15normal_iteratorINS9_10device_ptrIyEEEENSB_INSC_IjEEEEPNS0_10empty_typeENS0_5tupleIJSE_SH_EEENSJ_IJNS9_16discard_iteratorINS9_11use_defaultEEESI_EEENS0_18inequality_wrapperINS9_8equal_toIyEEEEPmJSH_EEE10hipError_tPvRmT3_T4_T5_T6_T7_T9_mT8_P12ihipStream_tbDpT10_ENKUlT_T0_E_clISt17integral_constantIbLb0EES1C_IbLb1EEEEDaS18_S19_EUlS18_E_NS1_11comp_targetILNS1_3genE8ELNS1_11target_archE1030ELNS1_3gpuE2ELNS1_3repE0EEENS1_30default_config_static_selectorELNS0_4arch9wavefront6targetE0EEEvT1_
		.amdhsa_group_segment_fixed_size 0
		.amdhsa_private_segment_fixed_size 0
		.amdhsa_kernarg_size 136
		.amdhsa_user_sgpr_count 15
		.amdhsa_user_sgpr_dispatch_ptr 0
		.amdhsa_user_sgpr_queue_ptr 0
		.amdhsa_user_sgpr_kernarg_segment_ptr 1
		.amdhsa_user_sgpr_dispatch_id 0
		.amdhsa_user_sgpr_private_segment_size 0
		.amdhsa_wavefront_size32 1
		.amdhsa_uses_dynamic_stack 0
		.amdhsa_enable_private_segment 0
		.amdhsa_system_sgpr_workgroup_id_x 1
		.amdhsa_system_sgpr_workgroup_id_y 0
		.amdhsa_system_sgpr_workgroup_id_z 0
		.amdhsa_system_sgpr_workgroup_info 0
		.amdhsa_system_vgpr_workitem_id 0
		.amdhsa_next_free_vgpr 1
		.amdhsa_next_free_sgpr 1
		.amdhsa_reserve_vcc 0
		.amdhsa_float_round_mode_32 0
		.amdhsa_float_round_mode_16_64 0
		.amdhsa_float_denorm_mode_32 3
		.amdhsa_float_denorm_mode_16_64 3
		.amdhsa_dx10_clamp 1
		.amdhsa_ieee_mode 1
		.amdhsa_fp16_overflow 0
		.amdhsa_workgroup_processor_mode 1
		.amdhsa_memory_ordered 1
		.amdhsa_forward_progress 0
		.amdhsa_shared_vgpr_count 0
		.amdhsa_exception_fp_ieee_invalid_op 0
		.amdhsa_exception_fp_denorm_src 0
		.amdhsa_exception_fp_ieee_div_zero 0
		.amdhsa_exception_fp_ieee_overflow 0
		.amdhsa_exception_fp_ieee_underflow 0
		.amdhsa_exception_fp_ieee_inexact 0
		.amdhsa_exception_int_div_zero 0
	.end_amdhsa_kernel
	.section	.text._ZN7rocprim17ROCPRIM_400000_NS6detail17trampoline_kernelINS0_14default_configENS1_25partition_config_selectorILNS1_17partition_subalgoE9EyjbEEZZNS1_14partition_implILS5_9ELb0ES3_jN6thrust23THRUST_200600_302600_NS6detail15normal_iteratorINS9_10device_ptrIyEEEENSB_INSC_IjEEEEPNS0_10empty_typeENS0_5tupleIJSE_SH_EEENSJ_IJNS9_16discard_iteratorINS9_11use_defaultEEESI_EEENS0_18inequality_wrapperINS9_8equal_toIyEEEEPmJSH_EEE10hipError_tPvRmT3_T4_T5_T6_T7_T9_mT8_P12ihipStream_tbDpT10_ENKUlT_T0_E_clISt17integral_constantIbLb0EES1C_IbLb1EEEEDaS18_S19_EUlS18_E_NS1_11comp_targetILNS1_3genE8ELNS1_11target_archE1030ELNS1_3gpuE2ELNS1_3repE0EEENS1_30default_config_static_selectorELNS0_4arch9wavefront6targetE0EEEvT1_,"axG",@progbits,_ZN7rocprim17ROCPRIM_400000_NS6detail17trampoline_kernelINS0_14default_configENS1_25partition_config_selectorILNS1_17partition_subalgoE9EyjbEEZZNS1_14partition_implILS5_9ELb0ES3_jN6thrust23THRUST_200600_302600_NS6detail15normal_iteratorINS9_10device_ptrIyEEEENSB_INSC_IjEEEEPNS0_10empty_typeENS0_5tupleIJSE_SH_EEENSJ_IJNS9_16discard_iteratorINS9_11use_defaultEEESI_EEENS0_18inequality_wrapperINS9_8equal_toIyEEEEPmJSH_EEE10hipError_tPvRmT3_T4_T5_T6_T7_T9_mT8_P12ihipStream_tbDpT10_ENKUlT_T0_E_clISt17integral_constantIbLb0EES1C_IbLb1EEEEDaS18_S19_EUlS18_E_NS1_11comp_targetILNS1_3genE8ELNS1_11target_archE1030ELNS1_3gpuE2ELNS1_3repE0EEENS1_30default_config_static_selectorELNS0_4arch9wavefront6targetE0EEEvT1_,comdat
.Lfunc_end756:
	.size	_ZN7rocprim17ROCPRIM_400000_NS6detail17trampoline_kernelINS0_14default_configENS1_25partition_config_selectorILNS1_17partition_subalgoE9EyjbEEZZNS1_14partition_implILS5_9ELb0ES3_jN6thrust23THRUST_200600_302600_NS6detail15normal_iteratorINS9_10device_ptrIyEEEENSB_INSC_IjEEEEPNS0_10empty_typeENS0_5tupleIJSE_SH_EEENSJ_IJNS9_16discard_iteratorINS9_11use_defaultEEESI_EEENS0_18inequality_wrapperINS9_8equal_toIyEEEEPmJSH_EEE10hipError_tPvRmT3_T4_T5_T6_T7_T9_mT8_P12ihipStream_tbDpT10_ENKUlT_T0_E_clISt17integral_constantIbLb0EES1C_IbLb1EEEEDaS18_S19_EUlS18_E_NS1_11comp_targetILNS1_3genE8ELNS1_11target_archE1030ELNS1_3gpuE2ELNS1_3repE0EEENS1_30default_config_static_selectorELNS0_4arch9wavefront6targetE0EEEvT1_, .Lfunc_end756-_ZN7rocprim17ROCPRIM_400000_NS6detail17trampoline_kernelINS0_14default_configENS1_25partition_config_selectorILNS1_17partition_subalgoE9EyjbEEZZNS1_14partition_implILS5_9ELb0ES3_jN6thrust23THRUST_200600_302600_NS6detail15normal_iteratorINS9_10device_ptrIyEEEENSB_INSC_IjEEEEPNS0_10empty_typeENS0_5tupleIJSE_SH_EEENSJ_IJNS9_16discard_iteratorINS9_11use_defaultEEESI_EEENS0_18inequality_wrapperINS9_8equal_toIyEEEEPmJSH_EEE10hipError_tPvRmT3_T4_T5_T6_T7_T9_mT8_P12ihipStream_tbDpT10_ENKUlT_T0_E_clISt17integral_constantIbLb0EES1C_IbLb1EEEEDaS18_S19_EUlS18_E_NS1_11comp_targetILNS1_3genE8ELNS1_11target_archE1030ELNS1_3gpuE2ELNS1_3repE0EEENS1_30default_config_static_selectorELNS0_4arch9wavefront6targetE0EEEvT1_
                                        ; -- End function
	.section	.AMDGPU.csdata,"",@progbits
; Kernel info:
; codeLenInByte = 0
; NumSgprs: 0
; NumVgprs: 0
; ScratchSize: 0
; MemoryBound: 0
; FloatMode: 240
; IeeeMode: 1
; LDSByteSize: 0 bytes/workgroup (compile time only)
; SGPRBlocks: 0
; VGPRBlocks: 0
; NumSGPRsForWavesPerEU: 1
; NumVGPRsForWavesPerEU: 1
; Occupancy: 16
; WaveLimiterHint : 0
; COMPUTE_PGM_RSRC2:SCRATCH_EN: 0
; COMPUTE_PGM_RSRC2:USER_SGPR: 15
; COMPUTE_PGM_RSRC2:TRAP_HANDLER: 0
; COMPUTE_PGM_RSRC2:TGID_X_EN: 1
; COMPUTE_PGM_RSRC2:TGID_Y_EN: 0
; COMPUTE_PGM_RSRC2:TGID_Z_EN: 0
; COMPUTE_PGM_RSRC2:TIDIG_COMP_CNT: 0
	.section	.text._ZN7rocprim17ROCPRIM_400000_NS6detail17trampoline_kernelINS0_14default_configENS1_25partition_config_selectorILNS1_17partition_subalgoE9EyjbEEZZNS1_14partition_implILS5_9ELb0ES3_jN6thrust23THRUST_200600_302600_NS6detail15normal_iteratorINS9_10device_ptrIyEEEENSB_INSC_IjEEEEPNS0_10empty_typeENS0_5tupleIJNS9_16discard_iteratorINS9_11use_defaultEEESH_EEENSJ_IJSG_SI_EEENS0_18inequality_wrapperINS9_8equal_toIyEEEEPmJSH_EEE10hipError_tPvRmT3_T4_T5_T6_T7_T9_mT8_P12ihipStream_tbDpT10_ENKUlT_T0_E_clISt17integral_constantIbLb0EES1D_EEDaS18_S19_EUlS18_E_NS1_11comp_targetILNS1_3genE0ELNS1_11target_archE4294967295ELNS1_3gpuE0ELNS1_3repE0EEENS1_30default_config_static_selectorELNS0_4arch9wavefront6targetE0EEEvT1_,"axG",@progbits,_ZN7rocprim17ROCPRIM_400000_NS6detail17trampoline_kernelINS0_14default_configENS1_25partition_config_selectorILNS1_17partition_subalgoE9EyjbEEZZNS1_14partition_implILS5_9ELb0ES3_jN6thrust23THRUST_200600_302600_NS6detail15normal_iteratorINS9_10device_ptrIyEEEENSB_INSC_IjEEEEPNS0_10empty_typeENS0_5tupleIJNS9_16discard_iteratorINS9_11use_defaultEEESH_EEENSJ_IJSG_SI_EEENS0_18inequality_wrapperINS9_8equal_toIyEEEEPmJSH_EEE10hipError_tPvRmT3_T4_T5_T6_T7_T9_mT8_P12ihipStream_tbDpT10_ENKUlT_T0_E_clISt17integral_constantIbLb0EES1D_EEDaS18_S19_EUlS18_E_NS1_11comp_targetILNS1_3genE0ELNS1_11target_archE4294967295ELNS1_3gpuE0ELNS1_3repE0EEENS1_30default_config_static_selectorELNS0_4arch9wavefront6targetE0EEEvT1_,comdat
	.protected	_ZN7rocprim17ROCPRIM_400000_NS6detail17trampoline_kernelINS0_14default_configENS1_25partition_config_selectorILNS1_17partition_subalgoE9EyjbEEZZNS1_14partition_implILS5_9ELb0ES3_jN6thrust23THRUST_200600_302600_NS6detail15normal_iteratorINS9_10device_ptrIyEEEENSB_INSC_IjEEEEPNS0_10empty_typeENS0_5tupleIJNS9_16discard_iteratorINS9_11use_defaultEEESH_EEENSJ_IJSG_SI_EEENS0_18inequality_wrapperINS9_8equal_toIyEEEEPmJSH_EEE10hipError_tPvRmT3_T4_T5_T6_T7_T9_mT8_P12ihipStream_tbDpT10_ENKUlT_T0_E_clISt17integral_constantIbLb0EES1D_EEDaS18_S19_EUlS18_E_NS1_11comp_targetILNS1_3genE0ELNS1_11target_archE4294967295ELNS1_3gpuE0ELNS1_3repE0EEENS1_30default_config_static_selectorELNS0_4arch9wavefront6targetE0EEEvT1_ ; -- Begin function _ZN7rocprim17ROCPRIM_400000_NS6detail17trampoline_kernelINS0_14default_configENS1_25partition_config_selectorILNS1_17partition_subalgoE9EyjbEEZZNS1_14partition_implILS5_9ELb0ES3_jN6thrust23THRUST_200600_302600_NS6detail15normal_iteratorINS9_10device_ptrIyEEEENSB_INSC_IjEEEEPNS0_10empty_typeENS0_5tupleIJNS9_16discard_iteratorINS9_11use_defaultEEESH_EEENSJ_IJSG_SI_EEENS0_18inequality_wrapperINS9_8equal_toIyEEEEPmJSH_EEE10hipError_tPvRmT3_T4_T5_T6_T7_T9_mT8_P12ihipStream_tbDpT10_ENKUlT_T0_E_clISt17integral_constantIbLb0EES1D_EEDaS18_S19_EUlS18_E_NS1_11comp_targetILNS1_3genE0ELNS1_11target_archE4294967295ELNS1_3gpuE0ELNS1_3repE0EEENS1_30default_config_static_selectorELNS0_4arch9wavefront6targetE0EEEvT1_
	.globl	_ZN7rocprim17ROCPRIM_400000_NS6detail17trampoline_kernelINS0_14default_configENS1_25partition_config_selectorILNS1_17partition_subalgoE9EyjbEEZZNS1_14partition_implILS5_9ELb0ES3_jN6thrust23THRUST_200600_302600_NS6detail15normal_iteratorINS9_10device_ptrIyEEEENSB_INSC_IjEEEEPNS0_10empty_typeENS0_5tupleIJNS9_16discard_iteratorINS9_11use_defaultEEESH_EEENSJ_IJSG_SI_EEENS0_18inequality_wrapperINS9_8equal_toIyEEEEPmJSH_EEE10hipError_tPvRmT3_T4_T5_T6_T7_T9_mT8_P12ihipStream_tbDpT10_ENKUlT_T0_E_clISt17integral_constantIbLb0EES1D_EEDaS18_S19_EUlS18_E_NS1_11comp_targetILNS1_3genE0ELNS1_11target_archE4294967295ELNS1_3gpuE0ELNS1_3repE0EEENS1_30default_config_static_selectorELNS0_4arch9wavefront6targetE0EEEvT1_
	.p2align	8
	.type	_ZN7rocprim17ROCPRIM_400000_NS6detail17trampoline_kernelINS0_14default_configENS1_25partition_config_selectorILNS1_17partition_subalgoE9EyjbEEZZNS1_14partition_implILS5_9ELb0ES3_jN6thrust23THRUST_200600_302600_NS6detail15normal_iteratorINS9_10device_ptrIyEEEENSB_INSC_IjEEEEPNS0_10empty_typeENS0_5tupleIJNS9_16discard_iteratorINS9_11use_defaultEEESH_EEENSJ_IJSG_SI_EEENS0_18inequality_wrapperINS9_8equal_toIyEEEEPmJSH_EEE10hipError_tPvRmT3_T4_T5_T6_T7_T9_mT8_P12ihipStream_tbDpT10_ENKUlT_T0_E_clISt17integral_constantIbLb0EES1D_EEDaS18_S19_EUlS18_E_NS1_11comp_targetILNS1_3genE0ELNS1_11target_archE4294967295ELNS1_3gpuE0ELNS1_3repE0EEENS1_30default_config_static_selectorELNS0_4arch9wavefront6targetE0EEEvT1_,@function
_ZN7rocprim17ROCPRIM_400000_NS6detail17trampoline_kernelINS0_14default_configENS1_25partition_config_selectorILNS1_17partition_subalgoE9EyjbEEZZNS1_14partition_implILS5_9ELb0ES3_jN6thrust23THRUST_200600_302600_NS6detail15normal_iteratorINS9_10device_ptrIyEEEENSB_INSC_IjEEEEPNS0_10empty_typeENS0_5tupleIJNS9_16discard_iteratorINS9_11use_defaultEEESH_EEENSJ_IJSG_SI_EEENS0_18inequality_wrapperINS9_8equal_toIyEEEEPmJSH_EEE10hipError_tPvRmT3_T4_T5_T6_T7_T9_mT8_P12ihipStream_tbDpT10_ENKUlT_T0_E_clISt17integral_constantIbLb0EES1D_EEDaS18_S19_EUlS18_E_NS1_11comp_targetILNS1_3genE0ELNS1_11target_archE4294967295ELNS1_3gpuE0ELNS1_3repE0EEENS1_30default_config_static_selectorELNS0_4arch9wavefront6targetE0EEEvT1_: ; @_ZN7rocprim17ROCPRIM_400000_NS6detail17trampoline_kernelINS0_14default_configENS1_25partition_config_selectorILNS1_17partition_subalgoE9EyjbEEZZNS1_14partition_implILS5_9ELb0ES3_jN6thrust23THRUST_200600_302600_NS6detail15normal_iteratorINS9_10device_ptrIyEEEENSB_INSC_IjEEEEPNS0_10empty_typeENS0_5tupleIJNS9_16discard_iteratorINS9_11use_defaultEEESH_EEENSJ_IJSG_SI_EEENS0_18inequality_wrapperINS9_8equal_toIyEEEEPmJSH_EEE10hipError_tPvRmT3_T4_T5_T6_T7_T9_mT8_P12ihipStream_tbDpT10_ENKUlT_T0_E_clISt17integral_constantIbLb0EES1D_EEDaS18_S19_EUlS18_E_NS1_11comp_targetILNS1_3genE0ELNS1_11target_archE4294967295ELNS1_3gpuE0ELNS1_3repE0EEENS1_30default_config_static_selectorELNS0_4arch9wavefront6targetE0EEEvT1_
; %bb.0:
	.section	.rodata,"a",@progbits
	.p2align	6, 0x0
	.amdhsa_kernel _ZN7rocprim17ROCPRIM_400000_NS6detail17trampoline_kernelINS0_14default_configENS1_25partition_config_selectorILNS1_17partition_subalgoE9EyjbEEZZNS1_14partition_implILS5_9ELb0ES3_jN6thrust23THRUST_200600_302600_NS6detail15normal_iteratorINS9_10device_ptrIyEEEENSB_INSC_IjEEEEPNS0_10empty_typeENS0_5tupleIJNS9_16discard_iteratorINS9_11use_defaultEEESH_EEENSJ_IJSG_SI_EEENS0_18inequality_wrapperINS9_8equal_toIyEEEEPmJSH_EEE10hipError_tPvRmT3_T4_T5_T6_T7_T9_mT8_P12ihipStream_tbDpT10_ENKUlT_T0_E_clISt17integral_constantIbLb0EES1D_EEDaS18_S19_EUlS18_E_NS1_11comp_targetILNS1_3genE0ELNS1_11target_archE4294967295ELNS1_3gpuE0ELNS1_3repE0EEENS1_30default_config_static_selectorELNS0_4arch9wavefront6targetE0EEEvT1_
		.amdhsa_group_segment_fixed_size 0
		.amdhsa_private_segment_fixed_size 0
		.amdhsa_kernarg_size 120
		.amdhsa_user_sgpr_count 15
		.amdhsa_user_sgpr_dispatch_ptr 0
		.amdhsa_user_sgpr_queue_ptr 0
		.amdhsa_user_sgpr_kernarg_segment_ptr 1
		.amdhsa_user_sgpr_dispatch_id 0
		.amdhsa_user_sgpr_private_segment_size 0
		.amdhsa_wavefront_size32 1
		.amdhsa_uses_dynamic_stack 0
		.amdhsa_enable_private_segment 0
		.amdhsa_system_sgpr_workgroup_id_x 1
		.amdhsa_system_sgpr_workgroup_id_y 0
		.amdhsa_system_sgpr_workgroup_id_z 0
		.amdhsa_system_sgpr_workgroup_info 0
		.amdhsa_system_vgpr_workitem_id 0
		.amdhsa_next_free_vgpr 1
		.amdhsa_next_free_sgpr 1
		.amdhsa_reserve_vcc 0
		.amdhsa_float_round_mode_32 0
		.amdhsa_float_round_mode_16_64 0
		.amdhsa_float_denorm_mode_32 3
		.amdhsa_float_denorm_mode_16_64 3
		.amdhsa_dx10_clamp 1
		.amdhsa_ieee_mode 1
		.amdhsa_fp16_overflow 0
		.amdhsa_workgroup_processor_mode 1
		.amdhsa_memory_ordered 1
		.amdhsa_forward_progress 0
		.amdhsa_shared_vgpr_count 0
		.amdhsa_exception_fp_ieee_invalid_op 0
		.amdhsa_exception_fp_denorm_src 0
		.amdhsa_exception_fp_ieee_div_zero 0
		.amdhsa_exception_fp_ieee_overflow 0
		.amdhsa_exception_fp_ieee_underflow 0
		.amdhsa_exception_fp_ieee_inexact 0
		.amdhsa_exception_int_div_zero 0
	.end_amdhsa_kernel
	.section	.text._ZN7rocprim17ROCPRIM_400000_NS6detail17trampoline_kernelINS0_14default_configENS1_25partition_config_selectorILNS1_17partition_subalgoE9EyjbEEZZNS1_14partition_implILS5_9ELb0ES3_jN6thrust23THRUST_200600_302600_NS6detail15normal_iteratorINS9_10device_ptrIyEEEENSB_INSC_IjEEEEPNS0_10empty_typeENS0_5tupleIJNS9_16discard_iteratorINS9_11use_defaultEEESH_EEENSJ_IJSG_SI_EEENS0_18inequality_wrapperINS9_8equal_toIyEEEEPmJSH_EEE10hipError_tPvRmT3_T4_T5_T6_T7_T9_mT8_P12ihipStream_tbDpT10_ENKUlT_T0_E_clISt17integral_constantIbLb0EES1D_EEDaS18_S19_EUlS18_E_NS1_11comp_targetILNS1_3genE0ELNS1_11target_archE4294967295ELNS1_3gpuE0ELNS1_3repE0EEENS1_30default_config_static_selectorELNS0_4arch9wavefront6targetE0EEEvT1_,"axG",@progbits,_ZN7rocprim17ROCPRIM_400000_NS6detail17trampoline_kernelINS0_14default_configENS1_25partition_config_selectorILNS1_17partition_subalgoE9EyjbEEZZNS1_14partition_implILS5_9ELb0ES3_jN6thrust23THRUST_200600_302600_NS6detail15normal_iteratorINS9_10device_ptrIyEEEENSB_INSC_IjEEEEPNS0_10empty_typeENS0_5tupleIJNS9_16discard_iteratorINS9_11use_defaultEEESH_EEENSJ_IJSG_SI_EEENS0_18inequality_wrapperINS9_8equal_toIyEEEEPmJSH_EEE10hipError_tPvRmT3_T4_T5_T6_T7_T9_mT8_P12ihipStream_tbDpT10_ENKUlT_T0_E_clISt17integral_constantIbLb0EES1D_EEDaS18_S19_EUlS18_E_NS1_11comp_targetILNS1_3genE0ELNS1_11target_archE4294967295ELNS1_3gpuE0ELNS1_3repE0EEENS1_30default_config_static_selectorELNS0_4arch9wavefront6targetE0EEEvT1_,comdat
.Lfunc_end757:
	.size	_ZN7rocprim17ROCPRIM_400000_NS6detail17trampoline_kernelINS0_14default_configENS1_25partition_config_selectorILNS1_17partition_subalgoE9EyjbEEZZNS1_14partition_implILS5_9ELb0ES3_jN6thrust23THRUST_200600_302600_NS6detail15normal_iteratorINS9_10device_ptrIyEEEENSB_INSC_IjEEEEPNS0_10empty_typeENS0_5tupleIJNS9_16discard_iteratorINS9_11use_defaultEEESH_EEENSJ_IJSG_SI_EEENS0_18inequality_wrapperINS9_8equal_toIyEEEEPmJSH_EEE10hipError_tPvRmT3_T4_T5_T6_T7_T9_mT8_P12ihipStream_tbDpT10_ENKUlT_T0_E_clISt17integral_constantIbLb0EES1D_EEDaS18_S19_EUlS18_E_NS1_11comp_targetILNS1_3genE0ELNS1_11target_archE4294967295ELNS1_3gpuE0ELNS1_3repE0EEENS1_30default_config_static_selectorELNS0_4arch9wavefront6targetE0EEEvT1_, .Lfunc_end757-_ZN7rocprim17ROCPRIM_400000_NS6detail17trampoline_kernelINS0_14default_configENS1_25partition_config_selectorILNS1_17partition_subalgoE9EyjbEEZZNS1_14partition_implILS5_9ELb0ES3_jN6thrust23THRUST_200600_302600_NS6detail15normal_iteratorINS9_10device_ptrIyEEEENSB_INSC_IjEEEEPNS0_10empty_typeENS0_5tupleIJNS9_16discard_iteratorINS9_11use_defaultEEESH_EEENSJ_IJSG_SI_EEENS0_18inequality_wrapperINS9_8equal_toIyEEEEPmJSH_EEE10hipError_tPvRmT3_T4_T5_T6_T7_T9_mT8_P12ihipStream_tbDpT10_ENKUlT_T0_E_clISt17integral_constantIbLb0EES1D_EEDaS18_S19_EUlS18_E_NS1_11comp_targetILNS1_3genE0ELNS1_11target_archE4294967295ELNS1_3gpuE0ELNS1_3repE0EEENS1_30default_config_static_selectorELNS0_4arch9wavefront6targetE0EEEvT1_
                                        ; -- End function
	.section	.AMDGPU.csdata,"",@progbits
; Kernel info:
; codeLenInByte = 0
; NumSgprs: 0
; NumVgprs: 0
; ScratchSize: 0
; MemoryBound: 0
; FloatMode: 240
; IeeeMode: 1
; LDSByteSize: 0 bytes/workgroup (compile time only)
; SGPRBlocks: 0
; VGPRBlocks: 0
; NumSGPRsForWavesPerEU: 1
; NumVGPRsForWavesPerEU: 1
; Occupancy: 16
; WaveLimiterHint : 0
; COMPUTE_PGM_RSRC2:SCRATCH_EN: 0
; COMPUTE_PGM_RSRC2:USER_SGPR: 15
; COMPUTE_PGM_RSRC2:TRAP_HANDLER: 0
; COMPUTE_PGM_RSRC2:TGID_X_EN: 1
; COMPUTE_PGM_RSRC2:TGID_Y_EN: 0
; COMPUTE_PGM_RSRC2:TGID_Z_EN: 0
; COMPUTE_PGM_RSRC2:TIDIG_COMP_CNT: 0
	.section	.text._ZN7rocprim17ROCPRIM_400000_NS6detail17trampoline_kernelINS0_14default_configENS1_25partition_config_selectorILNS1_17partition_subalgoE9EyjbEEZZNS1_14partition_implILS5_9ELb0ES3_jN6thrust23THRUST_200600_302600_NS6detail15normal_iteratorINS9_10device_ptrIyEEEENSB_INSC_IjEEEEPNS0_10empty_typeENS0_5tupleIJNS9_16discard_iteratorINS9_11use_defaultEEESH_EEENSJ_IJSG_SI_EEENS0_18inequality_wrapperINS9_8equal_toIyEEEEPmJSH_EEE10hipError_tPvRmT3_T4_T5_T6_T7_T9_mT8_P12ihipStream_tbDpT10_ENKUlT_T0_E_clISt17integral_constantIbLb0EES1D_EEDaS18_S19_EUlS18_E_NS1_11comp_targetILNS1_3genE5ELNS1_11target_archE942ELNS1_3gpuE9ELNS1_3repE0EEENS1_30default_config_static_selectorELNS0_4arch9wavefront6targetE0EEEvT1_,"axG",@progbits,_ZN7rocprim17ROCPRIM_400000_NS6detail17trampoline_kernelINS0_14default_configENS1_25partition_config_selectorILNS1_17partition_subalgoE9EyjbEEZZNS1_14partition_implILS5_9ELb0ES3_jN6thrust23THRUST_200600_302600_NS6detail15normal_iteratorINS9_10device_ptrIyEEEENSB_INSC_IjEEEEPNS0_10empty_typeENS0_5tupleIJNS9_16discard_iteratorINS9_11use_defaultEEESH_EEENSJ_IJSG_SI_EEENS0_18inequality_wrapperINS9_8equal_toIyEEEEPmJSH_EEE10hipError_tPvRmT3_T4_T5_T6_T7_T9_mT8_P12ihipStream_tbDpT10_ENKUlT_T0_E_clISt17integral_constantIbLb0EES1D_EEDaS18_S19_EUlS18_E_NS1_11comp_targetILNS1_3genE5ELNS1_11target_archE942ELNS1_3gpuE9ELNS1_3repE0EEENS1_30default_config_static_selectorELNS0_4arch9wavefront6targetE0EEEvT1_,comdat
	.protected	_ZN7rocprim17ROCPRIM_400000_NS6detail17trampoline_kernelINS0_14default_configENS1_25partition_config_selectorILNS1_17partition_subalgoE9EyjbEEZZNS1_14partition_implILS5_9ELb0ES3_jN6thrust23THRUST_200600_302600_NS6detail15normal_iteratorINS9_10device_ptrIyEEEENSB_INSC_IjEEEEPNS0_10empty_typeENS0_5tupleIJNS9_16discard_iteratorINS9_11use_defaultEEESH_EEENSJ_IJSG_SI_EEENS0_18inequality_wrapperINS9_8equal_toIyEEEEPmJSH_EEE10hipError_tPvRmT3_T4_T5_T6_T7_T9_mT8_P12ihipStream_tbDpT10_ENKUlT_T0_E_clISt17integral_constantIbLb0EES1D_EEDaS18_S19_EUlS18_E_NS1_11comp_targetILNS1_3genE5ELNS1_11target_archE942ELNS1_3gpuE9ELNS1_3repE0EEENS1_30default_config_static_selectorELNS0_4arch9wavefront6targetE0EEEvT1_ ; -- Begin function _ZN7rocprim17ROCPRIM_400000_NS6detail17trampoline_kernelINS0_14default_configENS1_25partition_config_selectorILNS1_17partition_subalgoE9EyjbEEZZNS1_14partition_implILS5_9ELb0ES3_jN6thrust23THRUST_200600_302600_NS6detail15normal_iteratorINS9_10device_ptrIyEEEENSB_INSC_IjEEEEPNS0_10empty_typeENS0_5tupleIJNS9_16discard_iteratorINS9_11use_defaultEEESH_EEENSJ_IJSG_SI_EEENS0_18inequality_wrapperINS9_8equal_toIyEEEEPmJSH_EEE10hipError_tPvRmT3_T4_T5_T6_T7_T9_mT8_P12ihipStream_tbDpT10_ENKUlT_T0_E_clISt17integral_constantIbLb0EES1D_EEDaS18_S19_EUlS18_E_NS1_11comp_targetILNS1_3genE5ELNS1_11target_archE942ELNS1_3gpuE9ELNS1_3repE0EEENS1_30default_config_static_selectorELNS0_4arch9wavefront6targetE0EEEvT1_
	.globl	_ZN7rocprim17ROCPRIM_400000_NS6detail17trampoline_kernelINS0_14default_configENS1_25partition_config_selectorILNS1_17partition_subalgoE9EyjbEEZZNS1_14partition_implILS5_9ELb0ES3_jN6thrust23THRUST_200600_302600_NS6detail15normal_iteratorINS9_10device_ptrIyEEEENSB_INSC_IjEEEEPNS0_10empty_typeENS0_5tupleIJNS9_16discard_iteratorINS9_11use_defaultEEESH_EEENSJ_IJSG_SI_EEENS0_18inequality_wrapperINS9_8equal_toIyEEEEPmJSH_EEE10hipError_tPvRmT3_T4_T5_T6_T7_T9_mT8_P12ihipStream_tbDpT10_ENKUlT_T0_E_clISt17integral_constantIbLb0EES1D_EEDaS18_S19_EUlS18_E_NS1_11comp_targetILNS1_3genE5ELNS1_11target_archE942ELNS1_3gpuE9ELNS1_3repE0EEENS1_30default_config_static_selectorELNS0_4arch9wavefront6targetE0EEEvT1_
	.p2align	8
	.type	_ZN7rocprim17ROCPRIM_400000_NS6detail17trampoline_kernelINS0_14default_configENS1_25partition_config_selectorILNS1_17partition_subalgoE9EyjbEEZZNS1_14partition_implILS5_9ELb0ES3_jN6thrust23THRUST_200600_302600_NS6detail15normal_iteratorINS9_10device_ptrIyEEEENSB_INSC_IjEEEEPNS0_10empty_typeENS0_5tupleIJNS9_16discard_iteratorINS9_11use_defaultEEESH_EEENSJ_IJSG_SI_EEENS0_18inequality_wrapperINS9_8equal_toIyEEEEPmJSH_EEE10hipError_tPvRmT3_T4_T5_T6_T7_T9_mT8_P12ihipStream_tbDpT10_ENKUlT_T0_E_clISt17integral_constantIbLb0EES1D_EEDaS18_S19_EUlS18_E_NS1_11comp_targetILNS1_3genE5ELNS1_11target_archE942ELNS1_3gpuE9ELNS1_3repE0EEENS1_30default_config_static_selectorELNS0_4arch9wavefront6targetE0EEEvT1_,@function
_ZN7rocprim17ROCPRIM_400000_NS6detail17trampoline_kernelINS0_14default_configENS1_25partition_config_selectorILNS1_17partition_subalgoE9EyjbEEZZNS1_14partition_implILS5_9ELb0ES3_jN6thrust23THRUST_200600_302600_NS6detail15normal_iteratorINS9_10device_ptrIyEEEENSB_INSC_IjEEEEPNS0_10empty_typeENS0_5tupleIJNS9_16discard_iteratorINS9_11use_defaultEEESH_EEENSJ_IJSG_SI_EEENS0_18inequality_wrapperINS9_8equal_toIyEEEEPmJSH_EEE10hipError_tPvRmT3_T4_T5_T6_T7_T9_mT8_P12ihipStream_tbDpT10_ENKUlT_T0_E_clISt17integral_constantIbLb0EES1D_EEDaS18_S19_EUlS18_E_NS1_11comp_targetILNS1_3genE5ELNS1_11target_archE942ELNS1_3gpuE9ELNS1_3repE0EEENS1_30default_config_static_selectorELNS0_4arch9wavefront6targetE0EEEvT1_: ; @_ZN7rocprim17ROCPRIM_400000_NS6detail17trampoline_kernelINS0_14default_configENS1_25partition_config_selectorILNS1_17partition_subalgoE9EyjbEEZZNS1_14partition_implILS5_9ELb0ES3_jN6thrust23THRUST_200600_302600_NS6detail15normal_iteratorINS9_10device_ptrIyEEEENSB_INSC_IjEEEEPNS0_10empty_typeENS0_5tupleIJNS9_16discard_iteratorINS9_11use_defaultEEESH_EEENSJ_IJSG_SI_EEENS0_18inequality_wrapperINS9_8equal_toIyEEEEPmJSH_EEE10hipError_tPvRmT3_T4_T5_T6_T7_T9_mT8_P12ihipStream_tbDpT10_ENKUlT_T0_E_clISt17integral_constantIbLb0EES1D_EEDaS18_S19_EUlS18_E_NS1_11comp_targetILNS1_3genE5ELNS1_11target_archE942ELNS1_3gpuE9ELNS1_3repE0EEENS1_30default_config_static_selectorELNS0_4arch9wavefront6targetE0EEEvT1_
; %bb.0:
	.section	.rodata,"a",@progbits
	.p2align	6, 0x0
	.amdhsa_kernel _ZN7rocprim17ROCPRIM_400000_NS6detail17trampoline_kernelINS0_14default_configENS1_25partition_config_selectorILNS1_17partition_subalgoE9EyjbEEZZNS1_14partition_implILS5_9ELb0ES3_jN6thrust23THRUST_200600_302600_NS6detail15normal_iteratorINS9_10device_ptrIyEEEENSB_INSC_IjEEEEPNS0_10empty_typeENS0_5tupleIJNS9_16discard_iteratorINS9_11use_defaultEEESH_EEENSJ_IJSG_SI_EEENS0_18inequality_wrapperINS9_8equal_toIyEEEEPmJSH_EEE10hipError_tPvRmT3_T4_T5_T6_T7_T9_mT8_P12ihipStream_tbDpT10_ENKUlT_T0_E_clISt17integral_constantIbLb0EES1D_EEDaS18_S19_EUlS18_E_NS1_11comp_targetILNS1_3genE5ELNS1_11target_archE942ELNS1_3gpuE9ELNS1_3repE0EEENS1_30default_config_static_selectorELNS0_4arch9wavefront6targetE0EEEvT1_
		.amdhsa_group_segment_fixed_size 0
		.amdhsa_private_segment_fixed_size 0
		.amdhsa_kernarg_size 120
		.amdhsa_user_sgpr_count 15
		.amdhsa_user_sgpr_dispatch_ptr 0
		.amdhsa_user_sgpr_queue_ptr 0
		.amdhsa_user_sgpr_kernarg_segment_ptr 1
		.amdhsa_user_sgpr_dispatch_id 0
		.amdhsa_user_sgpr_private_segment_size 0
		.amdhsa_wavefront_size32 1
		.amdhsa_uses_dynamic_stack 0
		.amdhsa_enable_private_segment 0
		.amdhsa_system_sgpr_workgroup_id_x 1
		.amdhsa_system_sgpr_workgroup_id_y 0
		.amdhsa_system_sgpr_workgroup_id_z 0
		.amdhsa_system_sgpr_workgroup_info 0
		.amdhsa_system_vgpr_workitem_id 0
		.amdhsa_next_free_vgpr 1
		.amdhsa_next_free_sgpr 1
		.amdhsa_reserve_vcc 0
		.amdhsa_float_round_mode_32 0
		.amdhsa_float_round_mode_16_64 0
		.amdhsa_float_denorm_mode_32 3
		.amdhsa_float_denorm_mode_16_64 3
		.amdhsa_dx10_clamp 1
		.amdhsa_ieee_mode 1
		.amdhsa_fp16_overflow 0
		.amdhsa_workgroup_processor_mode 1
		.amdhsa_memory_ordered 1
		.amdhsa_forward_progress 0
		.amdhsa_shared_vgpr_count 0
		.amdhsa_exception_fp_ieee_invalid_op 0
		.amdhsa_exception_fp_denorm_src 0
		.amdhsa_exception_fp_ieee_div_zero 0
		.amdhsa_exception_fp_ieee_overflow 0
		.amdhsa_exception_fp_ieee_underflow 0
		.amdhsa_exception_fp_ieee_inexact 0
		.amdhsa_exception_int_div_zero 0
	.end_amdhsa_kernel
	.section	.text._ZN7rocprim17ROCPRIM_400000_NS6detail17trampoline_kernelINS0_14default_configENS1_25partition_config_selectorILNS1_17partition_subalgoE9EyjbEEZZNS1_14partition_implILS5_9ELb0ES3_jN6thrust23THRUST_200600_302600_NS6detail15normal_iteratorINS9_10device_ptrIyEEEENSB_INSC_IjEEEEPNS0_10empty_typeENS0_5tupleIJNS9_16discard_iteratorINS9_11use_defaultEEESH_EEENSJ_IJSG_SI_EEENS0_18inequality_wrapperINS9_8equal_toIyEEEEPmJSH_EEE10hipError_tPvRmT3_T4_T5_T6_T7_T9_mT8_P12ihipStream_tbDpT10_ENKUlT_T0_E_clISt17integral_constantIbLb0EES1D_EEDaS18_S19_EUlS18_E_NS1_11comp_targetILNS1_3genE5ELNS1_11target_archE942ELNS1_3gpuE9ELNS1_3repE0EEENS1_30default_config_static_selectorELNS0_4arch9wavefront6targetE0EEEvT1_,"axG",@progbits,_ZN7rocprim17ROCPRIM_400000_NS6detail17trampoline_kernelINS0_14default_configENS1_25partition_config_selectorILNS1_17partition_subalgoE9EyjbEEZZNS1_14partition_implILS5_9ELb0ES3_jN6thrust23THRUST_200600_302600_NS6detail15normal_iteratorINS9_10device_ptrIyEEEENSB_INSC_IjEEEEPNS0_10empty_typeENS0_5tupleIJNS9_16discard_iteratorINS9_11use_defaultEEESH_EEENSJ_IJSG_SI_EEENS0_18inequality_wrapperINS9_8equal_toIyEEEEPmJSH_EEE10hipError_tPvRmT3_T4_T5_T6_T7_T9_mT8_P12ihipStream_tbDpT10_ENKUlT_T0_E_clISt17integral_constantIbLb0EES1D_EEDaS18_S19_EUlS18_E_NS1_11comp_targetILNS1_3genE5ELNS1_11target_archE942ELNS1_3gpuE9ELNS1_3repE0EEENS1_30default_config_static_selectorELNS0_4arch9wavefront6targetE0EEEvT1_,comdat
.Lfunc_end758:
	.size	_ZN7rocprim17ROCPRIM_400000_NS6detail17trampoline_kernelINS0_14default_configENS1_25partition_config_selectorILNS1_17partition_subalgoE9EyjbEEZZNS1_14partition_implILS5_9ELb0ES3_jN6thrust23THRUST_200600_302600_NS6detail15normal_iteratorINS9_10device_ptrIyEEEENSB_INSC_IjEEEEPNS0_10empty_typeENS0_5tupleIJNS9_16discard_iteratorINS9_11use_defaultEEESH_EEENSJ_IJSG_SI_EEENS0_18inequality_wrapperINS9_8equal_toIyEEEEPmJSH_EEE10hipError_tPvRmT3_T4_T5_T6_T7_T9_mT8_P12ihipStream_tbDpT10_ENKUlT_T0_E_clISt17integral_constantIbLb0EES1D_EEDaS18_S19_EUlS18_E_NS1_11comp_targetILNS1_3genE5ELNS1_11target_archE942ELNS1_3gpuE9ELNS1_3repE0EEENS1_30default_config_static_selectorELNS0_4arch9wavefront6targetE0EEEvT1_, .Lfunc_end758-_ZN7rocprim17ROCPRIM_400000_NS6detail17trampoline_kernelINS0_14default_configENS1_25partition_config_selectorILNS1_17partition_subalgoE9EyjbEEZZNS1_14partition_implILS5_9ELb0ES3_jN6thrust23THRUST_200600_302600_NS6detail15normal_iteratorINS9_10device_ptrIyEEEENSB_INSC_IjEEEEPNS0_10empty_typeENS0_5tupleIJNS9_16discard_iteratorINS9_11use_defaultEEESH_EEENSJ_IJSG_SI_EEENS0_18inequality_wrapperINS9_8equal_toIyEEEEPmJSH_EEE10hipError_tPvRmT3_T4_T5_T6_T7_T9_mT8_P12ihipStream_tbDpT10_ENKUlT_T0_E_clISt17integral_constantIbLb0EES1D_EEDaS18_S19_EUlS18_E_NS1_11comp_targetILNS1_3genE5ELNS1_11target_archE942ELNS1_3gpuE9ELNS1_3repE0EEENS1_30default_config_static_selectorELNS0_4arch9wavefront6targetE0EEEvT1_
                                        ; -- End function
	.section	.AMDGPU.csdata,"",@progbits
; Kernel info:
; codeLenInByte = 0
; NumSgprs: 0
; NumVgprs: 0
; ScratchSize: 0
; MemoryBound: 0
; FloatMode: 240
; IeeeMode: 1
; LDSByteSize: 0 bytes/workgroup (compile time only)
; SGPRBlocks: 0
; VGPRBlocks: 0
; NumSGPRsForWavesPerEU: 1
; NumVGPRsForWavesPerEU: 1
; Occupancy: 16
; WaveLimiterHint : 0
; COMPUTE_PGM_RSRC2:SCRATCH_EN: 0
; COMPUTE_PGM_RSRC2:USER_SGPR: 15
; COMPUTE_PGM_RSRC2:TRAP_HANDLER: 0
; COMPUTE_PGM_RSRC2:TGID_X_EN: 1
; COMPUTE_PGM_RSRC2:TGID_Y_EN: 0
; COMPUTE_PGM_RSRC2:TGID_Z_EN: 0
; COMPUTE_PGM_RSRC2:TIDIG_COMP_CNT: 0
	.section	.text._ZN7rocprim17ROCPRIM_400000_NS6detail17trampoline_kernelINS0_14default_configENS1_25partition_config_selectorILNS1_17partition_subalgoE9EyjbEEZZNS1_14partition_implILS5_9ELb0ES3_jN6thrust23THRUST_200600_302600_NS6detail15normal_iteratorINS9_10device_ptrIyEEEENSB_INSC_IjEEEEPNS0_10empty_typeENS0_5tupleIJNS9_16discard_iteratorINS9_11use_defaultEEESH_EEENSJ_IJSG_SI_EEENS0_18inequality_wrapperINS9_8equal_toIyEEEEPmJSH_EEE10hipError_tPvRmT3_T4_T5_T6_T7_T9_mT8_P12ihipStream_tbDpT10_ENKUlT_T0_E_clISt17integral_constantIbLb0EES1D_EEDaS18_S19_EUlS18_E_NS1_11comp_targetILNS1_3genE4ELNS1_11target_archE910ELNS1_3gpuE8ELNS1_3repE0EEENS1_30default_config_static_selectorELNS0_4arch9wavefront6targetE0EEEvT1_,"axG",@progbits,_ZN7rocprim17ROCPRIM_400000_NS6detail17trampoline_kernelINS0_14default_configENS1_25partition_config_selectorILNS1_17partition_subalgoE9EyjbEEZZNS1_14partition_implILS5_9ELb0ES3_jN6thrust23THRUST_200600_302600_NS6detail15normal_iteratorINS9_10device_ptrIyEEEENSB_INSC_IjEEEEPNS0_10empty_typeENS0_5tupleIJNS9_16discard_iteratorINS9_11use_defaultEEESH_EEENSJ_IJSG_SI_EEENS0_18inequality_wrapperINS9_8equal_toIyEEEEPmJSH_EEE10hipError_tPvRmT3_T4_T5_T6_T7_T9_mT8_P12ihipStream_tbDpT10_ENKUlT_T0_E_clISt17integral_constantIbLb0EES1D_EEDaS18_S19_EUlS18_E_NS1_11comp_targetILNS1_3genE4ELNS1_11target_archE910ELNS1_3gpuE8ELNS1_3repE0EEENS1_30default_config_static_selectorELNS0_4arch9wavefront6targetE0EEEvT1_,comdat
	.protected	_ZN7rocprim17ROCPRIM_400000_NS6detail17trampoline_kernelINS0_14default_configENS1_25partition_config_selectorILNS1_17partition_subalgoE9EyjbEEZZNS1_14partition_implILS5_9ELb0ES3_jN6thrust23THRUST_200600_302600_NS6detail15normal_iteratorINS9_10device_ptrIyEEEENSB_INSC_IjEEEEPNS0_10empty_typeENS0_5tupleIJNS9_16discard_iteratorINS9_11use_defaultEEESH_EEENSJ_IJSG_SI_EEENS0_18inequality_wrapperINS9_8equal_toIyEEEEPmJSH_EEE10hipError_tPvRmT3_T4_T5_T6_T7_T9_mT8_P12ihipStream_tbDpT10_ENKUlT_T0_E_clISt17integral_constantIbLb0EES1D_EEDaS18_S19_EUlS18_E_NS1_11comp_targetILNS1_3genE4ELNS1_11target_archE910ELNS1_3gpuE8ELNS1_3repE0EEENS1_30default_config_static_selectorELNS0_4arch9wavefront6targetE0EEEvT1_ ; -- Begin function _ZN7rocprim17ROCPRIM_400000_NS6detail17trampoline_kernelINS0_14default_configENS1_25partition_config_selectorILNS1_17partition_subalgoE9EyjbEEZZNS1_14partition_implILS5_9ELb0ES3_jN6thrust23THRUST_200600_302600_NS6detail15normal_iteratorINS9_10device_ptrIyEEEENSB_INSC_IjEEEEPNS0_10empty_typeENS0_5tupleIJNS9_16discard_iteratorINS9_11use_defaultEEESH_EEENSJ_IJSG_SI_EEENS0_18inequality_wrapperINS9_8equal_toIyEEEEPmJSH_EEE10hipError_tPvRmT3_T4_T5_T6_T7_T9_mT8_P12ihipStream_tbDpT10_ENKUlT_T0_E_clISt17integral_constantIbLb0EES1D_EEDaS18_S19_EUlS18_E_NS1_11comp_targetILNS1_3genE4ELNS1_11target_archE910ELNS1_3gpuE8ELNS1_3repE0EEENS1_30default_config_static_selectorELNS0_4arch9wavefront6targetE0EEEvT1_
	.globl	_ZN7rocprim17ROCPRIM_400000_NS6detail17trampoline_kernelINS0_14default_configENS1_25partition_config_selectorILNS1_17partition_subalgoE9EyjbEEZZNS1_14partition_implILS5_9ELb0ES3_jN6thrust23THRUST_200600_302600_NS6detail15normal_iteratorINS9_10device_ptrIyEEEENSB_INSC_IjEEEEPNS0_10empty_typeENS0_5tupleIJNS9_16discard_iteratorINS9_11use_defaultEEESH_EEENSJ_IJSG_SI_EEENS0_18inequality_wrapperINS9_8equal_toIyEEEEPmJSH_EEE10hipError_tPvRmT3_T4_T5_T6_T7_T9_mT8_P12ihipStream_tbDpT10_ENKUlT_T0_E_clISt17integral_constantIbLb0EES1D_EEDaS18_S19_EUlS18_E_NS1_11comp_targetILNS1_3genE4ELNS1_11target_archE910ELNS1_3gpuE8ELNS1_3repE0EEENS1_30default_config_static_selectorELNS0_4arch9wavefront6targetE0EEEvT1_
	.p2align	8
	.type	_ZN7rocprim17ROCPRIM_400000_NS6detail17trampoline_kernelINS0_14default_configENS1_25partition_config_selectorILNS1_17partition_subalgoE9EyjbEEZZNS1_14partition_implILS5_9ELb0ES3_jN6thrust23THRUST_200600_302600_NS6detail15normal_iteratorINS9_10device_ptrIyEEEENSB_INSC_IjEEEEPNS0_10empty_typeENS0_5tupleIJNS9_16discard_iteratorINS9_11use_defaultEEESH_EEENSJ_IJSG_SI_EEENS0_18inequality_wrapperINS9_8equal_toIyEEEEPmJSH_EEE10hipError_tPvRmT3_T4_T5_T6_T7_T9_mT8_P12ihipStream_tbDpT10_ENKUlT_T0_E_clISt17integral_constantIbLb0EES1D_EEDaS18_S19_EUlS18_E_NS1_11comp_targetILNS1_3genE4ELNS1_11target_archE910ELNS1_3gpuE8ELNS1_3repE0EEENS1_30default_config_static_selectorELNS0_4arch9wavefront6targetE0EEEvT1_,@function
_ZN7rocprim17ROCPRIM_400000_NS6detail17trampoline_kernelINS0_14default_configENS1_25partition_config_selectorILNS1_17partition_subalgoE9EyjbEEZZNS1_14partition_implILS5_9ELb0ES3_jN6thrust23THRUST_200600_302600_NS6detail15normal_iteratorINS9_10device_ptrIyEEEENSB_INSC_IjEEEEPNS0_10empty_typeENS0_5tupleIJNS9_16discard_iteratorINS9_11use_defaultEEESH_EEENSJ_IJSG_SI_EEENS0_18inequality_wrapperINS9_8equal_toIyEEEEPmJSH_EEE10hipError_tPvRmT3_T4_T5_T6_T7_T9_mT8_P12ihipStream_tbDpT10_ENKUlT_T0_E_clISt17integral_constantIbLb0EES1D_EEDaS18_S19_EUlS18_E_NS1_11comp_targetILNS1_3genE4ELNS1_11target_archE910ELNS1_3gpuE8ELNS1_3repE0EEENS1_30default_config_static_selectorELNS0_4arch9wavefront6targetE0EEEvT1_: ; @_ZN7rocprim17ROCPRIM_400000_NS6detail17trampoline_kernelINS0_14default_configENS1_25partition_config_selectorILNS1_17partition_subalgoE9EyjbEEZZNS1_14partition_implILS5_9ELb0ES3_jN6thrust23THRUST_200600_302600_NS6detail15normal_iteratorINS9_10device_ptrIyEEEENSB_INSC_IjEEEEPNS0_10empty_typeENS0_5tupleIJNS9_16discard_iteratorINS9_11use_defaultEEESH_EEENSJ_IJSG_SI_EEENS0_18inequality_wrapperINS9_8equal_toIyEEEEPmJSH_EEE10hipError_tPvRmT3_T4_T5_T6_T7_T9_mT8_P12ihipStream_tbDpT10_ENKUlT_T0_E_clISt17integral_constantIbLb0EES1D_EEDaS18_S19_EUlS18_E_NS1_11comp_targetILNS1_3genE4ELNS1_11target_archE910ELNS1_3gpuE8ELNS1_3repE0EEENS1_30default_config_static_selectorELNS0_4arch9wavefront6targetE0EEEvT1_
; %bb.0:
	.section	.rodata,"a",@progbits
	.p2align	6, 0x0
	.amdhsa_kernel _ZN7rocprim17ROCPRIM_400000_NS6detail17trampoline_kernelINS0_14default_configENS1_25partition_config_selectorILNS1_17partition_subalgoE9EyjbEEZZNS1_14partition_implILS5_9ELb0ES3_jN6thrust23THRUST_200600_302600_NS6detail15normal_iteratorINS9_10device_ptrIyEEEENSB_INSC_IjEEEEPNS0_10empty_typeENS0_5tupleIJNS9_16discard_iteratorINS9_11use_defaultEEESH_EEENSJ_IJSG_SI_EEENS0_18inequality_wrapperINS9_8equal_toIyEEEEPmJSH_EEE10hipError_tPvRmT3_T4_T5_T6_T7_T9_mT8_P12ihipStream_tbDpT10_ENKUlT_T0_E_clISt17integral_constantIbLb0EES1D_EEDaS18_S19_EUlS18_E_NS1_11comp_targetILNS1_3genE4ELNS1_11target_archE910ELNS1_3gpuE8ELNS1_3repE0EEENS1_30default_config_static_selectorELNS0_4arch9wavefront6targetE0EEEvT1_
		.amdhsa_group_segment_fixed_size 0
		.amdhsa_private_segment_fixed_size 0
		.amdhsa_kernarg_size 120
		.amdhsa_user_sgpr_count 15
		.amdhsa_user_sgpr_dispatch_ptr 0
		.amdhsa_user_sgpr_queue_ptr 0
		.amdhsa_user_sgpr_kernarg_segment_ptr 1
		.amdhsa_user_sgpr_dispatch_id 0
		.amdhsa_user_sgpr_private_segment_size 0
		.amdhsa_wavefront_size32 1
		.amdhsa_uses_dynamic_stack 0
		.amdhsa_enable_private_segment 0
		.amdhsa_system_sgpr_workgroup_id_x 1
		.amdhsa_system_sgpr_workgroup_id_y 0
		.amdhsa_system_sgpr_workgroup_id_z 0
		.amdhsa_system_sgpr_workgroup_info 0
		.amdhsa_system_vgpr_workitem_id 0
		.amdhsa_next_free_vgpr 1
		.amdhsa_next_free_sgpr 1
		.amdhsa_reserve_vcc 0
		.amdhsa_float_round_mode_32 0
		.amdhsa_float_round_mode_16_64 0
		.amdhsa_float_denorm_mode_32 3
		.amdhsa_float_denorm_mode_16_64 3
		.amdhsa_dx10_clamp 1
		.amdhsa_ieee_mode 1
		.amdhsa_fp16_overflow 0
		.amdhsa_workgroup_processor_mode 1
		.amdhsa_memory_ordered 1
		.amdhsa_forward_progress 0
		.amdhsa_shared_vgpr_count 0
		.amdhsa_exception_fp_ieee_invalid_op 0
		.amdhsa_exception_fp_denorm_src 0
		.amdhsa_exception_fp_ieee_div_zero 0
		.amdhsa_exception_fp_ieee_overflow 0
		.amdhsa_exception_fp_ieee_underflow 0
		.amdhsa_exception_fp_ieee_inexact 0
		.amdhsa_exception_int_div_zero 0
	.end_amdhsa_kernel
	.section	.text._ZN7rocprim17ROCPRIM_400000_NS6detail17trampoline_kernelINS0_14default_configENS1_25partition_config_selectorILNS1_17partition_subalgoE9EyjbEEZZNS1_14partition_implILS5_9ELb0ES3_jN6thrust23THRUST_200600_302600_NS6detail15normal_iteratorINS9_10device_ptrIyEEEENSB_INSC_IjEEEEPNS0_10empty_typeENS0_5tupleIJNS9_16discard_iteratorINS9_11use_defaultEEESH_EEENSJ_IJSG_SI_EEENS0_18inequality_wrapperINS9_8equal_toIyEEEEPmJSH_EEE10hipError_tPvRmT3_T4_T5_T6_T7_T9_mT8_P12ihipStream_tbDpT10_ENKUlT_T0_E_clISt17integral_constantIbLb0EES1D_EEDaS18_S19_EUlS18_E_NS1_11comp_targetILNS1_3genE4ELNS1_11target_archE910ELNS1_3gpuE8ELNS1_3repE0EEENS1_30default_config_static_selectorELNS0_4arch9wavefront6targetE0EEEvT1_,"axG",@progbits,_ZN7rocprim17ROCPRIM_400000_NS6detail17trampoline_kernelINS0_14default_configENS1_25partition_config_selectorILNS1_17partition_subalgoE9EyjbEEZZNS1_14partition_implILS5_9ELb0ES3_jN6thrust23THRUST_200600_302600_NS6detail15normal_iteratorINS9_10device_ptrIyEEEENSB_INSC_IjEEEEPNS0_10empty_typeENS0_5tupleIJNS9_16discard_iteratorINS9_11use_defaultEEESH_EEENSJ_IJSG_SI_EEENS0_18inequality_wrapperINS9_8equal_toIyEEEEPmJSH_EEE10hipError_tPvRmT3_T4_T5_T6_T7_T9_mT8_P12ihipStream_tbDpT10_ENKUlT_T0_E_clISt17integral_constantIbLb0EES1D_EEDaS18_S19_EUlS18_E_NS1_11comp_targetILNS1_3genE4ELNS1_11target_archE910ELNS1_3gpuE8ELNS1_3repE0EEENS1_30default_config_static_selectorELNS0_4arch9wavefront6targetE0EEEvT1_,comdat
.Lfunc_end759:
	.size	_ZN7rocprim17ROCPRIM_400000_NS6detail17trampoline_kernelINS0_14default_configENS1_25partition_config_selectorILNS1_17partition_subalgoE9EyjbEEZZNS1_14partition_implILS5_9ELb0ES3_jN6thrust23THRUST_200600_302600_NS6detail15normal_iteratorINS9_10device_ptrIyEEEENSB_INSC_IjEEEEPNS0_10empty_typeENS0_5tupleIJNS9_16discard_iteratorINS9_11use_defaultEEESH_EEENSJ_IJSG_SI_EEENS0_18inequality_wrapperINS9_8equal_toIyEEEEPmJSH_EEE10hipError_tPvRmT3_T4_T5_T6_T7_T9_mT8_P12ihipStream_tbDpT10_ENKUlT_T0_E_clISt17integral_constantIbLb0EES1D_EEDaS18_S19_EUlS18_E_NS1_11comp_targetILNS1_3genE4ELNS1_11target_archE910ELNS1_3gpuE8ELNS1_3repE0EEENS1_30default_config_static_selectorELNS0_4arch9wavefront6targetE0EEEvT1_, .Lfunc_end759-_ZN7rocprim17ROCPRIM_400000_NS6detail17trampoline_kernelINS0_14default_configENS1_25partition_config_selectorILNS1_17partition_subalgoE9EyjbEEZZNS1_14partition_implILS5_9ELb0ES3_jN6thrust23THRUST_200600_302600_NS6detail15normal_iteratorINS9_10device_ptrIyEEEENSB_INSC_IjEEEEPNS0_10empty_typeENS0_5tupleIJNS9_16discard_iteratorINS9_11use_defaultEEESH_EEENSJ_IJSG_SI_EEENS0_18inequality_wrapperINS9_8equal_toIyEEEEPmJSH_EEE10hipError_tPvRmT3_T4_T5_T6_T7_T9_mT8_P12ihipStream_tbDpT10_ENKUlT_T0_E_clISt17integral_constantIbLb0EES1D_EEDaS18_S19_EUlS18_E_NS1_11comp_targetILNS1_3genE4ELNS1_11target_archE910ELNS1_3gpuE8ELNS1_3repE0EEENS1_30default_config_static_selectorELNS0_4arch9wavefront6targetE0EEEvT1_
                                        ; -- End function
	.section	.AMDGPU.csdata,"",@progbits
; Kernel info:
; codeLenInByte = 0
; NumSgprs: 0
; NumVgprs: 0
; ScratchSize: 0
; MemoryBound: 0
; FloatMode: 240
; IeeeMode: 1
; LDSByteSize: 0 bytes/workgroup (compile time only)
; SGPRBlocks: 0
; VGPRBlocks: 0
; NumSGPRsForWavesPerEU: 1
; NumVGPRsForWavesPerEU: 1
; Occupancy: 15
; WaveLimiterHint : 0
; COMPUTE_PGM_RSRC2:SCRATCH_EN: 0
; COMPUTE_PGM_RSRC2:USER_SGPR: 15
; COMPUTE_PGM_RSRC2:TRAP_HANDLER: 0
; COMPUTE_PGM_RSRC2:TGID_X_EN: 1
; COMPUTE_PGM_RSRC2:TGID_Y_EN: 0
; COMPUTE_PGM_RSRC2:TGID_Z_EN: 0
; COMPUTE_PGM_RSRC2:TIDIG_COMP_CNT: 0
	.section	.text._ZN7rocprim17ROCPRIM_400000_NS6detail17trampoline_kernelINS0_14default_configENS1_25partition_config_selectorILNS1_17partition_subalgoE9EyjbEEZZNS1_14partition_implILS5_9ELb0ES3_jN6thrust23THRUST_200600_302600_NS6detail15normal_iteratorINS9_10device_ptrIyEEEENSB_INSC_IjEEEEPNS0_10empty_typeENS0_5tupleIJNS9_16discard_iteratorINS9_11use_defaultEEESH_EEENSJ_IJSG_SI_EEENS0_18inequality_wrapperINS9_8equal_toIyEEEEPmJSH_EEE10hipError_tPvRmT3_T4_T5_T6_T7_T9_mT8_P12ihipStream_tbDpT10_ENKUlT_T0_E_clISt17integral_constantIbLb0EES1D_EEDaS18_S19_EUlS18_E_NS1_11comp_targetILNS1_3genE3ELNS1_11target_archE908ELNS1_3gpuE7ELNS1_3repE0EEENS1_30default_config_static_selectorELNS0_4arch9wavefront6targetE0EEEvT1_,"axG",@progbits,_ZN7rocprim17ROCPRIM_400000_NS6detail17trampoline_kernelINS0_14default_configENS1_25partition_config_selectorILNS1_17partition_subalgoE9EyjbEEZZNS1_14partition_implILS5_9ELb0ES3_jN6thrust23THRUST_200600_302600_NS6detail15normal_iteratorINS9_10device_ptrIyEEEENSB_INSC_IjEEEEPNS0_10empty_typeENS0_5tupleIJNS9_16discard_iteratorINS9_11use_defaultEEESH_EEENSJ_IJSG_SI_EEENS0_18inequality_wrapperINS9_8equal_toIyEEEEPmJSH_EEE10hipError_tPvRmT3_T4_T5_T6_T7_T9_mT8_P12ihipStream_tbDpT10_ENKUlT_T0_E_clISt17integral_constantIbLb0EES1D_EEDaS18_S19_EUlS18_E_NS1_11comp_targetILNS1_3genE3ELNS1_11target_archE908ELNS1_3gpuE7ELNS1_3repE0EEENS1_30default_config_static_selectorELNS0_4arch9wavefront6targetE0EEEvT1_,comdat
	.protected	_ZN7rocprim17ROCPRIM_400000_NS6detail17trampoline_kernelINS0_14default_configENS1_25partition_config_selectorILNS1_17partition_subalgoE9EyjbEEZZNS1_14partition_implILS5_9ELb0ES3_jN6thrust23THRUST_200600_302600_NS6detail15normal_iteratorINS9_10device_ptrIyEEEENSB_INSC_IjEEEEPNS0_10empty_typeENS0_5tupleIJNS9_16discard_iteratorINS9_11use_defaultEEESH_EEENSJ_IJSG_SI_EEENS0_18inequality_wrapperINS9_8equal_toIyEEEEPmJSH_EEE10hipError_tPvRmT3_T4_T5_T6_T7_T9_mT8_P12ihipStream_tbDpT10_ENKUlT_T0_E_clISt17integral_constantIbLb0EES1D_EEDaS18_S19_EUlS18_E_NS1_11comp_targetILNS1_3genE3ELNS1_11target_archE908ELNS1_3gpuE7ELNS1_3repE0EEENS1_30default_config_static_selectorELNS0_4arch9wavefront6targetE0EEEvT1_ ; -- Begin function _ZN7rocprim17ROCPRIM_400000_NS6detail17trampoline_kernelINS0_14default_configENS1_25partition_config_selectorILNS1_17partition_subalgoE9EyjbEEZZNS1_14partition_implILS5_9ELb0ES3_jN6thrust23THRUST_200600_302600_NS6detail15normal_iteratorINS9_10device_ptrIyEEEENSB_INSC_IjEEEEPNS0_10empty_typeENS0_5tupleIJNS9_16discard_iteratorINS9_11use_defaultEEESH_EEENSJ_IJSG_SI_EEENS0_18inequality_wrapperINS9_8equal_toIyEEEEPmJSH_EEE10hipError_tPvRmT3_T4_T5_T6_T7_T9_mT8_P12ihipStream_tbDpT10_ENKUlT_T0_E_clISt17integral_constantIbLb0EES1D_EEDaS18_S19_EUlS18_E_NS1_11comp_targetILNS1_3genE3ELNS1_11target_archE908ELNS1_3gpuE7ELNS1_3repE0EEENS1_30default_config_static_selectorELNS0_4arch9wavefront6targetE0EEEvT1_
	.globl	_ZN7rocprim17ROCPRIM_400000_NS6detail17trampoline_kernelINS0_14default_configENS1_25partition_config_selectorILNS1_17partition_subalgoE9EyjbEEZZNS1_14partition_implILS5_9ELb0ES3_jN6thrust23THRUST_200600_302600_NS6detail15normal_iteratorINS9_10device_ptrIyEEEENSB_INSC_IjEEEEPNS0_10empty_typeENS0_5tupleIJNS9_16discard_iteratorINS9_11use_defaultEEESH_EEENSJ_IJSG_SI_EEENS0_18inequality_wrapperINS9_8equal_toIyEEEEPmJSH_EEE10hipError_tPvRmT3_T4_T5_T6_T7_T9_mT8_P12ihipStream_tbDpT10_ENKUlT_T0_E_clISt17integral_constantIbLb0EES1D_EEDaS18_S19_EUlS18_E_NS1_11comp_targetILNS1_3genE3ELNS1_11target_archE908ELNS1_3gpuE7ELNS1_3repE0EEENS1_30default_config_static_selectorELNS0_4arch9wavefront6targetE0EEEvT1_
	.p2align	8
	.type	_ZN7rocprim17ROCPRIM_400000_NS6detail17trampoline_kernelINS0_14default_configENS1_25partition_config_selectorILNS1_17partition_subalgoE9EyjbEEZZNS1_14partition_implILS5_9ELb0ES3_jN6thrust23THRUST_200600_302600_NS6detail15normal_iteratorINS9_10device_ptrIyEEEENSB_INSC_IjEEEEPNS0_10empty_typeENS0_5tupleIJNS9_16discard_iteratorINS9_11use_defaultEEESH_EEENSJ_IJSG_SI_EEENS0_18inequality_wrapperINS9_8equal_toIyEEEEPmJSH_EEE10hipError_tPvRmT3_T4_T5_T6_T7_T9_mT8_P12ihipStream_tbDpT10_ENKUlT_T0_E_clISt17integral_constantIbLb0EES1D_EEDaS18_S19_EUlS18_E_NS1_11comp_targetILNS1_3genE3ELNS1_11target_archE908ELNS1_3gpuE7ELNS1_3repE0EEENS1_30default_config_static_selectorELNS0_4arch9wavefront6targetE0EEEvT1_,@function
_ZN7rocprim17ROCPRIM_400000_NS6detail17trampoline_kernelINS0_14default_configENS1_25partition_config_selectorILNS1_17partition_subalgoE9EyjbEEZZNS1_14partition_implILS5_9ELb0ES3_jN6thrust23THRUST_200600_302600_NS6detail15normal_iteratorINS9_10device_ptrIyEEEENSB_INSC_IjEEEEPNS0_10empty_typeENS0_5tupleIJNS9_16discard_iteratorINS9_11use_defaultEEESH_EEENSJ_IJSG_SI_EEENS0_18inequality_wrapperINS9_8equal_toIyEEEEPmJSH_EEE10hipError_tPvRmT3_T4_T5_T6_T7_T9_mT8_P12ihipStream_tbDpT10_ENKUlT_T0_E_clISt17integral_constantIbLb0EES1D_EEDaS18_S19_EUlS18_E_NS1_11comp_targetILNS1_3genE3ELNS1_11target_archE908ELNS1_3gpuE7ELNS1_3repE0EEENS1_30default_config_static_selectorELNS0_4arch9wavefront6targetE0EEEvT1_: ; @_ZN7rocprim17ROCPRIM_400000_NS6detail17trampoline_kernelINS0_14default_configENS1_25partition_config_selectorILNS1_17partition_subalgoE9EyjbEEZZNS1_14partition_implILS5_9ELb0ES3_jN6thrust23THRUST_200600_302600_NS6detail15normal_iteratorINS9_10device_ptrIyEEEENSB_INSC_IjEEEEPNS0_10empty_typeENS0_5tupleIJNS9_16discard_iteratorINS9_11use_defaultEEESH_EEENSJ_IJSG_SI_EEENS0_18inequality_wrapperINS9_8equal_toIyEEEEPmJSH_EEE10hipError_tPvRmT3_T4_T5_T6_T7_T9_mT8_P12ihipStream_tbDpT10_ENKUlT_T0_E_clISt17integral_constantIbLb0EES1D_EEDaS18_S19_EUlS18_E_NS1_11comp_targetILNS1_3genE3ELNS1_11target_archE908ELNS1_3gpuE7ELNS1_3repE0EEENS1_30default_config_static_selectorELNS0_4arch9wavefront6targetE0EEEvT1_
; %bb.0:
	.section	.rodata,"a",@progbits
	.p2align	6, 0x0
	.amdhsa_kernel _ZN7rocprim17ROCPRIM_400000_NS6detail17trampoline_kernelINS0_14default_configENS1_25partition_config_selectorILNS1_17partition_subalgoE9EyjbEEZZNS1_14partition_implILS5_9ELb0ES3_jN6thrust23THRUST_200600_302600_NS6detail15normal_iteratorINS9_10device_ptrIyEEEENSB_INSC_IjEEEEPNS0_10empty_typeENS0_5tupleIJNS9_16discard_iteratorINS9_11use_defaultEEESH_EEENSJ_IJSG_SI_EEENS0_18inequality_wrapperINS9_8equal_toIyEEEEPmJSH_EEE10hipError_tPvRmT3_T4_T5_T6_T7_T9_mT8_P12ihipStream_tbDpT10_ENKUlT_T0_E_clISt17integral_constantIbLb0EES1D_EEDaS18_S19_EUlS18_E_NS1_11comp_targetILNS1_3genE3ELNS1_11target_archE908ELNS1_3gpuE7ELNS1_3repE0EEENS1_30default_config_static_selectorELNS0_4arch9wavefront6targetE0EEEvT1_
		.amdhsa_group_segment_fixed_size 0
		.amdhsa_private_segment_fixed_size 0
		.amdhsa_kernarg_size 120
		.amdhsa_user_sgpr_count 15
		.amdhsa_user_sgpr_dispatch_ptr 0
		.amdhsa_user_sgpr_queue_ptr 0
		.amdhsa_user_sgpr_kernarg_segment_ptr 1
		.amdhsa_user_sgpr_dispatch_id 0
		.amdhsa_user_sgpr_private_segment_size 0
		.amdhsa_wavefront_size32 1
		.amdhsa_uses_dynamic_stack 0
		.amdhsa_enable_private_segment 0
		.amdhsa_system_sgpr_workgroup_id_x 1
		.amdhsa_system_sgpr_workgroup_id_y 0
		.amdhsa_system_sgpr_workgroup_id_z 0
		.amdhsa_system_sgpr_workgroup_info 0
		.amdhsa_system_vgpr_workitem_id 0
		.amdhsa_next_free_vgpr 1
		.amdhsa_next_free_sgpr 1
		.amdhsa_reserve_vcc 0
		.amdhsa_float_round_mode_32 0
		.amdhsa_float_round_mode_16_64 0
		.amdhsa_float_denorm_mode_32 3
		.amdhsa_float_denorm_mode_16_64 3
		.amdhsa_dx10_clamp 1
		.amdhsa_ieee_mode 1
		.amdhsa_fp16_overflow 0
		.amdhsa_workgroup_processor_mode 1
		.amdhsa_memory_ordered 1
		.amdhsa_forward_progress 0
		.amdhsa_shared_vgpr_count 0
		.amdhsa_exception_fp_ieee_invalid_op 0
		.amdhsa_exception_fp_denorm_src 0
		.amdhsa_exception_fp_ieee_div_zero 0
		.amdhsa_exception_fp_ieee_overflow 0
		.amdhsa_exception_fp_ieee_underflow 0
		.amdhsa_exception_fp_ieee_inexact 0
		.amdhsa_exception_int_div_zero 0
	.end_amdhsa_kernel
	.section	.text._ZN7rocprim17ROCPRIM_400000_NS6detail17trampoline_kernelINS0_14default_configENS1_25partition_config_selectorILNS1_17partition_subalgoE9EyjbEEZZNS1_14partition_implILS5_9ELb0ES3_jN6thrust23THRUST_200600_302600_NS6detail15normal_iteratorINS9_10device_ptrIyEEEENSB_INSC_IjEEEEPNS0_10empty_typeENS0_5tupleIJNS9_16discard_iteratorINS9_11use_defaultEEESH_EEENSJ_IJSG_SI_EEENS0_18inequality_wrapperINS9_8equal_toIyEEEEPmJSH_EEE10hipError_tPvRmT3_T4_T5_T6_T7_T9_mT8_P12ihipStream_tbDpT10_ENKUlT_T0_E_clISt17integral_constantIbLb0EES1D_EEDaS18_S19_EUlS18_E_NS1_11comp_targetILNS1_3genE3ELNS1_11target_archE908ELNS1_3gpuE7ELNS1_3repE0EEENS1_30default_config_static_selectorELNS0_4arch9wavefront6targetE0EEEvT1_,"axG",@progbits,_ZN7rocprim17ROCPRIM_400000_NS6detail17trampoline_kernelINS0_14default_configENS1_25partition_config_selectorILNS1_17partition_subalgoE9EyjbEEZZNS1_14partition_implILS5_9ELb0ES3_jN6thrust23THRUST_200600_302600_NS6detail15normal_iteratorINS9_10device_ptrIyEEEENSB_INSC_IjEEEEPNS0_10empty_typeENS0_5tupleIJNS9_16discard_iteratorINS9_11use_defaultEEESH_EEENSJ_IJSG_SI_EEENS0_18inequality_wrapperINS9_8equal_toIyEEEEPmJSH_EEE10hipError_tPvRmT3_T4_T5_T6_T7_T9_mT8_P12ihipStream_tbDpT10_ENKUlT_T0_E_clISt17integral_constantIbLb0EES1D_EEDaS18_S19_EUlS18_E_NS1_11comp_targetILNS1_3genE3ELNS1_11target_archE908ELNS1_3gpuE7ELNS1_3repE0EEENS1_30default_config_static_selectorELNS0_4arch9wavefront6targetE0EEEvT1_,comdat
.Lfunc_end760:
	.size	_ZN7rocprim17ROCPRIM_400000_NS6detail17trampoline_kernelINS0_14default_configENS1_25partition_config_selectorILNS1_17partition_subalgoE9EyjbEEZZNS1_14partition_implILS5_9ELb0ES3_jN6thrust23THRUST_200600_302600_NS6detail15normal_iteratorINS9_10device_ptrIyEEEENSB_INSC_IjEEEEPNS0_10empty_typeENS0_5tupleIJNS9_16discard_iteratorINS9_11use_defaultEEESH_EEENSJ_IJSG_SI_EEENS0_18inequality_wrapperINS9_8equal_toIyEEEEPmJSH_EEE10hipError_tPvRmT3_T4_T5_T6_T7_T9_mT8_P12ihipStream_tbDpT10_ENKUlT_T0_E_clISt17integral_constantIbLb0EES1D_EEDaS18_S19_EUlS18_E_NS1_11comp_targetILNS1_3genE3ELNS1_11target_archE908ELNS1_3gpuE7ELNS1_3repE0EEENS1_30default_config_static_selectorELNS0_4arch9wavefront6targetE0EEEvT1_, .Lfunc_end760-_ZN7rocprim17ROCPRIM_400000_NS6detail17trampoline_kernelINS0_14default_configENS1_25partition_config_selectorILNS1_17partition_subalgoE9EyjbEEZZNS1_14partition_implILS5_9ELb0ES3_jN6thrust23THRUST_200600_302600_NS6detail15normal_iteratorINS9_10device_ptrIyEEEENSB_INSC_IjEEEEPNS0_10empty_typeENS0_5tupleIJNS9_16discard_iteratorINS9_11use_defaultEEESH_EEENSJ_IJSG_SI_EEENS0_18inequality_wrapperINS9_8equal_toIyEEEEPmJSH_EEE10hipError_tPvRmT3_T4_T5_T6_T7_T9_mT8_P12ihipStream_tbDpT10_ENKUlT_T0_E_clISt17integral_constantIbLb0EES1D_EEDaS18_S19_EUlS18_E_NS1_11comp_targetILNS1_3genE3ELNS1_11target_archE908ELNS1_3gpuE7ELNS1_3repE0EEENS1_30default_config_static_selectorELNS0_4arch9wavefront6targetE0EEEvT1_
                                        ; -- End function
	.section	.AMDGPU.csdata,"",@progbits
; Kernel info:
; codeLenInByte = 0
; NumSgprs: 0
; NumVgprs: 0
; ScratchSize: 0
; MemoryBound: 0
; FloatMode: 240
; IeeeMode: 1
; LDSByteSize: 0 bytes/workgroup (compile time only)
; SGPRBlocks: 0
; VGPRBlocks: 0
; NumSGPRsForWavesPerEU: 1
; NumVGPRsForWavesPerEU: 1
; Occupancy: 16
; WaveLimiterHint : 0
; COMPUTE_PGM_RSRC2:SCRATCH_EN: 0
; COMPUTE_PGM_RSRC2:USER_SGPR: 15
; COMPUTE_PGM_RSRC2:TRAP_HANDLER: 0
; COMPUTE_PGM_RSRC2:TGID_X_EN: 1
; COMPUTE_PGM_RSRC2:TGID_Y_EN: 0
; COMPUTE_PGM_RSRC2:TGID_Z_EN: 0
; COMPUTE_PGM_RSRC2:TIDIG_COMP_CNT: 0
	.section	.text._ZN7rocprim17ROCPRIM_400000_NS6detail17trampoline_kernelINS0_14default_configENS1_25partition_config_selectorILNS1_17partition_subalgoE9EyjbEEZZNS1_14partition_implILS5_9ELb0ES3_jN6thrust23THRUST_200600_302600_NS6detail15normal_iteratorINS9_10device_ptrIyEEEENSB_INSC_IjEEEEPNS0_10empty_typeENS0_5tupleIJNS9_16discard_iteratorINS9_11use_defaultEEESH_EEENSJ_IJSG_SI_EEENS0_18inequality_wrapperINS9_8equal_toIyEEEEPmJSH_EEE10hipError_tPvRmT3_T4_T5_T6_T7_T9_mT8_P12ihipStream_tbDpT10_ENKUlT_T0_E_clISt17integral_constantIbLb0EES1D_EEDaS18_S19_EUlS18_E_NS1_11comp_targetILNS1_3genE2ELNS1_11target_archE906ELNS1_3gpuE6ELNS1_3repE0EEENS1_30default_config_static_selectorELNS0_4arch9wavefront6targetE0EEEvT1_,"axG",@progbits,_ZN7rocprim17ROCPRIM_400000_NS6detail17trampoline_kernelINS0_14default_configENS1_25partition_config_selectorILNS1_17partition_subalgoE9EyjbEEZZNS1_14partition_implILS5_9ELb0ES3_jN6thrust23THRUST_200600_302600_NS6detail15normal_iteratorINS9_10device_ptrIyEEEENSB_INSC_IjEEEEPNS0_10empty_typeENS0_5tupleIJNS9_16discard_iteratorINS9_11use_defaultEEESH_EEENSJ_IJSG_SI_EEENS0_18inequality_wrapperINS9_8equal_toIyEEEEPmJSH_EEE10hipError_tPvRmT3_T4_T5_T6_T7_T9_mT8_P12ihipStream_tbDpT10_ENKUlT_T0_E_clISt17integral_constantIbLb0EES1D_EEDaS18_S19_EUlS18_E_NS1_11comp_targetILNS1_3genE2ELNS1_11target_archE906ELNS1_3gpuE6ELNS1_3repE0EEENS1_30default_config_static_selectorELNS0_4arch9wavefront6targetE0EEEvT1_,comdat
	.protected	_ZN7rocprim17ROCPRIM_400000_NS6detail17trampoline_kernelINS0_14default_configENS1_25partition_config_selectorILNS1_17partition_subalgoE9EyjbEEZZNS1_14partition_implILS5_9ELb0ES3_jN6thrust23THRUST_200600_302600_NS6detail15normal_iteratorINS9_10device_ptrIyEEEENSB_INSC_IjEEEEPNS0_10empty_typeENS0_5tupleIJNS9_16discard_iteratorINS9_11use_defaultEEESH_EEENSJ_IJSG_SI_EEENS0_18inequality_wrapperINS9_8equal_toIyEEEEPmJSH_EEE10hipError_tPvRmT3_T4_T5_T6_T7_T9_mT8_P12ihipStream_tbDpT10_ENKUlT_T0_E_clISt17integral_constantIbLb0EES1D_EEDaS18_S19_EUlS18_E_NS1_11comp_targetILNS1_3genE2ELNS1_11target_archE906ELNS1_3gpuE6ELNS1_3repE0EEENS1_30default_config_static_selectorELNS0_4arch9wavefront6targetE0EEEvT1_ ; -- Begin function _ZN7rocprim17ROCPRIM_400000_NS6detail17trampoline_kernelINS0_14default_configENS1_25partition_config_selectorILNS1_17partition_subalgoE9EyjbEEZZNS1_14partition_implILS5_9ELb0ES3_jN6thrust23THRUST_200600_302600_NS6detail15normal_iteratorINS9_10device_ptrIyEEEENSB_INSC_IjEEEEPNS0_10empty_typeENS0_5tupleIJNS9_16discard_iteratorINS9_11use_defaultEEESH_EEENSJ_IJSG_SI_EEENS0_18inequality_wrapperINS9_8equal_toIyEEEEPmJSH_EEE10hipError_tPvRmT3_T4_T5_T6_T7_T9_mT8_P12ihipStream_tbDpT10_ENKUlT_T0_E_clISt17integral_constantIbLb0EES1D_EEDaS18_S19_EUlS18_E_NS1_11comp_targetILNS1_3genE2ELNS1_11target_archE906ELNS1_3gpuE6ELNS1_3repE0EEENS1_30default_config_static_selectorELNS0_4arch9wavefront6targetE0EEEvT1_
	.globl	_ZN7rocprim17ROCPRIM_400000_NS6detail17trampoline_kernelINS0_14default_configENS1_25partition_config_selectorILNS1_17partition_subalgoE9EyjbEEZZNS1_14partition_implILS5_9ELb0ES3_jN6thrust23THRUST_200600_302600_NS6detail15normal_iteratorINS9_10device_ptrIyEEEENSB_INSC_IjEEEEPNS0_10empty_typeENS0_5tupleIJNS9_16discard_iteratorINS9_11use_defaultEEESH_EEENSJ_IJSG_SI_EEENS0_18inequality_wrapperINS9_8equal_toIyEEEEPmJSH_EEE10hipError_tPvRmT3_T4_T5_T6_T7_T9_mT8_P12ihipStream_tbDpT10_ENKUlT_T0_E_clISt17integral_constantIbLb0EES1D_EEDaS18_S19_EUlS18_E_NS1_11comp_targetILNS1_3genE2ELNS1_11target_archE906ELNS1_3gpuE6ELNS1_3repE0EEENS1_30default_config_static_selectorELNS0_4arch9wavefront6targetE0EEEvT1_
	.p2align	8
	.type	_ZN7rocprim17ROCPRIM_400000_NS6detail17trampoline_kernelINS0_14default_configENS1_25partition_config_selectorILNS1_17partition_subalgoE9EyjbEEZZNS1_14partition_implILS5_9ELb0ES3_jN6thrust23THRUST_200600_302600_NS6detail15normal_iteratorINS9_10device_ptrIyEEEENSB_INSC_IjEEEEPNS0_10empty_typeENS0_5tupleIJNS9_16discard_iteratorINS9_11use_defaultEEESH_EEENSJ_IJSG_SI_EEENS0_18inequality_wrapperINS9_8equal_toIyEEEEPmJSH_EEE10hipError_tPvRmT3_T4_T5_T6_T7_T9_mT8_P12ihipStream_tbDpT10_ENKUlT_T0_E_clISt17integral_constantIbLb0EES1D_EEDaS18_S19_EUlS18_E_NS1_11comp_targetILNS1_3genE2ELNS1_11target_archE906ELNS1_3gpuE6ELNS1_3repE0EEENS1_30default_config_static_selectorELNS0_4arch9wavefront6targetE0EEEvT1_,@function
_ZN7rocprim17ROCPRIM_400000_NS6detail17trampoline_kernelINS0_14default_configENS1_25partition_config_selectorILNS1_17partition_subalgoE9EyjbEEZZNS1_14partition_implILS5_9ELb0ES3_jN6thrust23THRUST_200600_302600_NS6detail15normal_iteratorINS9_10device_ptrIyEEEENSB_INSC_IjEEEEPNS0_10empty_typeENS0_5tupleIJNS9_16discard_iteratorINS9_11use_defaultEEESH_EEENSJ_IJSG_SI_EEENS0_18inequality_wrapperINS9_8equal_toIyEEEEPmJSH_EEE10hipError_tPvRmT3_T4_T5_T6_T7_T9_mT8_P12ihipStream_tbDpT10_ENKUlT_T0_E_clISt17integral_constantIbLb0EES1D_EEDaS18_S19_EUlS18_E_NS1_11comp_targetILNS1_3genE2ELNS1_11target_archE906ELNS1_3gpuE6ELNS1_3repE0EEENS1_30default_config_static_selectorELNS0_4arch9wavefront6targetE0EEEvT1_: ; @_ZN7rocprim17ROCPRIM_400000_NS6detail17trampoline_kernelINS0_14default_configENS1_25partition_config_selectorILNS1_17partition_subalgoE9EyjbEEZZNS1_14partition_implILS5_9ELb0ES3_jN6thrust23THRUST_200600_302600_NS6detail15normal_iteratorINS9_10device_ptrIyEEEENSB_INSC_IjEEEEPNS0_10empty_typeENS0_5tupleIJNS9_16discard_iteratorINS9_11use_defaultEEESH_EEENSJ_IJSG_SI_EEENS0_18inequality_wrapperINS9_8equal_toIyEEEEPmJSH_EEE10hipError_tPvRmT3_T4_T5_T6_T7_T9_mT8_P12ihipStream_tbDpT10_ENKUlT_T0_E_clISt17integral_constantIbLb0EES1D_EEDaS18_S19_EUlS18_E_NS1_11comp_targetILNS1_3genE2ELNS1_11target_archE906ELNS1_3gpuE6ELNS1_3repE0EEENS1_30default_config_static_selectorELNS0_4arch9wavefront6targetE0EEEvT1_
; %bb.0:
	.section	.rodata,"a",@progbits
	.p2align	6, 0x0
	.amdhsa_kernel _ZN7rocprim17ROCPRIM_400000_NS6detail17trampoline_kernelINS0_14default_configENS1_25partition_config_selectorILNS1_17partition_subalgoE9EyjbEEZZNS1_14partition_implILS5_9ELb0ES3_jN6thrust23THRUST_200600_302600_NS6detail15normal_iteratorINS9_10device_ptrIyEEEENSB_INSC_IjEEEEPNS0_10empty_typeENS0_5tupleIJNS9_16discard_iteratorINS9_11use_defaultEEESH_EEENSJ_IJSG_SI_EEENS0_18inequality_wrapperINS9_8equal_toIyEEEEPmJSH_EEE10hipError_tPvRmT3_T4_T5_T6_T7_T9_mT8_P12ihipStream_tbDpT10_ENKUlT_T0_E_clISt17integral_constantIbLb0EES1D_EEDaS18_S19_EUlS18_E_NS1_11comp_targetILNS1_3genE2ELNS1_11target_archE906ELNS1_3gpuE6ELNS1_3repE0EEENS1_30default_config_static_selectorELNS0_4arch9wavefront6targetE0EEEvT1_
		.amdhsa_group_segment_fixed_size 0
		.amdhsa_private_segment_fixed_size 0
		.amdhsa_kernarg_size 120
		.amdhsa_user_sgpr_count 15
		.amdhsa_user_sgpr_dispatch_ptr 0
		.amdhsa_user_sgpr_queue_ptr 0
		.amdhsa_user_sgpr_kernarg_segment_ptr 1
		.amdhsa_user_sgpr_dispatch_id 0
		.amdhsa_user_sgpr_private_segment_size 0
		.amdhsa_wavefront_size32 1
		.amdhsa_uses_dynamic_stack 0
		.amdhsa_enable_private_segment 0
		.amdhsa_system_sgpr_workgroup_id_x 1
		.amdhsa_system_sgpr_workgroup_id_y 0
		.amdhsa_system_sgpr_workgroup_id_z 0
		.amdhsa_system_sgpr_workgroup_info 0
		.amdhsa_system_vgpr_workitem_id 0
		.amdhsa_next_free_vgpr 1
		.amdhsa_next_free_sgpr 1
		.amdhsa_reserve_vcc 0
		.amdhsa_float_round_mode_32 0
		.amdhsa_float_round_mode_16_64 0
		.amdhsa_float_denorm_mode_32 3
		.amdhsa_float_denorm_mode_16_64 3
		.amdhsa_dx10_clamp 1
		.amdhsa_ieee_mode 1
		.amdhsa_fp16_overflow 0
		.amdhsa_workgroup_processor_mode 1
		.amdhsa_memory_ordered 1
		.amdhsa_forward_progress 0
		.amdhsa_shared_vgpr_count 0
		.amdhsa_exception_fp_ieee_invalid_op 0
		.amdhsa_exception_fp_denorm_src 0
		.amdhsa_exception_fp_ieee_div_zero 0
		.amdhsa_exception_fp_ieee_overflow 0
		.amdhsa_exception_fp_ieee_underflow 0
		.amdhsa_exception_fp_ieee_inexact 0
		.amdhsa_exception_int_div_zero 0
	.end_amdhsa_kernel
	.section	.text._ZN7rocprim17ROCPRIM_400000_NS6detail17trampoline_kernelINS0_14default_configENS1_25partition_config_selectorILNS1_17partition_subalgoE9EyjbEEZZNS1_14partition_implILS5_9ELb0ES3_jN6thrust23THRUST_200600_302600_NS6detail15normal_iteratorINS9_10device_ptrIyEEEENSB_INSC_IjEEEEPNS0_10empty_typeENS0_5tupleIJNS9_16discard_iteratorINS9_11use_defaultEEESH_EEENSJ_IJSG_SI_EEENS0_18inequality_wrapperINS9_8equal_toIyEEEEPmJSH_EEE10hipError_tPvRmT3_T4_T5_T6_T7_T9_mT8_P12ihipStream_tbDpT10_ENKUlT_T0_E_clISt17integral_constantIbLb0EES1D_EEDaS18_S19_EUlS18_E_NS1_11comp_targetILNS1_3genE2ELNS1_11target_archE906ELNS1_3gpuE6ELNS1_3repE0EEENS1_30default_config_static_selectorELNS0_4arch9wavefront6targetE0EEEvT1_,"axG",@progbits,_ZN7rocprim17ROCPRIM_400000_NS6detail17trampoline_kernelINS0_14default_configENS1_25partition_config_selectorILNS1_17partition_subalgoE9EyjbEEZZNS1_14partition_implILS5_9ELb0ES3_jN6thrust23THRUST_200600_302600_NS6detail15normal_iteratorINS9_10device_ptrIyEEEENSB_INSC_IjEEEEPNS0_10empty_typeENS0_5tupleIJNS9_16discard_iteratorINS9_11use_defaultEEESH_EEENSJ_IJSG_SI_EEENS0_18inequality_wrapperINS9_8equal_toIyEEEEPmJSH_EEE10hipError_tPvRmT3_T4_T5_T6_T7_T9_mT8_P12ihipStream_tbDpT10_ENKUlT_T0_E_clISt17integral_constantIbLb0EES1D_EEDaS18_S19_EUlS18_E_NS1_11comp_targetILNS1_3genE2ELNS1_11target_archE906ELNS1_3gpuE6ELNS1_3repE0EEENS1_30default_config_static_selectorELNS0_4arch9wavefront6targetE0EEEvT1_,comdat
.Lfunc_end761:
	.size	_ZN7rocprim17ROCPRIM_400000_NS6detail17trampoline_kernelINS0_14default_configENS1_25partition_config_selectorILNS1_17partition_subalgoE9EyjbEEZZNS1_14partition_implILS5_9ELb0ES3_jN6thrust23THRUST_200600_302600_NS6detail15normal_iteratorINS9_10device_ptrIyEEEENSB_INSC_IjEEEEPNS0_10empty_typeENS0_5tupleIJNS9_16discard_iteratorINS9_11use_defaultEEESH_EEENSJ_IJSG_SI_EEENS0_18inequality_wrapperINS9_8equal_toIyEEEEPmJSH_EEE10hipError_tPvRmT3_T4_T5_T6_T7_T9_mT8_P12ihipStream_tbDpT10_ENKUlT_T0_E_clISt17integral_constantIbLb0EES1D_EEDaS18_S19_EUlS18_E_NS1_11comp_targetILNS1_3genE2ELNS1_11target_archE906ELNS1_3gpuE6ELNS1_3repE0EEENS1_30default_config_static_selectorELNS0_4arch9wavefront6targetE0EEEvT1_, .Lfunc_end761-_ZN7rocprim17ROCPRIM_400000_NS6detail17trampoline_kernelINS0_14default_configENS1_25partition_config_selectorILNS1_17partition_subalgoE9EyjbEEZZNS1_14partition_implILS5_9ELb0ES3_jN6thrust23THRUST_200600_302600_NS6detail15normal_iteratorINS9_10device_ptrIyEEEENSB_INSC_IjEEEEPNS0_10empty_typeENS0_5tupleIJNS9_16discard_iteratorINS9_11use_defaultEEESH_EEENSJ_IJSG_SI_EEENS0_18inequality_wrapperINS9_8equal_toIyEEEEPmJSH_EEE10hipError_tPvRmT3_T4_T5_T6_T7_T9_mT8_P12ihipStream_tbDpT10_ENKUlT_T0_E_clISt17integral_constantIbLb0EES1D_EEDaS18_S19_EUlS18_E_NS1_11comp_targetILNS1_3genE2ELNS1_11target_archE906ELNS1_3gpuE6ELNS1_3repE0EEENS1_30default_config_static_selectorELNS0_4arch9wavefront6targetE0EEEvT1_
                                        ; -- End function
	.section	.AMDGPU.csdata,"",@progbits
; Kernel info:
; codeLenInByte = 0
; NumSgprs: 0
; NumVgprs: 0
; ScratchSize: 0
; MemoryBound: 0
; FloatMode: 240
; IeeeMode: 1
; LDSByteSize: 0 bytes/workgroup (compile time only)
; SGPRBlocks: 0
; VGPRBlocks: 0
; NumSGPRsForWavesPerEU: 1
; NumVGPRsForWavesPerEU: 1
; Occupancy: 16
; WaveLimiterHint : 0
; COMPUTE_PGM_RSRC2:SCRATCH_EN: 0
; COMPUTE_PGM_RSRC2:USER_SGPR: 15
; COMPUTE_PGM_RSRC2:TRAP_HANDLER: 0
; COMPUTE_PGM_RSRC2:TGID_X_EN: 1
; COMPUTE_PGM_RSRC2:TGID_Y_EN: 0
; COMPUTE_PGM_RSRC2:TGID_Z_EN: 0
; COMPUTE_PGM_RSRC2:TIDIG_COMP_CNT: 0
	.section	.text._ZN7rocprim17ROCPRIM_400000_NS6detail17trampoline_kernelINS0_14default_configENS1_25partition_config_selectorILNS1_17partition_subalgoE9EyjbEEZZNS1_14partition_implILS5_9ELb0ES3_jN6thrust23THRUST_200600_302600_NS6detail15normal_iteratorINS9_10device_ptrIyEEEENSB_INSC_IjEEEEPNS0_10empty_typeENS0_5tupleIJNS9_16discard_iteratorINS9_11use_defaultEEESH_EEENSJ_IJSG_SI_EEENS0_18inequality_wrapperINS9_8equal_toIyEEEEPmJSH_EEE10hipError_tPvRmT3_T4_T5_T6_T7_T9_mT8_P12ihipStream_tbDpT10_ENKUlT_T0_E_clISt17integral_constantIbLb0EES1D_EEDaS18_S19_EUlS18_E_NS1_11comp_targetILNS1_3genE10ELNS1_11target_archE1200ELNS1_3gpuE4ELNS1_3repE0EEENS1_30default_config_static_selectorELNS0_4arch9wavefront6targetE0EEEvT1_,"axG",@progbits,_ZN7rocprim17ROCPRIM_400000_NS6detail17trampoline_kernelINS0_14default_configENS1_25partition_config_selectorILNS1_17partition_subalgoE9EyjbEEZZNS1_14partition_implILS5_9ELb0ES3_jN6thrust23THRUST_200600_302600_NS6detail15normal_iteratorINS9_10device_ptrIyEEEENSB_INSC_IjEEEEPNS0_10empty_typeENS0_5tupleIJNS9_16discard_iteratorINS9_11use_defaultEEESH_EEENSJ_IJSG_SI_EEENS0_18inequality_wrapperINS9_8equal_toIyEEEEPmJSH_EEE10hipError_tPvRmT3_T4_T5_T6_T7_T9_mT8_P12ihipStream_tbDpT10_ENKUlT_T0_E_clISt17integral_constantIbLb0EES1D_EEDaS18_S19_EUlS18_E_NS1_11comp_targetILNS1_3genE10ELNS1_11target_archE1200ELNS1_3gpuE4ELNS1_3repE0EEENS1_30default_config_static_selectorELNS0_4arch9wavefront6targetE0EEEvT1_,comdat
	.protected	_ZN7rocprim17ROCPRIM_400000_NS6detail17trampoline_kernelINS0_14default_configENS1_25partition_config_selectorILNS1_17partition_subalgoE9EyjbEEZZNS1_14partition_implILS5_9ELb0ES3_jN6thrust23THRUST_200600_302600_NS6detail15normal_iteratorINS9_10device_ptrIyEEEENSB_INSC_IjEEEEPNS0_10empty_typeENS0_5tupleIJNS9_16discard_iteratorINS9_11use_defaultEEESH_EEENSJ_IJSG_SI_EEENS0_18inequality_wrapperINS9_8equal_toIyEEEEPmJSH_EEE10hipError_tPvRmT3_T4_T5_T6_T7_T9_mT8_P12ihipStream_tbDpT10_ENKUlT_T0_E_clISt17integral_constantIbLb0EES1D_EEDaS18_S19_EUlS18_E_NS1_11comp_targetILNS1_3genE10ELNS1_11target_archE1200ELNS1_3gpuE4ELNS1_3repE0EEENS1_30default_config_static_selectorELNS0_4arch9wavefront6targetE0EEEvT1_ ; -- Begin function _ZN7rocprim17ROCPRIM_400000_NS6detail17trampoline_kernelINS0_14default_configENS1_25partition_config_selectorILNS1_17partition_subalgoE9EyjbEEZZNS1_14partition_implILS5_9ELb0ES3_jN6thrust23THRUST_200600_302600_NS6detail15normal_iteratorINS9_10device_ptrIyEEEENSB_INSC_IjEEEEPNS0_10empty_typeENS0_5tupleIJNS9_16discard_iteratorINS9_11use_defaultEEESH_EEENSJ_IJSG_SI_EEENS0_18inequality_wrapperINS9_8equal_toIyEEEEPmJSH_EEE10hipError_tPvRmT3_T4_T5_T6_T7_T9_mT8_P12ihipStream_tbDpT10_ENKUlT_T0_E_clISt17integral_constantIbLb0EES1D_EEDaS18_S19_EUlS18_E_NS1_11comp_targetILNS1_3genE10ELNS1_11target_archE1200ELNS1_3gpuE4ELNS1_3repE0EEENS1_30default_config_static_selectorELNS0_4arch9wavefront6targetE0EEEvT1_
	.globl	_ZN7rocprim17ROCPRIM_400000_NS6detail17trampoline_kernelINS0_14default_configENS1_25partition_config_selectorILNS1_17partition_subalgoE9EyjbEEZZNS1_14partition_implILS5_9ELb0ES3_jN6thrust23THRUST_200600_302600_NS6detail15normal_iteratorINS9_10device_ptrIyEEEENSB_INSC_IjEEEEPNS0_10empty_typeENS0_5tupleIJNS9_16discard_iteratorINS9_11use_defaultEEESH_EEENSJ_IJSG_SI_EEENS0_18inequality_wrapperINS9_8equal_toIyEEEEPmJSH_EEE10hipError_tPvRmT3_T4_T5_T6_T7_T9_mT8_P12ihipStream_tbDpT10_ENKUlT_T0_E_clISt17integral_constantIbLb0EES1D_EEDaS18_S19_EUlS18_E_NS1_11comp_targetILNS1_3genE10ELNS1_11target_archE1200ELNS1_3gpuE4ELNS1_3repE0EEENS1_30default_config_static_selectorELNS0_4arch9wavefront6targetE0EEEvT1_
	.p2align	8
	.type	_ZN7rocprim17ROCPRIM_400000_NS6detail17trampoline_kernelINS0_14default_configENS1_25partition_config_selectorILNS1_17partition_subalgoE9EyjbEEZZNS1_14partition_implILS5_9ELb0ES3_jN6thrust23THRUST_200600_302600_NS6detail15normal_iteratorINS9_10device_ptrIyEEEENSB_INSC_IjEEEEPNS0_10empty_typeENS0_5tupleIJNS9_16discard_iteratorINS9_11use_defaultEEESH_EEENSJ_IJSG_SI_EEENS0_18inequality_wrapperINS9_8equal_toIyEEEEPmJSH_EEE10hipError_tPvRmT3_T4_T5_T6_T7_T9_mT8_P12ihipStream_tbDpT10_ENKUlT_T0_E_clISt17integral_constantIbLb0EES1D_EEDaS18_S19_EUlS18_E_NS1_11comp_targetILNS1_3genE10ELNS1_11target_archE1200ELNS1_3gpuE4ELNS1_3repE0EEENS1_30default_config_static_selectorELNS0_4arch9wavefront6targetE0EEEvT1_,@function
_ZN7rocprim17ROCPRIM_400000_NS6detail17trampoline_kernelINS0_14default_configENS1_25partition_config_selectorILNS1_17partition_subalgoE9EyjbEEZZNS1_14partition_implILS5_9ELb0ES3_jN6thrust23THRUST_200600_302600_NS6detail15normal_iteratorINS9_10device_ptrIyEEEENSB_INSC_IjEEEEPNS0_10empty_typeENS0_5tupleIJNS9_16discard_iteratorINS9_11use_defaultEEESH_EEENSJ_IJSG_SI_EEENS0_18inequality_wrapperINS9_8equal_toIyEEEEPmJSH_EEE10hipError_tPvRmT3_T4_T5_T6_T7_T9_mT8_P12ihipStream_tbDpT10_ENKUlT_T0_E_clISt17integral_constantIbLb0EES1D_EEDaS18_S19_EUlS18_E_NS1_11comp_targetILNS1_3genE10ELNS1_11target_archE1200ELNS1_3gpuE4ELNS1_3repE0EEENS1_30default_config_static_selectorELNS0_4arch9wavefront6targetE0EEEvT1_: ; @_ZN7rocprim17ROCPRIM_400000_NS6detail17trampoline_kernelINS0_14default_configENS1_25partition_config_selectorILNS1_17partition_subalgoE9EyjbEEZZNS1_14partition_implILS5_9ELb0ES3_jN6thrust23THRUST_200600_302600_NS6detail15normal_iteratorINS9_10device_ptrIyEEEENSB_INSC_IjEEEEPNS0_10empty_typeENS0_5tupleIJNS9_16discard_iteratorINS9_11use_defaultEEESH_EEENSJ_IJSG_SI_EEENS0_18inequality_wrapperINS9_8equal_toIyEEEEPmJSH_EEE10hipError_tPvRmT3_T4_T5_T6_T7_T9_mT8_P12ihipStream_tbDpT10_ENKUlT_T0_E_clISt17integral_constantIbLb0EES1D_EEDaS18_S19_EUlS18_E_NS1_11comp_targetILNS1_3genE10ELNS1_11target_archE1200ELNS1_3gpuE4ELNS1_3repE0EEENS1_30default_config_static_selectorELNS0_4arch9wavefront6targetE0EEEvT1_
; %bb.0:
	.section	.rodata,"a",@progbits
	.p2align	6, 0x0
	.amdhsa_kernel _ZN7rocprim17ROCPRIM_400000_NS6detail17trampoline_kernelINS0_14default_configENS1_25partition_config_selectorILNS1_17partition_subalgoE9EyjbEEZZNS1_14partition_implILS5_9ELb0ES3_jN6thrust23THRUST_200600_302600_NS6detail15normal_iteratorINS9_10device_ptrIyEEEENSB_INSC_IjEEEEPNS0_10empty_typeENS0_5tupleIJNS9_16discard_iteratorINS9_11use_defaultEEESH_EEENSJ_IJSG_SI_EEENS0_18inequality_wrapperINS9_8equal_toIyEEEEPmJSH_EEE10hipError_tPvRmT3_T4_T5_T6_T7_T9_mT8_P12ihipStream_tbDpT10_ENKUlT_T0_E_clISt17integral_constantIbLb0EES1D_EEDaS18_S19_EUlS18_E_NS1_11comp_targetILNS1_3genE10ELNS1_11target_archE1200ELNS1_3gpuE4ELNS1_3repE0EEENS1_30default_config_static_selectorELNS0_4arch9wavefront6targetE0EEEvT1_
		.amdhsa_group_segment_fixed_size 0
		.amdhsa_private_segment_fixed_size 0
		.amdhsa_kernarg_size 120
		.amdhsa_user_sgpr_count 15
		.amdhsa_user_sgpr_dispatch_ptr 0
		.amdhsa_user_sgpr_queue_ptr 0
		.amdhsa_user_sgpr_kernarg_segment_ptr 1
		.amdhsa_user_sgpr_dispatch_id 0
		.amdhsa_user_sgpr_private_segment_size 0
		.amdhsa_wavefront_size32 1
		.amdhsa_uses_dynamic_stack 0
		.amdhsa_enable_private_segment 0
		.amdhsa_system_sgpr_workgroup_id_x 1
		.amdhsa_system_sgpr_workgroup_id_y 0
		.amdhsa_system_sgpr_workgroup_id_z 0
		.amdhsa_system_sgpr_workgroup_info 0
		.amdhsa_system_vgpr_workitem_id 0
		.amdhsa_next_free_vgpr 1
		.amdhsa_next_free_sgpr 1
		.amdhsa_reserve_vcc 0
		.amdhsa_float_round_mode_32 0
		.amdhsa_float_round_mode_16_64 0
		.amdhsa_float_denorm_mode_32 3
		.amdhsa_float_denorm_mode_16_64 3
		.amdhsa_dx10_clamp 1
		.amdhsa_ieee_mode 1
		.amdhsa_fp16_overflow 0
		.amdhsa_workgroup_processor_mode 1
		.amdhsa_memory_ordered 1
		.amdhsa_forward_progress 0
		.amdhsa_shared_vgpr_count 0
		.amdhsa_exception_fp_ieee_invalid_op 0
		.amdhsa_exception_fp_denorm_src 0
		.amdhsa_exception_fp_ieee_div_zero 0
		.amdhsa_exception_fp_ieee_overflow 0
		.amdhsa_exception_fp_ieee_underflow 0
		.amdhsa_exception_fp_ieee_inexact 0
		.amdhsa_exception_int_div_zero 0
	.end_amdhsa_kernel
	.section	.text._ZN7rocprim17ROCPRIM_400000_NS6detail17trampoline_kernelINS0_14default_configENS1_25partition_config_selectorILNS1_17partition_subalgoE9EyjbEEZZNS1_14partition_implILS5_9ELb0ES3_jN6thrust23THRUST_200600_302600_NS6detail15normal_iteratorINS9_10device_ptrIyEEEENSB_INSC_IjEEEEPNS0_10empty_typeENS0_5tupleIJNS9_16discard_iteratorINS9_11use_defaultEEESH_EEENSJ_IJSG_SI_EEENS0_18inequality_wrapperINS9_8equal_toIyEEEEPmJSH_EEE10hipError_tPvRmT3_T4_T5_T6_T7_T9_mT8_P12ihipStream_tbDpT10_ENKUlT_T0_E_clISt17integral_constantIbLb0EES1D_EEDaS18_S19_EUlS18_E_NS1_11comp_targetILNS1_3genE10ELNS1_11target_archE1200ELNS1_3gpuE4ELNS1_3repE0EEENS1_30default_config_static_selectorELNS0_4arch9wavefront6targetE0EEEvT1_,"axG",@progbits,_ZN7rocprim17ROCPRIM_400000_NS6detail17trampoline_kernelINS0_14default_configENS1_25partition_config_selectorILNS1_17partition_subalgoE9EyjbEEZZNS1_14partition_implILS5_9ELb0ES3_jN6thrust23THRUST_200600_302600_NS6detail15normal_iteratorINS9_10device_ptrIyEEEENSB_INSC_IjEEEEPNS0_10empty_typeENS0_5tupleIJNS9_16discard_iteratorINS9_11use_defaultEEESH_EEENSJ_IJSG_SI_EEENS0_18inequality_wrapperINS9_8equal_toIyEEEEPmJSH_EEE10hipError_tPvRmT3_T4_T5_T6_T7_T9_mT8_P12ihipStream_tbDpT10_ENKUlT_T0_E_clISt17integral_constantIbLb0EES1D_EEDaS18_S19_EUlS18_E_NS1_11comp_targetILNS1_3genE10ELNS1_11target_archE1200ELNS1_3gpuE4ELNS1_3repE0EEENS1_30default_config_static_selectorELNS0_4arch9wavefront6targetE0EEEvT1_,comdat
.Lfunc_end762:
	.size	_ZN7rocprim17ROCPRIM_400000_NS6detail17trampoline_kernelINS0_14default_configENS1_25partition_config_selectorILNS1_17partition_subalgoE9EyjbEEZZNS1_14partition_implILS5_9ELb0ES3_jN6thrust23THRUST_200600_302600_NS6detail15normal_iteratorINS9_10device_ptrIyEEEENSB_INSC_IjEEEEPNS0_10empty_typeENS0_5tupleIJNS9_16discard_iteratorINS9_11use_defaultEEESH_EEENSJ_IJSG_SI_EEENS0_18inequality_wrapperINS9_8equal_toIyEEEEPmJSH_EEE10hipError_tPvRmT3_T4_T5_T6_T7_T9_mT8_P12ihipStream_tbDpT10_ENKUlT_T0_E_clISt17integral_constantIbLb0EES1D_EEDaS18_S19_EUlS18_E_NS1_11comp_targetILNS1_3genE10ELNS1_11target_archE1200ELNS1_3gpuE4ELNS1_3repE0EEENS1_30default_config_static_selectorELNS0_4arch9wavefront6targetE0EEEvT1_, .Lfunc_end762-_ZN7rocprim17ROCPRIM_400000_NS6detail17trampoline_kernelINS0_14default_configENS1_25partition_config_selectorILNS1_17partition_subalgoE9EyjbEEZZNS1_14partition_implILS5_9ELb0ES3_jN6thrust23THRUST_200600_302600_NS6detail15normal_iteratorINS9_10device_ptrIyEEEENSB_INSC_IjEEEEPNS0_10empty_typeENS0_5tupleIJNS9_16discard_iteratorINS9_11use_defaultEEESH_EEENSJ_IJSG_SI_EEENS0_18inequality_wrapperINS9_8equal_toIyEEEEPmJSH_EEE10hipError_tPvRmT3_T4_T5_T6_T7_T9_mT8_P12ihipStream_tbDpT10_ENKUlT_T0_E_clISt17integral_constantIbLb0EES1D_EEDaS18_S19_EUlS18_E_NS1_11comp_targetILNS1_3genE10ELNS1_11target_archE1200ELNS1_3gpuE4ELNS1_3repE0EEENS1_30default_config_static_selectorELNS0_4arch9wavefront6targetE0EEEvT1_
                                        ; -- End function
	.section	.AMDGPU.csdata,"",@progbits
; Kernel info:
; codeLenInByte = 0
; NumSgprs: 0
; NumVgprs: 0
; ScratchSize: 0
; MemoryBound: 0
; FloatMode: 240
; IeeeMode: 1
; LDSByteSize: 0 bytes/workgroup (compile time only)
; SGPRBlocks: 0
; VGPRBlocks: 0
; NumSGPRsForWavesPerEU: 1
; NumVGPRsForWavesPerEU: 1
; Occupancy: 15
; WaveLimiterHint : 0
; COMPUTE_PGM_RSRC2:SCRATCH_EN: 0
; COMPUTE_PGM_RSRC2:USER_SGPR: 15
; COMPUTE_PGM_RSRC2:TRAP_HANDLER: 0
; COMPUTE_PGM_RSRC2:TGID_X_EN: 1
; COMPUTE_PGM_RSRC2:TGID_Y_EN: 0
; COMPUTE_PGM_RSRC2:TGID_Z_EN: 0
; COMPUTE_PGM_RSRC2:TIDIG_COMP_CNT: 0
	.section	.text._ZN7rocprim17ROCPRIM_400000_NS6detail17trampoline_kernelINS0_14default_configENS1_25partition_config_selectorILNS1_17partition_subalgoE9EyjbEEZZNS1_14partition_implILS5_9ELb0ES3_jN6thrust23THRUST_200600_302600_NS6detail15normal_iteratorINS9_10device_ptrIyEEEENSB_INSC_IjEEEEPNS0_10empty_typeENS0_5tupleIJNS9_16discard_iteratorINS9_11use_defaultEEESH_EEENSJ_IJSG_SI_EEENS0_18inequality_wrapperINS9_8equal_toIyEEEEPmJSH_EEE10hipError_tPvRmT3_T4_T5_T6_T7_T9_mT8_P12ihipStream_tbDpT10_ENKUlT_T0_E_clISt17integral_constantIbLb0EES1D_EEDaS18_S19_EUlS18_E_NS1_11comp_targetILNS1_3genE9ELNS1_11target_archE1100ELNS1_3gpuE3ELNS1_3repE0EEENS1_30default_config_static_selectorELNS0_4arch9wavefront6targetE0EEEvT1_,"axG",@progbits,_ZN7rocprim17ROCPRIM_400000_NS6detail17trampoline_kernelINS0_14default_configENS1_25partition_config_selectorILNS1_17partition_subalgoE9EyjbEEZZNS1_14partition_implILS5_9ELb0ES3_jN6thrust23THRUST_200600_302600_NS6detail15normal_iteratorINS9_10device_ptrIyEEEENSB_INSC_IjEEEEPNS0_10empty_typeENS0_5tupleIJNS9_16discard_iteratorINS9_11use_defaultEEESH_EEENSJ_IJSG_SI_EEENS0_18inequality_wrapperINS9_8equal_toIyEEEEPmJSH_EEE10hipError_tPvRmT3_T4_T5_T6_T7_T9_mT8_P12ihipStream_tbDpT10_ENKUlT_T0_E_clISt17integral_constantIbLb0EES1D_EEDaS18_S19_EUlS18_E_NS1_11comp_targetILNS1_3genE9ELNS1_11target_archE1100ELNS1_3gpuE3ELNS1_3repE0EEENS1_30default_config_static_selectorELNS0_4arch9wavefront6targetE0EEEvT1_,comdat
	.protected	_ZN7rocprim17ROCPRIM_400000_NS6detail17trampoline_kernelINS0_14default_configENS1_25partition_config_selectorILNS1_17partition_subalgoE9EyjbEEZZNS1_14partition_implILS5_9ELb0ES3_jN6thrust23THRUST_200600_302600_NS6detail15normal_iteratorINS9_10device_ptrIyEEEENSB_INSC_IjEEEEPNS0_10empty_typeENS0_5tupleIJNS9_16discard_iteratorINS9_11use_defaultEEESH_EEENSJ_IJSG_SI_EEENS0_18inequality_wrapperINS9_8equal_toIyEEEEPmJSH_EEE10hipError_tPvRmT3_T4_T5_T6_T7_T9_mT8_P12ihipStream_tbDpT10_ENKUlT_T0_E_clISt17integral_constantIbLb0EES1D_EEDaS18_S19_EUlS18_E_NS1_11comp_targetILNS1_3genE9ELNS1_11target_archE1100ELNS1_3gpuE3ELNS1_3repE0EEENS1_30default_config_static_selectorELNS0_4arch9wavefront6targetE0EEEvT1_ ; -- Begin function _ZN7rocprim17ROCPRIM_400000_NS6detail17trampoline_kernelINS0_14default_configENS1_25partition_config_selectorILNS1_17partition_subalgoE9EyjbEEZZNS1_14partition_implILS5_9ELb0ES3_jN6thrust23THRUST_200600_302600_NS6detail15normal_iteratorINS9_10device_ptrIyEEEENSB_INSC_IjEEEEPNS0_10empty_typeENS0_5tupleIJNS9_16discard_iteratorINS9_11use_defaultEEESH_EEENSJ_IJSG_SI_EEENS0_18inequality_wrapperINS9_8equal_toIyEEEEPmJSH_EEE10hipError_tPvRmT3_T4_T5_T6_T7_T9_mT8_P12ihipStream_tbDpT10_ENKUlT_T0_E_clISt17integral_constantIbLb0EES1D_EEDaS18_S19_EUlS18_E_NS1_11comp_targetILNS1_3genE9ELNS1_11target_archE1100ELNS1_3gpuE3ELNS1_3repE0EEENS1_30default_config_static_selectorELNS0_4arch9wavefront6targetE0EEEvT1_
	.globl	_ZN7rocprim17ROCPRIM_400000_NS6detail17trampoline_kernelINS0_14default_configENS1_25partition_config_selectorILNS1_17partition_subalgoE9EyjbEEZZNS1_14partition_implILS5_9ELb0ES3_jN6thrust23THRUST_200600_302600_NS6detail15normal_iteratorINS9_10device_ptrIyEEEENSB_INSC_IjEEEEPNS0_10empty_typeENS0_5tupleIJNS9_16discard_iteratorINS9_11use_defaultEEESH_EEENSJ_IJSG_SI_EEENS0_18inequality_wrapperINS9_8equal_toIyEEEEPmJSH_EEE10hipError_tPvRmT3_T4_T5_T6_T7_T9_mT8_P12ihipStream_tbDpT10_ENKUlT_T0_E_clISt17integral_constantIbLb0EES1D_EEDaS18_S19_EUlS18_E_NS1_11comp_targetILNS1_3genE9ELNS1_11target_archE1100ELNS1_3gpuE3ELNS1_3repE0EEENS1_30default_config_static_selectorELNS0_4arch9wavefront6targetE0EEEvT1_
	.p2align	8
	.type	_ZN7rocprim17ROCPRIM_400000_NS6detail17trampoline_kernelINS0_14default_configENS1_25partition_config_selectorILNS1_17partition_subalgoE9EyjbEEZZNS1_14partition_implILS5_9ELb0ES3_jN6thrust23THRUST_200600_302600_NS6detail15normal_iteratorINS9_10device_ptrIyEEEENSB_INSC_IjEEEEPNS0_10empty_typeENS0_5tupleIJNS9_16discard_iteratorINS9_11use_defaultEEESH_EEENSJ_IJSG_SI_EEENS0_18inequality_wrapperINS9_8equal_toIyEEEEPmJSH_EEE10hipError_tPvRmT3_T4_T5_T6_T7_T9_mT8_P12ihipStream_tbDpT10_ENKUlT_T0_E_clISt17integral_constantIbLb0EES1D_EEDaS18_S19_EUlS18_E_NS1_11comp_targetILNS1_3genE9ELNS1_11target_archE1100ELNS1_3gpuE3ELNS1_3repE0EEENS1_30default_config_static_selectorELNS0_4arch9wavefront6targetE0EEEvT1_,@function
_ZN7rocprim17ROCPRIM_400000_NS6detail17trampoline_kernelINS0_14default_configENS1_25partition_config_selectorILNS1_17partition_subalgoE9EyjbEEZZNS1_14partition_implILS5_9ELb0ES3_jN6thrust23THRUST_200600_302600_NS6detail15normal_iteratorINS9_10device_ptrIyEEEENSB_INSC_IjEEEEPNS0_10empty_typeENS0_5tupleIJNS9_16discard_iteratorINS9_11use_defaultEEESH_EEENSJ_IJSG_SI_EEENS0_18inequality_wrapperINS9_8equal_toIyEEEEPmJSH_EEE10hipError_tPvRmT3_T4_T5_T6_T7_T9_mT8_P12ihipStream_tbDpT10_ENKUlT_T0_E_clISt17integral_constantIbLb0EES1D_EEDaS18_S19_EUlS18_E_NS1_11comp_targetILNS1_3genE9ELNS1_11target_archE1100ELNS1_3gpuE3ELNS1_3repE0EEENS1_30default_config_static_selectorELNS0_4arch9wavefront6targetE0EEEvT1_: ; @_ZN7rocprim17ROCPRIM_400000_NS6detail17trampoline_kernelINS0_14default_configENS1_25partition_config_selectorILNS1_17partition_subalgoE9EyjbEEZZNS1_14partition_implILS5_9ELb0ES3_jN6thrust23THRUST_200600_302600_NS6detail15normal_iteratorINS9_10device_ptrIyEEEENSB_INSC_IjEEEEPNS0_10empty_typeENS0_5tupleIJNS9_16discard_iteratorINS9_11use_defaultEEESH_EEENSJ_IJSG_SI_EEENS0_18inequality_wrapperINS9_8equal_toIyEEEEPmJSH_EEE10hipError_tPvRmT3_T4_T5_T6_T7_T9_mT8_P12ihipStream_tbDpT10_ENKUlT_T0_E_clISt17integral_constantIbLb0EES1D_EEDaS18_S19_EUlS18_E_NS1_11comp_targetILNS1_3genE9ELNS1_11target_archE1100ELNS1_3gpuE3ELNS1_3repE0EEENS1_30default_config_static_selectorELNS0_4arch9wavefront6targetE0EEEvT1_
; %bb.0:
	s_clause 0x4
	s_load_b128 s[4:7], s[0:1], 0x8
	s_load_b32 s14, s[0:1], 0x70
	s_load_b128 s[16:19], s[0:1], 0x48
	s_load_b64 s[2:3], s[0:1], 0x58
	s_load_b64 s[12:13], s[0:1], 0x18
	s_mov_b32 s9, 0
	v_lshlrev_b32_e32 v29, 3, v0
	v_lshrrev_b32_e32 v24, 2, v0
	v_or_b32_e32 v21, 0x200, v0
	v_or_b32_e32 v20, 0x400, v0
	;; [unrolled: 1-line block ×7, first 2 shown]
	s_waitcnt lgkmcnt(0)
	s_lshl_b64 s[10:11], s[6:7], 3
	s_delay_alu instid0(SALU_CYCLE_1)
	s_add_u32 s21, s4, s10
	s_addc_u32 s22, s5, s11
	s_add_i32 s20, s14, -1
	s_load_b64 s[10:11], s[18:19], 0x0
	s_lshl_b32 s4, s20, 12
	s_lshl_b32 s5, s14, 12
	s_add_i32 s4, s6, s4
	s_lshl_b32 s8, s15, 12
	s_sub_i32 s19, s2, s4
	s_add_u32 s4, s6, s5
	s_addc_u32 s5, s7, 0
	s_cmp_eq_u32 s15, s20
	v_cmp_ge_u64_e64 s2, s[4:5], s[2:3]
	s_cselect_b32 s14, -1, 0
	s_mov_b32 s5, -1
	s_delay_alu instid0(VALU_DEP_1)
	s_and_b32 s20, s14, s2
	s_lshl_b64 s[2:3], s[8:9], 3
	s_xor_b32 s18, s20, -1
	s_add_u32 s4, s21, s2
	s_addc_u32 s3, s22, s3
	s_and_b32 vcc_lo, exec_lo, s18
	s_cbranch_vccz .LBB763_2
; %bb.1:
	v_add_co_u32 v1, s2, s4, v29
	s_delay_alu instid0(VALU_DEP_1) | instskip(SKIP_1) | instid1(VALU_DEP_3)
	v_add_co_ci_u32_e64 v2, null, s3, 0, s2
	v_lshrrev_b32_e32 v26, 2, v21
	v_add_co_u32 v3, vcc_lo, 0x1000, v1
	s_delay_alu instid0(VALU_DEP_3)
	v_add_co_ci_u32_e32 v4, vcc_lo, 0, v2, vcc_lo
	v_add_co_u32 v5, vcc_lo, 0x2000, v1
	v_add_co_ci_u32_e32 v6, vcc_lo, 0, v2, vcc_lo
	v_add_co_u32 v7, vcc_lo, 0x3000, v1
	;; [unrolled: 2-line block ×6, first 2 shown]
	v_add_co_ci_u32_e32 v16, vcc_lo, 0, v2, vcc_lo
	s_clause 0x7
	flat_load_b64 v[1:2], v[1:2]
	flat_load_b64 v[3:4], v[3:4]
	flat_load_b64 v[5:6], v[5:6]
	flat_load_b64 v[7:8], v[7:8]
	flat_load_b64 v[9:10], v[9:10]
	flat_load_b64 v[11:12], v[11:12]
	flat_load_b64 v[13:14], v[13:14]
	flat_load_b64 v[15:16], v[15:16]
	v_lshrrev_b32_e32 v27, 2, v20
	v_lshrrev_b32_e32 v28, 2, v23
	;; [unrolled: 1-line block ×3, first 2 shown]
	v_and_b32_e32 v25, 0x78, v24
	v_lshrrev_b32_e32 v31, 2, v18
	v_lshrrev_b32_e32 v32, 2, v17
	v_lshrrev_b32_e32 v33, 2, v19
	v_and_b32_e32 v26, 0xf8, v26
	v_and_b32_e32 v27, 0x178, v27
	;; [unrolled: 1-line block ×4, first 2 shown]
	v_add_nc_u32_e32 v25, v25, v29
	v_and_b32_e32 v31, 0x2f8, v31
	v_and_b32_e32 v32, 0x378, v32
	;; [unrolled: 1-line block ×3, first 2 shown]
	v_add_nc_u32_e32 v26, v26, v29
	v_add_nc_u32_e32 v27, v27, v29
	;; [unrolled: 1-line block ×4, first 2 shown]
	s_mov_b32 s5, s9
	v_add_nc_u32_e32 v31, v31, v29
	v_add_nc_u32_e32 v32, v32, v29
	;; [unrolled: 1-line block ×3, first 2 shown]
	s_waitcnt vmcnt(7) lgkmcnt(0)
	ds_store_b64 v25, v[1:2]
	s_waitcnt vmcnt(6)
	ds_store_b64 v26, v[3:4] offset:4096
	s_waitcnt vmcnt(5)
	ds_store_b64 v27, v[5:6] offset:8192
	;; [unrolled: 2-line block ×7, first 2 shown]
	s_waitcnt lgkmcnt(0)
	s_barrier
.LBB763_2:
	v_cmp_gt_u32_e64 s2, s19, v0
	s_and_not1_b32 vcc_lo, exec_lo, s5
	s_cbranch_vccnz .LBB763_20
; %bb.3:
                                        ; implicit-def: $vgpr1_vgpr2_vgpr3_vgpr4_vgpr5_vgpr6_vgpr7_vgpr8_vgpr9_vgpr10_vgpr11_vgpr12_vgpr13_vgpr14_vgpr15_vgpr16
	s_delay_alu instid0(VALU_DEP_1)
	s_and_saveexec_b32 s5, s2
	s_cbranch_execz .LBB763_11
; %bb.4:
	v_add_co_u32 v1, s2, s4, v29
	s_delay_alu instid0(VALU_DEP_1) | instskip(SKIP_2) | instid1(SALU_CYCLE_1)
	v_add_co_ci_u32_e64 v2, null, s3, 0, s2
	flat_load_b64 v[1:2], v[1:2]
	s_or_b32 exec_lo, exec_lo, s5
	s_mov_b32 s2, exec_lo
	v_cmpx_gt_u32_e64 s19, v21
	s_cbranch_execnz .LBB763_12
.LBB763_5:
	s_or_b32 exec_lo, exec_lo, s2
	s_delay_alu instid0(SALU_CYCLE_1)
	s_mov_b32 s2, exec_lo
	v_cmpx_gt_u32_e64 s19, v20
	s_cbranch_execz .LBB763_13
.LBB763_6:
	v_lshlrev_b32_e32 v5, 3, v20
	s_delay_alu instid0(VALU_DEP_1) | instskip(NEXT) | instid1(VALU_DEP_1)
	v_add_co_u32 v5, s5, s4, v5
	v_add_co_ci_u32_e64 v6, null, s3, 0, s5
	flat_load_b64 v[5:6], v[5:6]
	s_or_b32 exec_lo, exec_lo, s2
	s_delay_alu instid0(SALU_CYCLE_1)
	s_mov_b32 s2, exec_lo
	v_cmpx_gt_u32_e64 s19, v23
	s_cbranch_execnz .LBB763_14
.LBB763_7:
	s_or_b32 exec_lo, exec_lo, s2
	s_delay_alu instid0(SALU_CYCLE_1)
	s_mov_b32 s2, exec_lo
	v_cmpx_gt_u32_e64 s19, v22
	s_cbranch_execz .LBB763_15
.LBB763_8:
	v_lshlrev_b32_e32 v9, 3, v22
	s_delay_alu instid0(VALU_DEP_1) | instskip(NEXT) | instid1(VALU_DEP_1)
	v_add_co_u32 v9, s5, s4, v9
	v_add_co_ci_u32_e64 v10, null, s3, 0, s5
	flat_load_b64 v[9:10], v[9:10]
	s_or_b32 exec_lo, exec_lo, s2
	s_delay_alu instid0(SALU_CYCLE_1)
	s_mov_b32 s2, exec_lo
	v_cmpx_gt_u32_e64 s19, v18
	s_cbranch_execnz .LBB763_16
.LBB763_9:
	s_or_b32 exec_lo, exec_lo, s2
	s_delay_alu instid0(SALU_CYCLE_1)
	s_mov_b32 s2, exec_lo
	v_cmpx_gt_u32_e64 s19, v17
	s_cbranch_execz .LBB763_17
.LBB763_10:
	v_lshlrev_b32_e32 v13, 3, v17
	s_delay_alu instid0(VALU_DEP_1) | instskip(NEXT) | instid1(VALU_DEP_1)
	v_add_co_u32 v13, s5, s4, v13
	v_add_co_ci_u32_e64 v14, null, s3, 0, s5
	flat_load_b64 v[13:14], v[13:14]
	s_or_b32 exec_lo, exec_lo, s2
	s_delay_alu instid0(SALU_CYCLE_1)
	s_mov_b32 s2, exec_lo
	v_cmpx_gt_u32_e64 s19, v19
	s_cbranch_execnz .LBB763_18
	s_branch .LBB763_19
.LBB763_11:
	s_or_b32 exec_lo, exec_lo, s5
	s_delay_alu instid0(SALU_CYCLE_1)
	s_mov_b32 s2, exec_lo
	v_cmpx_gt_u32_e64 s19, v21
	s_cbranch_execz .LBB763_5
.LBB763_12:
	v_lshlrev_b32_e32 v3, 3, v21
	s_delay_alu instid0(VALU_DEP_1) | instskip(NEXT) | instid1(VALU_DEP_1)
	v_add_co_u32 v3, s5, s4, v3
	v_add_co_ci_u32_e64 v4, null, s3, 0, s5
	flat_load_b64 v[3:4], v[3:4]
	s_or_b32 exec_lo, exec_lo, s2
	s_delay_alu instid0(SALU_CYCLE_1)
	s_mov_b32 s2, exec_lo
	v_cmpx_gt_u32_e64 s19, v20
	s_cbranch_execnz .LBB763_6
.LBB763_13:
	s_or_b32 exec_lo, exec_lo, s2
	s_delay_alu instid0(SALU_CYCLE_1)
	s_mov_b32 s2, exec_lo
	v_cmpx_gt_u32_e64 s19, v23
	s_cbranch_execz .LBB763_7
.LBB763_14:
	v_lshlrev_b32_e32 v7, 3, v23
	s_delay_alu instid0(VALU_DEP_1) | instskip(NEXT) | instid1(VALU_DEP_1)
	v_add_co_u32 v7, s5, s4, v7
	v_add_co_ci_u32_e64 v8, null, s3, 0, s5
	flat_load_b64 v[7:8], v[7:8]
	s_or_b32 exec_lo, exec_lo, s2
	s_delay_alu instid0(SALU_CYCLE_1)
	s_mov_b32 s2, exec_lo
	v_cmpx_gt_u32_e64 s19, v22
	s_cbranch_execnz .LBB763_8
.LBB763_15:
	s_or_b32 exec_lo, exec_lo, s2
	s_delay_alu instid0(SALU_CYCLE_1)
	s_mov_b32 s2, exec_lo
	v_cmpx_gt_u32_e64 s19, v18
	s_cbranch_execz .LBB763_9
.LBB763_16:
	v_lshlrev_b32_e32 v11, 3, v18
	s_delay_alu instid0(VALU_DEP_1) | instskip(NEXT) | instid1(VALU_DEP_1)
	v_add_co_u32 v11, s5, s4, v11
	v_add_co_ci_u32_e64 v12, null, s3, 0, s5
	flat_load_b64 v[11:12], v[11:12]
	s_or_b32 exec_lo, exec_lo, s2
	s_delay_alu instid0(SALU_CYCLE_1)
	s_mov_b32 s2, exec_lo
	v_cmpx_gt_u32_e64 s19, v17
	s_cbranch_execnz .LBB763_10
.LBB763_17:
	s_or_b32 exec_lo, exec_lo, s2
	s_delay_alu instid0(SALU_CYCLE_1)
	s_mov_b32 s2, exec_lo
	v_cmpx_gt_u32_e64 s19, v19
	s_cbranch_execz .LBB763_19
.LBB763_18:
	v_lshlrev_b32_e32 v15, 3, v19
	s_delay_alu instid0(VALU_DEP_1) | instskip(NEXT) | instid1(VALU_DEP_1)
	v_add_co_u32 v15, s5, s4, v15
	v_add_co_ci_u32_e64 v16, null, s3, 0, s5
	flat_load_b64 v[15:16], v[15:16]
.LBB763_19:
	s_or_b32 exec_lo, exec_lo, s2
	v_lshrrev_b32_e32 v25, 2, v21
	v_lshrrev_b32_e32 v26, 2, v20
	;; [unrolled: 1-line block ×4, first 2 shown]
	v_and_b32_e32 v27, 0x78, v24
	v_lshrrev_b32_e32 v31, 2, v18
	v_lshrrev_b32_e32 v32, 2, v17
	;; [unrolled: 1-line block ×3, first 2 shown]
	v_and_b32_e32 v25, 0xf8, v25
	v_and_b32_e32 v26, 0x1f8, v26
	;; [unrolled: 1-line block ×4, first 2 shown]
	v_add_nc_u32_e32 v27, v27, v29
	v_and_b32_e32 v31, 0x3f8, v31
	v_and_b32_e32 v32, 0x3f8, v32
	;; [unrolled: 1-line block ×3, first 2 shown]
	v_add_nc_u32_e32 v25, v25, v29
	v_add_nc_u32_e32 v26, v26, v29
	;; [unrolled: 1-line block ×7, first 2 shown]
	s_waitcnt vmcnt(0) lgkmcnt(0)
	ds_store_b64 v27, v[1:2]
	ds_store_b64 v25, v[3:4] offset:4096
	ds_store_b64 v26, v[5:6] offset:8192
	;; [unrolled: 1-line block ×7, first 2 shown]
	s_waitcnt lgkmcnt(0)
	s_barrier
.LBB763_20:
	v_add_nc_u32_e32 v24, v24, v29
	s_waitcnt lgkmcnt(0)
	buffer_gl0_inv
	s_lshl_b64 s[22:23], s[6:7], 2
	v_lshrrev_b32_e32 v26, 3, v0
	s_add_u32 s2, s12, s22
	v_lshlrev_b32_e32 v25, 3, v24
	s_addc_u32 s5, s13, s23
	s_lshl_b64 s[8:9], s[8:9], 2
	ds_load_2addr_b64 v[13:16], v25 offset1:1
	ds_load_2addr_b64 v[9:12], v25 offset0:2 offset1:3
	ds_load_2addr_b64 v[5:8], v25 offset0:4 offset1:5
	;; [unrolled: 1-line block ×3, first 2 shown]
	s_add_u32 s2, s2, s8
	s_addc_u32 s5, s5, s9
	s_and_b32 vcc_lo, exec_lo, s18
	s_mov_b32 s8, -1
	s_waitcnt lgkmcnt(0)
	s_barrier
	buffer_gl0_inv
	s_cbranch_vccz .LBB763_22
; %bb.21:
	v_lshlrev_b32_e32 v36, 2, v0
	v_lshrrev_b32_e32 v38, 3, v21
	v_lshrrev_b32_e32 v39, 3, v20
	;; [unrolled: 1-line block ×4, first 2 shown]
	v_add_co_u32 v27, s8, s2, v36
	s_delay_alu instid0(VALU_DEP_1) | instskip(SKIP_1) | instid1(VALU_DEP_3)
	v_add_co_ci_u32_e64 v28, null, s5, 0, s8
	v_lshrrev_b32_e32 v42, 3, v18
	v_add_co_u32 v30, vcc_lo, 0x1000, v27
	s_delay_alu instid0(VALU_DEP_3)
	v_add_co_ci_u32_e32 v31, vcc_lo, 0, v28, vcc_lo
	v_add_co_u32 v32, vcc_lo, 0x2000, v27
	v_add_co_ci_u32_e32 v33, vcc_lo, 0, v28, vcc_lo
	v_add_co_u32 v34, vcc_lo, 0x3000, v27
	v_add_co_ci_u32_e32 v35, vcc_lo, 0, v28, vcc_lo
	s_clause 0x7
	flat_load_b32 v37, v[27:28]
	flat_load_b32 v27, v[27:28] offset:2048
	flat_load_b32 v28, v[30:31]
	flat_load_b32 v30, v[30:31] offset:2048
	;; [unrolled: 2-line block ×4, first 2 shown]
	v_and_b32_e32 v35, 60, v26
	v_lshrrev_b32_e32 v43, 3, v17
	v_lshrrev_b32_e32 v44, 3, v19
	v_and_b32_e32 v38, 0x7c, v38
	v_and_b32_e32 v39, 0xbc, v39
	v_and_b32_e32 v40, 0xfc, v40
	v_and_b32_e32 v41, 0x13c, v41
	v_add_nc_u32_e32 v35, v35, v36
	v_and_b32_e32 v42, 0x17c, v42
	v_and_b32_e32 v43, 0x1bc, v43
	;; [unrolled: 1-line block ×3, first 2 shown]
	v_add_nc_u32_e32 v38, v38, v36
	v_add_nc_u32_e32 v39, v39, v36
	;; [unrolled: 1-line block ×4, first 2 shown]
	s_mov_b32 s8, 0
	v_add_nc_u32_e32 v42, v42, v36
	v_add_nc_u32_e32 v43, v43, v36
	v_add_nc_u32_e32 v36, v44, v36
	s_waitcnt vmcnt(7) lgkmcnt(7)
	ds_store_b32 v35, v37
	s_waitcnt vmcnt(6) lgkmcnt(7)
	ds_store_b32 v38, v27 offset:2048
	s_waitcnt vmcnt(5) lgkmcnt(7)
	ds_store_b32 v39, v28 offset:4096
	;; [unrolled: 2-line block ×7, first 2 shown]
	s_waitcnt lgkmcnt(0)
	s_barrier
.LBB763_22:
	s_and_not1_b32 vcc_lo, exec_lo, s8
	s_cbranch_vccnz .LBB763_40
; %bb.23:
	s_mov_b32 s8, exec_lo
                                        ; implicit-def: $vgpr27
	v_cmpx_gt_u32_e64 s19, v0
	s_cbranch_execz .LBB763_25
; %bb.24:
	v_lshlrev_b32_e32 v27, 2, v0
	s_delay_alu instid0(VALU_DEP_1) | instskip(NEXT) | instid1(VALU_DEP_1)
	v_add_co_u32 v27, s9, s2, v27
	v_add_co_ci_u32_e64 v28, null, s5, 0, s9
	flat_load_b32 v27, v[27:28]
.LBB763_25:
	s_or_b32 exec_lo, exec_lo, s8
	s_delay_alu instid0(SALU_CYCLE_1)
	s_mov_b32 s8, exec_lo
                                        ; implicit-def: $vgpr28
	v_cmpx_gt_u32_e64 s19, v21
	s_cbranch_execz .LBB763_27
; %bb.26:
	v_lshlrev_b32_e32 v28, 2, v0
	s_delay_alu instid0(VALU_DEP_1) | instskip(NEXT) | instid1(VALU_DEP_1)
	v_add_co_u32 v30, s9, s2, v28
	v_add_co_ci_u32_e64 v31, null, s5, 0, s9
	flat_load_b32 v28, v[30:31] offset:2048
.LBB763_27:
	s_or_b32 exec_lo, exec_lo, s8
	s_delay_alu instid0(SALU_CYCLE_1)
	s_mov_b32 s8, exec_lo
                                        ; implicit-def: $vgpr30
	v_cmpx_gt_u32_e64 s19, v20
	s_cbranch_execz .LBB763_29
; %bb.28:
	v_lshlrev_b32_e32 v30, 2, v20
	s_delay_alu instid0(VALU_DEP_1) | instskip(NEXT) | instid1(VALU_DEP_1)
	v_add_co_u32 v30, s9, s2, v30
	v_add_co_ci_u32_e64 v31, null, s5, 0, s9
	flat_load_b32 v30, v[30:31]
.LBB763_29:
	s_or_b32 exec_lo, exec_lo, s8
	s_delay_alu instid0(SALU_CYCLE_1)
	s_mov_b32 s8, exec_lo
                                        ; implicit-def: $vgpr31
	v_cmpx_gt_u32_e64 s19, v23
	s_cbranch_execz .LBB763_31
; %bb.30:
	v_lshlrev_b32_e32 v31, 2, v23
	s_delay_alu instid0(VALU_DEP_1) | instskip(NEXT) | instid1(VALU_DEP_1)
	v_add_co_u32 v31, s9, s2, v31
	v_add_co_ci_u32_e64 v32, null, s5, 0, s9
	flat_load_b32 v31, v[31:32]
.LBB763_31:
	s_or_b32 exec_lo, exec_lo, s8
	s_delay_alu instid0(SALU_CYCLE_1)
	s_mov_b32 s8, exec_lo
                                        ; implicit-def: $vgpr32
	v_cmpx_gt_u32_e64 s19, v22
	s_cbranch_execz .LBB763_33
; %bb.32:
	v_lshlrev_b32_e32 v32, 2, v22
	s_delay_alu instid0(VALU_DEP_1) | instskip(NEXT) | instid1(VALU_DEP_1)
	v_add_co_u32 v32, s9, s2, v32
	v_add_co_ci_u32_e64 v33, null, s5, 0, s9
	flat_load_b32 v32, v[32:33]
.LBB763_33:
	s_or_b32 exec_lo, exec_lo, s8
	s_delay_alu instid0(SALU_CYCLE_1)
	s_mov_b32 s8, exec_lo
                                        ; implicit-def: $vgpr33
	v_cmpx_gt_u32_e64 s19, v18
	s_cbranch_execz .LBB763_35
; %bb.34:
	v_lshlrev_b32_e32 v33, 2, v18
	s_delay_alu instid0(VALU_DEP_1) | instskip(NEXT) | instid1(VALU_DEP_1)
	v_add_co_u32 v33, s9, s2, v33
	v_add_co_ci_u32_e64 v34, null, s5, 0, s9
	flat_load_b32 v33, v[33:34]
.LBB763_35:
	s_or_b32 exec_lo, exec_lo, s8
	s_delay_alu instid0(SALU_CYCLE_1)
	s_mov_b32 s8, exec_lo
                                        ; implicit-def: $vgpr34
	v_cmpx_gt_u32_e64 s19, v17
	s_cbranch_execz .LBB763_37
; %bb.36:
	v_lshlrev_b32_e32 v34, 2, v17
	s_delay_alu instid0(VALU_DEP_1) | instskip(NEXT) | instid1(VALU_DEP_1)
	v_add_co_u32 v34, s9, s2, v34
	v_add_co_ci_u32_e64 v35, null, s5, 0, s9
	flat_load_b32 v34, v[34:35]
.LBB763_37:
	s_or_b32 exec_lo, exec_lo, s8
	s_delay_alu instid0(SALU_CYCLE_1)
	s_mov_b32 s8, exec_lo
                                        ; implicit-def: $vgpr35
	v_cmpx_gt_u32_e64 s19, v19
	s_cbranch_execz .LBB763_39
; %bb.38:
	v_lshlrev_b32_e32 v35, 2, v19
	s_delay_alu instid0(VALU_DEP_1) | instskip(NEXT) | instid1(VALU_DEP_1)
	v_add_co_u32 v35, s2, s2, v35
	v_add_co_ci_u32_e64 v36, null, s5, 0, s2
	flat_load_b32 v35, v[35:36]
.LBB763_39:
	s_or_b32 exec_lo, exec_lo, s8
	v_lshrrev_b32_e32 v21, 3, v21
	v_lshrrev_b32_e32 v20, 3, v20
	;; [unrolled: 1-line block ×4, first 2 shown]
	v_and_b32_e32 v26, 60, v26
	v_lshlrev_b32_e32 v36, 2, v0
	v_lshrrev_b32_e32 v18, 3, v18
	v_lshrrev_b32_e32 v17, 3, v17
	;; [unrolled: 1-line block ×3, first 2 shown]
	v_and_b32_e32 v21, 0x7c, v21
	v_and_b32_e32 v20, 0xfc, v20
	;; [unrolled: 1-line block ×4, first 2 shown]
	v_add_nc_u32_e32 v26, v26, v36
	v_and_b32_e32 v18, 0x1fc, v18
	v_and_b32_e32 v17, 0x1fc, v17
	;; [unrolled: 1-line block ×3, first 2 shown]
	v_add_nc_u32_e32 v21, v21, v36
	v_add_nc_u32_e32 v20, v20, v36
	;; [unrolled: 1-line block ×7, first 2 shown]
	s_waitcnt vmcnt(0) lgkmcnt(0)
	ds_store_b32 v26, v27
	ds_store_b32 v21, v28 offset:2048
	ds_store_b32 v20, v30 offset:4096
	ds_store_b32 v23, v31 offset:6144
	ds_store_b32 v22, v32 offset:8192
	ds_store_b32 v18, v33 offset:10240
	ds_store_b32 v17, v34 offset:12288
	ds_store_b32 v19, v35 offset:14336
	s_waitcnt lgkmcnt(0)
	s_barrier
.LBB763_40:
	v_lshlrev_b32_e32 v17, 2, v24
	buffer_gl0_inv
	s_cmp_lg_u32 s15, 0
	s_mov_b32 s12, 0
	s_cselect_b32 s9, -1, 0
	v_sub_nc_u32_e32 v17, v25, v17
	s_cmp_lg_u64 s[6:7], 0
	ds_load_2addr_b32 v[23:24], v17 offset1:1
	ds_load_2addr_b32 v[21:22], v17 offset0:2 offset1:3
	ds_load_2addr_b32 v[19:20], v17 offset0:4 offset1:5
	;; [unrolled: 1-line block ×3, first 2 shown]
	s_cselect_b32 s2, -1, 0
	s_waitcnt lgkmcnt(0)
	s_or_b32 s2, s9, s2
	s_barrier
	s_and_b32 vcc_lo, exec_lo, s2
	buffer_gl0_inv
	s_cbranch_vccz .LBB763_45
; %bb.41:
	v_add_co_u32 v25, s2, -8, s4
	s_delay_alu instid0(VALU_DEP_1)
	v_add_co_ci_u32_e64 v26, null, -1, s3, s2
	s_mov_b32 s3, -1
	s_and_b32 vcc_lo, exec_lo, s18
	flat_load_b64 v[27:28], v[25:26]
	ds_store_b64 v29, v[3:4]
	s_cbranch_vccz .LBB763_46
; %bb.42:
	s_waitcnt vmcnt(0) lgkmcnt(1)
	v_dual_mov_b32 v25, v27 :: v_dual_mov_b32 v26, v28
	s_mov_b32 s3, 0
	s_mov_b32 s2, exec_lo
	s_waitcnt lgkmcnt(0)
	s_barrier
	buffer_gl0_inv
	v_cmpx_ne_u32_e32 0, v0
	s_cbranch_execz .LBB763_44
; %bb.43:
	v_add_nc_u32_e32 v25, -8, v29
	ds_load_b64 v[25:26], v25
.LBB763_44:
	s_or_b32 exec_lo, exec_lo, s2
	v_cmp_ne_u64_e32 vcc_lo, v[1:2], v[3:4]
	s_waitcnt lgkmcnt(0)
	v_cmp_ne_u64_e64 s2, v[25:26], v[13:14]
	v_cndmask_b32_e64 v30, 0, 1, vcc_lo
	v_cmp_ne_u64_e32 vcc_lo, v[7:8], v[1:2]
	s_delay_alu instid0(VALU_DEP_2) | instskip(SKIP_2) | instid1(VALU_DEP_2)
	v_lshlrev_b16 v30, 8, v30
	v_cndmask_b32_e64 v31, 0, 1, vcc_lo
	v_cmp_ne_u64_e32 vcc_lo, v[5:6], v[7:8]
	v_or_b32_e32 v30, v31, v30
	v_cndmask_b32_e64 v32, 0, 1, vcc_lo
	v_cmp_ne_u64_e32 vcc_lo, v[9:10], v[11:12]
	s_delay_alu instid0(VALU_DEP_3) | instskip(NEXT) | instid1(VALU_DEP_3)
	v_lshlrev_b32_e32 v30, 16, v30
	v_lshlrev_b16 v32, 8, v32
	v_cndmask_b32_e64 v33, 0, 1, vcc_lo
	v_cmp_ne_u64_e32 vcc_lo, v[11:12], v[5:6]
	s_delay_alu instid0(VALU_DEP_2) | instskip(SKIP_2) | instid1(VALU_DEP_2)
	v_lshlrev_b16 v33, 8, v33
	v_cndmask_b32_e64 v34, 0, 1, vcc_lo
	v_cmp_ne_u64_e32 vcc_lo, v[15:16], v[9:10]
	v_or_b32_e32 v32, v34, v32
	v_cndmask_b32_e64 v35, 0, 1, vcc_lo
	v_cmp_ne_u64_e32 vcc_lo, v[13:14], v[15:16]
	s_delay_alu instid0(VALU_DEP_3) | instskip(NEXT) | instid1(VALU_DEP_3)
	v_and_b32_e32 v32, 0xffff, v32
	v_or_b32_e32 v33, v35, v33
	v_cndmask_b32_e64 v36, 0, 1, vcc_lo
	s_delay_alu instid0(VALU_DEP_3) | instskip(NEXT) | instid1(VALU_DEP_3)
	v_or_b32_e32 v26, v32, v30
	v_lshlrev_b32_e32 v31, 16, v33
	s_delay_alu instid0(VALU_DEP_3) | instskip(NEXT) | instid1(VALU_DEP_1)
	v_lshlrev_b16 v35, 8, v36
	v_and_b32_e32 v33, 0xffff, v35
	s_delay_alu instid0(VALU_DEP_1)
	v_or_b32_e32 v25, v33, v31
	s_and_b32 vcc_lo, exec_lo, s3
	s_cbranch_vccnz .LBB763_47
	s_branch .LBB763_50
.LBB763_45:
                                        ; implicit-def: $sgpr2
                                        ; implicit-def: $vgpr26
	s_branch .LBB763_51
.LBB763_46:
                                        ; implicit-def: $sgpr2
                                        ; implicit-def: $vgpr26
	s_and_b32 vcc_lo, exec_lo, s3
	s_cbranch_vccz .LBB763_50
.LBB763_47:
	s_mov_b32 s2, exec_lo
	s_waitcnt vmcnt(0) lgkmcnt(0)
	s_barrier
	buffer_gl0_inv
	v_cmpx_ne_u32_e32 0, v0
	s_cbranch_execz .LBB763_49
; %bb.48:
	v_add_nc_u32_e32 v25, -8, v29
	ds_load_b64 v[27:28], v25
.LBB763_49:
	s_or_b32 exec_lo, exec_lo, s2
	v_or_b32_e32 v25, 7, v29
	v_or_b32_e32 v26, 6, v29
	v_cmp_ne_u64_e32 vcc_lo, v[1:2], v[3:4]
	v_or_b32_e32 v30, 5, v29
	v_cmp_ne_u64_e64 s3, v[7:8], v[1:2]
	v_cmp_gt_u32_e64 s2, s19, v25
	v_cmp_gt_u32_e64 s4, s19, v26
	v_cmp_ne_u64_e64 s5, v[5:6], v[7:8]
	v_cmp_gt_u32_e64 s6, s19, v30
	v_or_b32_e32 v30, 3, v29
	s_and_b32 s2, s2, vcc_lo
	v_or_b32_e32 v31, 4, v29
	v_cndmask_b32_e64 v25, 0, 1, s2
	s_and_b32 s2, s4, s3
	v_cmp_ne_u64_e32 vcc_lo, v[9:10], v[11:12]
	v_cndmask_b32_e64 v26, 0, 1, s2
	s_and_b32 s2, s6, s5
	v_cmp_gt_u32_e64 s3, s19, v31
	v_cndmask_b32_e64 v32, 0, 1, s2
	v_cmp_gt_u32_e64 s2, s19, v30
	v_or_b32_e32 v30, 2, v29
	v_or_b32_e32 v31, 1, v29
	v_cmp_ne_u64_e64 s4, v[11:12], v[5:6]
	v_cmp_ne_u64_e64 s6, v[13:14], v[15:16]
	s_and_b32 s2, s2, vcc_lo
	v_cmp_ne_u64_e32 vcc_lo, v[15:16], v[9:10]
	v_cndmask_b32_e64 v33, 0, 1, s2
	v_cmp_gt_u32_e64 s2, s19, v30
	v_cmp_gt_u32_e64 s5, s19, v31
	s_and_b32 s3, s3, s4
	v_lshlrev_b16 v32, 8, v32
	v_cndmask_b32_e64 v30, 0, 1, s3
	s_and_b32 s2, s2, vcc_lo
	v_lshlrev_b16 v33, 8, v33
	v_cndmask_b32_e64 v31, 0, 1, s2
	s_and_b32 s2, s5, s6
	v_lshlrev_b16 v25, 8, v25
	v_cndmask_b32_e64 v34, 0, 1, s2
	v_or_b32_e32 v30, v30, v32
	v_or_b32_e32 v31, v31, v33
	s_waitcnt lgkmcnt(0)
	v_cmp_ne_u64_e32 vcc_lo, v[27:28], v[13:14]
	v_or_b32_e32 v25, v26, v25
	v_lshlrev_b16 v33, 8, v34
	v_and_b32_e32 v30, 0xffff, v30
	v_lshlrev_b32_e32 v26, 16, v31
	v_cmp_gt_u32_e64 s2, s19, v29
	v_lshlrev_b32_e32 v32, 16, v25
	v_and_b32_e32 v31, 0xffff, v33
	s_delay_alu instid0(VALU_DEP_3) | instskip(NEXT) | instid1(VALU_DEP_1)
	s_and_b32 s2, s2, vcc_lo
	v_or_b32_e32 v25, v31, v26
	s_delay_alu instid0(VALU_DEP_3)
	v_or_b32_e32 v26, v30, v32
.LBB763_50:
	s_mov_b32 s12, -1
	s_cbranch_execnz .LBB763_59
.LBB763_51:
	v_cmp_ne_u64_e64 s3, v[1:2], v[3:4]
	v_cmp_ne_u64_e64 s4, v[7:8], v[1:2]
	;; [unrolled: 1-line block ×7, first 2 shown]
	s_and_b32 vcc_lo, exec_lo, s18
	ds_store_b64 v29, v[3:4]
	s_cbranch_vccz .LBB763_55
; %bb.52:
	v_cndmask_b32_e64 v25, 0, 1, s3
	s_waitcnt vmcnt(0) lgkmcnt(2)
	v_cndmask_b32_e64 v27, 0, 1, s5
	v_cndmask_b32_e64 v30, 0, 1, s7
	;; [unrolled: 1-line block ×6, first 2 shown]
	v_lshlrev_b16 v27, 8, v27
	v_lshlrev_b16 v25, 8, v25
	;; [unrolled: 1-line block ×4, first 2 shown]
	s_mov_b32 s3, 0
	v_or_b32_e32 v27, v28, v27
	v_or_b32_e32 v25, v26, v25
	;; [unrolled: 1-line block ×4, first 2 shown]
	s_mov_b32 s4, exec_lo
	v_and_b32_e32 v27, 0xffff, v27
	v_lshlrev_b32_e32 v25, 16, v25
	v_lshlrev_b32_e32 v30, 16, v26
	v_and_b32_e32 v28, 0xffff, v28
	s_waitcnt lgkmcnt(0)
	s_barrier
	v_or_b32_e32 v26, v27, v25
	buffer_gl0_inv
	v_or_b32_e32 v25, v28, v30
                                        ; implicit-def: $sgpr2
	v_cmpx_ne_u32_e32 0, v0
	s_xor_b32 s4, exec_lo, s4
	s_cbranch_execz .LBB763_54
; %bb.53:
	v_add_nc_u32_e32 v27, -8, v29
	s_or_b32 s12, s12, exec_lo
	ds_load_b64 v[27:28], v27
	s_waitcnt lgkmcnt(0)
	v_cmp_ne_u64_e32 vcc_lo, v[27:28], v[13:14]
	s_and_b32 s2, vcc_lo, exec_lo
.LBB763_54:
	s_or_b32 exec_lo, exec_lo, s4
	s_delay_alu instid0(SALU_CYCLE_1)
	s_and_b32 vcc_lo, exec_lo, s3
	s_cbranch_vccnz .LBB763_56
	s_branch .LBB763_59
.LBB763_55:
                                        ; implicit-def: $sgpr2
                                        ; implicit-def: $vgpr26
	s_cbranch_execz .LBB763_59
.LBB763_56:
	v_or_b32_e32 v25, 7, v29
	v_or_b32_e32 v26, 6, v29
	v_cmp_ne_u64_e32 vcc_lo, v[1:2], v[3:4]
	v_cmp_ne_u64_e64 s2, v[7:8], v[1:2]
	s_waitcnt vmcnt(0) lgkmcnt(2)
	v_or_b32_e32 v27, 4, v29
	v_cmp_gt_u32_e64 s3, s19, v25
	v_or_b32_e32 v25, 5, v29
	v_cmp_gt_u32_e64 s5, s19, v26
	v_cmp_ne_u64_e64 s4, v[5:6], v[7:8]
	v_cmp_ne_u64_e64 s6, v[11:12], v[5:6]
	s_and_b32 s3, s3, vcc_lo
	v_cmp_gt_u32_e32 vcc_lo, s19, v25
	v_cndmask_b32_e64 v26, 0, 1, s3
	v_cmp_gt_u32_e64 s3, s19, v27
	s_and_b32 s2, s5, s2
	v_or_b32_e32 v28, 3, v29
	v_cndmask_b32_e64 v25, 0, 1, s2
	s_and_b32 s2, vcc_lo, s4
	v_or_b32_e32 v31, 1, v29
	v_cndmask_b32_e64 v27, 0, 1, s2
	s_and_b32 s2, s3, s6
	v_cmp_ne_u64_e32 vcc_lo, v[9:10], v[11:12]
	v_cndmask_b32_e64 v30, 0, 1, s2
	v_cmp_gt_u32_e64 s2, s19, v28
	v_cmp_ne_u64_e64 s3, v[13:14], v[15:16]
	v_or_b32_e32 v32, 2, v29
	v_cmp_gt_u32_e64 s4, s19, v31
	v_cmp_ne_u64_e64 s5, v[15:16], v[9:10]
	s_and_b32 s2, s2, vcc_lo
	v_lshlrev_b16 v27, 8, v27
	v_cmp_gt_u32_e64 s6, s19, v32
	v_cndmask_b32_e64 v28, 0, 1, s2
	s_and_b32 s2, s4, s3
	v_lshlrev_b16 v26, 8, v26
	v_cndmask_b32_e64 v31, 0, 1, s2
	s_and_b32 s2, s6, s5
	v_lshlrev_b16 v28, 8, v28
	v_cndmask_b32_e64 v32, 0, 1, s2
	v_or_b32_e32 v27, v30, v27
	v_lshlrev_b16 v31, 8, v31
	v_or_b32_e32 v25, v25, v26
	s_mov_b32 s3, exec_lo
	v_or_b32_e32 v26, v32, v28
	v_and_b32_e32 v27, 0xffff, v27
	v_or_b32_e32 v28, 1, v31
	v_lshlrev_b32_e32 v25, 16, v25
	s_waitcnt lgkmcnt(0)
	v_lshlrev_b32_e32 v30, 16, v26
	s_barrier
	v_and_b32_e32 v28, 0xffff, v28
	v_or_b32_e32 v26, v27, v25
	buffer_gl0_inv
                                        ; implicit-def: $sgpr2
	v_or_b32_e32 v25, v28, v30
	v_cmpx_ne_u32_e32 0, v0
	s_cbranch_execz .LBB763_58
; %bb.57:
	v_add_nc_u32_e32 v27, -8, v29
	v_cmp_gt_u32_e64 s2, s19, v29
	s_or_b32 s12, s12, exec_lo
	ds_load_b64 v[27:28], v27
	s_waitcnt lgkmcnt(0)
	v_cmp_ne_u64_e32 vcc_lo, v[27:28], v[13:14]
	s_and_b32 s2, s2, vcc_lo
	s_delay_alu instid0(SALU_CYCLE_1)
	s_and_b32 s2, s2, exec_lo
.LBB763_58:
	s_or_b32 exec_lo, exec_lo, s3
.LBB763_59:
	s_and_saveexec_b32 s3, s12
	s_cbranch_execz .LBB763_61
; %bb.60:
	s_waitcnt vmcnt(0) lgkmcnt(1)
	v_and_b32_e32 v27, 0xffffff00, v25
	v_cndmask_b32_e64 v28, 0, 1, s2
	s_delay_alu instid0(VALU_DEP_1) | instskip(NEXT) | instid1(VALU_DEP_1)
	v_or_b32_e32 v27, v28, v27
	v_and_b32_e32 v27, 0xffff, v27
	s_delay_alu instid0(VALU_DEP_1)
	v_and_or_b32 v25, 0xffff0000, v25, v27
.LBB763_61:
	s_or_b32 exec_lo, exec_lo, s3
	s_load_b64 s[12:13], s[0:1], 0x68
	s_and_not1_b32 vcc_lo, exec_lo, s20
	s_cbranch_vccnz .LBB763_63
; %bb.62:
	v_cmp_gt_u32_e32 vcc_lo, s19, v29
	s_waitcnt vmcnt(0) lgkmcnt(0)
	v_or_b32_e32 v28, 1, v29
	v_or_b32_e32 v31, 2, v29
	v_dual_cndmask_b32 v27, 0, v25 :: v_dual_and_b32 v30, 0xffffff00, v26
	s_delay_alu instid0(VALU_DEP_3) | instskip(SKIP_1) | instid1(VALU_DEP_4)
	v_cmp_gt_u32_e32 vcc_lo, s19, v28
	v_or_b32_e32 v28, 4, v29
	v_cmp_gt_u32_e64 s2, s19, v31
	v_or_b32_e32 v31, 3, v29
	v_and_b32_e32 v27, 0xff, v27
	s_delay_alu instid0(VALU_DEP_2) | instskip(NEXT) | instid1(VALU_DEP_2)
	v_cmp_gt_u32_e64 s3, s19, v31
	v_cndmask_b32_e32 v27, v27, v25, vcc_lo
	v_cmp_gt_u32_e32 vcc_lo, s19, v28
	v_cndmask_b32_e32 v28, v30, v26, vcc_lo
	v_or_b32_e32 v30, 5, v29
	s_delay_alu instid0(VALU_DEP_2) | instskip(SKIP_1) | instid1(VALU_DEP_1)
	v_and_b32_e32 v28, 0xffff00ff, v28
	v_and_b32_e32 v27, 0xffff, v27
	v_cndmask_b32_e64 v27, v27, v25, s2
	s_delay_alu instid0(VALU_DEP_4) | instskip(SKIP_2) | instid1(VALU_DEP_4)
	v_cmp_gt_u32_e64 s2, s19, v30
	v_or_b32_e32 v30, 6, v29
	v_or_b32_e32 v29, 7, v29
	v_and_b32_e32 v27, 0xffffff, v27
	s_delay_alu instid0(VALU_DEP_4) | instskip(NEXT) | instid1(VALU_DEP_2)
	v_cndmask_b32_e64 v28, v28, v26, s2
	v_cndmask_b32_e64 v27, v27, v25, s3
	s_delay_alu instid0(VALU_DEP_1) | instskip(SKIP_1) | instid1(VALU_DEP_2)
	v_dual_cndmask_b32 v27, v27, v25 :: v_dual_and_b32 v28, 0xff00ffff, v28
	v_cmp_gt_u32_e32 vcc_lo, s19, v30
	v_cndmask_b32_e64 v27, v27, v25, s2
	s_delay_alu instid0(VALU_DEP_1) | instskip(NEXT) | instid1(VALU_DEP_1)
	v_dual_cndmask_b32 v28, v28, v26 :: v_dual_cndmask_b32 v27, v27, v25
	v_and_b32_e32 v28, 0xffffff, v28
	v_cmp_gt_u32_e32 vcc_lo, s19, v29
	s_delay_alu instid0(VALU_DEP_2)
	v_dual_cndmask_b32 v26, v28, v26 :: v_dual_cndmask_b32 v25, v27, v25
.LBB763_63:
	s_delay_alu instid0(VALU_DEP_1) | instskip(SKIP_1) | instid1(VALU_DEP_2)
	v_and_b32_e32 v36, 0xff, v25
	s_waitcnt vmcnt(0) lgkmcnt(0)
	v_alignbit_b32 v27, v26, v25, 24
	v_bfe_u32 v38, v25, 8, 8
	v_bfe_u32 v40, v25, 16, 8
	v_and_b32_e32 v44, 0xff, v26
	v_bfe_u32 v46, v26, 8, 8
	v_and_b32_e32 v42, 0xff, v27
	v_add_nc_u32_e32 v27, v38, v36
	v_mbcnt_lo_u32_b32 v49, -1, 0
	v_bfe_u32 v48, v26, 16, 8
	v_lshrrev_b32_e32 v47, 24, v26
	v_lshrrev_b32_e32 v50, 5, v0
	v_add3_u32 v27, v27, v40, v42
	v_and_b32_e32 v28, 15, v49
	v_and_b32_e32 v29, 16, v49
	s_and_b32 vcc_lo, exec_lo, s9
	s_mov_b32 s19, -1
	v_add3_u32 v27, v27, v44, v46
	v_cmp_eq_u32_e64 s4, 0, v28
	v_cmp_lt_u32_e64 s2, 1, v28
	v_cmp_lt_u32_e64 s5, 3, v28
	;; [unrolled: 1-line block ×3, first 2 shown]
	v_add3_u32 v51, v27, v48, v47
	v_or_b32_e32 v27, 31, v0
	v_cmp_eq_u32_e64 s7, 0, v29
	s_barrier
	buffer_gl0_inv
	v_cmp_eq_u32_e64 s6, v27, v0
	s_cbranch_vccz .LBB763_89
; %bb.64:
	v_mov_b32_dpp v27, v51 row_shr:1 row_mask:0xf bank_mask:0xf
	s_delay_alu instid0(VALU_DEP_1) | instskip(NEXT) | instid1(VALU_DEP_1)
	v_cndmask_b32_e64 v27, v27, 0, s4
	v_add_nc_u32_e32 v27, v27, v51
	s_delay_alu instid0(VALU_DEP_1) | instskip(NEXT) | instid1(VALU_DEP_1)
	v_mov_b32_dpp v28, v27 row_shr:2 row_mask:0xf bank_mask:0xf
	v_cndmask_b32_e64 v28, 0, v28, s2
	s_delay_alu instid0(VALU_DEP_1) | instskip(NEXT) | instid1(VALU_DEP_1)
	v_add_nc_u32_e32 v27, v27, v28
	v_mov_b32_dpp v28, v27 row_shr:4 row_mask:0xf bank_mask:0xf
	s_delay_alu instid0(VALU_DEP_1) | instskip(NEXT) | instid1(VALU_DEP_1)
	v_cndmask_b32_e64 v28, 0, v28, s5
	v_add_nc_u32_e32 v27, v27, v28
	s_delay_alu instid0(VALU_DEP_1) | instskip(NEXT) | instid1(VALU_DEP_1)
	v_mov_b32_dpp v28, v27 row_shr:8 row_mask:0xf bank_mask:0xf
	v_cndmask_b32_e64 v28, 0, v28, s3
	s_delay_alu instid0(VALU_DEP_1) | instskip(SKIP_3) | instid1(VALU_DEP_1)
	v_add_nc_u32_e32 v27, v27, v28
	ds_swizzle_b32 v28, v27 offset:swizzle(BROADCAST,32,15)
	s_waitcnt lgkmcnt(0)
	v_cndmask_b32_e64 v28, v28, 0, s7
	v_add_nc_u32_e32 v27, v27, v28
	s_and_saveexec_b32 s8, s6
	s_cbranch_execz .LBB763_66
; %bb.65:
	v_lshlrev_b32_e32 v28, 2, v50
	ds_store_b32 v28, v27
.LBB763_66:
	s_or_b32 exec_lo, exec_lo, s8
	s_delay_alu instid0(SALU_CYCLE_1)
	s_mov_b32 s8, exec_lo
	s_waitcnt lgkmcnt(0)
	s_barrier
	buffer_gl0_inv
	v_cmpx_gt_u32_e32 16, v0
	s_cbranch_execz .LBB763_68
; %bb.67:
	v_lshlrev_b32_e32 v28, 2, v0
	ds_load_b32 v29, v28
	s_waitcnt lgkmcnt(0)
	v_mov_b32_dpp v30, v29 row_shr:1 row_mask:0xf bank_mask:0xf
	s_delay_alu instid0(VALU_DEP_1) | instskip(NEXT) | instid1(VALU_DEP_1)
	v_cndmask_b32_e64 v30, v30, 0, s4
	v_add_nc_u32_e32 v29, v30, v29
	s_delay_alu instid0(VALU_DEP_1) | instskip(NEXT) | instid1(VALU_DEP_1)
	v_mov_b32_dpp v30, v29 row_shr:2 row_mask:0xf bank_mask:0xf
	v_cndmask_b32_e64 v30, 0, v30, s2
	s_delay_alu instid0(VALU_DEP_1) | instskip(NEXT) | instid1(VALU_DEP_1)
	v_add_nc_u32_e32 v29, v29, v30
	v_mov_b32_dpp v30, v29 row_shr:4 row_mask:0xf bank_mask:0xf
	s_delay_alu instid0(VALU_DEP_1) | instskip(NEXT) | instid1(VALU_DEP_1)
	v_cndmask_b32_e64 v30, 0, v30, s5
	v_add_nc_u32_e32 v29, v29, v30
	s_delay_alu instid0(VALU_DEP_1) | instskip(NEXT) | instid1(VALU_DEP_1)
	v_mov_b32_dpp v30, v29 row_shr:8 row_mask:0xf bank_mask:0xf
	v_cndmask_b32_e64 v30, 0, v30, s3
	s_delay_alu instid0(VALU_DEP_1)
	v_add_nc_u32_e32 v29, v29, v30
	ds_store_b32 v28, v29
.LBB763_68:
	s_or_b32 exec_lo, exec_lo, s8
	v_cmp_gt_u32_e32 vcc_lo, 32, v0
	s_mov_b32 s9, exec_lo
	s_waitcnt lgkmcnt(0)
	s_barrier
	buffer_gl0_inv
                                        ; implicit-def: $vgpr35
	v_cmpx_lt_u32_e32 31, v0
	s_cbranch_execz .LBB763_70
; %bb.69:
	v_lshl_add_u32 v28, v50, 2, -4
	ds_load_b32 v35, v28
	s_waitcnt lgkmcnt(0)
	v_add_nc_u32_e32 v27, v35, v27
.LBB763_70:
	s_or_b32 exec_lo, exec_lo, s9
	v_add_nc_u32_e32 v28, -1, v49
	s_delay_alu instid0(VALU_DEP_1) | instskip(NEXT) | instid1(VALU_DEP_1)
	v_cmp_gt_i32_e64 s8, 0, v28
	v_cndmask_b32_e64 v28, v28, v49, s8
	v_cmp_eq_u32_e64 s8, 0, v49
	s_delay_alu instid0(VALU_DEP_2)
	v_lshlrev_b32_e32 v28, 2, v28
	ds_bpermute_b32 v37, v28, v27
	s_and_saveexec_b32 s9, vcc_lo
	s_cbranch_execz .LBB763_88
; %bb.71:
	v_mov_b32_e32 v31, 0
	ds_load_b32 v27, v31 offset:60
	s_and_saveexec_b32 s19, s8
	s_cbranch_execz .LBB763_73
; %bb.72:
	s_add_i32 s20, s15, 32
	s_mov_b32 s21, 0
	v_mov_b32_e32 v28, 1
	s_lshl_b64 s[20:21], s[20:21], 3
	s_delay_alu instid0(SALU_CYCLE_1)
	s_add_u32 s20, s12, s20
	s_addc_u32 s21, s13, s21
	s_waitcnt lgkmcnt(0)
	global_store_b64 v31, v[27:28], s[20:21]
.LBB763_73:
	s_or_b32 exec_lo, exec_lo, s19
	v_xad_u32 v29, v49, -1, s15
	s_mov_b32 s20, 0
	s_mov_b32 s19, exec_lo
	s_delay_alu instid0(VALU_DEP_1) | instskip(NEXT) | instid1(VALU_DEP_1)
	v_add_nc_u32_e32 v30, 32, v29
	v_lshlrev_b64 v[30:31], 3, v[30:31]
	s_delay_alu instid0(VALU_DEP_1) | instskip(NEXT) | instid1(VALU_DEP_2)
	v_add_co_u32 v33, vcc_lo, s12, v30
	v_add_co_ci_u32_e32 v34, vcc_lo, s13, v31, vcc_lo
	global_load_b64 v[31:32], v[33:34], off glc
	s_waitcnt vmcnt(0)
	v_and_b32_e32 v28, 0xff, v32
	s_delay_alu instid0(VALU_DEP_1)
	v_cmpx_eq_u16_e32 0, v28
	s_cbranch_execz .LBB763_76
.LBB763_74:                             ; =>This Inner Loop Header: Depth=1
	global_load_b64 v[31:32], v[33:34], off glc
	s_waitcnt vmcnt(0)
	v_and_b32_e32 v28, 0xff, v32
	s_delay_alu instid0(VALU_DEP_1) | instskip(SKIP_1) | instid1(SALU_CYCLE_1)
	v_cmp_ne_u16_e32 vcc_lo, 0, v28
	s_or_b32 s20, vcc_lo, s20
	s_and_not1_b32 exec_lo, exec_lo, s20
	s_cbranch_execnz .LBB763_74
; %bb.75:
	s_or_b32 exec_lo, exec_lo, s20
.LBB763_76:
	s_delay_alu instid0(SALU_CYCLE_1)
	s_or_b32 exec_lo, exec_lo, s19
	v_cmp_ne_u32_e32 vcc_lo, 31, v49
	v_lshlrev_b32_e64 v41, v49, -1
	v_add_nc_u32_e32 v45, 2, v49
	v_add_nc_u32_e32 v53, 4, v49
	;; [unrolled: 1-line block ×3, first 2 shown]
	v_add_co_ci_u32_e32 v28, vcc_lo, 0, v49, vcc_lo
	v_add_nc_u32_e32 v57, 16, v49
	s_delay_alu instid0(VALU_DEP_2)
	v_lshlrev_b32_e32 v39, 2, v28
	v_and_b32_e32 v28, 0xff, v32
	ds_bpermute_b32 v30, v39, v31
	v_cmp_eq_u16_e32 vcc_lo, 2, v28
	v_and_or_b32 v28, vcc_lo, v41, 0x80000000
	v_cmp_gt_u32_e32 vcc_lo, 30, v49
	s_delay_alu instid0(VALU_DEP_2) | instskip(SKIP_1) | instid1(VALU_DEP_2)
	v_ctz_i32_b32_e32 v28, v28
	v_cndmask_b32_e64 v33, 0, 1, vcc_lo
	v_cmp_lt_u32_e32 vcc_lo, v49, v28
	s_waitcnt lgkmcnt(0)
	s_delay_alu instid0(VALU_DEP_2) | instskip(NEXT) | instid1(VALU_DEP_1)
	v_dual_cndmask_b32 v30, 0, v30 :: v_dual_lshlrev_b32 v33, 1, v33
	v_add_lshl_u32 v43, v33, v49, 2
	v_cmp_gt_u32_e32 vcc_lo, 28, v49
	s_delay_alu instid0(VALU_DEP_3) | instskip(SKIP_4) | instid1(VALU_DEP_1)
	v_add_nc_u32_e32 v30, v30, v31
	v_cndmask_b32_e64 v33, 0, 1, vcc_lo
	v_cmp_le_u32_e32 vcc_lo, v45, v28
	ds_bpermute_b32 v31, v43, v30
	v_lshlrev_b32_e32 v33, 2, v33
	v_add_lshl_u32 v52, v33, v49, 2
	s_waitcnt lgkmcnt(0)
	v_cndmask_b32_e32 v31, 0, v31, vcc_lo
	v_cmp_gt_u32_e32 vcc_lo, 24, v49
	s_delay_alu instid0(VALU_DEP_2) | instskip(SKIP_4) | instid1(VALU_DEP_1)
	v_add_nc_u32_e32 v30, v30, v31
	v_cndmask_b32_e64 v33, 0, 1, vcc_lo
	v_cmp_le_u32_e32 vcc_lo, v53, v28
	ds_bpermute_b32 v31, v52, v30
	v_lshlrev_b32_e32 v33, 3, v33
	v_add_lshl_u32 v54, v33, v49, 2
	s_waitcnt lgkmcnt(0)
	v_cndmask_b32_e32 v31, 0, v31, vcc_lo
	v_cmp_gt_u32_e32 vcc_lo, 16, v49
	s_delay_alu instid0(VALU_DEP_2) | instskip(SKIP_4) | instid1(VALU_DEP_1)
	v_add_nc_u32_e32 v30, v30, v31
	v_cndmask_b32_e64 v33, 0, 1, vcc_lo
	v_cmp_le_u32_e32 vcc_lo, v55, v28
	ds_bpermute_b32 v31, v54, v30
	v_lshlrev_b32_e32 v33, 4, v33
	v_add_lshl_u32 v56, v33, v49, 2
	s_waitcnt lgkmcnt(0)
	v_cndmask_b32_e32 v31, 0, v31, vcc_lo
	v_cmp_le_u32_e32 vcc_lo, v57, v28
	s_delay_alu instid0(VALU_DEP_2) | instskip(SKIP_3) | instid1(VALU_DEP_1)
	v_add_nc_u32_e32 v30, v30, v31
	ds_bpermute_b32 v31, v56, v30
	s_waitcnt lgkmcnt(0)
	v_cndmask_b32_e32 v28, 0, v31, vcc_lo
	v_dual_mov_b32 v30, 0 :: v_dual_add_nc_u32 v31, v30, v28
	s_branch .LBB763_78
.LBB763_77:                             ;   in Loop: Header=BB763_78 Depth=1
	s_or_b32 exec_lo, exec_lo, s19
	ds_bpermute_b32 v34, v39, v31
	v_and_b32_e32 v33, 0xff, v32
	v_subrev_nc_u32_e32 v29, 32, v29
	s_delay_alu instid0(VALU_DEP_2) | instskip(SKIP_1) | instid1(VALU_DEP_1)
	v_cmp_eq_u16_e32 vcc_lo, 2, v33
	v_and_or_b32 v33, vcc_lo, v41, 0x80000000
	v_ctz_i32_b32_e32 v33, v33
	s_delay_alu instid0(VALU_DEP_1) | instskip(SKIP_3) | instid1(VALU_DEP_2)
	v_cmp_lt_u32_e32 vcc_lo, v49, v33
	s_waitcnt lgkmcnt(0)
	v_cndmask_b32_e32 v34, 0, v34, vcc_lo
	v_cmp_le_u32_e32 vcc_lo, v45, v33
	v_add_nc_u32_e32 v31, v34, v31
	ds_bpermute_b32 v34, v43, v31
	s_waitcnt lgkmcnt(0)
	v_cndmask_b32_e32 v34, 0, v34, vcc_lo
	v_cmp_le_u32_e32 vcc_lo, v53, v33
	s_delay_alu instid0(VALU_DEP_2) | instskip(SKIP_4) | instid1(VALU_DEP_2)
	v_add_nc_u32_e32 v31, v31, v34
	ds_bpermute_b32 v34, v52, v31
	s_waitcnt lgkmcnt(0)
	v_cndmask_b32_e32 v34, 0, v34, vcc_lo
	v_cmp_le_u32_e32 vcc_lo, v55, v33
	v_add_nc_u32_e32 v31, v31, v34
	ds_bpermute_b32 v34, v54, v31
	s_waitcnt lgkmcnt(0)
	v_cndmask_b32_e32 v34, 0, v34, vcc_lo
	v_cmp_le_u32_e32 vcc_lo, v57, v33
	s_delay_alu instid0(VALU_DEP_2) | instskip(SKIP_3) | instid1(VALU_DEP_1)
	v_add_nc_u32_e32 v31, v31, v34
	ds_bpermute_b32 v34, v56, v31
	s_waitcnt lgkmcnt(0)
	v_cndmask_b32_e32 v33, 0, v34, vcc_lo
	v_add3_u32 v31, v33, v28, v31
.LBB763_78:                             ; =>This Loop Header: Depth=1
                                        ;     Child Loop BB763_81 Depth 2
	v_and_b32_e32 v28, 0xff, v32
	s_delay_alu instid0(VALU_DEP_1) | instskip(SKIP_2) | instid1(VALU_DEP_1)
	v_cmp_ne_u16_e32 vcc_lo, 2, v28
	v_cndmask_b32_e64 v28, 0, 1, vcc_lo
	;;#ASMSTART
	;;#ASMEND
	v_cmp_ne_u32_e32 vcc_lo, 0, v28
	v_mov_b32_e32 v28, v31
	s_cmp_lg_u32 vcc_lo, exec_lo
	s_cbranch_scc1 .LBB763_83
; %bb.79:                               ;   in Loop: Header=BB763_78 Depth=1
	v_lshlrev_b64 v[31:32], 3, v[29:30]
	s_mov_b32 s19, exec_lo
	s_delay_alu instid0(VALU_DEP_1) | instskip(NEXT) | instid1(VALU_DEP_2)
	v_add_co_u32 v33, vcc_lo, s12, v31
	v_add_co_ci_u32_e32 v34, vcc_lo, s13, v32, vcc_lo
	global_load_b64 v[31:32], v[33:34], off glc
	s_waitcnt vmcnt(0)
	v_and_b32_e32 v58, 0xff, v32
	s_delay_alu instid0(VALU_DEP_1)
	v_cmpx_eq_u16_e32 0, v58
	s_cbranch_execz .LBB763_77
; %bb.80:                               ;   in Loop: Header=BB763_78 Depth=1
	s_mov_b32 s20, 0
.LBB763_81:                             ;   Parent Loop BB763_78 Depth=1
                                        ; =>  This Inner Loop Header: Depth=2
	global_load_b64 v[31:32], v[33:34], off glc
	s_waitcnt vmcnt(0)
	v_and_b32_e32 v58, 0xff, v32
	s_delay_alu instid0(VALU_DEP_1) | instskip(SKIP_1) | instid1(SALU_CYCLE_1)
	v_cmp_ne_u16_e32 vcc_lo, 0, v58
	s_or_b32 s20, vcc_lo, s20
	s_and_not1_b32 exec_lo, exec_lo, s20
	s_cbranch_execnz .LBB763_81
; %bb.82:                               ;   in Loop: Header=BB763_78 Depth=1
	s_or_b32 exec_lo, exec_lo, s20
	s_branch .LBB763_77
.LBB763_83:                             ;   in Loop: Header=BB763_78 Depth=1
                                        ; implicit-def: $vgpr31
                                        ; implicit-def: $vgpr32
	s_cbranch_execz .LBB763_78
; %bb.84:
	s_and_saveexec_b32 s19, s8
	s_cbranch_execz .LBB763_86
; %bb.85:
	s_add_i32 s20, s15, 32
	s_mov_b32 s21, 0
	v_dual_mov_b32 v30, 2 :: v_dual_add_nc_u32 v29, v28, v27
	s_lshl_b64 s[20:21], s[20:21], 3
	v_mov_b32_e32 v31, 0
	s_add_u32 s20, s12, s20
	s_addc_u32 s21, s13, s21
	global_store_b64 v31, v[29:30], s[20:21]
	ds_store_b64 v31, v[27:28] offset:33792
.LBB763_86:
	s_or_b32 exec_lo, exec_lo, s19
	v_cmp_eq_u32_e32 vcc_lo, 0, v0
	s_and_b32 exec_lo, exec_lo, vcc_lo
	s_cbranch_execz .LBB763_88
; %bb.87:
	v_mov_b32_e32 v27, 0
	ds_store_b32 v27, v28 offset:60
.LBB763_88:
	s_or_b32 exec_lo, exec_lo, s9
	v_mov_b32_e32 v27, 0
	s_waitcnt lgkmcnt(0)
	s_waitcnt_vscnt null, 0x0
	s_barrier
	buffer_gl0_inv
	v_cndmask_b32_e64 v29, v37, v35, s8
	ds_load_b32 v28, v27 offset:60
	v_cmp_ne_u32_e32 vcc_lo, 0, v0
	s_waitcnt lgkmcnt(0)
	s_barrier
	buffer_gl0_inv
	v_cndmask_b32_e32 v29, 0, v29, vcc_lo
	s_delay_alu instid0(VALU_DEP_1) | instskip(SKIP_2) | instid1(VALU_DEP_1)
	v_add_nc_u32_e32 v45, v28, v29
	ds_load_b64 v[27:28], v27 offset:33792
	v_add_nc_u32_e32 v43, v45, v36
	v_add_nc_u32_e32 v41, v43, v38
	s_delay_alu instid0(VALU_DEP_1) | instskip(NEXT) | instid1(VALU_DEP_1)
	v_add_nc_u32_e32 v39, v41, v40
	v_add_nc_u32_e32 v37, v39, v42
	s_delay_alu instid0(VALU_DEP_1) | instskip(NEXT) | instid1(VALU_DEP_1)
	v_add_nc_u32_e32 v35, v37, v44
	v_add_nc_u32_e32 v33, v35, v46
	s_delay_alu instid0(VALU_DEP_1)
	v_add_nc_u32_e32 v31, v33, v48
	s_load_b64 s[8:9], s[0:1], 0x38
	v_lshrrev_b64 v[29:30], 24, v[25:26]
	s_branch .LBB763_99
.LBB763_89:
                                        ; implicit-def: $vgpr31
                                        ; implicit-def: $vgpr33
                                        ; implicit-def: $vgpr35
                                        ; implicit-def: $vgpr37
                                        ; implicit-def: $vgpr39
                                        ; implicit-def: $vgpr41
                                        ; implicit-def: $vgpr43
                                        ; implicit-def: $vgpr45
                                        ; implicit-def: $vgpr28
	s_load_b64 s[8:9], s[0:1], 0x38
	v_lshrrev_b64 v[29:30], 24, v[25:26]
	s_and_b32 vcc_lo, exec_lo, s19
	s_cbranch_vccz .LBB763_99
; %bb.90:
	s_waitcnt lgkmcnt(0)
	v_mov_b32_dpp v27, v51 row_shr:1 row_mask:0xf bank_mask:0xf
	s_delay_alu instid0(VALU_DEP_1) | instskip(NEXT) | instid1(VALU_DEP_1)
	v_cndmask_b32_e64 v27, v27, 0, s4
	v_add_nc_u32_e32 v27, v27, v51
	s_delay_alu instid0(VALU_DEP_1) | instskip(NEXT) | instid1(VALU_DEP_1)
	v_mov_b32_dpp v28, v27 row_shr:2 row_mask:0xf bank_mask:0xf
	v_cndmask_b32_e64 v28, 0, v28, s2
	s_delay_alu instid0(VALU_DEP_1) | instskip(NEXT) | instid1(VALU_DEP_1)
	v_add_nc_u32_e32 v27, v27, v28
	v_mov_b32_dpp v28, v27 row_shr:4 row_mask:0xf bank_mask:0xf
	s_delay_alu instid0(VALU_DEP_1) | instskip(NEXT) | instid1(VALU_DEP_1)
	v_cndmask_b32_e64 v28, 0, v28, s5
	v_add_nc_u32_e32 v27, v27, v28
	s_delay_alu instid0(VALU_DEP_1) | instskip(NEXT) | instid1(VALU_DEP_1)
	v_mov_b32_dpp v28, v27 row_shr:8 row_mask:0xf bank_mask:0xf
	v_cndmask_b32_e64 v28, 0, v28, s3
	s_delay_alu instid0(VALU_DEP_1) | instskip(SKIP_3) | instid1(VALU_DEP_1)
	v_add_nc_u32_e32 v27, v27, v28
	ds_swizzle_b32 v28, v27 offset:swizzle(BROADCAST,32,15)
	s_waitcnt lgkmcnt(0)
	v_cndmask_b32_e64 v28, v28, 0, s7
	v_add_nc_u32_e32 v27, v27, v28
	s_and_saveexec_b32 s0, s6
	s_cbranch_execz .LBB763_92
; %bb.91:
	v_lshlrev_b32_e32 v28, 2, v50
	ds_store_b32 v28, v27
.LBB763_92:
	s_or_b32 exec_lo, exec_lo, s0
	s_delay_alu instid0(SALU_CYCLE_1)
	s_mov_b32 s0, exec_lo
	s_waitcnt lgkmcnt(0)
	s_barrier
	buffer_gl0_inv
	v_cmpx_gt_u32_e32 16, v0
	s_cbranch_execz .LBB763_94
; %bb.93:
	v_lshlrev_b32_e32 v28, 2, v0
	ds_load_b32 v30, v28
	s_waitcnt lgkmcnt(0)
	v_mov_b32_dpp v31, v30 row_shr:1 row_mask:0xf bank_mask:0xf
	s_delay_alu instid0(VALU_DEP_1) | instskip(NEXT) | instid1(VALU_DEP_1)
	v_cndmask_b32_e64 v31, v31, 0, s4
	v_add_nc_u32_e32 v30, v31, v30
	s_delay_alu instid0(VALU_DEP_1) | instskip(NEXT) | instid1(VALU_DEP_1)
	v_mov_b32_dpp v31, v30 row_shr:2 row_mask:0xf bank_mask:0xf
	v_cndmask_b32_e64 v31, 0, v31, s2
	s_delay_alu instid0(VALU_DEP_1) | instskip(NEXT) | instid1(VALU_DEP_1)
	v_add_nc_u32_e32 v30, v30, v31
	v_mov_b32_dpp v31, v30 row_shr:4 row_mask:0xf bank_mask:0xf
	s_delay_alu instid0(VALU_DEP_1) | instskip(NEXT) | instid1(VALU_DEP_1)
	v_cndmask_b32_e64 v31, 0, v31, s5
	v_add_nc_u32_e32 v30, v30, v31
	s_delay_alu instid0(VALU_DEP_1) | instskip(NEXT) | instid1(VALU_DEP_1)
	v_mov_b32_dpp v31, v30 row_shr:8 row_mask:0xf bank_mask:0xf
	v_cndmask_b32_e64 v31, 0, v31, s3
	s_delay_alu instid0(VALU_DEP_1)
	v_add_nc_u32_e32 v30, v30, v31
	ds_store_b32 v28, v30
.LBB763_94:
	s_or_b32 exec_lo, exec_lo, s0
	v_mov_b32_e32 v28, 0
	v_mov_b32_e32 v30, 0
	s_mov_b32 s0, exec_lo
	s_waitcnt lgkmcnt(0)
	s_barrier
	buffer_gl0_inv
	v_cmpx_lt_u32_e32 31, v0
	s_cbranch_execz .LBB763_96
; %bb.95:
	v_lshl_add_u32 v30, v50, 2, -4
	ds_load_b32 v30, v30
.LBB763_96:
	s_or_b32 exec_lo, exec_lo, s0
	v_add_nc_u32_e32 v31, -1, v49
	s_waitcnt lgkmcnt(0)
	v_add_nc_u32_e32 v27, v30, v27
	s_delay_alu instid0(VALU_DEP_2) | instskip(SKIP_2) | instid1(VALU_DEP_2)
	v_cmp_gt_i32_e32 vcc_lo, 0, v31
	v_cndmask_b32_e32 v31, v31, v49, vcc_lo
	v_cmp_eq_u32_e32 vcc_lo, 0, v0
	v_lshlrev_b32_e32 v31, 2, v31
	ds_bpermute_b32 v31, v31, v27
	ds_load_b32 v27, v28 offset:60
	s_and_saveexec_b32 s0, vcc_lo
	s_cbranch_execz .LBB763_98
; %bb.97:
	v_mov_b32_e32 v32, 0
	v_mov_b32_e32 v28, 2
	s_waitcnt lgkmcnt(0)
	global_store_b64 v32, v[27:28], s[12:13] offset:256
.LBB763_98:
	s_or_b32 exec_lo, exec_lo, s0
	v_cmp_eq_u32_e64 s0, 0, v49
	s_waitcnt lgkmcnt(0)
	s_waitcnt_vscnt null, 0x0
	s_barrier
	buffer_gl0_inv
	v_cndmask_b32_e64 v28, v31, v30, s0
	s_delay_alu instid0(VALU_DEP_1) | instskip(NEXT) | instid1(VALU_DEP_1)
	v_cndmask_b32_e64 v45, v28, 0, vcc_lo
	v_dual_mov_b32 v28, 0 :: v_dual_add_nc_u32 v43, v45, v36
	s_delay_alu instid0(VALU_DEP_1) | instskip(NEXT) | instid1(VALU_DEP_1)
	v_add_nc_u32_e32 v41, v43, v38
	v_add_nc_u32_e32 v39, v41, v40
	s_delay_alu instid0(VALU_DEP_1) | instskip(NEXT) | instid1(VALU_DEP_1)
	v_add_nc_u32_e32 v37, v39, v42
	v_add_nc_u32_e32 v35, v37, v44
	;; [unrolled: 3-line block ×3, first 2 shown]
.LBB763_99:
	v_lshrrev_b32_e32 v50, 8, v25
	v_lshrrev_b32_e32 v49, 16, v25
	v_and_b32_e32 v25, 1, v25
	s_waitcnt lgkmcnt(0)
	v_cmp_gt_u32_e64 s0, 0x201, v27
	v_lshrrev_b32_e32 v48, 8, v26
	v_lshrrev_b32_e32 v30, 16, v26
	v_cmp_eq_u32_e64 s1, 1, v25
	s_delay_alu instid0(VALU_DEP_4)
	s_and_b32 vcc_lo, exec_lo, s0
	s_cbranch_vccnz .LBB763_117
; %bb.100:
	s_delay_alu instid0(VALU_DEP_1)
	s_and_saveexec_b32 s2, s1
	s_cbranch_execz .LBB763_102
; %bb.101:
	v_sub_nc_u32_e32 v32, v45, v28
	s_delay_alu instid0(VALU_DEP_1)
	v_lshlrev_b32_e32 v32, 3, v32
	ds_store_b64 v32, v[13:14]
.LBB763_102:
	s_or_b32 exec_lo, exec_lo, s2
	v_and_b32_e32 v13, 1, v50
	s_mov_b32 s1, exec_lo
	s_delay_alu instid0(VALU_DEP_1)
	v_cmpx_eq_u32_e32 1, v13
	s_cbranch_execz .LBB763_104
; %bb.103:
	v_sub_nc_u32_e32 v13, v43, v28
	s_delay_alu instid0(VALU_DEP_1)
	v_lshlrev_b32_e32 v13, 3, v13
	ds_store_b64 v13, v[15:16]
.LBB763_104:
	s_or_b32 exec_lo, exec_lo, s1
	v_and_b32_e32 v13, 1, v49
	s_mov_b32 s1, exec_lo
	s_delay_alu instid0(VALU_DEP_1)
	v_cmpx_eq_u32_e32 1, v13
	;; [unrolled: 12-line block ×7, first 2 shown]
	s_cbranch_execz .LBB763_116
; %bb.115:
	v_sub_nc_u32_e32 v1, v31, v28
	s_delay_alu instid0(VALU_DEP_1)
	v_lshlrev_b32_e32 v1, 3, v1
	ds_store_b64 v1, v[3:4]
.LBB763_116:
	s_or_b32 exec_lo, exec_lo, s1
	s_waitcnt lgkmcnt(0)
	s_barrier
	buffer_gl0_inv
.LBB763_117:
	s_and_b32 vcc_lo, exec_lo, s0
	s_mov_b32 s0, -1
	s_barrier
	buffer_gl0_inv
	s_cbranch_vccz .LBB763_145
; %bb.118:
	v_add_nc_u32_e32 v1, v28, v27
	s_lshl_b64 s[0:1], s[10:11], 2
	s_delay_alu instid0(SALU_CYCLE_1) | instskip(SKIP_1) | instid1(VALU_DEP_1)
	s_add_u32 s0, s8, s0
	s_addc_u32 s1, s9, s1
	v_cmp_lt_u32_e32 vcc_lo, v45, v1
	s_or_b32 s3, s18, vcc_lo
	s_delay_alu instid0(SALU_CYCLE_1)
	s_and_saveexec_b32 s2, s3
	s_cbranch_execz .LBB763_121
; %bb.119:
	v_cmp_eq_u32_e32 vcc_lo, 1, v25
	s_and_b32 exec_lo, exec_lo, vcc_lo
	s_cbranch_execz .LBB763_121
; %bb.120:
	v_mov_b32_e32 v46, 0
	s_delay_alu instid0(VALU_DEP_1) | instskip(NEXT) | instid1(VALU_DEP_1)
	v_lshlrev_b64 v[2:3], 2, v[45:46]
	v_add_co_u32 v2, vcc_lo, s0, v2
	s_delay_alu instid0(VALU_DEP_2)
	v_add_co_ci_u32_e32 v3, vcc_lo, s1, v3, vcc_lo
	global_store_b32 v[2:3], v23, off
.LBB763_121:
	s_or_b32 exec_lo, exec_lo, s2
	v_cmp_lt_u32_e32 vcc_lo, v43, v1
	s_or_b32 s3, s18, vcc_lo
	s_delay_alu instid0(SALU_CYCLE_1)
	s_and_saveexec_b32 s2, s3
	s_cbranch_execz .LBB763_124
; %bb.122:
	v_and_b32_e32 v2, 1, v50
	s_delay_alu instid0(VALU_DEP_1)
	v_cmp_eq_u32_e32 vcc_lo, 1, v2
	s_and_b32 exec_lo, exec_lo, vcc_lo
	s_cbranch_execz .LBB763_124
; %bb.123:
	v_mov_b32_e32 v44, 0
	s_delay_alu instid0(VALU_DEP_1) | instskip(NEXT) | instid1(VALU_DEP_1)
	v_lshlrev_b64 v[2:3], 2, v[43:44]
	v_add_co_u32 v2, vcc_lo, s0, v2
	s_delay_alu instid0(VALU_DEP_2)
	v_add_co_ci_u32_e32 v3, vcc_lo, s1, v3, vcc_lo
	global_store_b32 v[2:3], v24, off
.LBB763_124:
	s_or_b32 exec_lo, exec_lo, s2
	v_cmp_lt_u32_e32 vcc_lo, v41, v1
	s_or_b32 s3, s18, vcc_lo
	s_delay_alu instid0(SALU_CYCLE_1)
	s_and_saveexec_b32 s2, s3
	s_cbranch_execz .LBB763_127
; %bb.125:
	v_and_b32_e32 v2, 1, v49
	s_delay_alu instid0(VALU_DEP_1)
	v_cmp_eq_u32_e32 vcc_lo, 1, v2
	s_and_b32 exec_lo, exec_lo, vcc_lo
	s_cbranch_execz .LBB763_127
; %bb.126:
	v_mov_b32_e32 v42, 0
	s_delay_alu instid0(VALU_DEP_1) | instskip(NEXT) | instid1(VALU_DEP_1)
	v_lshlrev_b64 v[2:3], 2, v[41:42]
	v_add_co_u32 v2, vcc_lo, s0, v2
	s_delay_alu instid0(VALU_DEP_2)
	v_add_co_ci_u32_e32 v3, vcc_lo, s1, v3, vcc_lo
	global_store_b32 v[2:3], v21, off
.LBB763_127:
	s_or_b32 exec_lo, exec_lo, s2
	v_cmp_lt_u32_e32 vcc_lo, v39, v1
	s_or_b32 s3, s18, vcc_lo
	s_delay_alu instid0(SALU_CYCLE_1)
	s_and_saveexec_b32 s2, s3
	s_cbranch_execz .LBB763_130
; %bb.128:
	v_and_b32_e32 v2, 1, v29
	s_delay_alu instid0(VALU_DEP_1)
	v_cmp_eq_u32_e32 vcc_lo, 1, v2
	s_and_b32 exec_lo, exec_lo, vcc_lo
	s_cbranch_execz .LBB763_130
; %bb.129:
	v_mov_b32_e32 v40, 0
	s_delay_alu instid0(VALU_DEP_1) | instskip(NEXT) | instid1(VALU_DEP_1)
	v_lshlrev_b64 v[2:3], 2, v[39:40]
	v_add_co_u32 v2, vcc_lo, s0, v2
	s_delay_alu instid0(VALU_DEP_2)
	v_add_co_ci_u32_e32 v3, vcc_lo, s1, v3, vcc_lo
	global_store_b32 v[2:3], v22, off
.LBB763_130:
	s_or_b32 exec_lo, exec_lo, s2
	v_cmp_lt_u32_e32 vcc_lo, v37, v1
	s_or_b32 s3, s18, vcc_lo
	s_delay_alu instid0(SALU_CYCLE_1)
	s_and_saveexec_b32 s2, s3
	s_cbranch_execz .LBB763_133
; %bb.131:
	v_and_b32_e32 v2, 1, v26
	s_delay_alu instid0(VALU_DEP_1)
	v_cmp_eq_u32_e32 vcc_lo, 1, v2
	s_and_b32 exec_lo, exec_lo, vcc_lo
	s_cbranch_execz .LBB763_133
; %bb.132:
	v_mov_b32_e32 v38, 0
	s_delay_alu instid0(VALU_DEP_1) | instskip(NEXT) | instid1(VALU_DEP_1)
	v_lshlrev_b64 v[2:3], 2, v[37:38]
	v_add_co_u32 v2, vcc_lo, s0, v2
	s_delay_alu instid0(VALU_DEP_2)
	v_add_co_ci_u32_e32 v3, vcc_lo, s1, v3, vcc_lo
	global_store_b32 v[2:3], v19, off
.LBB763_133:
	s_or_b32 exec_lo, exec_lo, s2
	v_cmp_lt_u32_e32 vcc_lo, v35, v1
	s_or_b32 s3, s18, vcc_lo
	s_delay_alu instid0(SALU_CYCLE_1)
	s_and_saveexec_b32 s2, s3
	s_cbranch_execz .LBB763_136
; %bb.134:
	v_and_b32_e32 v2, 1, v48
	s_delay_alu instid0(VALU_DEP_1)
	v_cmp_eq_u32_e32 vcc_lo, 1, v2
	s_and_b32 exec_lo, exec_lo, vcc_lo
	s_cbranch_execz .LBB763_136
; %bb.135:
	v_mov_b32_e32 v36, 0
	s_delay_alu instid0(VALU_DEP_1) | instskip(NEXT) | instid1(VALU_DEP_1)
	v_lshlrev_b64 v[2:3], 2, v[35:36]
	v_add_co_u32 v2, vcc_lo, s0, v2
	s_delay_alu instid0(VALU_DEP_2)
	v_add_co_ci_u32_e32 v3, vcc_lo, s1, v3, vcc_lo
	global_store_b32 v[2:3], v20, off
.LBB763_136:
	s_or_b32 exec_lo, exec_lo, s2
	v_cmp_lt_u32_e32 vcc_lo, v33, v1
	s_or_b32 s3, s18, vcc_lo
	s_delay_alu instid0(SALU_CYCLE_1)
	s_and_saveexec_b32 s2, s3
	s_cbranch_execz .LBB763_139
; %bb.137:
	v_and_b32_e32 v2, 1, v30
	s_delay_alu instid0(VALU_DEP_1)
	v_cmp_eq_u32_e32 vcc_lo, 1, v2
	s_and_b32 exec_lo, exec_lo, vcc_lo
	s_cbranch_execz .LBB763_139
; %bb.138:
	v_mov_b32_e32 v34, 0
	s_delay_alu instid0(VALU_DEP_1) | instskip(NEXT) | instid1(VALU_DEP_1)
	v_lshlrev_b64 v[2:3], 2, v[33:34]
	v_add_co_u32 v2, vcc_lo, s0, v2
	s_delay_alu instid0(VALU_DEP_2)
	v_add_co_ci_u32_e32 v3, vcc_lo, s1, v3, vcc_lo
	global_store_b32 v[2:3], v17, off
.LBB763_139:
	s_or_b32 exec_lo, exec_lo, s2
	v_cmp_lt_u32_e32 vcc_lo, v31, v1
	s_or_b32 s3, s18, vcc_lo
	s_delay_alu instid0(SALU_CYCLE_1)
	s_and_saveexec_b32 s2, s3
	s_cbranch_execz .LBB763_142
; %bb.140:
	v_and_b32_e32 v1, 1, v47
	s_delay_alu instid0(VALU_DEP_1)
	v_cmp_eq_u32_e32 vcc_lo, 1, v1
	s_and_b32 exec_lo, exec_lo, vcc_lo
	s_cbranch_execz .LBB763_142
; %bb.141:
	v_mov_b32_e32 v32, 0
	s_delay_alu instid0(VALU_DEP_1) | instskip(NEXT) | instid1(VALU_DEP_1)
	v_lshlrev_b64 v[1:2], 2, v[31:32]
	v_add_co_u32 v1, vcc_lo, s0, v1
	s_delay_alu instid0(VALU_DEP_2)
	v_add_co_ci_u32_e32 v2, vcc_lo, s1, v2, vcc_lo
	global_store_b32 v[1:2], v18, off
.LBB763_142:
	s_or_b32 exec_lo, exec_lo, s2
.LBB763_143:
	v_cmp_eq_u32_e32 vcc_lo, 0, v0
	s_and_b32 s0, vcc_lo, s14
	s_delay_alu instid0(SALU_CYCLE_1)
	s_and_saveexec_b32 s1, s0
	s_cbranch_execz .LBB763_166
.LBB763_144:
	v_add_co_u32 v0, s0, s10, v27
	s_delay_alu instid0(VALU_DEP_1) | instskip(SKIP_1) | instid1(VALU_DEP_3)
	v_add_co_ci_u32_e64 v1, null, s11, 0, s0
	v_mov_b32_e32 v2, 0
	v_add_co_u32 v0, vcc_lo, v0, v28
	s_delay_alu instid0(VALU_DEP_3)
	v_add_co_ci_u32_e32 v1, vcc_lo, 0, v1, vcc_lo
	global_store_b64 v2, v[0:1], s[16:17]
	s_nop 0
	s_sendmsg sendmsg(MSG_DEALLOC_VGPRS)
	s_endpgm
.LBB763_145:
	s_and_b32 vcc_lo, exec_lo, s0
	s_cbranch_vccz .LBB763_143
; %bb.146:
	s_mov_b32 s0, exec_lo
	v_cmpx_eq_u32_e32 1, v25
	s_cbranch_execz .LBB763_148
; %bb.147:
	v_sub_nc_u32_e32 v1, v45, v28
	s_delay_alu instid0(VALU_DEP_1)
	v_lshlrev_b32_e32 v1, 2, v1
	ds_store_b32 v1, v23
.LBB763_148:
	s_or_b32 exec_lo, exec_lo, s0
	v_and_b32_e32 v1, 1, v50
	s_mov_b32 s0, exec_lo
	s_delay_alu instid0(VALU_DEP_1)
	v_cmpx_eq_u32_e32 1, v1
	s_cbranch_execz .LBB763_150
; %bb.149:
	v_sub_nc_u32_e32 v1, v43, v28
	s_delay_alu instid0(VALU_DEP_1)
	v_lshlrev_b32_e32 v1, 2, v1
	ds_store_b32 v1, v24
.LBB763_150:
	s_or_b32 exec_lo, exec_lo, s0
	v_and_b32_e32 v1, 1, v49
	s_mov_b32 s0, exec_lo
	s_delay_alu instid0(VALU_DEP_1)
	;; [unrolled: 12-line block ×7, first 2 shown]
	v_cmpx_eq_u32_e32 1, v1
	s_cbranch_execz .LBB763_162
; %bb.161:
	v_sub_nc_u32_e32 v1, v31, v28
	s_delay_alu instid0(VALU_DEP_1)
	v_lshlrev_b32_e32 v1, 2, v1
	ds_store_b32 v1, v18
.LBB763_162:
	s_or_b32 exec_lo, exec_lo, s0
	s_delay_alu instid0(SALU_CYCLE_1)
	s_mov_b32 s1, exec_lo
	s_waitcnt lgkmcnt(0)
	s_waitcnt_vscnt null, 0x0
	s_barrier
	buffer_gl0_inv
	v_cmpx_lt_u32_e64 v0, v27
	s_cbranch_execz .LBB763_165
; %bb.163:
	v_dual_mov_b32 v2, 0 :: v_dual_mov_b32 v1, v28
	s_lshl_b64 s[2:3], s[10:11], 2
	v_dual_mov_b32 v4, v0 :: v_dual_lshlrev_b32 v3, 2, v0
	s_delay_alu instid0(VALU_DEP_2) | instskip(NEXT) | instid1(VALU_DEP_1)
	v_lshlrev_b64 v[1:2], 2, v[1:2]
	v_add_co_u32 v1, vcc_lo, s2, v1
	s_delay_alu instid0(VALU_DEP_2) | instskip(SKIP_1) | instid1(VALU_DEP_2)
	v_add_co_ci_u32_e32 v2, vcc_lo, s3, v2, vcc_lo
	s_mov_b32 s2, 0
	v_add_co_u32 v1, vcc_lo, s8, v1
	s_delay_alu instid0(VALU_DEP_2) | instskip(NEXT) | instid1(VALU_DEP_2)
	v_add_co_ci_u32_e32 v2, vcc_lo, s9, v2, vcc_lo
	v_add_co_u32 v1, vcc_lo, v1, v3
	s_delay_alu instid0(VALU_DEP_2)
	v_add_co_ci_u32_e32 v2, vcc_lo, 0, v2, vcc_lo
	.p2align	6
.LBB763_164:                            ; =>This Inner Loop Header: Depth=1
	ds_load_b32 v5, v3
	v_add_nc_u32_e32 v4, 0x200, v4
	v_add_nc_u32_e32 v3, 0x800, v3
	s_delay_alu instid0(VALU_DEP_2) | instskip(SKIP_4) | instid1(VALU_DEP_1)
	v_cmp_ge_u32_e32 vcc_lo, v4, v27
	s_or_b32 s2, vcc_lo, s2
	s_waitcnt lgkmcnt(0)
	global_store_b32 v[1:2], v5, off
	v_add_co_u32 v1, s0, 0x800, v1
	v_add_co_ci_u32_e64 v2, s0, 0, v2, s0
	s_and_not1_b32 exec_lo, exec_lo, s2
	s_cbranch_execnz .LBB763_164
.LBB763_165:
	s_or_b32 exec_lo, exec_lo, s1
	v_cmp_eq_u32_e32 vcc_lo, 0, v0
	s_and_b32 s0, vcc_lo, s14
	s_delay_alu instid0(SALU_CYCLE_1)
	s_and_saveexec_b32 s1, s0
	s_cbranch_execnz .LBB763_144
.LBB763_166:
	s_nop 0
	s_sendmsg sendmsg(MSG_DEALLOC_VGPRS)
	s_endpgm
	.section	.rodata,"a",@progbits
	.p2align	6, 0x0
	.amdhsa_kernel _ZN7rocprim17ROCPRIM_400000_NS6detail17trampoline_kernelINS0_14default_configENS1_25partition_config_selectorILNS1_17partition_subalgoE9EyjbEEZZNS1_14partition_implILS5_9ELb0ES3_jN6thrust23THRUST_200600_302600_NS6detail15normal_iteratorINS9_10device_ptrIyEEEENSB_INSC_IjEEEEPNS0_10empty_typeENS0_5tupleIJNS9_16discard_iteratorINS9_11use_defaultEEESH_EEENSJ_IJSG_SI_EEENS0_18inequality_wrapperINS9_8equal_toIyEEEEPmJSH_EEE10hipError_tPvRmT3_T4_T5_T6_T7_T9_mT8_P12ihipStream_tbDpT10_ENKUlT_T0_E_clISt17integral_constantIbLb0EES1D_EEDaS18_S19_EUlS18_E_NS1_11comp_targetILNS1_3genE9ELNS1_11target_archE1100ELNS1_3gpuE3ELNS1_3repE0EEENS1_30default_config_static_selectorELNS0_4arch9wavefront6targetE0EEEvT1_
		.amdhsa_group_segment_fixed_size 33800
		.amdhsa_private_segment_fixed_size 0
		.amdhsa_kernarg_size 120
		.amdhsa_user_sgpr_count 15
		.amdhsa_user_sgpr_dispatch_ptr 0
		.amdhsa_user_sgpr_queue_ptr 0
		.amdhsa_user_sgpr_kernarg_segment_ptr 1
		.amdhsa_user_sgpr_dispatch_id 0
		.amdhsa_user_sgpr_private_segment_size 0
		.amdhsa_wavefront_size32 1
		.amdhsa_uses_dynamic_stack 0
		.amdhsa_enable_private_segment 0
		.amdhsa_system_sgpr_workgroup_id_x 1
		.amdhsa_system_sgpr_workgroup_id_y 0
		.amdhsa_system_sgpr_workgroup_id_z 0
		.amdhsa_system_sgpr_workgroup_info 0
		.amdhsa_system_vgpr_workitem_id 0
		.amdhsa_next_free_vgpr 59
		.amdhsa_next_free_sgpr 24
		.amdhsa_reserve_vcc 1
		.amdhsa_float_round_mode_32 0
		.amdhsa_float_round_mode_16_64 0
		.amdhsa_float_denorm_mode_32 3
		.amdhsa_float_denorm_mode_16_64 3
		.amdhsa_dx10_clamp 1
		.amdhsa_ieee_mode 1
		.amdhsa_fp16_overflow 0
		.amdhsa_workgroup_processor_mode 1
		.amdhsa_memory_ordered 1
		.amdhsa_forward_progress 0
		.amdhsa_shared_vgpr_count 0
		.amdhsa_exception_fp_ieee_invalid_op 0
		.amdhsa_exception_fp_denorm_src 0
		.amdhsa_exception_fp_ieee_div_zero 0
		.amdhsa_exception_fp_ieee_overflow 0
		.amdhsa_exception_fp_ieee_underflow 0
		.amdhsa_exception_fp_ieee_inexact 0
		.amdhsa_exception_int_div_zero 0
	.end_amdhsa_kernel
	.section	.text._ZN7rocprim17ROCPRIM_400000_NS6detail17trampoline_kernelINS0_14default_configENS1_25partition_config_selectorILNS1_17partition_subalgoE9EyjbEEZZNS1_14partition_implILS5_9ELb0ES3_jN6thrust23THRUST_200600_302600_NS6detail15normal_iteratorINS9_10device_ptrIyEEEENSB_INSC_IjEEEEPNS0_10empty_typeENS0_5tupleIJNS9_16discard_iteratorINS9_11use_defaultEEESH_EEENSJ_IJSG_SI_EEENS0_18inequality_wrapperINS9_8equal_toIyEEEEPmJSH_EEE10hipError_tPvRmT3_T4_T5_T6_T7_T9_mT8_P12ihipStream_tbDpT10_ENKUlT_T0_E_clISt17integral_constantIbLb0EES1D_EEDaS18_S19_EUlS18_E_NS1_11comp_targetILNS1_3genE9ELNS1_11target_archE1100ELNS1_3gpuE3ELNS1_3repE0EEENS1_30default_config_static_selectorELNS0_4arch9wavefront6targetE0EEEvT1_,"axG",@progbits,_ZN7rocprim17ROCPRIM_400000_NS6detail17trampoline_kernelINS0_14default_configENS1_25partition_config_selectorILNS1_17partition_subalgoE9EyjbEEZZNS1_14partition_implILS5_9ELb0ES3_jN6thrust23THRUST_200600_302600_NS6detail15normal_iteratorINS9_10device_ptrIyEEEENSB_INSC_IjEEEEPNS0_10empty_typeENS0_5tupleIJNS9_16discard_iteratorINS9_11use_defaultEEESH_EEENSJ_IJSG_SI_EEENS0_18inequality_wrapperINS9_8equal_toIyEEEEPmJSH_EEE10hipError_tPvRmT3_T4_T5_T6_T7_T9_mT8_P12ihipStream_tbDpT10_ENKUlT_T0_E_clISt17integral_constantIbLb0EES1D_EEDaS18_S19_EUlS18_E_NS1_11comp_targetILNS1_3genE9ELNS1_11target_archE1100ELNS1_3gpuE3ELNS1_3repE0EEENS1_30default_config_static_selectorELNS0_4arch9wavefront6targetE0EEEvT1_,comdat
.Lfunc_end763:
	.size	_ZN7rocprim17ROCPRIM_400000_NS6detail17trampoline_kernelINS0_14default_configENS1_25partition_config_selectorILNS1_17partition_subalgoE9EyjbEEZZNS1_14partition_implILS5_9ELb0ES3_jN6thrust23THRUST_200600_302600_NS6detail15normal_iteratorINS9_10device_ptrIyEEEENSB_INSC_IjEEEEPNS0_10empty_typeENS0_5tupleIJNS9_16discard_iteratorINS9_11use_defaultEEESH_EEENSJ_IJSG_SI_EEENS0_18inequality_wrapperINS9_8equal_toIyEEEEPmJSH_EEE10hipError_tPvRmT3_T4_T5_T6_T7_T9_mT8_P12ihipStream_tbDpT10_ENKUlT_T0_E_clISt17integral_constantIbLb0EES1D_EEDaS18_S19_EUlS18_E_NS1_11comp_targetILNS1_3genE9ELNS1_11target_archE1100ELNS1_3gpuE3ELNS1_3repE0EEENS1_30default_config_static_selectorELNS0_4arch9wavefront6targetE0EEEvT1_, .Lfunc_end763-_ZN7rocprim17ROCPRIM_400000_NS6detail17trampoline_kernelINS0_14default_configENS1_25partition_config_selectorILNS1_17partition_subalgoE9EyjbEEZZNS1_14partition_implILS5_9ELb0ES3_jN6thrust23THRUST_200600_302600_NS6detail15normal_iteratorINS9_10device_ptrIyEEEENSB_INSC_IjEEEEPNS0_10empty_typeENS0_5tupleIJNS9_16discard_iteratorINS9_11use_defaultEEESH_EEENSJ_IJSG_SI_EEENS0_18inequality_wrapperINS9_8equal_toIyEEEEPmJSH_EEE10hipError_tPvRmT3_T4_T5_T6_T7_T9_mT8_P12ihipStream_tbDpT10_ENKUlT_T0_E_clISt17integral_constantIbLb0EES1D_EEDaS18_S19_EUlS18_E_NS1_11comp_targetILNS1_3genE9ELNS1_11target_archE1100ELNS1_3gpuE3ELNS1_3repE0EEENS1_30default_config_static_selectorELNS0_4arch9wavefront6targetE0EEEvT1_
                                        ; -- End function
	.section	.AMDGPU.csdata,"",@progbits
; Kernel info:
; codeLenInByte = 8456
; NumSgprs: 26
; NumVgprs: 59
; ScratchSize: 0
; MemoryBound: 0
; FloatMode: 240
; IeeeMode: 1
; LDSByteSize: 33800 bytes/workgroup (compile time only)
; SGPRBlocks: 3
; VGPRBlocks: 7
; NumSGPRsForWavesPerEU: 26
; NumVGPRsForWavesPerEU: 59
; Occupancy: 12
; WaveLimiterHint : 1
; COMPUTE_PGM_RSRC2:SCRATCH_EN: 0
; COMPUTE_PGM_RSRC2:USER_SGPR: 15
; COMPUTE_PGM_RSRC2:TRAP_HANDLER: 0
; COMPUTE_PGM_RSRC2:TGID_X_EN: 1
; COMPUTE_PGM_RSRC2:TGID_Y_EN: 0
; COMPUTE_PGM_RSRC2:TGID_Z_EN: 0
; COMPUTE_PGM_RSRC2:TIDIG_COMP_CNT: 0
	.section	.text._ZN7rocprim17ROCPRIM_400000_NS6detail17trampoline_kernelINS0_14default_configENS1_25partition_config_selectorILNS1_17partition_subalgoE9EyjbEEZZNS1_14partition_implILS5_9ELb0ES3_jN6thrust23THRUST_200600_302600_NS6detail15normal_iteratorINS9_10device_ptrIyEEEENSB_INSC_IjEEEEPNS0_10empty_typeENS0_5tupleIJNS9_16discard_iteratorINS9_11use_defaultEEESH_EEENSJ_IJSG_SI_EEENS0_18inequality_wrapperINS9_8equal_toIyEEEEPmJSH_EEE10hipError_tPvRmT3_T4_T5_T6_T7_T9_mT8_P12ihipStream_tbDpT10_ENKUlT_T0_E_clISt17integral_constantIbLb0EES1D_EEDaS18_S19_EUlS18_E_NS1_11comp_targetILNS1_3genE8ELNS1_11target_archE1030ELNS1_3gpuE2ELNS1_3repE0EEENS1_30default_config_static_selectorELNS0_4arch9wavefront6targetE0EEEvT1_,"axG",@progbits,_ZN7rocprim17ROCPRIM_400000_NS6detail17trampoline_kernelINS0_14default_configENS1_25partition_config_selectorILNS1_17partition_subalgoE9EyjbEEZZNS1_14partition_implILS5_9ELb0ES3_jN6thrust23THRUST_200600_302600_NS6detail15normal_iteratorINS9_10device_ptrIyEEEENSB_INSC_IjEEEEPNS0_10empty_typeENS0_5tupleIJNS9_16discard_iteratorINS9_11use_defaultEEESH_EEENSJ_IJSG_SI_EEENS0_18inequality_wrapperINS9_8equal_toIyEEEEPmJSH_EEE10hipError_tPvRmT3_T4_T5_T6_T7_T9_mT8_P12ihipStream_tbDpT10_ENKUlT_T0_E_clISt17integral_constantIbLb0EES1D_EEDaS18_S19_EUlS18_E_NS1_11comp_targetILNS1_3genE8ELNS1_11target_archE1030ELNS1_3gpuE2ELNS1_3repE0EEENS1_30default_config_static_selectorELNS0_4arch9wavefront6targetE0EEEvT1_,comdat
	.protected	_ZN7rocprim17ROCPRIM_400000_NS6detail17trampoline_kernelINS0_14default_configENS1_25partition_config_selectorILNS1_17partition_subalgoE9EyjbEEZZNS1_14partition_implILS5_9ELb0ES3_jN6thrust23THRUST_200600_302600_NS6detail15normal_iteratorINS9_10device_ptrIyEEEENSB_INSC_IjEEEEPNS0_10empty_typeENS0_5tupleIJNS9_16discard_iteratorINS9_11use_defaultEEESH_EEENSJ_IJSG_SI_EEENS0_18inequality_wrapperINS9_8equal_toIyEEEEPmJSH_EEE10hipError_tPvRmT3_T4_T5_T6_T7_T9_mT8_P12ihipStream_tbDpT10_ENKUlT_T0_E_clISt17integral_constantIbLb0EES1D_EEDaS18_S19_EUlS18_E_NS1_11comp_targetILNS1_3genE8ELNS1_11target_archE1030ELNS1_3gpuE2ELNS1_3repE0EEENS1_30default_config_static_selectorELNS0_4arch9wavefront6targetE0EEEvT1_ ; -- Begin function _ZN7rocprim17ROCPRIM_400000_NS6detail17trampoline_kernelINS0_14default_configENS1_25partition_config_selectorILNS1_17partition_subalgoE9EyjbEEZZNS1_14partition_implILS5_9ELb0ES3_jN6thrust23THRUST_200600_302600_NS6detail15normal_iteratorINS9_10device_ptrIyEEEENSB_INSC_IjEEEEPNS0_10empty_typeENS0_5tupleIJNS9_16discard_iteratorINS9_11use_defaultEEESH_EEENSJ_IJSG_SI_EEENS0_18inequality_wrapperINS9_8equal_toIyEEEEPmJSH_EEE10hipError_tPvRmT3_T4_T5_T6_T7_T9_mT8_P12ihipStream_tbDpT10_ENKUlT_T0_E_clISt17integral_constantIbLb0EES1D_EEDaS18_S19_EUlS18_E_NS1_11comp_targetILNS1_3genE8ELNS1_11target_archE1030ELNS1_3gpuE2ELNS1_3repE0EEENS1_30default_config_static_selectorELNS0_4arch9wavefront6targetE0EEEvT1_
	.globl	_ZN7rocprim17ROCPRIM_400000_NS6detail17trampoline_kernelINS0_14default_configENS1_25partition_config_selectorILNS1_17partition_subalgoE9EyjbEEZZNS1_14partition_implILS5_9ELb0ES3_jN6thrust23THRUST_200600_302600_NS6detail15normal_iteratorINS9_10device_ptrIyEEEENSB_INSC_IjEEEEPNS0_10empty_typeENS0_5tupleIJNS9_16discard_iteratorINS9_11use_defaultEEESH_EEENSJ_IJSG_SI_EEENS0_18inequality_wrapperINS9_8equal_toIyEEEEPmJSH_EEE10hipError_tPvRmT3_T4_T5_T6_T7_T9_mT8_P12ihipStream_tbDpT10_ENKUlT_T0_E_clISt17integral_constantIbLb0EES1D_EEDaS18_S19_EUlS18_E_NS1_11comp_targetILNS1_3genE8ELNS1_11target_archE1030ELNS1_3gpuE2ELNS1_3repE0EEENS1_30default_config_static_selectorELNS0_4arch9wavefront6targetE0EEEvT1_
	.p2align	8
	.type	_ZN7rocprim17ROCPRIM_400000_NS6detail17trampoline_kernelINS0_14default_configENS1_25partition_config_selectorILNS1_17partition_subalgoE9EyjbEEZZNS1_14partition_implILS5_9ELb0ES3_jN6thrust23THRUST_200600_302600_NS6detail15normal_iteratorINS9_10device_ptrIyEEEENSB_INSC_IjEEEEPNS0_10empty_typeENS0_5tupleIJNS9_16discard_iteratorINS9_11use_defaultEEESH_EEENSJ_IJSG_SI_EEENS0_18inequality_wrapperINS9_8equal_toIyEEEEPmJSH_EEE10hipError_tPvRmT3_T4_T5_T6_T7_T9_mT8_P12ihipStream_tbDpT10_ENKUlT_T0_E_clISt17integral_constantIbLb0EES1D_EEDaS18_S19_EUlS18_E_NS1_11comp_targetILNS1_3genE8ELNS1_11target_archE1030ELNS1_3gpuE2ELNS1_3repE0EEENS1_30default_config_static_selectorELNS0_4arch9wavefront6targetE0EEEvT1_,@function
_ZN7rocprim17ROCPRIM_400000_NS6detail17trampoline_kernelINS0_14default_configENS1_25partition_config_selectorILNS1_17partition_subalgoE9EyjbEEZZNS1_14partition_implILS5_9ELb0ES3_jN6thrust23THRUST_200600_302600_NS6detail15normal_iteratorINS9_10device_ptrIyEEEENSB_INSC_IjEEEEPNS0_10empty_typeENS0_5tupleIJNS9_16discard_iteratorINS9_11use_defaultEEESH_EEENSJ_IJSG_SI_EEENS0_18inequality_wrapperINS9_8equal_toIyEEEEPmJSH_EEE10hipError_tPvRmT3_T4_T5_T6_T7_T9_mT8_P12ihipStream_tbDpT10_ENKUlT_T0_E_clISt17integral_constantIbLb0EES1D_EEDaS18_S19_EUlS18_E_NS1_11comp_targetILNS1_3genE8ELNS1_11target_archE1030ELNS1_3gpuE2ELNS1_3repE0EEENS1_30default_config_static_selectorELNS0_4arch9wavefront6targetE0EEEvT1_: ; @_ZN7rocprim17ROCPRIM_400000_NS6detail17trampoline_kernelINS0_14default_configENS1_25partition_config_selectorILNS1_17partition_subalgoE9EyjbEEZZNS1_14partition_implILS5_9ELb0ES3_jN6thrust23THRUST_200600_302600_NS6detail15normal_iteratorINS9_10device_ptrIyEEEENSB_INSC_IjEEEEPNS0_10empty_typeENS0_5tupleIJNS9_16discard_iteratorINS9_11use_defaultEEESH_EEENSJ_IJSG_SI_EEENS0_18inequality_wrapperINS9_8equal_toIyEEEEPmJSH_EEE10hipError_tPvRmT3_T4_T5_T6_T7_T9_mT8_P12ihipStream_tbDpT10_ENKUlT_T0_E_clISt17integral_constantIbLb0EES1D_EEDaS18_S19_EUlS18_E_NS1_11comp_targetILNS1_3genE8ELNS1_11target_archE1030ELNS1_3gpuE2ELNS1_3repE0EEENS1_30default_config_static_selectorELNS0_4arch9wavefront6targetE0EEEvT1_
; %bb.0:
	.section	.rodata,"a",@progbits
	.p2align	6, 0x0
	.amdhsa_kernel _ZN7rocprim17ROCPRIM_400000_NS6detail17trampoline_kernelINS0_14default_configENS1_25partition_config_selectorILNS1_17partition_subalgoE9EyjbEEZZNS1_14partition_implILS5_9ELb0ES3_jN6thrust23THRUST_200600_302600_NS6detail15normal_iteratorINS9_10device_ptrIyEEEENSB_INSC_IjEEEEPNS0_10empty_typeENS0_5tupleIJNS9_16discard_iteratorINS9_11use_defaultEEESH_EEENSJ_IJSG_SI_EEENS0_18inequality_wrapperINS9_8equal_toIyEEEEPmJSH_EEE10hipError_tPvRmT3_T4_T5_T6_T7_T9_mT8_P12ihipStream_tbDpT10_ENKUlT_T0_E_clISt17integral_constantIbLb0EES1D_EEDaS18_S19_EUlS18_E_NS1_11comp_targetILNS1_3genE8ELNS1_11target_archE1030ELNS1_3gpuE2ELNS1_3repE0EEENS1_30default_config_static_selectorELNS0_4arch9wavefront6targetE0EEEvT1_
		.amdhsa_group_segment_fixed_size 0
		.amdhsa_private_segment_fixed_size 0
		.amdhsa_kernarg_size 120
		.amdhsa_user_sgpr_count 15
		.amdhsa_user_sgpr_dispatch_ptr 0
		.amdhsa_user_sgpr_queue_ptr 0
		.amdhsa_user_sgpr_kernarg_segment_ptr 1
		.amdhsa_user_sgpr_dispatch_id 0
		.amdhsa_user_sgpr_private_segment_size 0
		.amdhsa_wavefront_size32 1
		.amdhsa_uses_dynamic_stack 0
		.amdhsa_enable_private_segment 0
		.amdhsa_system_sgpr_workgroup_id_x 1
		.amdhsa_system_sgpr_workgroup_id_y 0
		.amdhsa_system_sgpr_workgroup_id_z 0
		.amdhsa_system_sgpr_workgroup_info 0
		.amdhsa_system_vgpr_workitem_id 0
		.amdhsa_next_free_vgpr 1
		.amdhsa_next_free_sgpr 1
		.amdhsa_reserve_vcc 0
		.amdhsa_float_round_mode_32 0
		.amdhsa_float_round_mode_16_64 0
		.amdhsa_float_denorm_mode_32 3
		.amdhsa_float_denorm_mode_16_64 3
		.amdhsa_dx10_clamp 1
		.amdhsa_ieee_mode 1
		.amdhsa_fp16_overflow 0
		.amdhsa_workgroup_processor_mode 1
		.amdhsa_memory_ordered 1
		.amdhsa_forward_progress 0
		.amdhsa_shared_vgpr_count 0
		.amdhsa_exception_fp_ieee_invalid_op 0
		.amdhsa_exception_fp_denorm_src 0
		.amdhsa_exception_fp_ieee_div_zero 0
		.amdhsa_exception_fp_ieee_overflow 0
		.amdhsa_exception_fp_ieee_underflow 0
		.amdhsa_exception_fp_ieee_inexact 0
		.amdhsa_exception_int_div_zero 0
	.end_amdhsa_kernel
	.section	.text._ZN7rocprim17ROCPRIM_400000_NS6detail17trampoline_kernelINS0_14default_configENS1_25partition_config_selectorILNS1_17partition_subalgoE9EyjbEEZZNS1_14partition_implILS5_9ELb0ES3_jN6thrust23THRUST_200600_302600_NS6detail15normal_iteratorINS9_10device_ptrIyEEEENSB_INSC_IjEEEEPNS0_10empty_typeENS0_5tupleIJNS9_16discard_iteratorINS9_11use_defaultEEESH_EEENSJ_IJSG_SI_EEENS0_18inequality_wrapperINS9_8equal_toIyEEEEPmJSH_EEE10hipError_tPvRmT3_T4_T5_T6_T7_T9_mT8_P12ihipStream_tbDpT10_ENKUlT_T0_E_clISt17integral_constantIbLb0EES1D_EEDaS18_S19_EUlS18_E_NS1_11comp_targetILNS1_3genE8ELNS1_11target_archE1030ELNS1_3gpuE2ELNS1_3repE0EEENS1_30default_config_static_selectorELNS0_4arch9wavefront6targetE0EEEvT1_,"axG",@progbits,_ZN7rocprim17ROCPRIM_400000_NS6detail17trampoline_kernelINS0_14default_configENS1_25partition_config_selectorILNS1_17partition_subalgoE9EyjbEEZZNS1_14partition_implILS5_9ELb0ES3_jN6thrust23THRUST_200600_302600_NS6detail15normal_iteratorINS9_10device_ptrIyEEEENSB_INSC_IjEEEEPNS0_10empty_typeENS0_5tupleIJNS9_16discard_iteratorINS9_11use_defaultEEESH_EEENSJ_IJSG_SI_EEENS0_18inequality_wrapperINS9_8equal_toIyEEEEPmJSH_EEE10hipError_tPvRmT3_T4_T5_T6_T7_T9_mT8_P12ihipStream_tbDpT10_ENKUlT_T0_E_clISt17integral_constantIbLb0EES1D_EEDaS18_S19_EUlS18_E_NS1_11comp_targetILNS1_3genE8ELNS1_11target_archE1030ELNS1_3gpuE2ELNS1_3repE0EEENS1_30default_config_static_selectorELNS0_4arch9wavefront6targetE0EEEvT1_,comdat
.Lfunc_end764:
	.size	_ZN7rocprim17ROCPRIM_400000_NS6detail17trampoline_kernelINS0_14default_configENS1_25partition_config_selectorILNS1_17partition_subalgoE9EyjbEEZZNS1_14partition_implILS5_9ELb0ES3_jN6thrust23THRUST_200600_302600_NS6detail15normal_iteratorINS9_10device_ptrIyEEEENSB_INSC_IjEEEEPNS0_10empty_typeENS0_5tupleIJNS9_16discard_iteratorINS9_11use_defaultEEESH_EEENSJ_IJSG_SI_EEENS0_18inequality_wrapperINS9_8equal_toIyEEEEPmJSH_EEE10hipError_tPvRmT3_T4_T5_T6_T7_T9_mT8_P12ihipStream_tbDpT10_ENKUlT_T0_E_clISt17integral_constantIbLb0EES1D_EEDaS18_S19_EUlS18_E_NS1_11comp_targetILNS1_3genE8ELNS1_11target_archE1030ELNS1_3gpuE2ELNS1_3repE0EEENS1_30default_config_static_selectorELNS0_4arch9wavefront6targetE0EEEvT1_, .Lfunc_end764-_ZN7rocprim17ROCPRIM_400000_NS6detail17trampoline_kernelINS0_14default_configENS1_25partition_config_selectorILNS1_17partition_subalgoE9EyjbEEZZNS1_14partition_implILS5_9ELb0ES3_jN6thrust23THRUST_200600_302600_NS6detail15normal_iteratorINS9_10device_ptrIyEEEENSB_INSC_IjEEEEPNS0_10empty_typeENS0_5tupleIJNS9_16discard_iteratorINS9_11use_defaultEEESH_EEENSJ_IJSG_SI_EEENS0_18inequality_wrapperINS9_8equal_toIyEEEEPmJSH_EEE10hipError_tPvRmT3_T4_T5_T6_T7_T9_mT8_P12ihipStream_tbDpT10_ENKUlT_T0_E_clISt17integral_constantIbLb0EES1D_EEDaS18_S19_EUlS18_E_NS1_11comp_targetILNS1_3genE8ELNS1_11target_archE1030ELNS1_3gpuE2ELNS1_3repE0EEENS1_30default_config_static_selectorELNS0_4arch9wavefront6targetE0EEEvT1_
                                        ; -- End function
	.section	.AMDGPU.csdata,"",@progbits
; Kernel info:
; codeLenInByte = 0
; NumSgprs: 0
; NumVgprs: 0
; ScratchSize: 0
; MemoryBound: 0
; FloatMode: 240
; IeeeMode: 1
; LDSByteSize: 0 bytes/workgroup (compile time only)
; SGPRBlocks: 0
; VGPRBlocks: 0
; NumSGPRsForWavesPerEU: 1
; NumVGPRsForWavesPerEU: 1
; Occupancy: 16
; WaveLimiterHint : 0
; COMPUTE_PGM_RSRC2:SCRATCH_EN: 0
; COMPUTE_PGM_RSRC2:USER_SGPR: 15
; COMPUTE_PGM_RSRC2:TRAP_HANDLER: 0
; COMPUTE_PGM_RSRC2:TGID_X_EN: 1
; COMPUTE_PGM_RSRC2:TGID_Y_EN: 0
; COMPUTE_PGM_RSRC2:TGID_Z_EN: 0
; COMPUTE_PGM_RSRC2:TIDIG_COMP_CNT: 0
	.section	.text._ZN7rocprim17ROCPRIM_400000_NS6detail17trampoline_kernelINS0_14default_configENS1_25partition_config_selectorILNS1_17partition_subalgoE9EyjbEEZZNS1_14partition_implILS5_9ELb0ES3_jN6thrust23THRUST_200600_302600_NS6detail15normal_iteratorINS9_10device_ptrIyEEEENSB_INSC_IjEEEEPNS0_10empty_typeENS0_5tupleIJNS9_16discard_iteratorINS9_11use_defaultEEESH_EEENSJ_IJSG_SI_EEENS0_18inequality_wrapperINS9_8equal_toIyEEEEPmJSH_EEE10hipError_tPvRmT3_T4_T5_T6_T7_T9_mT8_P12ihipStream_tbDpT10_ENKUlT_T0_E_clISt17integral_constantIbLb1EES1D_EEDaS18_S19_EUlS18_E_NS1_11comp_targetILNS1_3genE0ELNS1_11target_archE4294967295ELNS1_3gpuE0ELNS1_3repE0EEENS1_30default_config_static_selectorELNS0_4arch9wavefront6targetE0EEEvT1_,"axG",@progbits,_ZN7rocprim17ROCPRIM_400000_NS6detail17trampoline_kernelINS0_14default_configENS1_25partition_config_selectorILNS1_17partition_subalgoE9EyjbEEZZNS1_14partition_implILS5_9ELb0ES3_jN6thrust23THRUST_200600_302600_NS6detail15normal_iteratorINS9_10device_ptrIyEEEENSB_INSC_IjEEEEPNS0_10empty_typeENS0_5tupleIJNS9_16discard_iteratorINS9_11use_defaultEEESH_EEENSJ_IJSG_SI_EEENS0_18inequality_wrapperINS9_8equal_toIyEEEEPmJSH_EEE10hipError_tPvRmT3_T4_T5_T6_T7_T9_mT8_P12ihipStream_tbDpT10_ENKUlT_T0_E_clISt17integral_constantIbLb1EES1D_EEDaS18_S19_EUlS18_E_NS1_11comp_targetILNS1_3genE0ELNS1_11target_archE4294967295ELNS1_3gpuE0ELNS1_3repE0EEENS1_30default_config_static_selectorELNS0_4arch9wavefront6targetE0EEEvT1_,comdat
	.protected	_ZN7rocprim17ROCPRIM_400000_NS6detail17trampoline_kernelINS0_14default_configENS1_25partition_config_selectorILNS1_17partition_subalgoE9EyjbEEZZNS1_14partition_implILS5_9ELb0ES3_jN6thrust23THRUST_200600_302600_NS6detail15normal_iteratorINS9_10device_ptrIyEEEENSB_INSC_IjEEEEPNS0_10empty_typeENS0_5tupleIJNS9_16discard_iteratorINS9_11use_defaultEEESH_EEENSJ_IJSG_SI_EEENS0_18inequality_wrapperINS9_8equal_toIyEEEEPmJSH_EEE10hipError_tPvRmT3_T4_T5_T6_T7_T9_mT8_P12ihipStream_tbDpT10_ENKUlT_T0_E_clISt17integral_constantIbLb1EES1D_EEDaS18_S19_EUlS18_E_NS1_11comp_targetILNS1_3genE0ELNS1_11target_archE4294967295ELNS1_3gpuE0ELNS1_3repE0EEENS1_30default_config_static_selectorELNS0_4arch9wavefront6targetE0EEEvT1_ ; -- Begin function _ZN7rocprim17ROCPRIM_400000_NS6detail17trampoline_kernelINS0_14default_configENS1_25partition_config_selectorILNS1_17partition_subalgoE9EyjbEEZZNS1_14partition_implILS5_9ELb0ES3_jN6thrust23THRUST_200600_302600_NS6detail15normal_iteratorINS9_10device_ptrIyEEEENSB_INSC_IjEEEEPNS0_10empty_typeENS0_5tupleIJNS9_16discard_iteratorINS9_11use_defaultEEESH_EEENSJ_IJSG_SI_EEENS0_18inequality_wrapperINS9_8equal_toIyEEEEPmJSH_EEE10hipError_tPvRmT3_T4_T5_T6_T7_T9_mT8_P12ihipStream_tbDpT10_ENKUlT_T0_E_clISt17integral_constantIbLb1EES1D_EEDaS18_S19_EUlS18_E_NS1_11comp_targetILNS1_3genE0ELNS1_11target_archE4294967295ELNS1_3gpuE0ELNS1_3repE0EEENS1_30default_config_static_selectorELNS0_4arch9wavefront6targetE0EEEvT1_
	.globl	_ZN7rocprim17ROCPRIM_400000_NS6detail17trampoline_kernelINS0_14default_configENS1_25partition_config_selectorILNS1_17partition_subalgoE9EyjbEEZZNS1_14partition_implILS5_9ELb0ES3_jN6thrust23THRUST_200600_302600_NS6detail15normal_iteratorINS9_10device_ptrIyEEEENSB_INSC_IjEEEEPNS0_10empty_typeENS0_5tupleIJNS9_16discard_iteratorINS9_11use_defaultEEESH_EEENSJ_IJSG_SI_EEENS0_18inequality_wrapperINS9_8equal_toIyEEEEPmJSH_EEE10hipError_tPvRmT3_T4_T5_T6_T7_T9_mT8_P12ihipStream_tbDpT10_ENKUlT_T0_E_clISt17integral_constantIbLb1EES1D_EEDaS18_S19_EUlS18_E_NS1_11comp_targetILNS1_3genE0ELNS1_11target_archE4294967295ELNS1_3gpuE0ELNS1_3repE0EEENS1_30default_config_static_selectorELNS0_4arch9wavefront6targetE0EEEvT1_
	.p2align	8
	.type	_ZN7rocprim17ROCPRIM_400000_NS6detail17trampoline_kernelINS0_14default_configENS1_25partition_config_selectorILNS1_17partition_subalgoE9EyjbEEZZNS1_14partition_implILS5_9ELb0ES3_jN6thrust23THRUST_200600_302600_NS6detail15normal_iteratorINS9_10device_ptrIyEEEENSB_INSC_IjEEEEPNS0_10empty_typeENS0_5tupleIJNS9_16discard_iteratorINS9_11use_defaultEEESH_EEENSJ_IJSG_SI_EEENS0_18inequality_wrapperINS9_8equal_toIyEEEEPmJSH_EEE10hipError_tPvRmT3_T4_T5_T6_T7_T9_mT8_P12ihipStream_tbDpT10_ENKUlT_T0_E_clISt17integral_constantIbLb1EES1D_EEDaS18_S19_EUlS18_E_NS1_11comp_targetILNS1_3genE0ELNS1_11target_archE4294967295ELNS1_3gpuE0ELNS1_3repE0EEENS1_30default_config_static_selectorELNS0_4arch9wavefront6targetE0EEEvT1_,@function
_ZN7rocprim17ROCPRIM_400000_NS6detail17trampoline_kernelINS0_14default_configENS1_25partition_config_selectorILNS1_17partition_subalgoE9EyjbEEZZNS1_14partition_implILS5_9ELb0ES3_jN6thrust23THRUST_200600_302600_NS6detail15normal_iteratorINS9_10device_ptrIyEEEENSB_INSC_IjEEEEPNS0_10empty_typeENS0_5tupleIJNS9_16discard_iteratorINS9_11use_defaultEEESH_EEENSJ_IJSG_SI_EEENS0_18inequality_wrapperINS9_8equal_toIyEEEEPmJSH_EEE10hipError_tPvRmT3_T4_T5_T6_T7_T9_mT8_P12ihipStream_tbDpT10_ENKUlT_T0_E_clISt17integral_constantIbLb1EES1D_EEDaS18_S19_EUlS18_E_NS1_11comp_targetILNS1_3genE0ELNS1_11target_archE4294967295ELNS1_3gpuE0ELNS1_3repE0EEENS1_30default_config_static_selectorELNS0_4arch9wavefront6targetE0EEEvT1_: ; @_ZN7rocprim17ROCPRIM_400000_NS6detail17trampoline_kernelINS0_14default_configENS1_25partition_config_selectorILNS1_17partition_subalgoE9EyjbEEZZNS1_14partition_implILS5_9ELb0ES3_jN6thrust23THRUST_200600_302600_NS6detail15normal_iteratorINS9_10device_ptrIyEEEENSB_INSC_IjEEEEPNS0_10empty_typeENS0_5tupleIJNS9_16discard_iteratorINS9_11use_defaultEEESH_EEENSJ_IJSG_SI_EEENS0_18inequality_wrapperINS9_8equal_toIyEEEEPmJSH_EEE10hipError_tPvRmT3_T4_T5_T6_T7_T9_mT8_P12ihipStream_tbDpT10_ENKUlT_T0_E_clISt17integral_constantIbLb1EES1D_EEDaS18_S19_EUlS18_E_NS1_11comp_targetILNS1_3genE0ELNS1_11target_archE4294967295ELNS1_3gpuE0ELNS1_3repE0EEENS1_30default_config_static_selectorELNS0_4arch9wavefront6targetE0EEEvT1_
; %bb.0:
	.section	.rodata,"a",@progbits
	.p2align	6, 0x0
	.amdhsa_kernel _ZN7rocprim17ROCPRIM_400000_NS6detail17trampoline_kernelINS0_14default_configENS1_25partition_config_selectorILNS1_17partition_subalgoE9EyjbEEZZNS1_14partition_implILS5_9ELb0ES3_jN6thrust23THRUST_200600_302600_NS6detail15normal_iteratorINS9_10device_ptrIyEEEENSB_INSC_IjEEEEPNS0_10empty_typeENS0_5tupleIJNS9_16discard_iteratorINS9_11use_defaultEEESH_EEENSJ_IJSG_SI_EEENS0_18inequality_wrapperINS9_8equal_toIyEEEEPmJSH_EEE10hipError_tPvRmT3_T4_T5_T6_T7_T9_mT8_P12ihipStream_tbDpT10_ENKUlT_T0_E_clISt17integral_constantIbLb1EES1D_EEDaS18_S19_EUlS18_E_NS1_11comp_targetILNS1_3genE0ELNS1_11target_archE4294967295ELNS1_3gpuE0ELNS1_3repE0EEENS1_30default_config_static_selectorELNS0_4arch9wavefront6targetE0EEEvT1_
		.amdhsa_group_segment_fixed_size 0
		.amdhsa_private_segment_fixed_size 0
		.amdhsa_kernarg_size 136
		.amdhsa_user_sgpr_count 15
		.amdhsa_user_sgpr_dispatch_ptr 0
		.amdhsa_user_sgpr_queue_ptr 0
		.amdhsa_user_sgpr_kernarg_segment_ptr 1
		.amdhsa_user_sgpr_dispatch_id 0
		.amdhsa_user_sgpr_private_segment_size 0
		.amdhsa_wavefront_size32 1
		.amdhsa_uses_dynamic_stack 0
		.amdhsa_enable_private_segment 0
		.amdhsa_system_sgpr_workgroup_id_x 1
		.amdhsa_system_sgpr_workgroup_id_y 0
		.amdhsa_system_sgpr_workgroup_id_z 0
		.amdhsa_system_sgpr_workgroup_info 0
		.amdhsa_system_vgpr_workitem_id 0
		.amdhsa_next_free_vgpr 1
		.amdhsa_next_free_sgpr 1
		.amdhsa_reserve_vcc 0
		.amdhsa_float_round_mode_32 0
		.amdhsa_float_round_mode_16_64 0
		.amdhsa_float_denorm_mode_32 3
		.amdhsa_float_denorm_mode_16_64 3
		.amdhsa_dx10_clamp 1
		.amdhsa_ieee_mode 1
		.amdhsa_fp16_overflow 0
		.amdhsa_workgroup_processor_mode 1
		.amdhsa_memory_ordered 1
		.amdhsa_forward_progress 0
		.amdhsa_shared_vgpr_count 0
		.amdhsa_exception_fp_ieee_invalid_op 0
		.amdhsa_exception_fp_denorm_src 0
		.amdhsa_exception_fp_ieee_div_zero 0
		.amdhsa_exception_fp_ieee_overflow 0
		.amdhsa_exception_fp_ieee_underflow 0
		.amdhsa_exception_fp_ieee_inexact 0
		.amdhsa_exception_int_div_zero 0
	.end_amdhsa_kernel
	.section	.text._ZN7rocprim17ROCPRIM_400000_NS6detail17trampoline_kernelINS0_14default_configENS1_25partition_config_selectorILNS1_17partition_subalgoE9EyjbEEZZNS1_14partition_implILS5_9ELb0ES3_jN6thrust23THRUST_200600_302600_NS6detail15normal_iteratorINS9_10device_ptrIyEEEENSB_INSC_IjEEEEPNS0_10empty_typeENS0_5tupleIJNS9_16discard_iteratorINS9_11use_defaultEEESH_EEENSJ_IJSG_SI_EEENS0_18inequality_wrapperINS9_8equal_toIyEEEEPmJSH_EEE10hipError_tPvRmT3_T4_T5_T6_T7_T9_mT8_P12ihipStream_tbDpT10_ENKUlT_T0_E_clISt17integral_constantIbLb1EES1D_EEDaS18_S19_EUlS18_E_NS1_11comp_targetILNS1_3genE0ELNS1_11target_archE4294967295ELNS1_3gpuE0ELNS1_3repE0EEENS1_30default_config_static_selectorELNS0_4arch9wavefront6targetE0EEEvT1_,"axG",@progbits,_ZN7rocprim17ROCPRIM_400000_NS6detail17trampoline_kernelINS0_14default_configENS1_25partition_config_selectorILNS1_17partition_subalgoE9EyjbEEZZNS1_14partition_implILS5_9ELb0ES3_jN6thrust23THRUST_200600_302600_NS6detail15normal_iteratorINS9_10device_ptrIyEEEENSB_INSC_IjEEEEPNS0_10empty_typeENS0_5tupleIJNS9_16discard_iteratorINS9_11use_defaultEEESH_EEENSJ_IJSG_SI_EEENS0_18inequality_wrapperINS9_8equal_toIyEEEEPmJSH_EEE10hipError_tPvRmT3_T4_T5_T6_T7_T9_mT8_P12ihipStream_tbDpT10_ENKUlT_T0_E_clISt17integral_constantIbLb1EES1D_EEDaS18_S19_EUlS18_E_NS1_11comp_targetILNS1_3genE0ELNS1_11target_archE4294967295ELNS1_3gpuE0ELNS1_3repE0EEENS1_30default_config_static_selectorELNS0_4arch9wavefront6targetE0EEEvT1_,comdat
.Lfunc_end765:
	.size	_ZN7rocprim17ROCPRIM_400000_NS6detail17trampoline_kernelINS0_14default_configENS1_25partition_config_selectorILNS1_17partition_subalgoE9EyjbEEZZNS1_14partition_implILS5_9ELb0ES3_jN6thrust23THRUST_200600_302600_NS6detail15normal_iteratorINS9_10device_ptrIyEEEENSB_INSC_IjEEEEPNS0_10empty_typeENS0_5tupleIJNS9_16discard_iteratorINS9_11use_defaultEEESH_EEENSJ_IJSG_SI_EEENS0_18inequality_wrapperINS9_8equal_toIyEEEEPmJSH_EEE10hipError_tPvRmT3_T4_T5_T6_T7_T9_mT8_P12ihipStream_tbDpT10_ENKUlT_T0_E_clISt17integral_constantIbLb1EES1D_EEDaS18_S19_EUlS18_E_NS1_11comp_targetILNS1_3genE0ELNS1_11target_archE4294967295ELNS1_3gpuE0ELNS1_3repE0EEENS1_30default_config_static_selectorELNS0_4arch9wavefront6targetE0EEEvT1_, .Lfunc_end765-_ZN7rocprim17ROCPRIM_400000_NS6detail17trampoline_kernelINS0_14default_configENS1_25partition_config_selectorILNS1_17partition_subalgoE9EyjbEEZZNS1_14partition_implILS5_9ELb0ES3_jN6thrust23THRUST_200600_302600_NS6detail15normal_iteratorINS9_10device_ptrIyEEEENSB_INSC_IjEEEEPNS0_10empty_typeENS0_5tupleIJNS9_16discard_iteratorINS9_11use_defaultEEESH_EEENSJ_IJSG_SI_EEENS0_18inequality_wrapperINS9_8equal_toIyEEEEPmJSH_EEE10hipError_tPvRmT3_T4_T5_T6_T7_T9_mT8_P12ihipStream_tbDpT10_ENKUlT_T0_E_clISt17integral_constantIbLb1EES1D_EEDaS18_S19_EUlS18_E_NS1_11comp_targetILNS1_3genE0ELNS1_11target_archE4294967295ELNS1_3gpuE0ELNS1_3repE0EEENS1_30default_config_static_selectorELNS0_4arch9wavefront6targetE0EEEvT1_
                                        ; -- End function
	.section	.AMDGPU.csdata,"",@progbits
; Kernel info:
; codeLenInByte = 0
; NumSgprs: 0
; NumVgprs: 0
; ScratchSize: 0
; MemoryBound: 0
; FloatMode: 240
; IeeeMode: 1
; LDSByteSize: 0 bytes/workgroup (compile time only)
; SGPRBlocks: 0
; VGPRBlocks: 0
; NumSGPRsForWavesPerEU: 1
; NumVGPRsForWavesPerEU: 1
; Occupancy: 16
; WaveLimiterHint : 0
; COMPUTE_PGM_RSRC2:SCRATCH_EN: 0
; COMPUTE_PGM_RSRC2:USER_SGPR: 15
; COMPUTE_PGM_RSRC2:TRAP_HANDLER: 0
; COMPUTE_PGM_RSRC2:TGID_X_EN: 1
; COMPUTE_PGM_RSRC2:TGID_Y_EN: 0
; COMPUTE_PGM_RSRC2:TGID_Z_EN: 0
; COMPUTE_PGM_RSRC2:TIDIG_COMP_CNT: 0
	.section	.text._ZN7rocprim17ROCPRIM_400000_NS6detail17trampoline_kernelINS0_14default_configENS1_25partition_config_selectorILNS1_17partition_subalgoE9EyjbEEZZNS1_14partition_implILS5_9ELb0ES3_jN6thrust23THRUST_200600_302600_NS6detail15normal_iteratorINS9_10device_ptrIyEEEENSB_INSC_IjEEEEPNS0_10empty_typeENS0_5tupleIJNS9_16discard_iteratorINS9_11use_defaultEEESH_EEENSJ_IJSG_SI_EEENS0_18inequality_wrapperINS9_8equal_toIyEEEEPmJSH_EEE10hipError_tPvRmT3_T4_T5_T6_T7_T9_mT8_P12ihipStream_tbDpT10_ENKUlT_T0_E_clISt17integral_constantIbLb1EES1D_EEDaS18_S19_EUlS18_E_NS1_11comp_targetILNS1_3genE5ELNS1_11target_archE942ELNS1_3gpuE9ELNS1_3repE0EEENS1_30default_config_static_selectorELNS0_4arch9wavefront6targetE0EEEvT1_,"axG",@progbits,_ZN7rocprim17ROCPRIM_400000_NS6detail17trampoline_kernelINS0_14default_configENS1_25partition_config_selectorILNS1_17partition_subalgoE9EyjbEEZZNS1_14partition_implILS5_9ELb0ES3_jN6thrust23THRUST_200600_302600_NS6detail15normal_iteratorINS9_10device_ptrIyEEEENSB_INSC_IjEEEEPNS0_10empty_typeENS0_5tupleIJNS9_16discard_iteratorINS9_11use_defaultEEESH_EEENSJ_IJSG_SI_EEENS0_18inequality_wrapperINS9_8equal_toIyEEEEPmJSH_EEE10hipError_tPvRmT3_T4_T5_T6_T7_T9_mT8_P12ihipStream_tbDpT10_ENKUlT_T0_E_clISt17integral_constantIbLb1EES1D_EEDaS18_S19_EUlS18_E_NS1_11comp_targetILNS1_3genE5ELNS1_11target_archE942ELNS1_3gpuE9ELNS1_3repE0EEENS1_30default_config_static_selectorELNS0_4arch9wavefront6targetE0EEEvT1_,comdat
	.protected	_ZN7rocprim17ROCPRIM_400000_NS6detail17trampoline_kernelINS0_14default_configENS1_25partition_config_selectorILNS1_17partition_subalgoE9EyjbEEZZNS1_14partition_implILS5_9ELb0ES3_jN6thrust23THRUST_200600_302600_NS6detail15normal_iteratorINS9_10device_ptrIyEEEENSB_INSC_IjEEEEPNS0_10empty_typeENS0_5tupleIJNS9_16discard_iteratorINS9_11use_defaultEEESH_EEENSJ_IJSG_SI_EEENS0_18inequality_wrapperINS9_8equal_toIyEEEEPmJSH_EEE10hipError_tPvRmT3_T4_T5_T6_T7_T9_mT8_P12ihipStream_tbDpT10_ENKUlT_T0_E_clISt17integral_constantIbLb1EES1D_EEDaS18_S19_EUlS18_E_NS1_11comp_targetILNS1_3genE5ELNS1_11target_archE942ELNS1_3gpuE9ELNS1_3repE0EEENS1_30default_config_static_selectorELNS0_4arch9wavefront6targetE0EEEvT1_ ; -- Begin function _ZN7rocprim17ROCPRIM_400000_NS6detail17trampoline_kernelINS0_14default_configENS1_25partition_config_selectorILNS1_17partition_subalgoE9EyjbEEZZNS1_14partition_implILS5_9ELb0ES3_jN6thrust23THRUST_200600_302600_NS6detail15normal_iteratorINS9_10device_ptrIyEEEENSB_INSC_IjEEEEPNS0_10empty_typeENS0_5tupleIJNS9_16discard_iteratorINS9_11use_defaultEEESH_EEENSJ_IJSG_SI_EEENS0_18inequality_wrapperINS9_8equal_toIyEEEEPmJSH_EEE10hipError_tPvRmT3_T4_T5_T6_T7_T9_mT8_P12ihipStream_tbDpT10_ENKUlT_T0_E_clISt17integral_constantIbLb1EES1D_EEDaS18_S19_EUlS18_E_NS1_11comp_targetILNS1_3genE5ELNS1_11target_archE942ELNS1_3gpuE9ELNS1_3repE0EEENS1_30default_config_static_selectorELNS0_4arch9wavefront6targetE0EEEvT1_
	.globl	_ZN7rocprim17ROCPRIM_400000_NS6detail17trampoline_kernelINS0_14default_configENS1_25partition_config_selectorILNS1_17partition_subalgoE9EyjbEEZZNS1_14partition_implILS5_9ELb0ES3_jN6thrust23THRUST_200600_302600_NS6detail15normal_iteratorINS9_10device_ptrIyEEEENSB_INSC_IjEEEEPNS0_10empty_typeENS0_5tupleIJNS9_16discard_iteratorINS9_11use_defaultEEESH_EEENSJ_IJSG_SI_EEENS0_18inequality_wrapperINS9_8equal_toIyEEEEPmJSH_EEE10hipError_tPvRmT3_T4_T5_T6_T7_T9_mT8_P12ihipStream_tbDpT10_ENKUlT_T0_E_clISt17integral_constantIbLb1EES1D_EEDaS18_S19_EUlS18_E_NS1_11comp_targetILNS1_3genE5ELNS1_11target_archE942ELNS1_3gpuE9ELNS1_3repE0EEENS1_30default_config_static_selectorELNS0_4arch9wavefront6targetE0EEEvT1_
	.p2align	8
	.type	_ZN7rocprim17ROCPRIM_400000_NS6detail17trampoline_kernelINS0_14default_configENS1_25partition_config_selectorILNS1_17partition_subalgoE9EyjbEEZZNS1_14partition_implILS5_9ELb0ES3_jN6thrust23THRUST_200600_302600_NS6detail15normal_iteratorINS9_10device_ptrIyEEEENSB_INSC_IjEEEEPNS0_10empty_typeENS0_5tupleIJNS9_16discard_iteratorINS9_11use_defaultEEESH_EEENSJ_IJSG_SI_EEENS0_18inequality_wrapperINS9_8equal_toIyEEEEPmJSH_EEE10hipError_tPvRmT3_T4_T5_T6_T7_T9_mT8_P12ihipStream_tbDpT10_ENKUlT_T0_E_clISt17integral_constantIbLb1EES1D_EEDaS18_S19_EUlS18_E_NS1_11comp_targetILNS1_3genE5ELNS1_11target_archE942ELNS1_3gpuE9ELNS1_3repE0EEENS1_30default_config_static_selectorELNS0_4arch9wavefront6targetE0EEEvT1_,@function
_ZN7rocprim17ROCPRIM_400000_NS6detail17trampoline_kernelINS0_14default_configENS1_25partition_config_selectorILNS1_17partition_subalgoE9EyjbEEZZNS1_14partition_implILS5_9ELb0ES3_jN6thrust23THRUST_200600_302600_NS6detail15normal_iteratorINS9_10device_ptrIyEEEENSB_INSC_IjEEEEPNS0_10empty_typeENS0_5tupleIJNS9_16discard_iteratorINS9_11use_defaultEEESH_EEENSJ_IJSG_SI_EEENS0_18inequality_wrapperINS9_8equal_toIyEEEEPmJSH_EEE10hipError_tPvRmT3_T4_T5_T6_T7_T9_mT8_P12ihipStream_tbDpT10_ENKUlT_T0_E_clISt17integral_constantIbLb1EES1D_EEDaS18_S19_EUlS18_E_NS1_11comp_targetILNS1_3genE5ELNS1_11target_archE942ELNS1_3gpuE9ELNS1_3repE0EEENS1_30default_config_static_selectorELNS0_4arch9wavefront6targetE0EEEvT1_: ; @_ZN7rocprim17ROCPRIM_400000_NS6detail17trampoline_kernelINS0_14default_configENS1_25partition_config_selectorILNS1_17partition_subalgoE9EyjbEEZZNS1_14partition_implILS5_9ELb0ES3_jN6thrust23THRUST_200600_302600_NS6detail15normal_iteratorINS9_10device_ptrIyEEEENSB_INSC_IjEEEEPNS0_10empty_typeENS0_5tupleIJNS9_16discard_iteratorINS9_11use_defaultEEESH_EEENSJ_IJSG_SI_EEENS0_18inequality_wrapperINS9_8equal_toIyEEEEPmJSH_EEE10hipError_tPvRmT3_T4_T5_T6_T7_T9_mT8_P12ihipStream_tbDpT10_ENKUlT_T0_E_clISt17integral_constantIbLb1EES1D_EEDaS18_S19_EUlS18_E_NS1_11comp_targetILNS1_3genE5ELNS1_11target_archE942ELNS1_3gpuE9ELNS1_3repE0EEENS1_30default_config_static_selectorELNS0_4arch9wavefront6targetE0EEEvT1_
; %bb.0:
	.section	.rodata,"a",@progbits
	.p2align	6, 0x0
	.amdhsa_kernel _ZN7rocprim17ROCPRIM_400000_NS6detail17trampoline_kernelINS0_14default_configENS1_25partition_config_selectorILNS1_17partition_subalgoE9EyjbEEZZNS1_14partition_implILS5_9ELb0ES3_jN6thrust23THRUST_200600_302600_NS6detail15normal_iteratorINS9_10device_ptrIyEEEENSB_INSC_IjEEEEPNS0_10empty_typeENS0_5tupleIJNS9_16discard_iteratorINS9_11use_defaultEEESH_EEENSJ_IJSG_SI_EEENS0_18inequality_wrapperINS9_8equal_toIyEEEEPmJSH_EEE10hipError_tPvRmT3_T4_T5_T6_T7_T9_mT8_P12ihipStream_tbDpT10_ENKUlT_T0_E_clISt17integral_constantIbLb1EES1D_EEDaS18_S19_EUlS18_E_NS1_11comp_targetILNS1_3genE5ELNS1_11target_archE942ELNS1_3gpuE9ELNS1_3repE0EEENS1_30default_config_static_selectorELNS0_4arch9wavefront6targetE0EEEvT1_
		.amdhsa_group_segment_fixed_size 0
		.amdhsa_private_segment_fixed_size 0
		.amdhsa_kernarg_size 136
		.amdhsa_user_sgpr_count 15
		.amdhsa_user_sgpr_dispatch_ptr 0
		.amdhsa_user_sgpr_queue_ptr 0
		.amdhsa_user_sgpr_kernarg_segment_ptr 1
		.amdhsa_user_sgpr_dispatch_id 0
		.amdhsa_user_sgpr_private_segment_size 0
		.amdhsa_wavefront_size32 1
		.amdhsa_uses_dynamic_stack 0
		.amdhsa_enable_private_segment 0
		.amdhsa_system_sgpr_workgroup_id_x 1
		.amdhsa_system_sgpr_workgroup_id_y 0
		.amdhsa_system_sgpr_workgroup_id_z 0
		.amdhsa_system_sgpr_workgroup_info 0
		.amdhsa_system_vgpr_workitem_id 0
		.amdhsa_next_free_vgpr 1
		.amdhsa_next_free_sgpr 1
		.amdhsa_reserve_vcc 0
		.amdhsa_float_round_mode_32 0
		.amdhsa_float_round_mode_16_64 0
		.amdhsa_float_denorm_mode_32 3
		.amdhsa_float_denorm_mode_16_64 3
		.amdhsa_dx10_clamp 1
		.amdhsa_ieee_mode 1
		.amdhsa_fp16_overflow 0
		.amdhsa_workgroup_processor_mode 1
		.amdhsa_memory_ordered 1
		.amdhsa_forward_progress 0
		.amdhsa_shared_vgpr_count 0
		.amdhsa_exception_fp_ieee_invalid_op 0
		.amdhsa_exception_fp_denorm_src 0
		.amdhsa_exception_fp_ieee_div_zero 0
		.amdhsa_exception_fp_ieee_overflow 0
		.amdhsa_exception_fp_ieee_underflow 0
		.amdhsa_exception_fp_ieee_inexact 0
		.amdhsa_exception_int_div_zero 0
	.end_amdhsa_kernel
	.section	.text._ZN7rocprim17ROCPRIM_400000_NS6detail17trampoline_kernelINS0_14default_configENS1_25partition_config_selectorILNS1_17partition_subalgoE9EyjbEEZZNS1_14partition_implILS5_9ELb0ES3_jN6thrust23THRUST_200600_302600_NS6detail15normal_iteratorINS9_10device_ptrIyEEEENSB_INSC_IjEEEEPNS0_10empty_typeENS0_5tupleIJNS9_16discard_iteratorINS9_11use_defaultEEESH_EEENSJ_IJSG_SI_EEENS0_18inequality_wrapperINS9_8equal_toIyEEEEPmJSH_EEE10hipError_tPvRmT3_T4_T5_T6_T7_T9_mT8_P12ihipStream_tbDpT10_ENKUlT_T0_E_clISt17integral_constantIbLb1EES1D_EEDaS18_S19_EUlS18_E_NS1_11comp_targetILNS1_3genE5ELNS1_11target_archE942ELNS1_3gpuE9ELNS1_3repE0EEENS1_30default_config_static_selectorELNS0_4arch9wavefront6targetE0EEEvT1_,"axG",@progbits,_ZN7rocprim17ROCPRIM_400000_NS6detail17trampoline_kernelINS0_14default_configENS1_25partition_config_selectorILNS1_17partition_subalgoE9EyjbEEZZNS1_14partition_implILS5_9ELb0ES3_jN6thrust23THRUST_200600_302600_NS6detail15normal_iteratorINS9_10device_ptrIyEEEENSB_INSC_IjEEEEPNS0_10empty_typeENS0_5tupleIJNS9_16discard_iteratorINS9_11use_defaultEEESH_EEENSJ_IJSG_SI_EEENS0_18inequality_wrapperINS9_8equal_toIyEEEEPmJSH_EEE10hipError_tPvRmT3_T4_T5_T6_T7_T9_mT8_P12ihipStream_tbDpT10_ENKUlT_T0_E_clISt17integral_constantIbLb1EES1D_EEDaS18_S19_EUlS18_E_NS1_11comp_targetILNS1_3genE5ELNS1_11target_archE942ELNS1_3gpuE9ELNS1_3repE0EEENS1_30default_config_static_selectorELNS0_4arch9wavefront6targetE0EEEvT1_,comdat
.Lfunc_end766:
	.size	_ZN7rocprim17ROCPRIM_400000_NS6detail17trampoline_kernelINS0_14default_configENS1_25partition_config_selectorILNS1_17partition_subalgoE9EyjbEEZZNS1_14partition_implILS5_9ELb0ES3_jN6thrust23THRUST_200600_302600_NS6detail15normal_iteratorINS9_10device_ptrIyEEEENSB_INSC_IjEEEEPNS0_10empty_typeENS0_5tupleIJNS9_16discard_iteratorINS9_11use_defaultEEESH_EEENSJ_IJSG_SI_EEENS0_18inequality_wrapperINS9_8equal_toIyEEEEPmJSH_EEE10hipError_tPvRmT3_T4_T5_T6_T7_T9_mT8_P12ihipStream_tbDpT10_ENKUlT_T0_E_clISt17integral_constantIbLb1EES1D_EEDaS18_S19_EUlS18_E_NS1_11comp_targetILNS1_3genE5ELNS1_11target_archE942ELNS1_3gpuE9ELNS1_3repE0EEENS1_30default_config_static_selectorELNS0_4arch9wavefront6targetE0EEEvT1_, .Lfunc_end766-_ZN7rocprim17ROCPRIM_400000_NS6detail17trampoline_kernelINS0_14default_configENS1_25partition_config_selectorILNS1_17partition_subalgoE9EyjbEEZZNS1_14partition_implILS5_9ELb0ES3_jN6thrust23THRUST_200600_302600_NS6detail15normal_iteratorINS9_10device_ptrIyEEEENSB_INSC_IjEEEEPNS0_10empty_typeENS0_5tupleIJNS9_16discard_iteratorINS9_11use_defaultEEESH_EEENSJ_IJSG_SI_EEENS0_18inequality_wrapperINS9_8equal_toIyEEEEPmJSH_EEE10hipError_tPvRmT3_T4_T5_T6_T7_T9_mT8_P12ihipStream_tbDpT10_ENKUlT_T0_E_clISt17integral_constantIbLb1EES1D_EEDaS18_S19_EUlS18_E_NS1_11comp_targetILNS1_3genE5ELNS1_11target_archE942ELNS1_3gpuE9ELNS1_3repE0EEENS1_30default_config_static_selectorELNS0_4arch9wavefront6targetE0EEEvT1_
                                        ; -- End function
	.section	.AMDGPU.csdata,"",@progbits
; Kernel info:
; codeLenInByte = 0
; NumSgprs: 0
; NumVgprs: 0
; ScratchSize: 0
; MemoryBound: 0
; FloatMode: 240
; IeeeMode: 1
; LDSByteSize: 0 bytes/workgroup (compile time only)
; SGPRBlocks: 0
; VGPRBlocks: 0
; NumSGPRsForWavesPerEU: 1
; NumVGPRsForWavesPerEU: 1
; Occupancy: 16
; WaveLimiterHint : 0
; COMPUTE_PGM_RSRC2:SCRATCH_EN: 0
; COMPUTE_PGM_RSRC2:USER_SGPR: 15
; COMPUTE_PGM_RSRC2:TRAP_HANDLER: 0
; COMPUTE_PGM_RSRC2:TGID_X_EN: 1
; COMPUTE_PGM_RSRC2:TGID_Y_EN: 0
; COMPUTE_PGM_RSRC2:TGID_Z_EN: 0
; COMPUTE_PGM_RSRC2:TIDIG_COMP_CNT: 0
	.section	.text._ZN7rocprim17ROCPRIM_400000_NS6detail17trampoline_kernelINS0_14default_configENS1_25partition_config_selectorILNS1_17partition_subalgoE9EyjbEEZZNS1_14partition_implILS5_9ELb0ES3_jN6thrust23THRUST_200600_302600_NS6detail15normal_iteratorINS9_10device_ptrIyEEEENSB_INSC_IjEEEEPNS0_10empty_typeENS0_5tupleIJNS9_16discard_iteratorINS9_11use_defaultEEESH_EEENSJ_IJSG_SI_EEENS0_18inequality_wrapperINS9_8equal_toIyEEEEPmJSH_EEE10hipError_tPvRmT3_T4_T5_T6_T7_T9_mT8_P12ihipStream_tbDpT10_ENKUlT_T0_E_clISt17integral_constantIbLb1EES1D_EEDaS18_S19_EUlS18_E_NS1_11comp_targetILNS1_3genE4ELNS1_11target_archE910ELNS1_3gpuE8ELNS1_3repE0EEENS1_30default_config_static_selectorELNS0_4arch9wavefront6targetE0EEEvT1_,"axG",@progbits,_ZN7rocprim17ROCPRIM_400000_NS6detail17trampoline_kernelINS0_14default_configENS1_25partition_config_selectorILNS1_17partition_subalgoE9EyjbEEZZNS1_14partition_implILS5_9ELb0ES3_jN6thrust23THRUST_200600_302600_NS6detail15normal_iteratorINS9_10device_ptrIyEEEENSB_INSC_IjEEEEPNS0_10empty_typeENS0_5tupleIJNS9_16discard_iteratorINS9_11use_defaultEEESH_EEENSJ_IJSG_SI_EEENS0_18inequality_wrapperINS9_8equal_toIyEEEEPmJSH_EEE10hipError_tPvRmT3_T4_T5_T6_T7_T9_mT8_P12ihipStream_tbDpT10_ENKUlT_T0_E_clISt17integral_constantIbLb1EES1D_EEDaS18_S19_EUlS18_E_NS1_11comp_targetILNS1_3genE4ELNS1_11target_archE910ELNS1_3gpuE8ELNS1_3repE0EEENS1_30default_config_static_selectorELNS0_4arch9wavefront6targetE0EEEvT1_,comdat
	.protected	_ZN7rocprim17ROCPRIM_400000_NS6detail17trampoline_kernelINS0_14default_configENS1_25partition_config_selectorILNS1_17partition_subalgoE9EyjbEEZZNS1_14partition_implILS5_9ELb0ES3_jN6thrust23THRUST_200600_302600_NS6detail15normal_iteratorINS9_10device_ptrIyEEEENSB_INSC_IjEEEEPNS0_10empty_typeENS0_5tupleIJNS9_16discard_iteratorINS9_11use_defaultEEESH_EEENSJ_IJSG_SI_EEENS0_18inequality_wrapperINS9_8equal_toIyEEEEPmJSH_EEE10hipError_tPvRmT3_T4_T5_T6_T7_T9_mT8_P12ihipStream_tbDpT10_ENKUlT_T0_E_clISt17integral_constantIbLb1EES1D_EEDaS18_S19_EUlS18_E_NS1_11comp_targetILNS1_3genE4ELNS1_11target_archE910ELNS1_3gpuE8ELNS1_3repE0EEENS1_30default_config_static_selectorELNS0_4arch9wavefront6targetE0EEEvT1_ ; -- Begin function _ZN7rocprim17ROCPRIM_400000_NS6detail17trampoline_kernelINS0_14default_configENS1_25partition_config_selectorILNS1_17partition_subalgoE9EyjbEEZZNS1_14partition_implILS5_9ELb0ES3_jN6thrust23THRUST_200600_302600_NS6detail15normal_iteratorINS9_10device_ptrIyEEEENSB_INSC_IjEEEEPNS0_10empty_typeENS0_5tupleIJNS9_16discard_iteratorINS9_11use_defaultEEESH_EEENSJ_IJSG_SI_EEENS0_18inequality_wrapperINS9_8equal_toIyEEEEPmJSH_EEE10hipError_tPvRmT3_T4_T5_T6_T7_T9_mT8_P12ihipStream_tbDpT10_ENKUlT_T0_E_clISt17integral_constantIbLb1EES1D_EEDaS18_S19_EUlS18_E_NS1_11comp_targetILNS1_3genE4ELNS1_11target_archE910ELNS1_3gpuE8ELNS1_3repE0EEENS1_30default_config_static_selectorELNS0_4arch9wavefront6targetE0EEEvT1_
	.globl	_ZN7rocprim17ROCPRIM_400000_NS6detail17trampoline_kernelINS0_14default_configENS1_25partition_config_selectorILNS1_17partition_subalgoE9EyjbEEZZNS1_14partition_implILS5_9ELb0ES3_jN6thrust23THRUST_200600_302600_NS6detail15normal_iteratorINS9_10device_ptrIyEEEENSB_INSC_IjEEEEPNS0_10empty_typeENS0_5tupleIJNS9_16discard_iteratorINS9_11use_defaultEEESH_EEENSJ_IJSG_SI_EEENS0_18inequality_wrapperINS9_8equal_toIyEEEEPmJSH_EEE10hipError_tPvRmT3_T4_T5_T6_T7_T9_mT8_P12ihipStream_tbDpT10_ENKUlT_T0_E_clISt17integral_constantIbLb1EES1D_EEDaS18_S19_EUlS18_E_NS1_11comp_targetILNS1_3genE4ELNS1_11target_archE910ELNS1_3gpuE8ELNS1_3repE0EEENS1_30default_config_static_selectorELNS0_4arch9wavefront6targetE0EEEvT1_
	.p2align	8
	.type	_ZN7rocprim17ROCPRIM_400000_NS6detail17trampoline_kernelINS0_14default_configENS1_25partition_config_selectorILNS1_17partition_subalgoE9EyjbEEZZNS1_14partition_implILS5_9ELb0ES3_jN6thrust23THRUST_200600_302600_NS6detail15normal_iteratorINS9_10device_ptrIyEEEENSB_INSC_IjEEEEPNS0_10empty_typeENS0_5tupleIJNS9_16discard_iteratorINS9_11use_defaultEEESH_EEENSJ_IJSG_SI_EEENS0_18inequality_wrapperINS9_8equal_toIyEEEEPmJSH_EEE10hipError_tPvRmT3_T4_T5_T6_T7_T9_mT8_P12ihipStream_tbDpT10_ENKUlT_T0_E_clISt17integral_constantIbLb1EES1D_EEDaS18_S19_EUlS18_E_NS1_11comp_targetILNS1_3genE4ELNS1_11target_archE910ELNS1_3gpuE8ELNS1_3repE0EEENS1_30default_config_static_selectorELNS0_4arch9wavefront6targetE0EEEvT1_,@function
_ZN7rocprim17ROCPRIM_400000_NS6detail17trampoline_kernelINS0_14default_configENS1_25partition_config_selectorILNS1_17partition_subalgoE9EyjbEEZZNS1_14partition_implILS5_9ELb0ES3_jN6thrust23THRUST_200600_302600_NS6detail15normal_iteratorINS9_10device_ptrIyEEEENSB_INSC_IjEEEEPNS0_10empty_typeENS0_5tupleIJNS9_16discard_iteratorINS9_11use_defaultEEESH_EEENSJ_IJSG_SI_EEENS0_18inequality_wrapperINS9_8equal_toIyEEEEPmJSH_EEE10hipError_tPvRmT3_T4_T5_T6_T7_T9_mT8_P12ihipStream_tbDpT10_ENKUlT_T0_E_clISt17integral_constantIbLb1EES1D_EEDaS18_S19_EUlS18_E_NS1_11comp_targetILNS1_3genE4ELNS1_11target_archE910ELNS1_3gpuE8ELNS1_3repE0EEENS1_30default_config_static_selectorELNS0_4arch9wavefront6targetE0EEEvT1_: ; @_ZN7rocprim17ROCPRIM_400000_NS6detail17trampoline_kernelINS0_14default_configENS1_25partition_config_selectorILNS1_17partition_subalgoE9EyjbEEZZNS1_14partition_implILS5_9ELb0ES3_jN6thrust23THRUST_200600_302600_NS6detail15normal_iteratorINS9_10device_ptrIyEEEENSB_INSC_IjEEEEPNS0_10empty_typeENS0_5tupleIJNS9_16discard_iteratorINS9_11use_defaultEEESH_EEENSJ_IJSG_SI_EEENS0_18inequality_wrapperINS9_8equal_toIyEEEEPmJSH_EEE10hipError_tPvRmT3_T4_T5_T6_T7_T9_mT8_P12ihipStream_tbDpT10_ENKUlT_T0_E_clISt17integral_constantIbLb1EES1D_EEDaS18_S19_EUlS18_E_NS1_11comp_targetILNS1_3genE4ELNS1_11target_archE910ELNS1_3gpuE8ELNS1_3repE0EEENS1_30default_config_static_selectorELNS0_4arch9wavefront6targetE0EEEvT1_
; %bb.0:
	.section	.rodata,"a",@progbits
	.p2align	6, 0x0
	.amdhsa_kernel _ZN7rocprim17ROCPRIM_400000_NS6detail17trampoline_kernelINS0_14default_configENS1_25partition_config_selectorILNS1_17partition_subalgoE9EyjbEEZZNS1_14partition_implILS5_9ELb0ES3_jN6thrust23THRUST_200600_302600_NS6detail15normal_iteratorINS9_10device_ptrIyEEEENSB_INSC_IjEEEEPNS0_10empty_typeENS0_5tupleIJNS9_16discard_iteratorINS9_11use_defaultEEESH_EEENSJ_IJSG_SI_EEENS0_18inequality_wrapperINS9_8equal_toIyEEEEPmJSH_EEE10hipError_tPvRmT3_T4_T5_T6_T7_T9_mT8_P12ihipStream_tbDpT10_ENKUlT_T0_E_clISt17integral_constantIbLb1EES1D_EEDaS18_S19_EUlS18_E_NS1_11comp_targetILNS1_3genE4ELNS1_11target_archE910ELNS1_3gpuE8ELNS1_3repE0EEENS1_30default_config_static_selectorELNS0_4arch9wavefront6targetE0EEEvT1_
		.amdhsa_group_segment_fixed_size 0
		.amdhsa_private_segment_fixed_size 0
		.amdhsa_kernarg_size 136
		.amdhsa_user_sgpr_count 15
		.amdhsa_user_sgpr_dispatch_ptr 0
		.amdhsa_user_sgpr_queue_ptr 0
		.amdhsa_user_sgpr_kernarg_segment_ptr 1
		.amdhsa_user_sgpr_dispatch_id 0
		.amdhsa_user_sgpr_private_segment_size 0
		.amdhsa_wavefront_size32 1
		.amdhsa_uses_dynamic_stack 0
		.amdhsa_enable_private_segment 0
		.amdhsa_system_sgpr_workgroup_id_x 1
		.amdhsa_system_sgpr_workgroup_id_y 0
		.amdhsa_system_sgpr_workgroup_id_z 0
		.amdhsa_system_sgpr_workgroup_info 0
		.amdhsa_system_vgpr_workitem_id 0
		.amdhsa_next_free_vgpr 1
		.amdhsa_next_free_sgpr 1
		.amdhsa_reserve_vcc 0
		.amdhsa_float_round_mode_32 0
		.amdhsa_float_round_mode_16_64 0
		.amdhsa_float_denorm_mode_32 3
		.amdhsa_float_denorm_mode_16_64 3
		.amdhsa_dx10_clamp 1
		.amdhsa_ieee_mode 1
		.amdhsa_fp16_overflow 0
		.amdhsa_workgroup_processor_mode 1
		.amdhsa_memory_ordered 1
		.amdhsa_forward_progress 0
		.amdhsa_shared_vgpr_count 0
		.amdhsa_exception_fp_ieee_invalid_op 0
		.amdhsa_exception_fp_denorm_src 0
		.amdhsa_exception_fp_ieee_div_zero 0
		.amdhsa_exception_fp_ieee_overflow 0
		.amdhsa_exception_fp_ieee_underflow 0
		.amdhsa_exception_fp_ieee_inexact 0
		.amdhsa_exception_int_div_zero 0
	.end_amdhsa_kernel
	.section	.text._ZN7rocprim17ROCPRIM_400000_NS6detail17trampoline_kernelINS0_14default_configENS1_25partition_config_selectorILNS1_17partition_subalgoE9EyjbEEZZNS1_14partition_implILS5_9ELb0ES3_jN6thrust23THRUST_200600_302600_NS6detail15normal_iteratorINS9_10device_ptrIyEEEENSB_INSC_IjEEEEPNS0_10empty_typeENS0_5tupleIJNS9_16discard_iteratorINS9_11use_defaultEEESH_EEENSJ_IJSG_SI_EEENS0_18inequality_wrapperINS9_8equal_toIyEEEEPmJSH_EEE10hipError_tPvRmT3_T4_T5_T6_T7_T9_mT8_P12ihipStream_tbDpT10_ENKUlT_T0_E_clISt17integral_constantIbLb1EES1D_EEDaS18_S19_EUlS18_E_NS1_11comp_targetILNS1_3genE4ELNS1_11target_archE910ELNS1_3gpuE8ELNS1_3repE0EEENS1_30default_config_static_selectorELNS0_4arch9wavefront6targetE0EEEvT1_,"axG",@progbits,_ZN7rocprim17ROCPRIM_400000_NS6detail17trampoline_kernelINS0_14default_configENS1_25partition_config_selectorILNS1_17partition_subalgoE9EyjbEEZZNS1_14partition_implILS5_9ELb0ES3_jN6thrust23THRUST_200600_302600_NS6detail15normal_iteratorINS9_10device_ptrIyEEEENSB_INSC_IjEEEEPNS0_10empty_typeENS0_5tupleIJNS9_16discard_iteratorINS9_11use_defaultEEESH_EEENSJ_IJSG_SI_EEENS0_18inequality_wrapperINS9_8equal_toIyEEEEPmJSH_EEE10hipError_tPvRmT3_T4_T5_T6_T7_T9_mT8_P12ihipStream_tbDpT10_ENKUlT_T0_E_clISt17integral_constantIbLb1EES1D_EEDaS18_S19_EUlS18_E_NS1_11comp_targetILNS1_3genE4ELNS1_11target_archE910ELNS1_3gpuE8ELNS1_3repE0EEENS1_30default_config_static_selectorELNS0_4arch9wavefront6targetE0EEEvT1_,comdat
.Lfunc_end767:
	.size	_ZN7rocprim17ROCPRIM_400000_NS6detail17trampoline_kernelINS0_14default_configENS1_25partition_config_selectorILNS1_17partition_subalgoE9EyjbEEZZNS1_14partition_implILS5_9ELb0ES3_jN6thrust23THRUST_200600_302600_NS6detail15normal_iteratorINS9_10device_ptrIyEEEENSB_INSC_IjEEEEPNS0_10empty_typeENS0_5tupleIJNS9_16discard_iteratorINS9_11use_defaultEEESH_EEENSJ_IJSG_SI_EEENS0_18inequality_wrapperINS9_8equal_toIyEEEEPmJSH_EEE10hipError_tPvRmT3_T4_T5_T6_T7_T9_mT8_P12ihipStream_tbDpT10_ENKUlT_T0_E_clISt17integral_constantIbLb1EES1D_EEDaS18_S19_EUlS18_E_NS1_11comp_targetILNS1_3genE4ELNS1_11target_archE910ELNS1_3gpuE8ELNS1_3repE0EEENS1_30default_config_static_selectorELNS0_4arch9wavefront6targetE0EEEvT1_, .Lfunc_end767-_ZN7rocprim17ROCPRIM_400000_NS6detail17trampoline_kernelINS0_14default_configENS1_25partition_config_selectorILNS1_17partition_subalgoE9EyjbEEZZNS1_14partition_implILS5_9ELb0ES3_jN6thrust23THRUST_200600_302600_NS6detail15normal_iteratorINS9_10device_ptrIyEEEENSB_INSC_IjEEEEPNS0_10empty_typeENS0_5tupleIJNS9_16discard_iteratorINS9_11use_defaultEEESH_EEENSJ_IJSG_SI_EEENS0_18inequality_wrapperINS9_8equal_toIyEEEEPmJSH_EEE10hipError_tPvRmT3_T4_T5_T6_T7_T9_mT8_P12ihipStream_tbDpT10_ENKUlT_T0_E_clISt17integral_constantIbLb1EES1D_EEDaS18_S19_EUlS18_E_NS1_11comp_targetILNS1_3genE4ELNS1_11target_archE910ELNS1_3gpuE8ELNS1_3repE0EEENS1_30default_config_static_selectorELNS0_4arch9wavefront6targetE0EEEvT1_
                                        ; -- End function
	.section	.AMDGPU.csdata,"",@progbits
; Kernel info:
; codeLenInByte = 0
; NumSgprs: 0
; NumVgprs: 0
; ScratchSize: 0
; MemoryBound: 0
; FloatMode: 240
; IeeeMode: 1
; LDSByteSize: 0 bytes/workgroup (compile time only)
; SGPRBlocks: 0
; VGPRBlocks: 0
; NumSGPRsForWavesPerEU: 1
; NumVGPRsForWavesPerEU: 1
; Occupancy: 15
; WaveLimiterHint : 0
; COMPUTE_PGM_RSRC2:SCRATCH_EN: 0
; COMPUTE_PGM_RSRC2:USER_SGPR: 15
; COMPUTE_PGM_RSRC2:TRAP_HANDLER: 0
; COMPUTE_PGM_RSRC2:TGID_X_EN: 1
; COMPUTE_PGM_RSRC2:TGID_Y_EN: 0
; COMPUTE_PGM_RSRC2:TGID_Z_EN: 0
; COMPUTE_PGM_RSRC2:TIDIG_COMP_CNT: 0
	.section	.text._ZN7rocprim17ROCPRIM_400000_NS6detail17trampoline_kernelINS0_14default_configENS1_25partition_config_selectorILNS1_17partition_subalgoE9EyjbEEZZNS1_14partition_implILS5_9ELb0ES3_jN6thrust23THRUST_200600_302600_NS6detail15normal_iteratorINS9_10device_ptrIyEEEENSB_INSC_IjEEEEPNS0_10empty_typeENS0_5tupleIJNS9_16discard_iteratorINS9_11use_defaultEEESH_EEENSJ_IJSG_SI_EEENS0_18inequality_wrapperINS9_8equal_toIyEEEEPmJSH_EEE10hipError_tPvRmT3_T4_T5_T6_T7_T9_mT8_P12ihipStream_tbDpT10_ENKUlT_T0_E_clISt17integral_constantIbLb1EES1D_EEDaS18_S19_EUlS18_E_NS1_11comp_targetILNS1_3genE3ELNS1_11target_archE908ELNS1_3gpuE7ELNS1_3repE0EEENS1_30default_config_static_selectorELNS0_4arch9wavefront6targetE0EEEvT1_,"axG",@progbits,_ZN7rocprim17ROCPRIM_400000_NS6detail17trampoline_kernelINS0_14default_configENS1_25partition_config_selectorILNS1_17partition_subalgoE9EyjbEEZZNS1_14partition_implILS5_9ELb0ES3_jN6thrust23THRUST_200600_302600_NS6detail15normal_iteratorINS9_10device_ptrIyEEEENSB_INSC_IjEEEEPNS0_10empty_typeENS0_5tupleIJNS9_16discard_iteratorINS9_11use_defaultEEESH_EEENSJ_IJSG_SI_EEENS0_18inequality_wrapperINS9_8equal_toIyEEEEPmJSH_EEE10hipError_tPvRmT3_T4_T5_T6_T7_T9_mT8_P12ihipStream_tbDpT10_ENKUlT_T0_E_clISt17integral_constantIbLb1EES1D_EEDaS18_S19_EUlS18_E_NS1_11comp_targetILNS1_3genE3ELNS1_11target_archE908ELNS1_3gpuE7ELNS1_3repE0EEENS1_30default_config_static_selectorELNS0_4arch9wavefront6targetE0EEEvT1_,comdat
	.protected	_ZN7rocprim17ROCPRIM_400000_NS6detail17trampoline_kernelINS0_14default_configENS1_25partition_config_selectorILNS1_17partition_subalgoE9EyjbEEZZNS1_14partition_implILS5_9ELb0ES3_jN6thrust23THRUST_200600_302600_NS6detail15normal_iteratorINS9_10device_ptrIyEEEENSB_INSC_IjEEEEPNS0_10empty_typeENS0_5tupleIJNS9_16discard_iteratorINS9_11use_defaultEEESH_EEENSJ_IJSG_SI_EEENS0_18inequality_wrapperINS9_8equal_toIyEEEEPmJSH_EEE10hipError_tPvRmT3_T4_T5_T6_T7_T9_mT8_P12ihipStream_tbDpT10_ENKUlT_T0_E_clISt17integral_constantIbLb1EES1D_EEDaS18_S19_EUlS18_E_NS1_11comp_targetILNS1_3genE3ELNS1_11target_archE908ELNS1_3gpuE7ELNS1_3repE0EEENS1_30default_config_static_selectorELNS0_4arch9wavefront6targetE0EEEvT1_ ; -- Begin function _ZN7rocprim17ROCPRIM_400000_NS6detail17trampoline_kernelINS0_14default_configENS1_25partition_config_selectorILNS1_17partition_subalgoE9EyjbEEZZNS1_14partition_implILS5_9ELb0ES3_jN6thrust23THRUST_200600_302600_NS6detail15normal_iteratorINS9_10device_ptrIyEEEENSB_INSC_IjEEEEPNS0_10empty_typeENS0_5tupleIJNS9_16discard_iteratorINS9_11use_defaultEEESH_EEENSJ_IJSG_SI_EEENS0_18inequality_wrapperINS9_8equal_toIyEEEEPmJSH_EEE10hipError_tPvRmT3_T4_T5_T6_T7_T9_mT8_P12ihipStream_tbDpT10_ENKUlT_T0_E_clISt17integral_constantIbLb1EES1D_EEDaS18_S19_EUlS18_E_NS1_11comp_targetILNS1_3genE3ELNS1_11target_archE908ELNS1_3gpuE7ELNS1_3repE0EEENS1_30default_config_static_selectorELNS0_4arch9wavefront6targetE0EEEvT1_
	.globl	_ZN7rocprim17ROCPRIM_400000_NS6detail17trampoline_kernelINS0_14default_configENS1_25partition_config_selectorILNS1_17partition_subalgoE9EyjbEEZZNS1_14partition_implILS5_9ELb0ES3_jN6thrust23THRUST_200600_302600_NS6detail15normal_iteratorINS9_10device_ptrIyEEEENSB_INSC_IjEEEEPNS0_10empty_typeENS0_5tupleIJNS9_16discard_iteratorINS9_11use_defaultEEESH_EEENSJ_IJSG_SI_EEENS0_18inequality_wrapperINS9_8equal_toIyEEEEPmJSH_EEE10hipError_tPvRmT3_T4_T5_T6_T7_T9_mT8_P12ihipStream_tbDpT10_ENKUlT_T0_E_clISt17integral_constantIbLb1EES1D_EEDaS18_S19_EUlS18_E_NS1_11comp_targetILNS1_3genE3ELNS1_11target_archE908ELNS1_3gpuE7ELNS1_3repE0EEENS1_30default_config_static_selectorELNS0_4arch9wavefront6targetE0EEEvT1_
	.p2align	8
	.type	_ZN7rocprim17ROCPRIM_400000_NS6detail17trampoline_kernelINS0_14default_configENS1_25partition_config_selectorILNS1_17partition_subalgoE9EyjbEEZZNS1_14partition_implILS5_9ELb0ES3_jN6thrust23THRUST_200600_302600_NS6detail15normal_iteratorINS9_10device_ptrIyEEEENSB_INSC_IjEEEEPNS0_10empty_typeENS0_5tupleIJNS9_16discard_iteratorINS9_11use_defaultEEESH_EEENSJ_IJSG_SI_EEENS0_18inequality_wrapperINS9_8equal_toIyEEEEPmJSH_EEE10hipError_tPvRmT3_T4_T5_T6_T7_T9_mT8_P12ihipStream_tbDpT10_ENKUlT_T0_E_clISt17integral_constantIbLb1EES1D_EEDaS18_S19_EUlS18_E_NS1_11comp_targetILNS1_3genE3ELNS1_11target_archE908ELNS1_3gpuE7ELNS1_3repE0EEENS1_30default_config_static_selectorELNS0_4arch9wavefront6targetE0EEEvT1_,@function
_ZN7rocprim17ROCPRIM_400000_NS6detail17trampoline_kernelINS0_14default_configENS1_25partition_config_selectorILNS1_17partition_subalgoE9EyjbEEZZNS1_14partition_implILS5_9ELb0ES3_jN6thrust23THRUST_200600_302600_NS6detail15normal_iteratorINS9_10device_ptrIyEEEENSB_INSC_IjEEEEPNS0_10empty_typeENS0_5tupleIJNS9_16discard_iteratorINS9_11use_defaultEEESH_EEENSJ_IJSG_SI_EEENS0_18inequality_wrapperINS9_8equal_toIyEEEEPmJSH_EEE10hipError_tPvRmT3_T4_T5_T6_T7_T9_mT8_P12ihipStream_tbDpT10_ENKUlT_T0_E_clISt17integral_constantIbLb1EES1D_EEDaS18_S19_EUlS18_E_NS1_11comp_targetILNS1_3genE3ELNS1_11target_archE908ELNS1_3gpuE7ELNS1_3repE0EEENS1_30default_config_static_selectorELNS0_4arch9wavefront6targetE0EEEvT1_: ; @_ZN7rocprim17ROCPRIM_400000_NS6detail17trampoline_kernelINS0_14default_configENS1_25partition_config_selectorILNS1_17partition_subalgoE9EyjbEEZZNS1_14partition_implILS5_9ELb0ES3_jN6thrust23THRUST_200600_302600_NS6detail15normal_iteratorINS9_10device_ptrIyEEEENSB_INSC_IjEEEEPNS0_10empty_typeENS0_5tupleIJNS9_16discard_iteratorINS9_11use_defaultEEESH_EEENSJ_IJSG_SI_EEENS0_18inequality_wrapperINS9_8equal_toIyEEEEPmJSH_EEE10hipError_tPvRmT3_T4_T5_T6_T7_T9_mT8_P12ihipStream_tbDpT10_ENKUlT_T0_E_clISt17integral_constantIbLb1EES1D_EEDaS18_S19_EUlS18_E_NS1_11comp_targetILNS1_3genE3ELNS1_11target_archE908ELNS1_3gpuE7ELNS1_3repE0EEENS1_30default_config_static_selectorELNS0_4arch9wavefront6targetE0EEEvT1_
; %bb.0:
	.section	.rodata,"a",@progbits
	.p2align	6, 0x0
	.amdhsa_kernel _ZN7rocprim17ROCPRIM_400000_NS6detail17trampoline_kernelINS0_14default_configENS1_25partition_config_selectorILNS1_17partition_subalgoE9EyjbEEZZNS1_14partition_implILS5_9ELb0ES3_jN6thrust23THRUST_200600_302600_NS6detail15normal_iteratorINS9_10device_ptrIyEEEENSB_INSC_IjEEEEPNS0_10empty_typeENS0_5tupleIJNS9_16discard_iteratorINS9_11use_defaultEEESH_EEENSJ_IJSG_SI_EEENS0_18inequality_wrapperINS9_8equal_toIyEEEEPmJSH_EEE10hipError_tPvRmT3_T4_T5_T6_T7_T9_mT8_P12ihipStream_tbDpT10_ENKUlT_T0_E_clISt17integral_constantIbLb1EES1D_EEDaS18_S19_EUlS18_E_NS1_11comp_targetILNS1_3genE3ELNS1_11target_archE908ELNS1_3gpuE7ELNS1_3repE0EEENS1_30default_config_static_selectorELNS0_4arch9wavefront6targetE0EEEvT1_
		.amdhsa_group_segment_fixed_size 0
		.amdhsa_private_segment_fixed_size 0
		.amdhsa_kernarg_size 136
		.amdhsa_user_sgpr_count 15
		.amdhsa_user_sgpr_dispatch_ptr 0
		.amdhsa_user_sgpr_queue_ptr 0
		.amdhsa_user_sgpr_kernarg_segment_ptr 1
		.amdhsa_user_sgpr_dispatch_id 0
		.amdhsa_user_sgpr_private_segment_size 0
		.amdhsa_wavefront_size32 1
		.amdhsa_uses_dynamic_stack 0
		.amdhsa_enable_private_segment 0
		.amdhsa_system_sgpr_workgroup_id_x 1
		.amdhsa_system_sgpr_workgroup_id_y 0
		.amdhsa_system_sgpr_workgroup_id_z 0
		.amdhsa_system_sgpr_workgroup_info 0
		.amdhsa_system_vgpr_workitem_id 0
		.amdhsa_next_free_vgpr 1
		.amdhsa_next_free_sgpr 1
		.amdhsa_reserve_vcc 0
		.amdhsa_float_round_mode_32 0
		.amdhsa_float_round_mode_16_64 0
		.amdhsa_float_denorm_mode_32 3
		.amdhsa_float_denorm_mode_16_64 3
		.amdhsa_dx10_clamp 1
		.amdhsa_ieee_mode 1
		.amdhsa_fp16_overflow 0
		.amdhsa_workgroup_processor_mode 1
		.amdhsa_memory_ordered 1
		.amdhsa_forward_progress 0
		.amdhsa_shared_vgpr_count 0
		.amdhsa_exception_fp_ieee_invalid_op 0
		.amdhsa_exception_fp_denorm_src 0
		.amdhsa_exception_fp_ieee_div_zero 0
		.amdhsa_exception_fp_ieee_overflow 0
		.amdhsa_exception_fp_ieee_underflow 0
		.amdhsa_exception_fp_ieee_inexact 0
		.amdhsa_exception_int_div_zero 0
	.end_amdhsa_kernel
	.section	.text._ZN7rocprim17ROCPRIM_400000_NS6detail17trampoline_kernelINS0_14default_configENS1_25partition_config_selectorILNS1_17partition_subalgoE9EyjbEEZZNS1_14partition_implILS5_9ELb0ES3_jN6thrust23THRUST_200600_302600_NS6detail15normal_iteratorINS9_10device_ptrIyEEEENSB_INSC_IjEEEEPNS0_10empty_typeENS0_5tupleIJNS9_16discard_iteratorINS9_11use_defaultEEESH_EEENSJ_IJSG_SI_EEENS0_18inequality_wrapperINS9_8equal_toIyEEEEPmJSH_EEE10hipError_tPvRmT3_T4_T5_T6_T7_T9_mT8_P12ihipStream_tbDpT10_ENKUlT_T0_E_clISt17integral_constantIbLb1EES1D_EEDaS18_S19_EUlS18_E_NS1_11comp_targetILNS1_3genE3ELNS1_11target_archE908ELNS1_3gpuE7ELNS1_3repE0EEENS1_30default_config_static_selectorELNS0_4arch9wavefront6targetE0EEEvT1_,"axG",@progbits,_ZN7rocprim17ROCPRIM_400000_NS6detail17trampoline_kernelINS0_14default_configENS1_25partition_config_selectorILNS1_17partition_subalgoE9EyjbEEZZNS1_14partition_implILS5_9ELb0ES3_jN6thrust23THRUST_200600_302600_NS6detail15normal_iteratorINS9_10device_ptrIyEEEENSB_INSC_IjEEEEPNS0_10empty_typeENS0_5tupleIJNS9_16discard_iteratorINS9_11use_defaultEEESH_EEENSJ_IJSG_SI_EEENS0_18inequality_wrapperINS9_8equal_toIyEEEEPmJSH_EEE10hipError_tPvRmT3_T4_T5_T6_T7_T9_mT8_P12ihipStream_tbDpT10_ENKUlT_T0_E_clISt17integral_constantIbLb1EES1D_EEDaS18_S19_EUlS18_E_NS1_11comp_targetILNS1_3genE3ELNS1_11target_archE908ELNS1_3gpuE7ELNS1_3repE0EEENS1_30default_config_static_selectorELNS0_4arch9wavefront6targetE0EEEvT1_,comdat
.Lfunc_end768:
	.size	_ZN7rocprim17ROCPRIM_400000_NS6detail17trampoline_kernelINS0_14default_configENS1_25partition_config_selectorILNS1_17partition_subalgoE9EyjbEEZZNS1_14partition_implILS5_9ELb0ES3_jN6thrust23THRUST_200600_302600_NS6detail15normal_iteratorINS9_10device_ptrIyEEEENSB_INSC_IjEEEEPNS0_10empty_typeENS0_5tupleIJNS9_16discard_iteratorINS9_11use_defaultEEESH_EEENSJ_IJSG_SI_EEENS0_18inequality_wrapperINS9_8equal_toIyEEEEPmJSH_EEE10hipError_tPvRmT3_T4_T5_T6_T7_T9_mT8_P12ihipStream_tbDpT10_ENKUlT_T0_E_clISt17integral_constantIbLb1EES1D_EEDaS18_S19_EUlS18_E_NS1_11comp_targetILNS1_3genE3ELNS1_11target_archE908ELNS1_3gpuE7ELNS1_3repE0EEENS1_30default_config_static_selectorELNS0_4arch9wavefront6targetE0EEEvT1_, .Lfunc_end768-_ZN7rocprim17ROCPRIM_400000_NS6detail17trampoline_kernelINS0_14default_configENS1_25partition_config_selectorILNS1_17partition_subalgoE9EyjbEEZZNS1_14partition_implILS5_9ELb0ES3_jN6thrust23THRUST_200600_302600_NS6detail15normal_iteratorINS9_10device_ptrIyEEEENSB_INSC_IjEEEEPNS0_10empty_typeENS0_5tupleIJNS9_16discard_iteratorINS9_11use_defaultEEESH_EEENSJ_IJSG_SI_EEENS0_18inequality_wrapperINS9_8equal_toIyEEEEPmJSH_EEE10hipError_tPvRmT3_T4_T5_T6_T7_T9_mT8_P12ihipStream_tbDpT10_ENKUlT_T0_E_clISt17integral_constantIbLb1EES1D_EEDaS18_S19_EUlS18_E_NS1_11comp_targetILNS1_3genE3ELNS1_11target_archE908ELNS1_3gpuE7ELNS1_3repE0EEENS1_30default_config_static_selectorELNS0_4arch9wavefront6targetE0EEEvT1_
                                        ; -- End function
	.section	.AMDGPU.csdata,"",@progbits
; Kernel info:
; codeLenInByte = 0
; NumSgprs: 0
; NumVgprs: 0
; ScratchSize: 0
; MemoryBound: 0
; FloatMode: 240
; IeeeMode: 1
; LDSByteSize: 0 bytes/workgroup (compile time only)
; SGPRBlocks: 0
; VGPRBlocks: 0
; NumSGPRsForWavesPerEU: 1
; NumVGPRsForWavesPerEU: 1
; Occupancy: 16
; WaveLimiterHint : 0
; COMPUTE_PGM_RSRC2:SCRATCH_EN: 0
; COMPUTE_PGM_RSRC2:USER_SGPR: 15
; COMPUTE_PGM_RSRC2:TRAP_HANDLER: 0
; COMPUTE_PGM_RSRC2:TGID_X_EN: 1
; COMPUTE_PGM_RSRC2:TGID_Y_EN: 0
; COMPUTE_PGM_RSRC2:TGID_Z_EN: 0
; COMPUTE_PGM_RSRC2:TIDIG_COMP_CNT: 0
	.section	.text._ZN7rocprim17ROCPRIM_400000_NS6detail17trampoline_kernelINS0_14default_configENS1_25partition_config_selectorILNS1_17partition_subalgoE9EyjbEEZZNS1_14partition_implILS5_9ELb0ES3_jN6thrust23THRUST_200600_302600_NS6detail15normal_iteratorINS9_10device_ptrIyEEEENSB_INSC_IjEEEEPNS0_10empty_typeENS0_5tupleIJNS9_16discard_iteratorINS9_11use_defaultEEESH_EEENSJ_IJSG_SI_EEENS0_18inequality_wrapperINS9_8equal_toIyEEEEPmJSH_EEE10hipError_tPvRmT3_T4_T5_T6_T7_T9_mT8_P12ihipStream_tbDpT10_ENKUlT_T0_E_clISt17integral_constantIbLb1EES1D_EEDaS18_S19_EUlS18_E_NS1_11comp_targetILNS1_3genE2ELNS1_11target_archE906ELNS1_3gpuE6ELNS1_3repE0EEENS1_30default_config_static_selectorELNS0_4arch9wavefront6targetE0EEEvT1_,"axG",@progbits,_ZN7rocprim17ROCPRIM_400000_NS6detail17trampoline_kernelINS0_14default_configENS1_25partition_config_selectorILNS1_17partition_subalgoE9EyjbEEZZNS1_14partition_implILS5_9ELb0ES3_jN6thrust23THRUST_200600_302600_NS6detail15normal_iteratorINS9_10device_ptrIyEEEENSB_INSC_IjEEEEPNS0_10empty_typeENS0_5tupleIJNS9_16discard_iteratorINS9_11use_defaultEEESH_EEENSJ_IJSG_SI_EEENS0_18inequality_wrapperINS9_8equal_toIyEEEEPmJSH_EEE10hipError_tPvRmT3_T4_T5_T6_T7_T9_mT8_P12ihipStream_tbDpT10_ENKUlT_T0_E_clISt17integral_constantIbLb1EES1D_EEDaS18_S19_EUlS18_E_NS1_11comp_targetILNS1_3genE2ELNS1_11target_archE906ELNS1_3gpuE6ELNS1_3repE0EEENS1_30default_config_static_selectorELNS0_4arch9wavefront6targetE0EEEvT1_,comdat
	.protected	_ZN7rocprim17ROCPRIM_400000_NS6detail17trampoline_kernelINS0_14default_configENS1_25partition_config_selectorILNS1_17partition_subalgoE9EyjbEEZZNS1_14partition_implILS5_9ELb0ES3_jN6thrust23THRUST_200600_302600_NS6detail15normal_iteratorINS9_10device_ptrIyEEEENSB_INSC_IjEEEEPNS0_10empty_typeENS0_5tupleIJNS9_16discard_iteratorINS9_11use_defaultEEESH_EEENSJ_IJSG_SI_EEENS0_18inequality_wrapperINS9_8equal_toIyEEEEPmJSH_EEE10hipError_tPvRmT3_T4_T5_T6_T7_T9_mT8_P12ihipStream_tbDpT10_ENKUlT_T0_E_clISt17integral_constantIbLb1EES1D_EEDaS18_S19_EUlS18_E_NS1_11comp_targetILNS1_3genE2ELNS1_11target_archE906ELNS1_3gpuE6ELNS1_3repE0EEENS1_30default_config_static_selectorELNS0_4arch9wavefront6targetE0EEEvT1_ ; -- Begin function _ZN7rocprim17ROCPRIM_400000_NS6detail17trampoline_kernelINS0_14default_configENS1_25partition_config_selectorILNS1_17partition_subalgoE9EyjbEEZZNS1_14partition_implILS5_9ELb0ES3_jN6thrust23THRUST_200600_302600_NS6detail15normal_iteratorINS9_10device_ptrIyEEEENSB_INSC_IjEEEEPNS0_10empty_typeENS0_5tupleIJNS9_16discard_iteratorINS9_11use_defaultEEESH_EEENSJ_IJSG_SI_EEENS0_18inequality_wrapperINS9_8equal_toIyEEEEPmJSH_EEE10hipError_tPvRmT3_T4_T5_T6_T7_T9_mT8_P12ihipStream_tbDpT10_ENKUlT_T0_E_clISt17integral_constantIbLb1EES1D_EEDaS18_S19_EUlS18_E_NS1_11comp_targetILNS1_3genE2ELNS1_11target_archE906ELNS1_3gpuE6ELNS1_3repE0EEENS1_30default_config_static_selectorELNS0_4arch9wavefront6targetE0EEEvT1_
	.globl	_ZN7rocprim17ROCPRIM_400000_NS6detail17trampoline_kernelINS0_14default_configENS1_25partition_config_selectorILNS1_17partition_subalgoE9EyjbEEZZNS1_14partition_implILS5_9ELb0ES3_jN6thrust23THRUST_200600_302600_NS6detail15normal_iteratorINS9_10device_ptrIyEEEENSB_INSC_IjEEEEPNS0_10empty_typeENS0_5tupleIJNS9_16discard_iteratorINS9_11use_defaultEEESH_EEENSJ_IJSG_SI_EEENS0_18inequality_wrapperINS9_8equal_toIyEEEEPmJSH_EEE10hipError_tPvRmT3_T4_T5_T6_T7_T9_mT8_P12ihipStream_tbDpT10_ENKUlT_T0_E_clISt17integral_constantIbLb1EES1D_EEDaS18_S19_EUlS18_E_NS1_11comp_targetILNS1_3genE2ELNS1_11target_archE906ELNS1_3gpuE6ELNS1_3repE0EEENS1_30default_config_static_selectorELNS0_4arch9wavefront6targetE0EEEvT1_
	.p2align	8
	.type	_ZN7rocprim17ROCPRIM_400000_NS6detail17trampoline_kernelINS0_14default_configENS1_25partition_config_selectorILNS1_17partition_subalgoE9EyjbEEZZNS1_14partition_implILS5_9ELb0ES3_jN6thrust23THRUST_200600_302600_NS6detail15normal_iteratorINS9_10device_ptrIyEEEENSB_INSC_IjEEEEPNS0_10empty_typeENS0_5tupleIJNS9_16discard_iteratorINS9_11use_defaultEEESH_EEENSJ_IJSG_SI_EEENS0_18inequality_wrapperINS9_8equal_toIyEEEEPmJSH_EEE10hipError_tPvRmT3_T4_T5_T6_T7_T9_mT8_P12ihipStream_tbDpT10_ENKUlT_T0_E_clISt17integral_constantIbLb1EES1D_EEDaS18_S19_EUlS18_E_NS1_11comp_targetILNS1_3genE2ELNS1_11target_archE906ELNS1_3gpuE6ELNS1_3repE0EEENS1_30default_config_static_selectorELNS0_4arch9wavefront6targetE0EEEvT1_,@function
_ZN7rocprim17ROCPRIM_400000_NS6detail17trampoline_kernelINS0_14default_configENS1_25partition_config_selectorILNS1_17partition_subalgoE9EyjbEEZZNS1_14partition_implILS5_9ELb0ES3_jN6thrust23THRUST_200600_302600_NS6detail15normal_iteratorINS9_10device_ptrIyEEEENSB_INSC_IjEEEEPNS0_10empty_typeENS0_5tupleIJNS9_16discard_iteratorINS9_11use_defaultEEESH_EEENSJ_IJSG_SI_EEENS0_18inequality_wrapperINS9_8equal_toIyEEEEPmJSH_EEE10hipError_tPvRmT3_T4_T5_T6_T7_T9_mT8_P12ihipStream_tbDpT10_ENKUlT_T0_E_clISt17integral_constantIbLb1EES1D_EEDaS18_S19_EUlS18_E_NS1_11comp_targetILNS1_3genE2ELNS1_11target_archE906ELNS1_3gpuE6ELNS1_3repE0EEENS1_30default_config_static_selectorELNS0_4arch9wavefront6targetE0EEEvT1_: ; @_ZN7rocprim17ROCPRIM_400000_NS6detail17trampoline_kernelINS0_14default_configENS1_25partition_config_selectorILNS1_17partition_subalgoE9EyjbEEZZNS1_14partition_implILS5_9ELb0ES3_jN6thrust23THRUST_200600_302600_NS6detail15normal_iteratorINS9_10device_ptrIyEEEENSB_INSC_IjEEEEPNS0_10empty_typeENS0_5tupleIJNS9_16discard_iteratorINS9_11use_defaultEEESH_EEENSJ_IJSG_SI_EEENS0_18inequality_wrapperINS9_8equal_toIyEEEEPmJSH_EEE10hipError_tPvRmT3_T4_T5_T6_T7_T9_mT8_P12ihipStream_tbDpT10_ENKUlT_T0_E_clISt17integral_constantIbLb1EES1D_EEDaS18_S19_EUlS18_E_NS1_11comp_targetILNS1_3genE2ELNS1_11target_archE906ELNS1_3gpuE6ELNS1_3repE0EEENS1_30default_config_static_selectorELNS0_4arch9wavefront6targetE0EEEvT1_
; %bb.0:
	.section	.rodata,"a",@progbits
	.p2align	6, 0x0
	.amdhsa_kernel _ZN7rocprim17ROCPRIM_400000_NS6detail17trampoline_kernelINS0_14default_configENS1_25partition_config_selectorILNS1_17partition_subalgoE9EyjbEEZZNS1_14partition_implILS5_9ELb0ES3_jN6thrust23THRUST_200600_302600_NS6detail15normal_iteratorINS9_10device_ptrIyEEEENSB_INSC_IjEEEEPNS0_10empty_typeENS0_5tupleIJNS9_16discard_iteratorINS9_11use_defaultEEESH_EEENSJ_IJSG_SI_EEENS0_18inequality_wrapperINS9_8equal_toIyEEEEPmJSH_EEE10hipError_tPvRmT3_T4_T5_T6_T7_T9_mT8_P12ihipStream_tbDpT10_ENKUlT_T0_E_clISt17integral_constantIbLb1EES1D_EEDaS18_S19_EUlS18_E_NS1_11comp_targetILNS1_3genE2ELNS1_11target_archE906ELNS1_3gpuE6ELNS1_3repE0EEENS1_30default_config_static_selectorELNS0_4arch9wavefront6targetE0EEEvT1_
		.amdhsa_group_segment_fixed_size 0
		.amdhsa_private_segment_fixed_size 0
		.amdhsa_kernarg_size 136
		.amdhsa_user_sgpr_count 15
		.amdhsa_user_sgpr_dispatch_ptr 0
		.amdhsa_user_sgpr_queue_ptr 0
		.amdhsa_user_sgpr_kernarg_segment_ptr 1
		.amdhsa_user_sgpr_dispatch_id 0
		.amdhsa_user_sgpr_private_segment_size 0
		.amdhsa_wavefront_size32 1
		.amdhsa_uses_dynamic_stack 0
		.amdhsa_enable_private_segment 0
		.amdhsa_system_sgpr_workgroup_id_x 1
		.amdhsa_system_sgpr_workgroup_id_y 0
		.amdhsa_system_sgpr_workgroup_id_z 0
		.amdhsa_system_sgpr_workgroup_info 0
		.amdhsa_system_vgpr_workitem_id 0
		.amdhsa_next_free_vgpr 1
		.amdhsa_next_free_sgpr 1
		.amdhsa_reserve_vcc 0
		.amdhsa_float_round_mode_32 0
		.amdhsa_float_round_mode_16_64 0
		.amdhsa_float_denorm_mode_32 3
		.amdhsa_float_denorm_mode_16_64 3
		.amdhsa_dx10_clamp 1
		.amdhsa_ieee_mode 1
		.amdhsa_fp16_overflow 0
		.amdhsa_workgroup_processor_mode 1
		.amdhsa_memory_ordered 1
		.amdhsa_forward_progress 0
		.amdhsa_shared_vgpr_count 0
		.amdhsa_exception_fp_ieee_invalid_op 0
		.amdhsa_exception_fp_denorm_src 0
		.amdhsa_exception_fp_ieee_div_zero 0
		.amdhsa_exception_fp_ieee_overflow 0
		.amdhsa_exception_fp_ieee_underflow 0
		.amdhsa_exception_fp_ieee_inexact 0
		.amdhsa_exception_int_div_zero 0
	.end_amdhsa_kernel
	.section	.text._ZN7rocprim17ROCPRIM_400000_NS6detail17trampoline_kernelINS0_14default_configENS1_25partition_config_selectorILNS1_17partition_subalgoE9EyjbEEZZNS1_14partition_implILS5_9ELb0ES3_jN6thrust23THRUST_200600_302600_NS6detail15normal_iteratorINS9_10device_ptrIyEEEENSB_INSC_IjEEEEPNS0_10empty_typeENS0_5tupleIJNS9_16discard_iteratorINS9_11use_defaultEEESH_EEENSJ_IJSG_SI_EEENS0_18inequality_wrapperINS9_8equal_toIyEEEEPmJSH_EEE10hipError_tPvRmT3_T4_T5_T6_T7_T9_mT8_P12ihipStream_tbDpT10_ENKUlT_T0_E_clISt17integral_constantIbLb1EES1D_EEDaS18_S19_EUlS18_E_NS1_11comp_targetILNS1_3genE2ELNS1_11target_archE906ELNS1_3gpuE6ELNS1_3repE0EEENS1_30default_config_static_selectorELNS0_4arch9wavefront6targetE0EEEvT1_,"axG",@progbits,_ZN7rocprim17ROCPRIM_400000_NS6detail17trampoline_kernelINS0_14default_configENS1_25partition_config_selectorILNS1_17partition_subalgoE9EyjbEEZZNS1_14partition_implILS5_9ELb0ES3_jN6thrust23THRUST_200600_302600_NS6detail15normal_iteratorINS9_10device_ptrIyEEEENSB_INSC_IjEEEEPNS0_10empty_typeENS0_5tupleIJNS9_16discard_iteratorINS9_11use_defaultEEESH_EEENSJ_IJSG_SI_EEENS0_18inequality_wrapperINS9_8equal_toIyEEEEPmJSH_EEE10hipError_tPvRmT3_T4_T5_T6_T7_T9_mT8_P12ihipStream_tbDpT10_ENKUlT_T0_E_clISt17integral_constantIbLb1EES1D_EEDaS18_S19_EUlS18_E_NS1_11comp_targetILNS1_3genE2ELNS1_11target_archE906ELNS1_3gpuE6ELNS1_3repE0EEENS1_30default_config_static_selectorELNS0_4arch9wavefront6targetE0EEEvT1_,comdat
.Lfunc_end769:
	.size	_ZN7rocprim17ROCPRIM_400000_NS6detail17trampoline_kernelINS0_14default_configENS1_25partition_config_selectorILNS1_17partition_subalgoE9EyjbEEZZNS1_14partition_implILS5_9ELb0ES3_jN6thrust23THRUST_200600_302600_NS6detail15normal_iteratorINS9_10device_ptrIyEEEENSB_INSC_IjEEEEPNS0_10empty_typeENS0_5tupleIJNS9_16discard_iteratorINS9_11use_defaultEEESH_EEENSJ_IJSG_SI_EEENS0_18inequality_wrapperINS9_8equal_toIyEEEEPmJSH_EEE10hipError_tPvRmT3_T4_T5_T6_T7_T9_mT8_P12ihipStream_tbDpT10_ENKUlT_T0_E_clISt17integral_constantIbLb1EES1D_EEDaS18_S19_EUlS18_E_NS1_11comp_targetILNS1_3genE2ELNS1_11target_archE906ELNS1_3gpuE6ELNS1_3repE0EEENS1_30default_config_static_selectorELNS0_4arch9wavefront6targetE0EEEvT1_, .Lfunc_end769-_ZN7rocprim17ROCPRIM_400000_NS6detail17trampoline_kernelINS0_14default_configENS1_25partition_config_selectorILNS1_17partition_subalgoE9EyjbEEZZNS1_14partition_implILS5_9ELb0ES3_jN6thrust23THRUST_200600_302600_NS6detail15normal_iteratorINS9_10device_ptrIyEEEENSB_INSC_IjEEEEPNS0_10empty_typeENS0_5tupleIJNS9_16discard_iteratorINS9_11use_defaultEEESH_EEENSJ_IJSG_SI_EEENS0_18inequality_wrapperINS9_8equal_toIyEEEEPmJSH_EEE10hipError_tPvRmT3_T4_T5_T6_T7_T9_mT8_P12ihipStream_tbDpT10_ENKUlT_T0_E_clISt17integral_constantIbLb1EES1D_EEDaS18_S19_EUlS18_E_NS1_11comp_targetILNS1_3genE2ELNS1_11target_archE906ELNS1_3gpuE6ELNS1_3repE0EEENS1_30default_config_static_selectorELNS0_4arch9wavefront6targetE0EEEvT1_
                                        ; -- End function
	.section	.AMDGPU.csdata,"",@progbits
; Kernel info:
; codeLenInByte = 0
; NumSgprs: 0
; NumVgprs: 0
; ScratchSize: 0
; MemoryBound: 0
; FloatMode: 240
; IeeeMode: 1
; LDSByteSize: 0 bytes/workgroup (compile time only)
; SGPRBlocks: 0
; VGPRBlocks: 0
; NumSGPRsForWavesPerEU: 1
; NumVGPRsForWavesPerEU: 1
; Occupancy: 16
; WaveLimiterHint : 0
; COMPUTE_PGM_RSRC2:SCRATCH_EN: 0
; COMPUTE_PGM_RSRC2:USER_SGPR: 15
; COMPUTE_PGM_RSRC2:TRAP_HANDLER: 0
; COMPUTE_PGM_RSRC2:TGID_X_EN: 1
; COMPUTE_PGM_RSRC2:TGID_Y_EN: 0
; COMPUTE_PGM_RSRC2:TGID_Z_EN: 0
; COMPUTE_PGM_RSRC2:TIDIG_COMP_CNT: 0
	.section	.text._ZN7rocprim17ROCPRIM_400000_NS6detail17trampoline_kernelINS0_14default_configENS1_25partition_config_selectorILNS1_17partition_subalgoE9EyjbEEZZNS1_14partition_implILS5_9ELb0ES3_jN6thrust23THRUST_200600_302600_NS6detail15normal_iteratorINS9_10device_ptrIyEEEENSB_INSC_IjEEEEPNS0_10empty_typeENS0_5tupleIJNS9_16discard_iteratorINS9_11use_defaultEEESH_EEENSJ_IJSG_SI_EEENS0_18inequality_wrapperINS9_8equal_toIyEEEEPmJSH_EEE10hipError_tPvRmT3_T4_T5_T6_T7_T9_mT8_P12ihipStream_tbDpT10_ENKUlT_T0_E_clISt17integral_constantIbLb1EES1D_EEDaS18_S19_EUlS18_E_NS1_11comp_targetILNS1_3genE10ELNS1_11target_archE1200ELNS1_3gpuE4ELNS1_3repE0EEENS1_30default_config_static_selectorELNS0_4arch9wavefront6targetE0EEEvT1_,"axG",@progbits,_ZN7rocprim17ROCPRIM_400000_NS6detail17trampoline_kernelINS0_14default_configENS1_25partition_config_selectorILNS1_17partition_subalgoE9EyjbEEZZNS1_14partition_implILS5_9ELb0ES3_jN6thrust23THRUST_200600_302600_NS6detail15normal_iteratorINS9_10device_ptrIyEEEENSB_INSC_IjEEEEPNS0_10empty_typeENS0_5tupleIJNS9_16discard_iteratorINS9_11use_defaultEEESH_EEENSJ_IJSG_SI_EEENS0_18inequality_wrapperINS9_8equal_toIyEEEEPmJSH_EEE10hipError_tPvRmT3_T4_T5_T6_T7_T9_mT8_P12ihipStream_tbDpT10_ENKUlT_T0_E_clISt17integral_constantIbLb1EES1D_EEDaS18_S19_EUlS18_E_NS1_11comp_targetILNS1_3genE10ELNS1_11target_archE1200ELNS1_3gpuE4ELNS1_3repE0EEENS1_30default_config_static_selectorELNS0_4arch9wavefront6targetE0EEEvT1_,comdat
	.protected	_ZN7rocprim17ROCPRIM_400000_NS6detail17trampoline_kernelINS0_14default_configENS1_25partition_config_selectorILNS1_17partition_subalgoE9EyjbEEZZNS1_14partition_implILS5_9ELb0ES3_jN6thrust23THRUST_200600_302600_NS6detail15normal_iteratorINS9_10device_ptrIyEEEENSB_INSC_IjEEEEPNS0_10empty_typeENS0_5tupleIJNS9_16discard_iteratorINS9_11use_defaultEEESH_EEENSJ_IJSG_SI_EEENS0_18inequality_wrapperINS9_8equal_toIyEEEEPmJSH_EEE10hipError_tPvRmT3_T4_T5_T6_T7_T9_mT8_P12ihipStream_tbDpT10_ENKUlT_T0_E_clISt17integral_constantIbLb1EES1D_EEDaS18_S19_EUlS18_E_NS1_11comp_targetILNS1_3genE10ELNS1_11target_archE1200ELNS1_3gpuE4ELNS1_3repE0EEENS1_30default_config_static_selectorELNS0_4arch9wavefront6targetE0EEEvT1_ ; -- Begin function _ZN7rocprim17ROCPRIM_400000_NS6detail17trampoline_kernelINS0_14default_configENS1_25partition_config_selectorILNS1_17partition_subalgoE9EyjbEEZZNS1_14partition_implILS5_9ELb0ES3_jN6thrust23THRUST_200600_302600_NS6detail15normal_iteratorINS9_10device_ptrIyEEEENSB_INSC_IjEEEEPNS0_10empty_typeENS0_5tupleIJNS9_16discard_iteratorINS9_11use_defaultEEESH_EEENSJ_IJSG_SI_EEENS0_18inequality_wrapperINS9_8equal_toIyEEEEPmJSH_EEE10hipError_tPvRmT3_T4_T5_T6_T7_T9_mT8_P12ihipStream_tbDpT10_ENKUlT_T0_E_clISt17integral_constantIbLb1EES1D_EEDaS18_S19_EUlS18_E_NS1_11comp_targetILNS1_3genE10ELNS1_11target_archE1200ELNS1_3gpuE4ELNS1_3repE0EEENS1_30default_config_static_selectorELNS0_4arch9wavefront6targetE0EEEvT1_
	.globl	_ZN7rocprim17ROCPRIM_400000_NS6detail17trampoline_kernelINS0_14default_configENS1_25partition_config_selectorILNS1_17partition_subalgoE9EyjbEEZZNS1_14partition_implILS5_9ELb0ES3_jN6thrust23THRUST_200600_302600_NS6detail15normal_iteratorINS9_10device_ptrIyEEEENSB_INSC_IjEEEEPNS0_10empty_typeENS0_5tupleIJNS9_16discard_iteratorINS9_11use_defaultEEESH_EEENSJ_IJSG_SI_EEENS0_18inequality_wrapperINS9_8equal_toIyEEEEPmJSH_EEE10hipError_tPvRmT3_T4_T5_T6_T7_T9_mT8_P12ihipStream_tbDpT10_ENKUlT_T0_E_clISt17integral_constantIbLb1EES1D_EEDaS18_S19_EUlS18_E_NS1_11comp_targetILNS1_3genE10ELNS1_11target_archE1200ELNS1_3gpuE4ELNS1_3repE0EEENS1_30default_config_static_selectorELNS0_4arch9wavefront6targetE0EEEvT1_
	.p2align	8
	.type	_ZN7rocprim17ROCPRIM_400000_NS6detail17trampoline_kernelINS0_14default_configENS1_25partition_config_selectorILNS1_17partition_subalgoE9EyjbEEZZNS1_14partition_implILS5_9ELb0ES3_jN6thrust23THRUST_200600_302600_NS6detail15normal_iteratorINS9_10device_ptrIyEEEENSB_INSC_IjEEEEPNS0_10empty_typeENS0_5tupleIJNS9_16discard_iteratorINS9_11use_defaultEEESH_EEENSJ_IJSG_SI_EEENS0_18inequality_wrapperINS9_8equal_toIyEEEEPmJSH_EEE10hipError_tPvRmT3_T4_T5_T6_T7_T9_mT8_P12ihipStream_tbDpT10_ENKUlT_T0_E_clISt17integral_constantIbLb1EES1D_EEDaS18_S19_EUlS18_E_NS1_11comp_targetILNS1_3genE10ELNS1_11target_archE1200ELNS1_3gpuE4ELNS1_3repE0EEENS1_30default_config_static_selectorELNS0_4arch9wavefront6targetE0EEEvT1_,@function
_ZN7rocprim17ROCPRIM_400000_NS6detail17trampoline_kernelINS0_14default_configENS1_25partition_config_selectorILNS1_17partition_subalgoE9EyjbEEZZNS1_14partition_implILS5_9ELb0ES3_jN6thrust23THRUST_200600_302600_NS6detail15normal_iteratorINS9_10device_ptrIyEEEENSB_INSC_IjEEEEPNS0_10empty_typeENS0_5tupleIJNS9_16discard_iteratorINS9_11use_defaultEEESH_EEENSJ_IJSG_SI_EEENS0_18inequality_wrapperINS9_8equal_toIyEEEEPmJSH_EEE10hipError_tPvRmT3_T4_T5_T6_T7_T9_mT8_P12ihipStream_tbDpT10_ENKUlT_T0_E_clISt17integral_constantIbLb1EES1D_EEDaS18_S19_EUlS18_E_NS1_11comp_targetILNS1_3genE10ELNS1_11target_archE1200ELNS1_3gpuE4ELNS1_3repE0EEENS1_30default_config_static_selectorELNS0_4arch9wavefront6targetE0EEEvT1_: ; @_ZN7rocprim17ROCPRIM_400000_NS6detail17trampoline_kernelINS0_14default_configENS1_25partition_config_selectorILNS1_17partition_subalgoE9EyjbEEZZNS1_14partition_implILS5_9ELb0ES3_jN6thrust23THRUST_200600_302600_NS6detail15normal_iteratorINS9_10device_ptrIyEEEENSB_INSC_IjEEEEPNS0_10empty_typeENS0_5tupleIJNS9_16discard_iteratorINS9_11use_defaultEEESH_EEENSJ_IJSG_SI_EEENS0_18inequality_wrapperINS9_8equal_toIyEEEEPmJSH_EEE10hipError_tPvRmT3_T4_T5_T6_T7_T9_mT8_P12ihipStream_tbDpT10_ENKUlT_T0_E_clISt17integral_constantIbLb1EES1D_EEDaS18_S19_EUlS18_E_NS1_11comp_targetILNS1_3genE10ELNS1_11target_archE1200ELNS1_3gpuE4ELNS1_3repE0EEENS1_30default_config_static_selectorELNS0_4arch9wavefront6targetE0EEEvT1_
; %bb.0:
	.section	.rodata,"a",@progbits
	.p2align	6, 0x0
	.amdhsa_kernel _ZN7rocprim17ROCPRIM_400000_NS6detail17trampoline_kernelINS0_14default_configENS1_25partition_config_selectorILNS1_17partition_subalgoE9EyjbEEZZNS1_14partition_implILS5_9ELb0ES3_jN6thrust23THRUST_200600_302600_NS6detail15normal_iteratorINS9_10device_ptrIyEEEENSB_INSC_IjEEEEPNS0_10empty_typeENS0_5tupleIJNS9_16discard_iteratorINS9_11use_defaultEEESH_EEENSJ_IJSG_SI_EEENS0_18inequality_wrapperINS9_8equal_toIyEEEEPmJSH_EEE10hipError_tPvRmT3_T4_T5_T6_T7_T9_mT8_P12ihipStream_tbDpT10_ENKUlT_T0_E_clISt17integral_constantIbLb1EES1D_EEDaS18_S19_EUlS18_E_NS1_11comp_targetILNS1_3genE10ELNS1_11target_archE1200ELNS1_3gpuE4ELNS1_3repE0EEENS1_30default_config_static_selectorELNS0_4arch9wavefront6targetE0EEEvT1_
		.amdhsa_group_segment_fixed_size 0
		.amdhsa_private_segment_fixed_size 0
		.amdhsa_kernarg_size 136
		.amdhsa_user_sgpr_count 15
		.amdhsa_user_sgpr_dispatch_ptr 0
		.amdhsa_user_sgpr_queue_ptr 0
		.amdhsa_user_sgpr_kernarg_segment_ptr 1
		.amdhsa_user_sgpr_dispatch_id 0
		.amdhsa_user_sgpr_private_segment_size 0
		.amdhsa_wavefront_size32 1
		.amdhsa_uses_dynamic_stack 0
		.amdhsa_enable_private_segment 0
		.amdhsa_system_sgpr_workgroup_id_x 1
		.amdhsa_system_sgpr_workgroup_id_y 0
		.amdhsa_system_sgpr_workgroup_id_z 0
		.amdhsa_system_sgpr_workgroup_info 0
		.amdhsa_system_vgpr_workitem_id 0
		.amdhsa_next_free_vgpr 1
		.amdhsa_next_free_sgpr 1
		.amdhsa_reserve_vcc 0
		.amdhsa_float_round_mode_32 0
		.amdhsa_float_round_mode_16_64 0
		.amdhsa_float_denorm_mode_32 3
		.amdhsa_float_denorm_mode_16_64 3
		.amdhsa_dx10_clamp 1
		.amdhsa_ieee_mode 1
		.amdhsa_fp16_overflow 0
		.amdhsa_workgroup_processor_mode 1
		.amdhsa_memory_ordered 1
		.amdhsa_forward_progress 0
		.amdhsa_shared_vgpr_count 0
		.amdhsa_exception_fp_ieee_invalid_op 0
		.amdhsa_exception_fp_denorm_src 0
		.amdhsa_exception_fp_ieee_div_zero 0
		.amdhsa_exception_fp_ieee_overflow 0
		.amdhsa_exception_fp_ieee_underflow 0
		.amdhsa_exception_fp_ieee_inexact 0
		.amdhsa_exception_int_div_zero 0
	.end_amdhsa_kernel
	.section	.text._ZN7rocprim17ROCPRIM_400000_NS6detail17trampoline_kernelINS0_14default_configENS1_25partition_config_selectorILNS1_17partition_subalgoE9EyjbEEZZNS1_14partition_implILS5_9ELb0ES3_jN6thrust23THRUST_200600_302600_NS6detail15normal_iteratorINS9_10device_ptrIyEEEENSB_INSC_IjEEEEPNS0_10empty_typeENS0_5tupleIJNS9_16discard_iteratorINS9_11use_defaultEEESH_EEENSJ_IJSG_SI_EEENS0_18inequality_wrapperINS9_8equal_toIyEEEEPmJSH_EEE10hipError_tPvRmT3_T4_T5_T6_T7_T9_mT8_P12ihipStream_tbDpT10_ENKUlT_T0_E_clISt17integral_constantIbLb1EES1D_EEDaS18_S19_EUlS18_E_NS1_11comp_targetILNS1_3genE10ELNS1_11target_archE1200ELNS1_3gpuE4ELNS1_3repE0EEENS1_30default_config_static_selectorELNS0_4arch9wavefront6targetE0EEEvT1_,"axG",@progbits,_ZN7rocprim17ROCPRIM_400000_NS6detail17trampoline_kernelINS0_14default_configENS1_25partition_config_selectorILNS1_17partition_subalgoE9EyjbEEZZNS1_14partition_implILS5_9ELb0ES3_jN6thrust23THRUST_200600_302600_NS6detail15normal_iteratorINS9_10device_ptrIyEEEENSB_INSC_IjEEEEPNS0_10empty_typeENS0_5tupleIJNS9_16discard_iteratorINS9_11use_defaultEEESH_EEENSJ_IJSG_SI_EEENS0_18inequality_wrapperINS9_8equal_toIyEEEEPmJSH_EEE10hipError_tPvRmT3_T4_T5_T6_T7_T9_mT8_P12ihipStream_tbDpT10_ENKUlT_T0_E_clISt17integral_constantIbLb1EES1D_EEDaS18_S19_EUlS18_E_NS1_11comp_targetILNS1_3genE10ELNS1_11target_archE1200ELNS1_3gpuE4ELNS1_3repE0EEENS1_30default_config_static_selectorELNS0_4arch9wavefront6targetE0EEEvT1_,comdat
.Lfunc_end770:
	.size	_ZN7rocprim17ROCPRIM_400000_NS6detail17trampoline_kernelINS0_14default_configENS1_25partition_config_selectorILNS1_17partition_subalgoE9EyjbEEZZNS1_14partition_implILS5_9ELb0ES3_jN6thrust23THRUST_200600_302600_NS6detail15normal_iteratorINS9_10device_ptrIyEEEENSB_INSC_IjEEEEPNS0_10empty_typeENS0_5tupleIJNS9_16discard_iteratorINS9_11use_defaultEEESH_EEENSJ_IJSG_SI_EEENS0_18inequality_wrapperINS9_8equal_toIyEEEEPmJSH_EEE10hipError_tPvRmT3_T4_T5_T6_T7_T9_mT8_P12ihipStream_tbDpT10_ENKUlT_T0_E_clISt17integral_constantIbLb1EES1D_EEDaS18_S19_EUlS18_E_NS1_11comp_targetILNS1_3genE10ELNS1_11target_archE1200ELNS1_3gpuE4ELNS1_3repE0EEENS1_30default_config_static_selectorELNS0_4arch9wavefront6targetE0EEEvT1_, .Lfunc_end770-_ZN7rocprim17ROCPRIM_400000_NS6detail17trampoline_kernelINS0_14default_configENS1_25partition_config_selectorILNS1_17partition_subalgoE9EyjbEEZZNS1_14partition_implILS5_9ELb0ES3_jN6thrust23THRUST_200600_302600_NS6detail15normal_iteratorINS9_10device_ptrIyEEEENSB_INSC_IjEEEEPNS0_10empty_typeENS0_5tupleIJNS9_16discard_iteratorINS9_11use_defaultEEESH_EEENSJ_IJSG_SI_EEENS0_18inequality_wrapperINS9_8equal_toIyEEEEPmJSH_EEE10hipError_tPvRmT3_T4_T5_T6_T7_T9_mT8_P12ihipStream_tbDpT10_ENKUlT_T0_E_clISt17integral_constantIbLb1EES1D_EEDaS18_S19_EUlS18_E_NS1_11comp_targetILNS1_3genE10ELNS1_11target_archE1200ELNS1_3gpuE4ELNS1_3repE0EEENS1_30default_config_static_selectorELNS0_4arch9wavefront6targetE0EEEvT1_
                                        ; -- End function
	.section	.AMDGPU.csdata,"",@progbits
; Kernel info:
; codeLenInByte = 0
; NumSgprs: 0
; NumVgprs: 0
; ScratchSize: 0
; MemoryBound: 0
; FloatMode: 240
; IeeeMode: 1
; LDSByteSize: 0 bytes/workgroup (compile time only)
; SGPRBlocks: 0
; VGPRBlocks: 0
; NumSGPRsForWavesPerEU: 1
; NumVGPRsForWavesPerEU: 1
; Occupancy: 15
; WaveLimiterHint : 0
; COMPUTE_PGM_RSRC2:SCRATCH_EN: 0
; COMPUTE_PGM_RSRC2:USER_SGPR: 15
; COMPUTE_PGM_RSRC2:TRAP_HANDLER: 0
; COMPUTE_PGM_RSRC2:TGID_X_EN: 1
; COMPUTE_PGM_RSRC2:TGID_Y_EN: 0
; COMPUTE_PGM_RSRC2:TGID_Z_EN: 0
; COMPUTE_PGM_RSRC2:TIDIG_COMP_CNT: 0
	.section	.text._ZN7rocprim17ROCPRIM_400000_NS6detail17trampoline_kernelINS0_14default_configENS1_25partition_config_selectorILNS1_17partition_subalgoE9EyjbEEZZNS1_14partition_implILS5_9ELb0ES3_jN6thrust23THRUST_200600_302600_NS6detail15normal_iteratorINS9_10device_ptrIyEEEENSB_INSC_IjEEEEPNS0_10empty_typeENS0_5tupleIJNS9_16discard_iteratorINS9_11use_defaultEEESH_EEENSJ_IJSG_SI_EEENS0_18inequality_wrapperINS9_8equal_toIyEEEEPmJSH_EEE10hipError_tPvRmT3_T4_T5_T6_T7_T9_mT8_P12ihipStream_tbDpT10_ENKUlT_T0_E_clISt17integral_constantIbLb1EES1D_EEDaS18_S19_EUlS18_E_NS1_11comp_targetILNS1_3genE9ELNS1_11target_archE1100ELNS1_3gpuE3ELNS1_3repE0EEENS1_30default_config_static_selectorELNS0_4arch9wavefront6targetE0EEEvT1_,"axG",@progbits,_ZN7rocprim17ROCPRIM_400000_NS6detail17trampoline_kernelINS0_14default_configENS1_25partition_config_selectorILNS1_17partition_subalgoE9EyjbEEZZNS1_14partition_implILS5_9ELb0ES3_jN6thrust23THRUST_200600_302600_NS6detail15normal_iteratorINS9_10device_ptrIyEEEENSB_INSC_IjEEEEPNS0_10empty_typeENS0_5tupleIJNS9_16discard_iteratorINS9_11use_defaultEEESH_EEENSJ_IJSG_SI_EEENS0_18inequality_wrapperINS9_8equal_toIyEEEEPmJSH_EEE10hipError_tPvRmT3_T4_T5_T6_T7_T9_mT8_P12ihipStream_tbDpT10_ENKUlT_T0_E_clISt17integral_constantIbLb1EES1D_EEDaS18_S19_EUlS18_E_NS1_11comp_targetILNS1_3genE9ELNS1_11target_archE1100ELNS1_3gpuE3ELNS1_3repE0EEENS1_30default_config_static_selectorELNS0_4arch9wavefront6targetE0EEEvT1_,comdat
	.protected	_ZN7rocprim17ROCPRIM_400000_NS6detail17trampoline_kernelINS0_14default_configENS1_25partition_config_selectorILNS1_17partition_subalgoE9EyjbEEZZNS1_14partition_implILS5_9ELb0ES3_jN6thrust23THRUST_200600_302600_NS6detail15normal_iteratorINS9_10device_ptrIyEEEENSB_INSC_IjEEEEPNS0_10empty_typeENS0_5tupleIJNS9_16discard_iteratorINS9_11use_defaultEEESH_EEENSJ_IJSG_SI_EEENS0_18inequality_wrapperINS9_8equal_toIyEEEEPmJSH_EEE10hipError_tPvRmT3_T4_T5_T6_T7_T9_mT8_P12ihipStream_tbDpT10_ENKUlT_T0_E_clISt17integral_constantIbLb1EES1D_EEDaS18_S19_EUlS18_E_NS1_11comp_targetILNS1_3genE9ELNS1_11target_archE1100ELNS1_3gpuE3ELNS1_3repE0EEENS1_30default_config_static_selectorELNS0_4arch9wavefront6targetE0EEEvT1_ ; -- Begin function _ZN7rocprim17ROCPRIM_400000_NS6detail17trampoline_kernelINS0_14default_configENS1_25partition_config_selectorILNS1_17partition_subalgoE9EyjbEEZZNS1_14partition_implILS5_9ELb0ES3_jN6thrust23THRUST_200600_302600_NS6detail15normal_iteratorINS9_10device_ptrIyEEEENSB_INSC_IjEEEEPNS0_10empty_typeENS0_5tupleIJNS9_16discard_iteratorINS9_11use_defaultEEESH_EEENSJ_IJSG_SI_EEENS0_18inequality_wrapperINS9_8equal_toIyEEEEPmJSH_EEE10hipError_tPvRmT3_T4_T5_T6_T7_T9_mT8_P12ihipStream_tbDpT10_ENKUlT_T0_E_clISt17integral_constantIbLb1EES1D_EEDaS18_S19_EUlS18_E_NS1_11comp_targetILNS1_3genE9ELNS1_11target_archE1100ELNS1_3gpuE3ELNS1_3repE0EEENS1_30default_config_static_selectorELNS0_4arch9wavefront6targetE0EEEvT1_
	.globl	_ZN7rocprim17ROCPRIM_400000_NS6detail17trampoline_kernelINS0_14default_configENS1_25partition_config_selectorILNS1_17partition_subalgoE9EyjbEEZZNS1_14partition_implILS5_9ELb0ES3_jN6thrust23THRUST_200600_302600_NS6detail15normal_iteratorINS9_10device_ptrIyEEEENSB_INSC_IjEEEEPNS0_10empty_typeENS0_5tupleIJNS9_16discard_iteratorINS9_11use_defaultEEESH_EEENSJ_IJSG_SI_EEENS0_18inequality_wrapperINS9_8equal_toIyEEEEPmJSH_EEE10hipError_tPvRmT3_T4_T5_T6_T7_T9_mT8_P12ihipStream_tbDpT10_ENKUlT_T0_E_clISt17integral_constantIbLb1EES1D_EEDaS18_S19_EUlS18_E_NS1_11comp_targetILNS1_3genE9ELNS1_11target_archE1100ELNS1_3gpuE3ELNS1_3repE0EEENS1_30default_config_static_selectorELNS0_4arch9wavefront6targetE0EEEvT1_
	.p2align	8
	.type	_ZN7rocprim17ROCPRIM_400000_NS6detail17trampoline_kernelINS0_14default_configENS1_25partition_config_selectorILNS1_17partition_subalgoE9EyjbEEZZNS1_14partition_implILS5_9ELb0ES3_jN6thrust23THRUST_200600_302600_NS6detail15normal_iteratorINS9_10device_ptrIyEEEENSB_INSC_IjEEEEPNS0_10empty_typeENS0_5tupleIJNS9_16discard_iteratorINS9_11use_defaultEEESH_EEENSJ_IJSG_SI_EEENS0_18inequality_wrapperINS9_8equal_toIyEEEEPmJSH_EEE10hipError_tPvRmT3_T4_T5_T6_T7_T9_mT8_P12ihipStream_tbDpT10_ENKUlT_T0_E_clISt17integral_constantIbLb1EES1D_EEDaS18_S19_EUlS18_E_NS1_11comp_targetILNS1_3genE9ELNS1_11target_archE1100ELNS1_3gpuE3ELNS1_3repE0EEENS1_30default_config_static_selectorELNS0_4arch9wavefront6targetE0EEEvT1_,@function
_ZN7rocprim17ROCPRIM_400000_NS6detail17trampoline_kernelINS0_14default_configENS1_25partition_config_selectorILNS1_17partition_subalgoE9EyjbEEZZNS1_14partition_implILS5_9ELb0ES3_jN6thrust23THRUST_200600_302600_NS6detail15normal_iteratorINS9_10device_ptrIyEEEENSB_INSC_IjEEEEPNS0_10empty_typeENS0_5tupleIJNS9_16discard_iteratorINS9_11use_defaultEEESH_EEENSJ_IJSG_SI_EEENS0_18inequality_wrapperINS9_8equal_toIyEEEEPmJSH_EEE10hipError_tPvRmT3_T4_T5_T6_T7_T9_mT8_P12ihipStream_tbDpT10_ENKUlT_T0_E_clISt17integral_constantIbLb1EES1D_EEDaS18_S19_EUlS18_E_NS1_11comp_targetILNS1_3genE9ELNS1_11target_archE1100ELNS1_3gpuE3ELNS1_3repE0EEENS1_30default_config_static_selectorELNS0_4arch9wavefront6targetE0EEEvT1_: ; @_ZN7rocprim17ROCPRIM_400000_NS6detail17trampoline_kernelINS0_14default_configENS1_25partition_config_selectorILNS1_17partition_subalgoE9EyjbEEZZNS1_14partition_implILS5_9ELb0ES3_jN6thrust23THRUST_200600_302600_NS6detail15normal_iteratorINS9_10device_ptrIyEEEENSB_INSC_IjEEEEPNS0_10empty_typeENS0_5tupleIJNS9_16discard_iteratorINS9_11use_defaultEEESH_EEENSJ_IJSG_SI_EEENS0_18inequality_wrapperINS9_8equal_toIyEEEEPmJSH_EEE10hipError_tPvRmT3_T4_T5_T6_T7_T9_mT8_P12ihipStream_tbDpT10_ENKUlT_T0_E_clISt17integral_constantIbLb1EES1D_EEDaS18_S19_EUlS18_E_NS1_11comp_targetILNS1_3genE9ELNS1_11target_archE1100ELNS1_3gpuE3ELNS1_3repE0EEENS1_30default_config_static_selectorELNS0_4arch9wavefront6targetE0EEEvT1_
; %bb.0:
	s_clause 0x5
	s_load_b128 s[4:7], s[0:1], 0x8
	s_load_b64 s[8:9], s[0:1], 0x18
	s_load_b64 s[10:11], s[0:1], 0x38
	s_load_b128 s[12:15], s[0:1], 0x48
	s_load_b64 s[18:19], s[0:1], 0x58
	s_load_b64 s[16:17], s[0:1], 0x68
	v_cmp_ne_u32_e64 s3, 0, v0
	v_cmp_eq_u32_e64 s2, 0, v0
	s_delay_alu instid0(VALU_DEP_1)
	s_and_saveexec_b32 s20, s2
	s_cbranch_execz .LBB771_4
; %bb.1:
	s_mov_b32 s22, exec_lo
	s_mov_b32 s21, exec_lo
	v_mbcnt_lo_u32_b32 v1, s22, 0
                                        ; implicit-def: $vgpr2
	s_delay_alu instid0(VALU_DEP_1)
	v_cmpx_eq_u32_e32 0, v1
	s_cbranch_execz .LBB771_3
; %bb.2:
	s_load_b64 s[24:25], s[0:1], 0x78
	s_bcnt1_i32_b32 s22, s22
	s_delay_alu instid0(SALU_CYCLE_1)
	v_dual_mov_b32 v2, 0 :: v_dual_mov_b32 v3, s22
	s_waitcnt lgkmcnt(0)
	global_atomic_add_u32 v2, v2, v3, s[24:25] glc
.LBB771_3:
	s_or_b32 exec_lo, exec_lo, s21
	s_waitcnt vmcnt(0)
	v_readfirstlane_b32 s21, v2
	s_delay_alu instid0(VALU_DEP_1)
	v_dual_mov_b32 v2, 0 :: v_dual_add_nc_u32 v1, s21, v1
	ds_store_b32 v2, v1
.LBB771_4:
	s_or_b32 exec_lo, exec_lo, s20
	v_mov_b32_e32 v1, 0
	s_waitcnt lgkmcnt(0)
	s_barrier
	buffer_gl0_inv
	s_load_b32 s0, s[0:1], 0x70
	ds_load_b32 v2, v1
	s_waitcnt lgkmcnt(0)
	s_barrier
	buffer_gl0_inv
	global_load_b64 v[17:18], v1, s[14:15]
	s_lshl_b64 s[14:15], s[6:7], 3
	v_lshlrev_b32_e32 v31, 3, v0
	s_add_u32 s22, s4, s14
	s_addc_u32 s23, s5, s15
	v_lshrrev_b32_e32 v26, 2, v0
	v_or_b32_e32 v25, 0x200, v0
	v_or_b32_e32 v24, 0x400, v0
	;; [unrolled: 1-line block ×7, first 2 shown]
	s_add_i32 s5, s0, -1
	v_readfirstlane_b32 s20, v2
	s_lshl_b32 s1, s5, 12
	s_lshl_b32 s0, s0, 12
	s_add_i32 s1, s6, s1
	s_delay_alu instid0(SALU_CYCLE_1)
	s_sub_i32 s21, s18, s1
	s_lshl_b32 s4, s20, 12
	s_add_u32 s0, s6, s0
	s_addc_u32 s1, s7, 0
	s_cmp_eq_u32 s20, s5
	v_cmp_ge_u64_e64 s0, s[0:1], s[18:19]
	s_cselect_b32 s14, -1, 0
	s_mov_b32 s5, 0
	s_delay_alu instid0(VALU_DEP_1)
	s_and_b32 s18, s0, s14
	s_lshl_b64 s[0:1], s[4:5], 3
	s_xor_b32 s15, s18, -1
	s_add_u32 s19, s22, s0
	s_addc_u32 s1, s23, s1
	s_and_b32 vcc_lo, exec_lo, s15
	s_mov_b32 s22, -1
	s_cbranch_vccz .LBB771_6
; %bb.5:
	v_add_co_u32 v1, s0, s19, v31
	s_delay_alu instid0(VALU_DEP_1) | instskip(SKIP_1) | instid1(VALU_DEP_3)
	v_add_co_ci_u32_e64 v2, null, s1, 0, s0
	v_lshrrev_b32_e32 v28, 2, v25
	v_add_co_u32 v3, vcc_lo, 0x1000, v1
	s_delay_alu instid0(VALU_DEP_3)
	v_add_co_ci_u32_e32 v4, vcc_lo, 0, v2, vcc_lo
	v_add_co_u32 v5, vcc_lo, 0x2000, v1
	v_add_co_ci_u32_e32 v6, vcc_lo, 0, v2, vcc_lo
	v_add_co_u32 v7, vcc_lo, 0x3000, v1
	;; [unrolled: 2-line block ×6, first 2 shown]
	v_add_co_ci_u32_e32 v16, vcc_lo, 0, v2, vcc_lo
	s_clause 0x7
	flat_load_b64 v[1:2], v[1:2]
	flat_load_b64 v[3:4], v[3:4]
	;; [unrolled: 1-line block ×8, first 2 shown]
	v_lshrrev_b32_e32 v29, 2, v24
	v_lshrrev_b32_e32 v30, 2, v23
	;; [unrolled: 1-line block ×3, first 2 shown]
	v_and_b32_e32 v27, 0x78, v26
	v_lshrrev_b32_e32 v33, 2, v21
	v_lshrrev_b32_e32 v34, 2, v20
	;; [unrolled: 1-line block ×3, first 2 shown]
	v_and_b32_e32 v28, 0xf8, v28
	v_and_b32_e32 v29, 0x178, v29
	;; [unrolled: 1-line block ×4, first 2 shown]
	v_add_nc_u32_e32 v27, v27, v31
	v_and_b32_e32 v33, 0x2f8, v33
	v_and_b32_e32 v34, 0x378, v34
	;; [unrolled: 1-line block ×3, first 2 shown]
	v_add_nc_u32_e32 v28, v28, v31
	v_add_nc_u32_e32 v29, v29, v31
	v_add_nc_u32_e32 v30, v30, v31
	v_add_nc_u32_e32 v32, v32, v31
	s_mov_b32 s22, s5
	v_add_nc_u32_e32 v33, v33, v31
	v_add_nc_u32_e32 v34, v34, v31
	;; [unrolled: 1-line block ×3, first 2 shown]
	s_waitcnt vmcnt(7) lgkmcnt(7)
	ds_store_b64 v27, v[1:2]
	s_waitcnt vmcnt(6) lgkmcnt(7)
	ds_store_b64 v28, v[3:4] offset:4096
	s_waitcnt vmcnt(5) lgkmcnt(7)
	ds_store_b64 v29, v[5:6] offset:8192
	;; [unrolled: 2-line block ×7, first 2 shown]
	s_waitcnt lgkmcnt(0)
	s_barrier
.LBB771_6:
	v_cmp_gt_u32_e64 s0, s21, v0
	s_and_not1_b32 vcc_lo, exec_lo, s22
	s_cbranch_vccnz .LBB771_24
; %bb.7:
                                        ; implicit-def: $vgpr1_vgpr2_vgpr3_vgpr4_vgpr5_vgpr6_vgpr7_vgpr8_vgpr9_vgpr10_vgpr11_vgpr12_vgpr13_vgpr14_vgpr15_vgpr16
	s_delay_alu instid0(VALU_DEP_1)
	s_and_saveexec_b32 s22, s0
	s_cbranch_execz .LBB771_15
; %bb.8:
	v_add_co_u32 v1, s0, s19, v31
	s_delay_alu instid0(VALU_DEP_1) | instskip(SKIP_2) | instid1(SALU_CYCLE_1)
	v_add_co_ci_u32_e64 v2, null, s1, 0, s0
	flat_load_b64 v[1:2], v[1:2]
	s_or_b32 exec_lo, exec_lo, s22
	s_mov_b32 s0, exec_lo
	v_cmpx_gt_u32_e64 s21, v25
	s_cbranch_execnz .LBB771_16
.LBB771_9:
	s_or_b32 exec_lo, exec_lo, s0
	s_delay_alu instid0(SALU_CYCLE_1)
	s_mov_b32 s0, exec_lo
	v_cmpx_gt_u32_e64 s21, v24
	s_cbranch_execz .LBB771_17
.LBB771_10:
	v_lshlrev_b32_e32 v5, 3, v24
	s_delay_alu instid0(VALU_DEP_1) | instskip(NEXT) | instid1(VALU_DEP_1)
	v_add_co_u32 v5, s22, s19, v5
	v_add_co_ci_u32_e64 v6, null, s1, 0, s22
	flat_load_b64 v[5:6], v[5:6]
	s_or_b32 exec_lo, exec_lo, s0
	s_delay_alu instid0(SALU_CYCLE_1)
	s_mov_b32 s0, exec_lo
	v_cmpx_gt_u32_e64 s21, v23
	s_cbranch_execnz .LBB771_18
.LBB771_11:
	s_or_b32 exec_lo, exec_lo, s0
	s_delay_alu instid0(SALU_CYCLE_1)
	s_mov_b32 s0, exec_lo
	v_cmpx_gt_u32_e64 s21, v22
	s_cbranch_execz .LBB771_19
.LBB771_12:
	v_lshlrev_b32_e32 v9, 3, v22
	s_delay_alu instid0(VALU_DEP_1) | instskip(NEXT) | instid1(VALU_DEP_1)
	v_add_co_u32 v9, s22, s19, v9
	v_add_co_ci_u32_e64 v10, null, s1, 0, s22
	flat_load_b64 v[9:10], v[9:10]
	s_or_b32 exec_lo, exec_lo, s0
	s_delay_alu instid0(SALU_CYCLE_1)
	s_mov_b32 s0, exec_lo
	v_cmpx_gt_u32_e64 s21, v21
	s_cbranch_execnz .LBB771_20
.LBB771_13:
	s_or_b32 exec_lo, exec_lo, s0
	s_delay_alu instid0(SALU_CYCLE_1)
	s_mov_b32 s0, exec_lo
	v_cmpx_gt_u32_e64 s21, v20
	s_cbranch_execz .LBB771_21
.LBB771_14:
	v_lshlrev_b32_e32 v13, 3, v20
	s_delay_alu instid0(VALU_DEP_1) | instskip(NEXT) | instid1(VALU_DEP_1)
	v_add_co_u32 v13, s22, s19, v13
	v_add_co_ci_u32_e64 v14, null, s1, 0, s22
	flat_load_b64 v[13:14], v[13:14]
	s_or_b32 exec_lo, exec_lo, s0
	s_delay_alu instid0(SALU_CYCLE_1)
	s_mov_b32 s0, exec_lo
	v_cmpx_gt_u32_e64 s21, v19
	s_cbranch_execnz .LBB771_22
	s_branch .LBB771_23
.LBB771_15:
	s_or_b32 exec_lo, exec_lo, s22
	s_delay_alu instid0(SALU_CYCLE_1)
	s_mov_b32 s0, exec_lo
	v_cmpx_gt_u32_e64 s21, v25
	s_cbranch_execz .LBB771_9
.LBB771_16:
	v_lshlrev_b32_e32 v3, 3, v25
	s_delay_alu instid0(VALU_DEP_1) | instskip(NEXT) | instid1(VALU_DEP_1)
	v_add_co_u32 v3, s22, s19, v3
	v_add_co_ci_u32_e64 v4, null, s1, 0, s22
	flat_load_b64 v[3:4], v[3:4]
	s_or_b32 exec_lo, exec_lo, s0
	s_delay_alu instid0(SALU_CYCLE_1)
	s_mov_b32 s0, exec_lo
	v_cmpx_gt_u32_e64 s21, v24
	s_cbranch_execnz .LBB771_10
.LBB771_17:
	s_or_b32 exec_lo, exec_lo, s0
	s_delay_alu instid0(SALU_CYCLE_1)
	s_mov_b32 s0, exec_lo
	v_cmpx_gt_u32_e64 s21, v23
	s_cbranch_execz .LBB771_11
.LBB771_18:
	v_lshlrev_b32_e32 v7, 3, v23
	s_delay_alu instid0(VALU_DEP_1) | instskip(NEXT) | instid1(VALU_DEP_1)
	v_add_co_u32 v7, s22, s19, v7
	v_add_co_ci_u32_e64 v8, null, s1, 0, s22
	flat_load_b64 v[7:8], v[7:8]
	s_or_b32 exec_lo, exec_lo, s0
	s_delay_alu instid0(SALU_CYCLE_1)
	s_mov_b32 s0, exec_lo
	v_cmpx_gt_u32_e64 s21, v22
	s_cbranch_execnz .LBB771_12
.LBB771_19:
	s_or_b32 exec_lo, exec_lo, s0
	s_delay_alu instid0(SALU_CYCLE_1)
	s_mov_b32 s0, exec_lo
	v_cmpx_gt_u32_e64 s21, v21
	s_cbranch_execz .LBB771_13
.LBB771_20:
	v_lshlrev_b32_e32 v11, 3, v21
	s_delay_alu instid0(VALU_DEP_1) | instskip(NEXT) | instid1(VALU_DEP_1)
	v_add_co_u32 v11, s22, s19, v11
	v_add_co_ci_u32_e64 v12, null, s1, 0, s22
	flat_load_b64 v[11:12], v[11:12]
	s_or_b32 exec_lo, exec_lo, s0
	s_delay_alu instid0(SALU_CYCLE_1)
	s_mov_b32 s0, exec_lo
	v_cmpx_gt_u32_e64 s21, v20
	s_cbranch_execnz .LBB771_14
.LBB771_21:
	s_or_b32 exec_lo, exec_lo, s0
	s_delay_alu instid0(SALU_CYCLE_1)
	s_mov_b32 s0, exec_lo
	v_cmpx_gt_u32_e64 s21, v19
	s_cbranch_execz .LBB771_23
.LBB771_22:
	v_lshlrev_b32_e32 v15, 3, v19
	s_delay_alu instid0(VALU_DEP_1) | instskip(NEXT) | instid1(VALU_DEP_1)
	v_add_co_u32 v15, s22, s19, v15
	v_add_co_ci_u32_e64 v16, null, s1, 0, s22
	flat_load_b64 v[15:16], v[15:16]
.LBB771_23:
	s_or_b32 exec_lo, exec_lo, s0
	v_lshrrev_b32_e32 v27, 2, v25
	v_lshrrev_b32_e32 v28, 2, v24
	;; [unrolled: 1-line block ×4, first 2 shown]
	v_and_b32_e32 v29, 0x78, v26
	v_lshrrev_b32_e32 v33, 2, v21
	v_lshrrev_b32_e32 v34, 2, v20
	;; [unrolled: 1-line block ×3, first 2 shown]
	v_and_b32_e32 v27, 0xf8, v27
	v_and_b32_e32 v28, 0x1f8, v28
	;; [unrolled: 1-line block ×4, first 2 shown]
	v_add_nc_u32_e32 v29, v29, v31
	v_and_b32_e32 v33, 0x3f8, v33
	v_and_b32_e32 v34, 0x3f8, v34
	;; [unrolled: 1-line block ×3, first 2 shown]
	v_add_nc_u32_e32 v27, v27, v31
	v_add_nc_u32_e32 v28, v28, v31
	;; [unrolled: 1-line block ×7, first 2 shown]
	s_waitcnt vmcnt(0) lgkmcnt(0)
	ds_store_b64 v29, v[1:2]
	ds_store_b64 v27, v[3:4] offset:4096
	ds_store_b64 v28, v[5:6] offset:8192
	;; [unrolled: 1-line block ×7, first 2 shown]
	s_waitcnt lgkmcnt(0)
	s_barrier
.LBB771_24:
	v_add_nc_u32_e32 v26, v26, v31
	s_waitcnt vmcnt(0)
	buffer_gl0_inv
	s_lshl_b64 s[22:23], s[6:7], 2
	v_lshrrev_b32_e32 v28, 3, v0
	s_add_u32 s0, s8, s22
	v_lshlrev_b32_e32 v27, 3, v26
	s_addc_u32 s8, s9, s23
	s_lshl_b64 s[4:5], s[4:5], 2
	ds_load_2addr_b64 v[13:16], v27 offset1:1
	ds_load_2addr_b64 v[9:12], v27 offset0:2 offset1:3
	ds_load_2addr_b64 v[5:8], v27 offset0:4 offset1:5
	;; [unrolled: 1-line block ×3, first 2 shown]
	s_add_u32 s0, s0, s4
	s_addc_u32 s4, s8, s5
	s_and_b32 vcc_lo, exec_lo, s15
	s_mov_b32 s5, -1
	s_waitcnt lgkmcnt(0)
	s_barrier
	buffer_gl0_inv
	s_cbranch_vccz .LBB771_26
; %bb.25:
	v_lshlrev_b32_e32 v38, 2, v0
	v_lshrrev_b32_e32 v40, 3, v25
	v_lshrrev_b32_e32 v41, 3, v24
	;; [unrolled: 1-line block ×4, first 2 shown]
	v_add_co_u32 v29, s5, s0, v38
	s_delay_alu instid0(VALU_DEP_1) | instskip(SKIP_1) | instid1(VALU_DEP_3)
	v_add_co_ci_u32_e64 v30, null, s4, 0, s5
	v_lshrrev_b32_e32 v44, 3, v21
	v_add_co_u32 v32, vcc_lo, 0x1000, v29
	s_delay_alu instid0(VALU_DEP_3)
	v_add_co_ci_u32_e32 v33, vcc_lo, 0, v30, vcc_lo
	v_add_co_u32 v34, vcc_lo, 0x2000, v29
	v_add_co_ci_u32_e32 v35, vcc_lo, 0, v30, vcc_lo
	v_add_co_u32 v36, vcc_lo, 0x3000, v29
	v_add_co_ci_u32_e32 v37, vcc_lo, 0, v30, vcc_lo
	s_clause 0x7
	flat_load_b32 v39, v[29:30]
	flat_load_b32 v29, v[29:30] offset:2048
	flat_load_b32 v30, v[32:33]
	flat_load_b32 v32, v[32:33] offset:2048
	;; [unrolled: 2-line block ×4, first 2 shown]
	v_and_b32_e32 v37, 60, v28
	v_lshrrev_b32_e32 v45, 3, v20
	v_lshrrev_b32_e32 v46, 3, v19
	v_and_b32_e32 v40, 0x7c, v40
	v_and_b32_e32 v41, 0xbc, v41
	;; [unrolled: 1-line block ×4, first 2 shown]
	v_add_nc_u32_e32 v37, v37, v38
	v_and_b32_e32 v44, 0x17c, v44
	v_and_b32_e32 v45, 0x1bc, v45
	;; [unrolled: 1-line block ×3, first 2 shown]
	v_add_nc_u32_e32 v40, v40, v38
	v_add_nc_u32_e32 v41, v41, v38
	;; [unrolled: 1-line block ×4, first 2 shown]
	s_mov_b32 s5, 0
	v_add_nc_u32_e32 v44, v44, v38
	v_add_nc_u32_e32 v45, v45, v38
	;; [unrolled: 1-line block ×3, first 2 shown]
	s_waitcnt vmcnt(7) lgkmcnt(7)
	ds_store_b32 v37, v39
	s_waitcnt vmcnt(6) lgkmcnt(7)
	ds_store_b32 v40, v29 offset:2048
	s_waitcnt vmcnt(5) lgkmcnt(7)
	ds_store_b32 v41, v30 offset:4096
	;; [unrolled: 2-line block ×7, first 2 shown]
	s_waitcnt lgkmcnt(0)
	s_barrier
.LBB771_26:
	s_and_not1_b32 vcc_lo, exec_lo, s5
	s_cbranch_vccnz .LBB771_44
; %bb.27:
	s_mov_b32 s5, exec_lo
                                        ; implicit-def: $vgpr29
	v_cmpx_gt_u32_e64 s21, v0
	s_cbranch_execz .LBB771_29
; %bb.28:
	v_lshlrev_b32_e32 v29, 2, v0
	s_delay_alu instid0(VALU_DEP_1) | instskip(NEXT) | instid1(VALU_DEP_1)
	v_add_co_u32 v29, s8, s0, v29
	v_add_co_ci_u32_e64 v30, null, s4, 0, s8
	flat_load_b32 v29, v[29:30]
.LBB771_29:
	s_or_b32 exec_lo, exec_lo, s5
	s_delay_alu instid0(SALU_CYCLE_1)
	s_mov_b32 s5, exec_lo
                                        ; implicit-def: $vgpr30
	v_cmpx_gt_u32_e64 s21, v25
	s_cbranch_execz .LBB771_31
; %bb.30:
	v_lshlrev_b32_e32 v30, 2, v0
	s_delay_alu instid0(VALU_DEP_1) | instskip(NEXT) | instid1(VALU_DEP_1)
	v_add_co_u32 v32, s8, s0, v30
	v_add_co_ci_u32_e64 v33, null, s4, 0, s8
	flat_load_b32 v30, v[32:33] offset:2048
.LBB771_31:
	s_or_b32 exec_lo, exec_lo, s5
	s_delay_alu instid0(SALU_CYCLE_1)
	s_mov_b32 s5, exec_lo
                                        ; implicit-def: $vgpr32
	v_cmpx_gt_u32_e64 s21, v24
	s_cbranch_execz .LBB771_33
; %bb.32:
	v_lshlrev_b32_e32 v32, 2, v24
	s_delay_alu instid0(VALU_DEP_1) | instskip(NEXT) | instid1(VALU_DEP_1)
	v_add_co_u32 v32, s8, s0, v32
	v_add_co_ci_u32_e64 v33, null, s4, 0, s8
	flat_load_b32 v32, v[32:33]
.LBB771_33:
	s_or_b32 exec_lo, exec_lo, s5
	s_delay_alu instid0(SALU_CYCLE_1)
	s_mov_b32 s5, exec_lo
                                        ; implicit-def: $vgpr33
	v_cmpx_gt_u32_e64 s21, v23
	s_cbranch_execz .LBB771_35
; %bb.34:
	v_lshlrev_b32_e32 v33, 2, v23
	s_delay_alu instid0(VALU_DEP_1) | instskip(NEXT) | instid1(VALU_DEP_1)
	v_add_co_u32 v33, s8, s0, v33
	v_add_co_ci_u32_e64 v34, null, s4, 0, s8
	flat_load_b32 v33, v[33:34]
.LBB771_35:
	s_or_b32 exec_lo, exec_lo, s5
	s_delay_alu instid0(SALU_CYCLE_1)
	s_mov_b32 s5, exec_lo
                                        ; implicit-def: $vgpr34
	v_cmpx_gt_u32_e64 s21, v22
	s_cbranch_execz .LBB771_37
; %bb.36:
	v_lshlrev_b32_e32 v34, 2, v22
	s_delay_alu instid0(VALU_DEP_1) | instskip(NEXT) | instid1(VALU_DEP_1)
	v_add_co_u32 v34, s8, s0, v34
	v_add_co_ci_u32_e64 v35, null, s4, 0, s8
	flat_load_b32 v34, v[34:35]
.LBB771_37:
	s_or_b32 exec_lo, exec_lo, s5
	s_delay_alu instid0(SALU_CYCLE_1)
	s_mov_b32 s5, exec_lo
                                        ; implicit-def: $vgpr35
	v_cmpx_gt_u32_e64 s21, v21
	s_cbranch_execz .LBB771_39
; %bb.38:
	v_lshlrev_b32_e32 v35, 2, v21
	s_delay_alu instid0(VALU_DEP_1) | instskip(NEXT) | instid1(VALU_DEP_1)
	v_add_co_u32 v35, s8, s0, v35
	v_add_co_ci_u32_e64 v36, null, s4, 0, s8
	flat_load_b32 v35, v[35:36]
.LBB771_39:
	s_or_b32 exec_lo, exec_lo, s5
	s_delay_alu instid0(SALU_CYCLE_1)
	s_mov_b32 s5, exec_lo
                                        ; implicit-def: $vgpr36
	v_cmpx_gt_u32_e64 s21, v20
	s_cbranch_execz .LBB771_41
; %bb.40:
	v_lshlrev_b32_e32 v36, 2, v20
	s_delay_alu instid0(VALU_DEP_1) | instskip(NEXT) | instid1(VALU_DEP_1)
	v_add_co_u32 v36, s8, s0, v36
	v_add_co_ci_u32_e64 v37, null, s4, 0, s8
	flat_load_b32 v36, v[36:37]
.LBB771_41:
	s_or_b32 exec_lo, exec_lo, s5
	s_delay_alu instid0(SALU_CYCLE_1)
	s_mov_b32 s5, exec_lo
                                        ; implicit-def: $vgpr37
	v_cmpx_gt_u32_e64 s21, v19
	s_cbranch_execz .LBB771_43
; %bb.42:
	v_lshlrev_b32_e32 v37, 2, v19
	s_delay_alu instid0(VALU_DEP_1) | instskip(NEXT) | instid1(VALU_DEP_1)
	v_add_co_u32 v37, s0, s0, v37
	v_add_co_ci_u32_e64 v38, null, s4, 0, s0
	flat_load_b32 v37, v[37:38]
.LBB771_43:
	s_or_b32 exec_lo, exec_lo, s5
	v_lshrrev_b32_e32 v25, 3, v25
	v_lshrrev_b32_e32 v24, 3, v24
	;; [unrolled: 1-line block ×4, first 2 shown]
	v_and_b32_e32 v28, 60, v28
	v_lshlrev_b32_e32 v38, 2, v0
	v_lshrrev_b32_e32 v21, 3, v21
	v_lshrrev_b32_e32 v20, 3, v20
	;; [unrolled: 1-line block ×3, first 2 shown]
	v_and_b32_e32 v25, 0x7c, v25
	v_and_b32_e32 v24, 0xfc, v24
	;; [unrolled: 1-line block ×4, first 2 shown]
	v_add_nc_u32_e32 v28, v28, v38
	v_and_b32_e32 v21, 0x1fc, v21
	v_and_b32_e32 v20, 0x1fc, v20
	v_and_b32_e32 v19, 0x1fc, v19
	v_add_nc_u32_e32 v25, v25, v38
	v_add_nc_u32_e32 v24, v24, v38
	;; [unrolled: 1-line block ×7, first 2 shown]
	s_waitcnt vmcnt(0) lgkmcnt(0)
	ds_store_b32 v28, v29
	ds_store_b32 v25, v30 offset:2048
	ds_store_b32 v24, v32 offset:4096
	;; [unrolled: 1-line block ×7, first 2 shown]
	s_waitcnt lgkmcnt(0)
	s_barrier
.LBB771_44:
	v_lshlrev_b32_e32 v19, 2, v26
	buffer_gl0_inv
	s_cmp_lg_u32 s20, 0
	s_mov_b32 s22, 0
	s_cselect_b32 s9, -1, 0
	v_sub_nc_u32_e32 v19, v27, v19
	s_cmp_lg_u64 s[6:7], 0
	ds_load_2addr_b32 v[25:26], v19 offset1:1
	ds_load_2addr_b32 v[23:24], v19 offset0:2 offset1:3
	ds_load_2addr_b32 v[21:22], v19 offset0:4 offset1:5
	;; [unrolled: 1-line block ×3, first 2 shown]
	s_cselect_b32 s0, -1, 0
	s_waitcnt lgkmcnt(0)
	s_or_b32 s0, s0, s9
	s_barrier
	s_and_b32 vcc_lo, exec_lo, s0
	buffer_gl0_inv
	s_cbranch_vccz .LBB771_49
; %bb.45:
	v_add_co_u32 v27, s0, -8, s19
	s_delay_alu instid0(VALU_DEP_1)
	v_add_co_ci_u32_e64 v28, null, -1, s1, s0
	s_mov_b32 s1, -1
	s_and_b32 vcc_lo, exec_lo, s15
	flat_load_b64 v[29:30], v[27:28]
	ds_store_b64 v31, v[3:4]
	s_cbranch_vccz .LBB771_50
; %bb.46:
	s_waitcnt vmcnt(0) lgkmcnt(1)
	v_dual_mov_b32 v27, v29 :: v_dual_mov_b32 v28, v30
	s_waitcnt lgkmcnt(0)
	s_barrier
	buffer_gl0_inv
	s_and_saveexec_b32 s0, s3
	s_cbranch_execz .LBB771_48
; %bb.47:
	v_add_nc_u32_e32 v27, -8, v31
	ds_load_b64 v[27:28], v27
.LBB771_48:
	s_or_b32 exec_lo, exec_lo, s0
	v_cmp_ne_u64_e32 vcc_lo, v[1:2], v[3:4]
	s_waitcnt lgkmcnt(0)
	v_cmp_ne_u64_e64 s0, v[27:28], v[13:14]
	v_cndmask_b32_e64 v32, 0, 1, vcc_lo
	v_cmp_ne_u64_e32 vcc_lo, v[7:8], v[1:2]
	s_delay_alu instid0(VALU_DEP_2) | instskip(SKIP_2) | instid1(VALU_DEP_2)
	v_lshlrev_b16 v32, 8, v32
	v_cndmask_b32_e64 v33, 0, 1, vcc_lo
	v_cmp_ne_u64_e32 vcc_lo, v[5:6], v[7:8]
	v_or_b32_e32 v32, v33, v32
	v_cndmask_b32_e64 v34, 0, 1, vcc_lo
	v_cmp_ne_u64_e32 vcc_lo, v[9:10], v[11:12]
	s_delay_alu instid0(VALU_DEP_3) | instskip(NEXT) | instid1(VALU_DEP_3)
	v_lshlrev_b32_e32 v32, 16, v32
	v_lshlrev_b16 v34, 8, v34
	v_cndmask_b32_e64 v35, 0, 1, vcc_lo
	v_cmp_ne_u64_e32 vcc_lo, v[11:12], v[5:6]
	s_delay_alu instid0(VALU_DEP_2) | instskip(SKIP_2) | instid1(VALU_DEP_2)
	v_lshlrev_b16 v35, 8, v35
	v_cndmask_b32_e64 v36, 0, 1, vcc_lo
	v_cmp_ne_u64_e32 vcc_lo, v[15:16], v[9:10]
	v_or_b32_e32 v34, v36, v34
	v_cndmask_b32_e64 v37, 0, 1, vcc_lo
	v_cmp_ne_u64_e32 vcc_lo, v[13:14], v[15:16]
	s_delay_alu instid0(VALU_DEP_3) | instskip(NEXT) | instid1(VALU_DEP_3)
	v_and_b32_e32 v34, 0xffff, v34
	v_or_b32_e32 v35, v37, v35
	v_cndmask_b32_e64 v38, 0, 1, vcc_lo
	s_delay_alu instid0(VALU_DEP_3) | instskip(NEXT) | instid1(VALU_DEP_3)
	v_or_b32_e32 v28, v34, v32
	v_lshlrev_b32_e32 v33, 16, v35
	s_delay_alu instid0(VALU_DEP_3) | instskip(NEXT) | instid1(VALU_DEP_1)
	v_lshlrev_b16 v37, 8, v38
	v_and_b32_e32 v35, 0xffff, v37
	s_delay_alu instid0(VALU_DEP_1)
	v_or_b32_e32 v27, v35, v33
	s_branch .LBB771_54
.LBB771_49:
                                        ; implicit-def: $sgpr0
                                        ; implicit-def: $vgpr28
	s_branch .LBB771_55
.LBB771_50:
                                        ; implicit-def: $sgpr0
                                        ; implicit-def: $vgpr28
	s_and_b32 vcc_lo, exec_lo, s1
	s_cbranch_vccz .LBB771_54
; %bb.51:
	s_waitcnt vmcnt(0) lgkmcnt(0)
	s_barrier
	buffer_gl0_inv
	s_and_saveexec_b32 s0, s3
	s_cbranch_execz .LBB771_53
; %bb.52:
	v_add_nc_u32_e32 v27, -8, v31
	ds_load_b64 v[29:30], v27
.LBB771_53:
	s_or_b32 exec_lo, exec_lo, s0
	v_or_b32_e32 v27, 7, v31
	v_or_b32_e32 v28, 6, v31
	v_cmp_ne_u64_e32 vcc_lo, v[1:2], v[3:4]
	v_or_b32_e32 v32, 5, v31
	v_cmp_ne_u64_e64 s1, v[7:8], v[1:2]
	v_cmp_gt_u32_e64 s0, s21, v27
	v_cmp_gt_u32_e64 s4, s21, v28
	v_cmp_ne_u64_e64 s5, v[5:6], v[7:8]
	v_cmp_gt_u32_e64 s6, s21, v32
	v_or_b32_e32 v32, 3, v31
	s_and_b32 s0, s0, vcc_lo
	v_or_b32_e32 v33, 4, v31
	v_cndmask_b32_e64 v27, 0, 1, s0
	s_and_b32 s0, s4, s1
	v_cmp_ne_u64_e32 vcc_lo, v[9:10], v[11:12]
	v_cndmask_b32_e64 v28, 0, 1, s0
	s_and_b32 s0, s6, s5
	v_cmp_gt_u32_e64 s1, s21, v33
	v_cndmask_b32_e64 v34, 0, 1, s0
	v_cmp_gt_u32_e64 s0, s21, v32
	v_or_b32_e32 v32, 2, v31
	v_or_b32_e32 v33, 1, v31
	v_cmp_ne_u64_e64 s4, v[11:12], v[5:6]
	v_cmp_ne_u64_e64 s6, v[13:14], v[15:16]
	s_and_b32 s0, s0, vcc_lo
	v_cmp_ne_u64_e32 vcc_lo, v[15:16], v[9:10]
	v_cndmask_b32_e64 v35, 0, 1, s0
	v_cmp_gt_u32_e64 s0, s21, v32
	v_cmp_gt_u32_e64 s5, s21, v33
	s_and_b32 s1, s1, s4
	v_lshlrev_b16 v34, 8, v34
	v_cndmask_b32_e64 v32, 0, 1, s1
	s_and_b32 s0, s0, vcc_lo
	v_lshlrev_b16 v35, 8, v35
	v_cndmask_b32_e64 v33, 0, 1, s0
	s_and_b32 s0, s5, s6
	v_lshlrev_b16 v27, 8, v27
	v_cndmask_b32_e64 v36, 0, 1, s0
	v_or_b32_e32 v32, v32, v34
	v_or_b32_e32 v33, v33, v35
	s_waitcnt lgkmcnt(0)
	v_cmp_ne_u64_e32 vcc_lo, v[29:30], v[13:14]
	v_or_b32_e32 v27, v28, v27
	v_lshlrev_b16 v35, 8, v36
	v_and_b32_e32 v32, 0xffff, v32
	v_lshlrev_b32_e32 v28, 16, v33
	v_cmp_gt_u32_e64 s0, s21, v31
	v_lshlrev_b32_e32 v34, 16, v27
	v_and_b32_e32 v33, 0xffff, v35
	s_delay_alu instid0(VALU_DEP_3) | instskip(NEXT) | instid1(VALU_DEP_1)
	s_and_b32 s0, s0, vcc_lo
	v_or_b32_e32 v27, v33, v28
	s_delay_alu instid0(VALU_DEP_3)
	v_or_b32_e32 v28, v32, v34
.LBB771_54:
	s_mov_b32 s22, -1
	s_cbranch_execnz .LBB771_63
.LBB771_55:
	v_cmp_ne_u64_e64 s1, v[1:2], v[3:4]
	v_cmp_ne_u64_e64 s4, v[7:8], v[1:2]
	;; [unrolled: 1-line block ×7, first 2 shown]
	s_and_b32 vcc_lo, exec_lo, s15
	ds_store_b64 v31, v[3:4]
	s_cbranch_vccz .LBB771_59
; %bb.56:
	v_cndmask_b32_e64 v27, 0, 1, s1
	s_waitcnt vmcnt(0) lgkmcnt(2)
	v_cndmask_b32_e64 v29, 0, 1, s5
	v_cndmask_b32_e64 v32, 0, 1, s7
	;; [unrolled: 1-line block ×6, first 2 shown]
	v_lshlrev_b16 v29, 8, v29
	v_lshlrev_b16 v27, 8, v27
	;; [unrolled: 1-line block ×4, first 2 shown]
	s_waitcnt lgkmcnt(0)
	v_or_b32_e32 v29, v30, v29
	v_or_b32_e32 v27, v28, v27
	;; [unrolled: 1-line block ×4, first 2 shown]
	s_barrier
	v_and_b32_e32 v29, 0xffff, v29
	v_lshlrev_b32_e32 v27, 16, v27
	v_lshlrev_b32_e32 v32, 16, v28
	v_and_b32_e32 v30, 0xffff, v30
	buffer_gl0_inv
                                        ; implicit-def: $sgpr0
	v_or_b32_e32 v28, v29, v27
	v_or_b32_e32 v27, v30, v32
	s_and_saveexec_b32 s1, s3
	s_delay_alu instid0(SALU_CYCLE_1)
	s_xor_b32 s1, exec_lo, s1
	s_cbranch_execz .LBB771_58
; %bb.57:
	v_add_nc_u32_e32 v29, -8, v31
	s_or_b32 s22, s22, exec_lo
	ds_load_b64 v[29:30], v29
	s_waitcnt lgkmcnt(0)
	v_cmp_ne_u64_e32 vcc_lo, v[29:30], v[13:14]
	s_and_b32 s0, vcc_lo, exec_lo
.LBB771_58:
	s_or_b32 exec_lo, exec_lo, s1
	s_branch .LBB771_63
.LBB771_59:
                                        ; implicit-def: $sgpr0
                                        ; implicit-def: $vgpr28
	s_cbranch_execz .LBB771_63
; %bb.60:
	v_or_b32_e32 v27, 7, v31
	v_or_b32_e32 v28, 6, v31
	v_cmp_ne_u64_e32 vcc_lo, v[1:2], v[3:4]
	v_cmp_ne_u64_e64 s0, v[7:8], v[1:2]
	s_waitcnt vmcnt(0) lgkmcnt(2)
	v_or_b32_e32 v29, 4, v31
	v_cmp_gt_u32_e64 s1, s21, v27
	v_or_b32_e32 v27, 5, v31
	v_cmp_gt_u32_e64 s5, s21, v28
	v_cmp_ne_u64_e64 s4, v[5:6], v[7:8]
	v_cmp_ne_u64_e64 s6, v[11:12], v[5:6]
	s_and_b32 s1, s1, vcc_lo
	v_cmp_gt_u32_e32 vcc_lo, s21, v27
	v_cndmask_b32_e64 v28, 0, 1, s1
	v_cmp_gt_u32_e64 s1, s21, v29
	s_and_b32 s0, s5, s0
	v_or_b32_e32 v30, 3, v31
	v_cndmask_b32_e64 v27, 0, 1, s0
	s_and_b32 s0, vcc_lo, s4
	v_or_b32_e32 v33, 1, v31
	v_cndmask_b32_e64 v29, 0, 1, s0
	s_and_b32 s0, s1, s6
	v_cmp_ne_u64_e32 vcc_lo, v[9:10], v[11:12]
	v_cndmask_b32_e64 v32, 0, 1, s0
	v_cmp_gt_u32_e64 s0, s21, v30
	v_cmp_ne_u64_e64 s1, v[13:14], v[15:16]
	v_or_b32_e32 v34, 2, v31
	v_cmp_gt_u32_e64 s4, s21, v33
	v_cmp_ne_u64_e64 s5, v[15:16], v[9:10]
	s_and_b32 s0, s0, vcc_lo
	v_lshlrev_b16 v29, 8, v29
	v_cmp_gt_u32_e64 s6, s21, v34
	v_cndmask_b32_e64 v30, 0, 1, s0
	s_and_b32 s0, s4, s1
	v_lshlrev_b16 v28, 8, v28
	v_cndmask_b32_e64 v33, 0, 1, s0
	s_and_b32 s0, s6, s5
	v_lshlrev_b16 v30, 8, v30
	v_cndmask_b32_e64 v34, 0, 1, s0
	v_or_b32_e32 v29, v32, v29
	v_lshlrev_b16 v33, 8, v33
	v_or_b32_e32 v27, v27, v28
	s_waitcnt lgkmcnt(0)
	v_or_b32_e32 v28, v34, v30
	v_and_b32_e32 v29, 0xffff, v29
	v_or_b32_e32 v30, 1, v33
	v_lshlrev_b32_e32 v27, 16, v27
	s_barrier
	v_lshlrev_b32_e32 v32, 16, v28
	buffer_gl0_inv
	v_and_b32_e32 v30, 0xffff, v30
	v_or_b32_e32 v28, v29, v27
                                        ; implicit-def: $sgpr0
	s_delay_alu instid0(VALU_DEP_2)
	v_or_b32_e32 v27, v30, v32
	s_and_saveexec_b32 s1, s3
	s_cbranch_execz .LBB771_62
; %bb.61:
	v_add_nc_u32_e32 v29, -8, v31
	v_cmp_gt_u32_e64 s0, s21, v31
	s_or_b32 s22, s22, exec_lo
	ds_load_b64 v[29:30], v29
	s_waitcnt lgkmcnt(0)
	v_cmp_ne_u64_e32 vcc_lo, v[29:30], v[13:14]
	s_and_b32 s0, s0, vcc_lo
	s_delay_alu instid0(SALU_CYCLE_1)
	s_and_b32 s0, s0, exec_lo
.LBB771_62:
	s_or_b32 exec_lo, exec_lo, s1
.LBB771_63:
	s_and_saveexec_b32 s1, s22
	s_cbranch_execz .LBB771_65
; %bb.64:
	s_waitcnt vmcnt(0) lgkmcnt(1)
	v_and_b32_e32 v29, 0xffffff00, v27
	v_cndmask_b32_e64 v30, 0, 1, s0
	s_delay_alu instid0(VALU_DEP_1) | instskip(NEXT) | instid1(VALU_DEP_1)
	v_or_b32_e32 v29, v30, v29
	v_and_b32_e32 v29, 0xffff, v29
	s_delay_alu instid0(VALU_DEP_1)
	v_and_or_b32 v27, 0xffff0000, v27, v29
.LBB771_65:
	s_or_b32 exec_lo, exec_lo, s1
	s_delay_alu instid0(SALU_CYCLE_1)
	s_and_not1_b32 vcc_lo, exec_lo, s18
	s_cbranch_vccnz .LBB771_67
; %bb.66:
	v_cmp_gt_u32_e32 vcc_lo, s21, v31
	s_waitcnt vmcnt(0) lgkmcnt(1)
	v_or_b32_e32 v30, 1, v31
	v_or_b32_e32 v33, 2, v31
	v_dual_cndmask_b32 v29, 0, v27 :: v_dual_and_b32 v32, 0xffffff00, v28
	s_delay_alu instid0(VALU_DEP_3) | instskip(SKIP_1) | instid1(VALU_DEP_4)
	v_cmp_gt_u32_e32 vcc_lo, s21, v30
	v_or_b32_e32 v30, 4, v31
	v_cmp_gt_u32_e64 s0, s21, v33
	v_or_b32_e32 v33, 3, v31
	v_and_b32_e32 v29, 0xff, v29
	s_delay_alu instid0(VALU_DEP_2) | instskip(NEXT) | instid1(VALU_DEP_2)
	v_cmp_gt_u32_e64 s1, s21, v33
	v_cndmask_b32_e32 v29, v29, v27, vcc_lo
	v_cmp_gt_u32_e32 vcc_lo, s21, v30
	v_cndmask_b32_e32 v30, v32, v28, vcc_lo
	v_or_b32_e32 v32, 5, v31
	s_delay_alu instid0(VALU_DEP_2) | instskip(SKIP_1) | instid1(VALU_DEP_1)
	v_and_b32_e32 v30, 0xffff00ff, v30
	v_and_b32_e32 v29, 0xffff, v29
	v_cndmask_b32_e64 v29, v29, v27, s0
	s_delay_alu instid0(VALU_DEP_4) | instskip(SKIP_2) | instid1(VALU_DEP_4)
	v_cmp_gt_u32_e64 s0, s21, v32
	v_or_b32_e32 v32, 6, v31
	v_or_b32_e32 v31, 7, v31
	v_and_b32_e32 v29, 0xffffff, v29
	s_delay_alu instid0(VALU_DEP_4) | instskip(NEXT) | instid1(VALU_DEP_2)
	v_cndmask_b32_e64 v30, v30, v28, s0
	v_cndmask_b32_e64 v29, v29, v27, s1
	s_delay_alu instid0(VALU_DEP_1) | instskip(SKIP_1) | instid1(VALU_DEP_2)
	v_dual_cndmask_b32 v29, v29, v27 :: v_dual_and_b32 v30, 0xff00ffff, v30
	v_cmp_gt_u32_e32 vcc_lo, s21, v32
	v_cndmask_b32_e64 v29, v29, v27, s0
	s_delay_alu instid0(VALU_DEP_1) | instskip(NEXT) | instid1(VALU_DEP_1)
	v_dual_cndmask_b32 v30, v30, v28 :: v_dual_cndmask_b32 v29, v29, v27
	v_and_b32_e32 v30, 0xffffff, v30
	v_cmp_gt_u32_e32 vcc_lo, s21, v31
	s_delay_alu instid0(VALU_DEP_2)
	v_dual_cndmask_b32 v28, v30, v28 :: v_dual_cndmask_b32 v27, v29, v27
.LBB771_67:
	s_delay_alu instid0(VALU_DEP_1) | instskip(SKIP_1) | instid1(VALU_DEP_2)
	v_and_b32_e32 v38, 0xff, v27
	s_waitcnt vmcnt(0) lgkmcnt(1)
	v_alignbit_b32 v29, v28, v27, 24
	v_bfe_u32 v40, v27, 8, 8
	v_bfe_u32 v42, v27, 16, 8
	v_and_b32_e32 v46, 0xff, v28
	v_bfe_u32 v48, v28, 8, 8
	v_and_b32_e32 v44, 0xff, v29
	v_add_nc_u32_e32 v29, v40, v38
	v_mbcnt_lo_u32_b32 v51, -1, 0
	v_bfe_u32 v50, v28, 16, 8
	v_lshrrev_b32_e32 v49, 24, v28
	v_lshrrev_b32_e32 v52, 5, v0
	v_add3_u32 v29, v29, v42, v44
	v_and_b32_e32 v30, 15, v51
	v_and_b32_e32 v31, 16, v51
	s_and_b32 vcc_lo, exec_lo, s9
	s_mov_b32 s7, -1
	v_add3_u32 v29, v29, v46, v48
	v_cmp_eq_u32_e64 s3, 0, v30
	v_cmp_lt_u32_e64 s0, 1, v30
	v_cmp_lt_u32_e64 s4, 3, v30
	;; [unrolled: 1-line block ×3, first 2 shown]
	v_add3_u32 v53, v29, v50, v49
	v_or_b32_e32 v29, 31, v0
	v_cmp_eq_u32_e64 s6, 0, v31
	s_waitcnt lgkmcnt(0)
	s_barrier
	buffer_gl0_inv
	v_cmp_eq_u32_e64 s5, v29, v0
	s_cbranch_vccz .LBB771_98
; %bb.68:
	v_mov_b32_dpp v29, v53 row_shr:1 row_mask:0xf bank_mask:0xf
	s_delay_alu instid0(VALU_DEP_1) | instskip(NEXT) | instid1(VALU_DEP_1)
	v_cndmask_b32_e64 v29, v29, 0, s3
	v_add_nc_u32_e32 v29, v29, v53
	s_delay_alu instid0(VALU_DEP_1) | instskip(NEXT) | instid1(VALU_DEP_1)
	v_mov_b32_dpp v30, v29 row_shr:2 row_mask:0xf bank_mask:0xf
	v_cndmask_b32_e64 v30, 0, v30, s0
	s_delay_alu instid0(VALU_DEP_1) | instskip(NEXT) | instid1(VALU_DEP_1)
	v_add_nc_u32_e32 v29, v29, v30
	v_mov_b32_dpp v30, v29 row_shr:4 row_mask:0xf bank_mask:0xf
	s_delay_alu instid0(VALU_DEP_1) | instskip(NEXT) | instid1(VALU_DEP_1)
	v_cndmask_b32_e64 v30, 0, v30, s4
	v_add_nc_u32_e32 v29, v29, v30
	s_delay_alu instid0(VALU_DEP_1) | instskip(NEXT) | instid1(VALU_DEP_1)
	v_mov_b32_dpp v30, v29 row_shr:8 row_mask:0xf bank_mask:0xf
	v_cndmask_b32_e64 v30, 0, v30, s1
	s_delay_alu instid0(VALU_DEP_1) | instskip(SKIP_3) | instid1(VALU_DEP_1)
	v_add_nc_u32_e32 v29, v29, v30
	ds_swizzle_b32 v30, v29 offset:swizzle(BROADCAST,32,15)
	s_waitcnt lgkmcnt(0)
	v_cndmask_b32_e64 v30, v30, 0, s6
	v_add_nc_u32_e32 v29, v29, v30
	s_and_saveexec_b32 s7, s5
	s_cbranch_execz .LBB771_70
; %bb.69:
	v_lshlrev_b32_e32 v30, 2, v52
	ds_store_b32 v30, v29
.LBB771_70:
	s_or_b32 exec_lo, exec_lo, s7
	s_delay_alu instid0(SALU_CYCLE_1)
	s_mov_b32 s7, exec_lo
	s_waitcnt lgkmcnt(0)
	s_barrier
	buffer_gl0_inv
	v_cmpx_gt_u32_e32 16, v0
	s_cbranch_execz .LBB771_72
; %bb.71:
	v_lshlrev_b32_e32 v30, 2, v0
	ds_load_b32 v31, v30
	s_waitcnt lgkmcnt(0)
	v_mov_b32_dpp v32, v31 row_shr:1 row_mask:0xf bank_mask:0xf
	s_delay_alu instid0(VALU_DEP_1) | instskip(NEXT) | instid1(VALU_DEP_1)
	v_cndmask_b32_e64 v32, v32, 0, s3
	v_add_nc_u32_e32 v31, v32, v31
	s_delay_alu instid0(VALU_DEP_1) | instskip(NEXT) | instid1(VALU_DEP_1)
	v_mov_b32_dpp v32, v31 row_shr:2 row_mask:0xf bank_mask:0xf
	v_cndmask_b32_e64 v32, 0, v32, s0
	s_delay_alu instid0(VALU_DEP_1) | instskip(NEXT) | instid1(VALU_DEP_1)
	v_add_nc_u32_e32 v31, v31, v32
	v_mov_b32_dpp v32, v31 row_shr:4 row_mask:0xf bank_mask:0xf
	s_delay_alu instid0(VALU_DEP_1) | instskip(NEXT) | instid1(VALU_DEP_1)
	v_cndmask_b32_e64 v32, 0, v32, s4
	v_add_nc_u32_e32 v31, v31, v32
	s_delay_alu instid0(VALU_DEP_1) | instskip(NEXT) | instid1(VALU_DEP_1)
	v_mov_b32_dpp v32, v31 row_shr:8 row_mask:0xf bank_mask:0xf
	v_cndmask_b32_e64 v32, 0, v32, s1
	s_delay_alu instid0(VALU_DEP_1)
	v_add_nc_u32_e32 v31, v31, v32
	ds_store_b32 v30, v31
.LBB771_72:
	s_or_b32 exec_lo, exec_lo, s7
	v_cmp_gt_u32_e32 vcc_lo, 32, v0
	s_mov_b32 s8, exec_lo
	s_waitcnt lgkmcnt(0)
	s_barrier
	buffer_gl0_inv
                                        ; implicit-def: $vgpr37
	v_cmpx_lt_u32_e32 31, v0
	s_cbranch_execz .LBB771_74
; %bb.73:
	v_lshl_add_u32 v30, v52, 2, -4
	ds_load_b32 v37, v30
	s_waitcnt lgkmcnt(0)
	v_add_nc_u32_e32 v29, v37, v29
.LBB771_74:
	s_or_b32 exec_lo, exec_lo, s8
	v_add_nc_u32_e32 v30, -1, v51
	s_delay_alu instid0(VALU_DEP_1) | instskip(NEXT) | instid1(VALU_DEP_1)
	v_cmp_gt_i32_e64 s7, 0, v30
	v_cndmask_b32_e64 v30, v30, v51, s7
	v_cmp_eq_u32_e64 s7, 0, v51
	s_delay_alu instid0(VALU_DEP_2)
	v_lshlrev_b32_e32 v30, 2, v30
	ds_bpermute_b32 v39, v30, v29
	s_and_saveexec_b32 s8, vcc_lo
	s_cbranch_execz .LBB771_97
; %bb.75:
	v_mov_b32_e32 v33, 0
	ds_load_b32 v29, v33 offset:60
	s_and_saveexec_b32 s9, s7
	s_cbranch_execz .LBB771_77
; %bb.76:
	s_add_i32 s18, s20, 32
	s_mov_b32 s19, 0
	v_mov_b32_e32 v30, 1
	s_lshl_b64 s[18:19], s[18:19], 3
	s_delay_alu instid0(SALU_CYCLE_1)
	s_add_u32 s18, s16, s18
	s_addc_u32 s19, s17, s19
	s_waitcnt lgkmcnt(0)
	global_store_b64 v33, v[29:30], s[18:19]
.LBB771_77:
	s_or_b32 exec_lo, exec_lo, s9
	v_xad_u32 v31, v51, -1, s20
	s_mov_b32 s18, 0
	s_mov_b32 s9, exec_lo
	s_delay_alu instid0(VALU_DEP_1) | instskip(NEXT) | instid1(VALU_DEP_1)
	v_add_nc_u32_e32 v32, 32, v31
	v_lshlrev_b64 v[32:33], 3, v[32:33]
	s_delay_alu instid0(VALU_DEP_1) | instskip(NEXT) | instid1(VALU_DEP_2)
	v_add_co_u32 v35, vcc_lo, s16, v32
	v_add_co_ci_u32_e32 v36, vcc_lo, s17, v33, vcc_lo
	global_load_b64 v[33:34], v[35:36], off glc
	s_waitcnt vmcnt(0)
	v_and_b32_e32 v30, 0xff, v34
	s_delay_alu instid0(VALU_DEP_1)
	v_cmpx_eq_u16_e32 0, v30
	s_cbranch_execz .LBB771_83
; %bb.78:
	s_mov_b32 s19, 1
	.p2align	6
.LBB771_79:                             ; =>This Loop Header: Depth=1
                                        ;     Child Loop BB771_80 Depth 2
	s_delay_alu instid0(SALU_CYCLE_1)
	s_max_u32 s21, s19, 1
.LBB771_80:                             ;   Parent Loop BB771_79 Depth=1
                                        ; =>  This Inner Loop Header: Depth=2
	s_delay_alu instid0(SALU_CYCLE_1)
	s_add_i32 s21, s21, -1
	s_sleep 1
	s_cmp_eq_u32 s21, 0
	s_cbranch_scc0 .LBB771_80
; %bb.81:                               ;   in Loop: Header=BB771_79 Depth=1
	global_load_b64 v[33:34], v[35:36], off glc
	s_cmp_lt_u32 s19, 32
	s_cselect_b32 s21, -1, 0
	s_delay_alu instid0(SALU_CYCLE_1) | instskip(SKIP_3) | instid1(VALU_DEP_1)
	s_cmp_lg_u32 s21, 0
	s_addc_u32 s19, s19, 0
	s_waitcnt vmcnt(0)
	v_and_b32_e32 v30, 0xff, v34
	v_cmp_ne_u16_e32 vcc_lo, 0, v30
	s_or_b32 s18, vcc_lo, s18
	s_delay_alu instid0(SALU_CYCLE_1)
	s_and_not1_b32 exec_lo, exec_lo, s18
	s_cbranch_execnz .LBB771_79
; %bb.82:
	s_or_b32 exec_lo, exec_lo, s18
.LBB771_83:
	s_delay_alu instid0(SALU_CYCLE_1)
	s_or_b32 exec_lo, exec_lo, s9
	v_cmp_ne_u32_e32 vcc_lo, 31, v51
	v_lshlrev_b32_e64 v43, v51, -1
	v_add_nc_u32_e32 v47, 2, v51
	v_add_nc_u32_e32 v55, 4, v51
	;; [unrolled: 1-line block ×3, first 2 shown]
	v_add_co_ci_u32_e32 v30, vcc_lo, 0, v51, vcc_lo
	v_add_nc_u32_e32 v59, 16, v51
	s_delay_alu instid0(VALU_DEP_2)
	v_lshlrev_b32_e32 v41, 2, v30
	v_and_b32_e32 v30, 0xff, v34
	ds_bpermute_b32 v32, v41, v33
	v_cmp_eq_u16_e32 vcc_lo, 2, v30
	v_and_or_b32 v30, vcc_lo, v43, 0x80000000
	v_cmp_gt_u32_e32 vcc_lo, 30, v51
	s_delay_alu instid0(VALU_DEP_2) | instskip(SKIP_1) | instid1(VALU_DEP_2)
	v_ctz_i32_b32_e32 v30, v30
	v_cndmask_b32_e64 v35, 0, 1, vcc_lo
	v_cmp_lt_u32_e32 vcc_lo, v51, v30
	s_waitcnt lgkmcnt(0)
	s_delay_alu instid0(VALU_DEP_2) | instskip(NEXT) | instid1(VALU_DEP_1)
	v_dual_cndmask_b32 v32, 0, v32 :: v_dual_lshlrev_b32 v35, 1, v35
	v_add_lshl_u32 v45, v35, v51, 2
	v_cmp_gt_u32_e32 vcc_lo, 28, v51
	s_delay_alu instid0(VALU_DEP_3) | instskip(SKIP_4) | instid1(VALU_DEP_1)
	v_add_nc_u32_e32 v32, v32, v33
	v_cndmask_b32_e64 v35, 0, 1, vcc_lo
	v_cmp_le_u32_e32 vcc_lo, v47, v30
	ds_bpermute_b32 v33, v45, v32
	v_lshlrev_b32_e32 v35, 2, v35
	v_add_lshl_u32 v54, v35, v51, 2
	s_waitcnt lgkmcnt(0)
	v_cndmask_b32_e32 v33, 0, v33, vcc_lo
	v_cmp_gt_u32_e32 vcc_lo, 24, v51
	s_delay_alu instid0(VALU_DEP_2) | instskip(SKIP_4) | instid1(VALU_DEP_1)
	v_add_nc_u32_e32 v32, v32, v33
	v_cndmask_b32_e64 v35, 0, 1, vcc_lo
	v_cmp_le_u32_e32 vcc_lo, v55, v30
	ds_bpermute_b32 v33, v54, v32
	v_lshlrev_b32_e32 v35, 3, v35
	v_add_lshl_u32 v56, v35, v51, 2
	s_waitcnt lgkmcnt(0)
	v_cndmask_b32_e32 v33, 0, v33, vcc_lo
	v_cmp_gt_u32_e32 vcc_lo, 16, v51
	s_delay_alu instid0(VALU_DEP_2) | instskip(SKIP_4) | instid1(VALU_DEP_1)
	v_add_nc_u32_e32 v32, v32, v33
	v_cndmask_b32_e64 v35, 0, 1, vcc_lo
	v_cmp_le_u32_e32 vcc_lo, v57, v30
	ds_bpermute_b32 v33, v56, v32
	v_lshlrev_b32_e32 v35, 4, v35
	v_add_lshl_u32 v58, v35, v51, 2
	s_waitcnt lgkmcnt(0)
	v_cndmask_b32_e32 v33, 0, v33, vcc_lo
	v_cmp_le_u32_e32 vcc_lo, v59, v30
	s_delay_alu instid0(VALU_DEP_2) | instskip(SKIP_3) | instid1(VALU_DEP_1)
	v_add_nc_u32_e32 v32, v32, v33
	ds_bpermute_b32 v33, v58, v32
	s_waitcnt lgkmcnt(0)
	v_cndmask_b32_e32 v30, 0, v33, vcc_lo
	v_dual_mov_b32 v32, 0 :: v_dual_add_nc_u32 v33, v32, v30
	s_branch .LBB771_85
.LBB771_84:                             ;   in Loop: Header=BB771_85 Depth=1
	s_or_b32 exec_lo, exec_lo, s9
	ds_bpermute_b32 v36, v41, v33
	v_and_b32_e32 v35, 0xff, v34
	v_subrev_nc_u32_e32 v31, 32, v31
	s_delay_alu instid0(VALU_DEP_2) | instskip(SKIP_1) | instid1(VALU_DEP_1)
	v_cmp_eq_u16_e32 vcc_lo, 2, v35
	v_and_or_b32 v35, vcc_lo, v43, 0x80000000
	v_ctz_i32_b32_e32 v35, v35
	s_delay_alu instid0(VALU_DEP_1) | instskip(SKIP_3) | instid1(VALU_DEP_2)
	v_cmp_lt_u32_e32 vcc_lo, v51, v35
	s_waitcnt lgkmcnt(0)
	v_cndmask_b32_e32 v36, 0, v36, vcc_lo
	v_cmp_le_u32_e32 vcc_lo, v47, v35
	v_add_nc_u32_e32 v33, v36, v33
	ds_bpermute_b32 v36, v45, v33
	s_waitcnt lgkmcnt(0)
	v_cndmask_b32_e32 v36, 0, v36, vcc_lo
	v_cmp_le_u32_e32 vcc_lo, v55, v35
	s_delay_alu instid0(VALU_DEP_2) | instskip(SKIP_4) | instid1(VALU_DEP_2)
	v_add_nc_u32_e32 v33, v33, v36
	ds_bpermute_b32 v36, v54, v33
	s_waitcnt lgkmcnt(0)
	v_cndmask_b32_e32 v36, 0, v36, vcc_lo
	v_cmp_le_u32_e32 vcc_lo, v57, v35
	v_add_nc_u32_e32 v33, v33, v36
	ds_bpermute_b32 v36, v56, v33
	s_waitcnt lgkmcnt(0)
	v_cndmask_b32_e32 v36, 0, v36, vcc_lo
	v_cmp_le_u32_e32 vcc_lo, v59, v35
	s_delay_alu instid0(VALU_DEP_2) | instskip(SKIP_3) | instid1(VALU_DEP_1)
	v_add_nc_u32_e32 v33, v33, v36
	ds_bpermute_b32 v36, v58, v33
	s_waitcnt lgkmcnt(0)
	v_cndmask_b32_e32 v35, 0, v36, vcc_lo
	v_add3_u32 v33, v35, v30, v33
.LBB771_85:                             ; =>This Loop Header: Depth=1
                                        ;     Child Loop BB771_88 Depth 2
                                        ;       Child Loop BB771_89 Depth 3
	v_and_b32_e32 v30, 0xff, v34
	s_delay_alu instid0(VALU_DEP_1) | instskip(SKIP_2) | instid1(VALU_DEP_1)
	v_cmp_ne_u16_e32 vcc_lo, 2, v30
	v_cndmask_b32_e64 v30, 0, 1, vcc_lo
	;;#ASMSTART
	;;#ASMEND
	v_cmp_ne_u32_e32 vcc_lo, 0, v30
	v_mov_b32_e32 v30, v33
	s_cmp_lg_u32 vcc_lo, exec_lo
	s_cbranch_scc1 .LBB771_92
; %bb.86:                               ;   in Loop: Header=BB771_85 Depth=1
	v_lshlrev_b64 v[33:34], 3, v[31:32]
	s_mov_b32 s9, exec_lo
	s_delay_alu instid0(VALU_DEP_1) | instskip(NEXT) | instid1(VALU_DEP_2)
	v_add_co_u32 v35, vcc_lo, s16, v33
	v_add_co_ci_u32_e32 v36, vcc_lo, s17, v34, vcc_lo
	global_load_b64 v[33:34], v[35:36], off glc
	s_waitcnt vmcnt(0)
	v_and_b32_e32 v60, 0xff, v34
	s_delay_alu instid0(VALU_DEP_1)
	v_cmpx_eq_u16_e32 0, v60
	s_cbranch_execz .LBB771_84
; %bb.87:                               ;   in Loop: Header=BB771_85 Depth=1
	s_mov_b32 s19, 1
	s_mov_b32 s18, 0
	.p2align	6
.LBB771_88:                             ;   Parent Loop BB771_85 Depth=1
                                        ; =>  This Loop Header: Depth=2
                                        ;       Child Loop BB771_89 Depth 3
	s_max_u32 s21, s19, 1
.LBB771_89:                             ;   Parent Loop BB771_85 Depth=1
                                        ;     Parent Loop BB771_88 Depth=2
                                        ; =>    This Inner Loop Header: Depth=3
	s_delay_alu instid0(SALU_CYCLE_1)
	s_add_i32 s21, s21, -1
	s_sleep 1
	s_cmp_eq_u32 s21, 0
	s_cbranch_scc0 .LBB771_89
; %bb.90:                               ;   in Loop: Header=BB771_88 Depth=2
	global_load_b64 v[33:34], v[35:36], off glc
	s_cmp_lt_u32 s19, 32
	s_cselect_b32 s21, -1, 0
	s_delay_alu instid0(SALU_CYCLE_1) | instskip(SKIP_3) | instid1(VALU_DEP_1)
	s_cmp_lg_u32 s21, 0
	s_addc_u32 s19, s19, 0
	s_waitcnt vmcnt(0)
	v_and_b32_e32 v60, 0xff, v34
	v_cmp_ne_u16_e32 vcc_lo, 0, v60
	s_or_b32 s18, vcc_lo, s18
	s_delay_alu instid0(SALU_CYCLE_1)
	s_and_not1_b32 exec_lo, exec_lo, s18
	s_cbranch_execnz .LBB771_88
; %bb.91:                               ;   in Loop: Header=BB771_85 Depth=1
	s_or_b32 exec_lo, exec_lo, s18
	s_branch .LBB771_84
.LBB771_92:                             ;   in Loop: Header=BB771_85 Depth=1
                                        ; implicit-def: $vgpr33
                                        ; implicit-def: $vgpr34
	s_cbranch_execz .LBB771_85
; %bb.93:
	s_and_saveexec_b32 s9, s7
	s_cbranch_execz .LBB771_95
; %bb.94:
	s_add_i32 s18, s20, 32
	s_mov_b32 s19, 0
	v_dual_mov_b32 v32, 2 :: v_dual_add_nc_u32 v31, v30, v29
	s_lshl_b64 s[18:19], s[18:19], 3
	v_mov_b32_e32 v33, 0
	s_add_u32 s18, s16, s18
	s_addc_u32 s19, s17, s19
	global_store_b64 v33, v[31:32], s[18:19]
	ds_store_b64 v33, v[29:30] offset:33792
.LBB771_95:
	s_or_b32 exec_lo, exec_lo, s9
	s_delay_alu instid0(SALU_CYCLE_1)
	s_and_b32 exec_lo, exec_lo, s2
	s_cbranch_execz .LBB771_97
; %bb.96:
	v_mov_b32_e32 v29, 0
	ds_store_b32 v29, v30 offset:60
.LBB771_97:
	s_or_b32 exec_lo, exec_lo, s8
	v_mov_b32_e32 v29, 0
	s_waitcnt lgkmcnt(0)
	s_waitcnt_vscnt null, 0x0
	s_barrier
	buffer_gl0_inv
	v_cndmask_b32_e64 v31, v39, v37, s7
	ds_load_b32 v30, v29 offset:60
	s_waitcnt lgkmcnt(0)
	s_barrier
	buffer_gl0_inv
	v_cndmask_b32_e64 v31, v31, 0, s2
	s_delay_alu instid0(VALU_DEP_1) | instskip(SKIP_2) | instid1(VALU_DEP_1)
	v_add_nc_u32_e32 v47, v30, v31
	ds_load_b64 v[29:30], v29 offset:33792
	v_add_nc_u32_e32 v45, v47, v38
	v_add_nc_u32_e32 v43, v45, v40
	s_delay_alu instid0(VALU_DEP_1) | instskip(NEXT) | instid1(VALU_DEP_1)
	v_add_nc_u32_e32 v41, v43, v42
	v_add_nc_u32_e32 v39, v41, v44
	s_delay_alu instid0(VALU_DEP_1) | instskip(NEXT) | instid1(VALU_DEP_1)
	v_add_nc_u32_e32 v37, v39, v46
	v_add_nc_u32_e32 v35, v37, v48
	s_delay_alu instid0(VALU_DEP_1)
	v_add_nc_u32_e32 v33, v35, v50
	v_lshrrev_b64 v[31:32], 24, v[27:28]
	s_branch .LBB771_108
.LBB771_98:
                                        ; implicit-def: $vgpr33
                                        ; implicit-def: $vgpr35
                                        ; implicit-def: $vgpr37
                                        ; implicit-def: $vgpr39
                                        ; implicit-def: $vgpr41
                                        ; implicit-def: $vgpr43
                                        ; implicit-def: $vgpr45
                                        ; implicit-def: $vgpr47
                                        ; implicit-def: $vgpr30
	v_lshrrev_b64 v[31:32], 24, v[27:28]
	s_and_b32 vcc_lo, exec_lo, s7
	s_cbranch_vccz .LBB771_108
; %bb.99:
	s_waitcnt lgkmcnt(0)
	v_mov_b32_dpp v29, v53 row_shr:1 row_mask:0xf bank_mask:0xf
	s_delay_alu instid0(VALU_DEP_1) | instskip(NEXT) | instid1(VALU_DEP_1)
	v_cndmask_b32_e64 v29, v29, 0, s3
	v_add_nc_u32_e32 v29, v29, v53
	s_delay_alu instid0(VALU_DEP_1) | instskip(NEXT) | instid1(VALU_DEP_1)
	v_mov_b32_dpp v30, v29 row_shr:2 row_mask:0xf bank_mask:0xf
	v_cndmask_b32_e64 v30, 0, v30, s0
	s_delay_alu instid0(VALU_DEP_1) | instskip(NEXT) | instid1(VALU_DEP_1)
	v_add_nc_u32_e32 v29, v29, v30
	v_mov_b32_dpp v30, v29 row_shr:4 row_mask:0xf bank_mask:0xf
	s_delay_alu instid0(VALU_DEP_1) | instskip(NEXT) | instid1(VALU_DEP_1)
	v_cndmask_b32_e64 v30, 0, v30, s4
	v_add_nc_u32_e32 v29, v29, v30
	s_delay_alu instid0(VALU_DEP_1) | instskip(NEXT) | instid1(VALU_DEP_1)
	v_mov_b32_dpp v30, v29 row_shr:8 row_mask:0xf bank_mask:0xf
	v_cndmask_b32_e64 v30, 0, v30, s1
	s_delay_alu instid0(VALU_DEP_1) | instskip(SKIP_3) | instid1(VALU_DEP_1)
	v_add_nc_u32_e32 v29, v29, v30
	ds_swizzle_b32 v30, v29 offset:swizzle(BROADCAST,32,15)
	s_waitcnt lgkmcnt(0)
	v_cndmask_b32_e64 v30, v30, 0, s6
	v_add_nc_u32_e32 v29, v29, v30
	s_and_saveexec_b32 s6, s5
	s_cbranch_execz .LBB771_101
; %bb.100:
	v_lshlrev_b32_e32 v30, 2, v52
	ds_store_b32 v30, v29
.LBB771_101:
	s_or_b32 exec_lo, exec_lo, s6
	s_delay_alu instid0(SALU_CYCLE_1)
	s_mov_b32 s5, exec_lo
	s_waitcnt lgkmcnt(0)
	s_barrier
	buffer_gl0_inv
	v_cmpx_gt_u32_e32 16, v0
	s_cbranch_execz .LBB771_103
; %bb.102:
	v_lshlrev_b32_e32 v30, 2, v0
	ds_load_b32 v32, v30
	s_waitcnt lgkmcnt(0)
	v_mov_b32_dpp v33, v32 row_shr:1 row_mask:0xf bank_mask:0xf
	s_delay_alu instid0(VALU_DEP_1) | instskip(NEXT) | instid1(VALU_DEP_1)
	v_cndmask_b32_e64 v33, v33, 0, s3
	v_add_nc_u32_e32 v32, v33, v32
	s_delay_alu instid0(VALU_DEP_1) | instskip(NEXT) | instid1(VALU_DEP_1)
	v_mov_b32_dpp v33, v32 row_shr:2 row_mask:0xf bank_mask:0xf
	v_cndmask_b32_e64 v33, 0, v33, s0
	s_delay_alu instid0(VALU_DEP_1) | instskip(NEXT) | instid1(VALU_DEP_1)
	v_add_nc_u32_e32 v32, v32, v33
	v_mov_b32_dpp v33, v32 row_shr:4 row_mask:0xf bank_mask:0xf
	s_delay_alu instid0(VALU_DEP_1) | instskip(NEXT) | instid1(VALU_DEP_1)
	v_cndmask_b32_e64 v33, 0, v33, s4
	v_add_nc_u32_e32 v32, v32, v33
	s_delay_alu instid0(VALU_DEP_1) | instskip(NEXT) | instid1(VALU_DEP_1)
	v_mov_b32_dpp v33, v32 row_shr:8 row_mask:0xf bank_mask:0xf
	v_cndmask_b32_e64 v33, 0, v33, s1
	s_delay_alu instid0(VALU_DEP_1)
	v_add_nc_u32_e32 v32, v32, v33
	ds_store_b32 v30, v32
.LBB771_103:
	s_or_b32 exec_lo, exec_lo, s5
	v_mov_b32_e32 v30, 0
	v_mov_b32_e32 v32, 0
	s_mov_b32 s0, exec_lo
	s_waitcnt lgkmcnt(0)
	s_barrier
	buffer_gl0_inv
	v_cmpx_lt_u32_e32 31, v0
	s_cbranch_execz .LBB771_105
; %bb.104:
	v_lshl_add_u32 v32, v52, 2, -4
	ds_load_b32 v32, v32
.LBB771_105:
	s_or_b32 exec_lo, exec_lo, s0
	v_add_nc_u32_e32 v33, -1, v51
	s_waitcnt lgkmcnt(0)
	v_add_nc_u32_e32 v29, v32, v29
	s_delay_alu instid0(VALU_DEP_2) | instskip(SKIP_1) | instid1(VALU_DEP_1)
	v_cmp_gt_i32_e32 vcc_lo, 0, v33
	v_cndmask_b32_e32 v33, v33, v51, vcc_lo
	v_lshlrev_b32_e32 v33, 2, v33
	ds_bpermute_b32 v33, v33, v29
	ds_load_b32 v29, v30 offset:60
	s_and_saveexec_b32 s0, s2
	s_cbranch_execz .LBB771_107
; %bb.106:
	v_mov_b32_e32 v34, 0
	v_mov_b32_e32 v30, 2
	s_waitcnt lgkmcnt(0)
	global_store_b64 v34, v[29:30], s[16:17] offset:256
.LBB771_107:
	s_or_b32 exec_lo, exec_lo, s0
	v_cmp_eq_u32_e32 vcc_lo, 0, v51
	s_waitcnt lgkmcnt(0)
	s_waitcnt_vscnt null, 0x0
	s_barrier
	buffer_gl0_inv
	v_cndmask_b32_e32 v30, v33, v32, vcc_lo
	s_delay_alu instid0(VALU_DEP_1) | instskip(NEXT) | instid1(VALU_DEP_1)
	v_cndmask_b32_e64 v47, v30, 0, s2
	v_dual_mov_b32 v30, 0 :: v_dual_add_nc_u32 v45, v47, v38
	s_delay_alu instid0(VALU_DEP_1) | instskip(NEXT) | instid1(VALU_DEP_1)
	v_add_nc_u32_e32 v43, v45, v40
	v_add_nc_u32_e32 v41, v43, v42
	s_delay_alu instid0(VALU_DEP_1) | instskip(NEXT) | instid1(VALU_DEP_1)
	v_add_nc_u32_e32 v39, v41, v44
	v_add_nc_u32_e32 v37, v39, v46
	;; [unrolled: 3-line block ×3, first 2 shown]
.LBB771_108:
	v_lshrrev_b32_e32 v52, 8, v27
	v_lshrrev_b32_e32 v51, 16, v27
	v_and_b32_e32 v27, 1, v27
	s_waitcnt lgkmcnt(0)
	v_cmp_gt_u32_e64 s0, 0x201, v29
	v_lshrrev_b32_e32 v50, 8, v28
	v_lshrrev_b32_e32 v32, 16, v28
	v_cmp_eq_u32_e64 s1, 1, v27
	s_delay_alu instid0(VALU_DEP_4)
	s_and_b32 vcc_lo, exec_lo, s0
	s_cbranch_vccnz .LBB771_126
; %bb.109:
	s_delay_alu instid0(VALU_DEP_1)
	s_and_saveexec_b32 s3, s1
	s_cbranch_execz .LBB771_111
; %bb.110:
	v_sub_nc_u32_e32 v34, v47, v30
	s_delay_alu instid0(VALU_DEP_1)
	v_lshlrev_b32_e32 v34, 3, v34
	ds_store_b64 v34, v[13:14]
.LBB771_111:
	s_or_b32 exec_lo, exec_lo, s3
	v_and_b32_e32 v13, 1, v52
	s_mov_b32 s1, exec_lo
	s_delay_alu instid0(VALU_DEP_1)
	v_cmpx_eq_u32_e32 1, v13
	s_cbranch_execz .LBB771_113
; %bb.112:
	v_sub_nc_u32_e32 v13, v45, v30
	s_delay_alu instid0(VALU_DEP_1)
	v_lshlrev_b32_e32 v13, 3, v13
	ds_store_b64 v13, v[15:16]
.LBB771_113:
	s_or_b32 exec_lo, exec_lo, s1
	v_and_b32_e32 v13, 1, v51
	s_mov_b32 s1, exec_lo
	s_delay_alu instid0(VALU_DEP_1)
	v_cmpx_eq_u32_e32 1, v13
	;; [unrolled: 12-line block ×7, first 2 shown]
	s_cbranch_execz .LBB771_125
; %bb.124:
	v_sub_nc_u32_e32 v1, v33, v30
	s_delay_alu instid0(VALU_DEP_1)
	v_lshlrev_b32_e32 v1, 3, v1
	ds_store_b64 v1, v[3:4]
.LBB771_125:
	s_or_b32 exec_lo, exec_lo, s1
	s_waitcnt lgkmcnt(0)
	s_barrier
	buffer_gl0_inv
.LBB771_126:
	s_and_b32 vcc_lo, exec_lo, s0
	s_mov_b32 s0, -1
	s_barrier
	buffer_gl0_inv
	s_cbranch_vccz .LBB771_154
; %bb.127:
	v_lshlrev_b64 v[1:2], 2, v[17:18]
	v_add_nc_u32_e32 v3, v30, v29
	s_delay_alu instid0(VALU_DEP_1) | instskip(NEXT) | instid1(VALU_DEP_3)
	v_cmp_lt_u32_e32 vcc_lo, v47, v3
	v_add_co_u32 v1, s0, s10, v1
	s_delay_alu instid0(VALU_DEP_1) | instskip(SKIP_1) | instid1(SALU_CYCLE_1)
	v_add_co_ci_u32_e64 v2, s0, s11, v2, s0
	s_or_b32 s1, s15, vcc_lo
	s_and_saveexec_b32 s0, s1
	s_cbranch_execz .LBB771_130
; %bb.128:
	v_cmp_eq_u32_e32 vcc_lo, 1, v27
	s_and_b32 exec_lo, exec_lo, vcc_lo
	s_cbranch_execz .LBB771_130
; %bb.129:
	v_mov_b32_e32 v48, 0
	s_delay_alu instid0(VALU_DEP_1) | instskip(NEXT) | instid1(VALU_DEP_1)
	v_lshlrev_b64 v[4:5], 2, v[47:48]
	v_add_co_u32 v4, vcc_lo, v1, v4
	s_delay_alu instid0(VALU_DEP_2)
	v_add_co_ci_u32_e32 v5, vcc_lo, v2, v5, vcc_lo
	global_store_b32 v[4:5], v25, off
.LBB771_130:
	s_or_b32 exec_lo, exec_lo, s0
	v_cmp_lt_u32_e32 vcc_lo, v45, v3
	s_or_b32 s1, s15, vcc_lo
	s_delay_alu instid0(SALU_CYCLE_1)
	s_and_saveexec_b32 s0, s1
	s_cbranch_execz .LBB771_133
; %bb.131:
	v_and_b32_e32 v4, 1, v52
	s_delay_alu instid0(VALU_DEP_1)
	v_cmp_eq_u32_e32 vcc_lo, 1, v4
	s_and_b32 exec_lo, exec_lo, vcc_lo
	s_cbranch_execz .LBB771_133
; %bb.132:
	v_mov_b32_e32 v46, 0
	s_delay_alu instid0(VALU_DEP_1) | instskip(NEXT) | instid1(VALU_DEP_1)
	v_lshlrev_b64 v[4:5], 2, v[45:46]
	v_add_co_u32 v4, vcc_lo, v1, v4
	s_delay_alu instid0(VALU_DEP_2)
	v_add_co_ci_u32_e32 v5, vcc_lo, v2, v5, vcc_lo
	global_store_b32 v[4:5], v26, off
.LBB771_133:
	s_or_b32 exec_lo, exec_lo, s0
	v_cmp_lt_u32_e32 vcc_lo, v43, v3
	s_or_b32 s1, s15, vcc_lo
	s_delay_alu instid0(SALU_CYCLE_1)
	s_and_saveexec_b32 s0, s1
	s_cbranch_execz .LBB771_136
; %bb.134:
	v_and_b32_e32 v4, 1, v51
	s_delay_alu instid0(VALU_DEP_1)
	v_cmp_eq_u32_e32 vcc_lo, 1, v4
	s_and_b32 exec_lo, exec_lo, vcc_lo
	s_cbranch_execz .LBB771_136
; %bb.135:
	v_mov_b32_e32 v44, 0
	s_delay_alu instid0(VALU_DEP_1) | instskip(NEXT) | instid1(VALU_DEP_1)
	v_lshlrev_b64 v[4:5], 2, v[43:44]
	v_add_co_u32 v4, vcc_lo, v1, v4
	s_delay_alu instid0(VALU_DEP_2)
	v_add_co_ci_u32_e32 v5, vcc_lo, v2, v5, vcc_lo
	global_store_b32 v[4:5], v23, off
.LBB771_136:
	;; [unrolled: 21-line block ×7, first 2 shown]
	s_or_b32 exec_lo, exec_lo, s0
.LBB771_152:
	s_and_b32 s0, s2, s14
	s_delay_alu instid0(SALU_CYCLE_1)
	s_and_saveexec_b32 s1, s0
	s_cbranch_execz .LBB771_175
.LBB771_153:
	v_add_co_u32 v0, vcc_lo, v17, v29
	v_add_co_ci_u32_e32 v1, vcc_lo, 0, v18, vcc_lo
	v_mov_b32_e32 v2, 0
	s_delay_alu instid0(VALU_DEP_3) | instskip(NEXT) | instid1(VALU_DEP_3)
	v_add_co_u32 v0, vcc_lo, v0, v30
	v_add_co_ci_u32_e32 v1, vcc_lo, 0, v1, vcc_lo
	global_store_b64 v2, v[0:1], s[12:13]
	s_nop 0
	s_sendmsg sendmsg(MSG_DEALLOC_VGPRS)
	s_endpgm
.LBB771_154:
	s_and_b32 vcc_lo, exec_lo, s0
	s_cbranch_vccz .LBB771_152
; %bb.155:
	s_mov_b32 s0, exec_lo
	v_cmpx_eq_u32_e32 1, v27
	s_cbranch_execz .LBB771_157
; %bb.156:
	v_sub_nc_u32_e32 v1, v47, v30
	s_delay_alu instid0(VALU_DEP_1)
	v_lshlrev_b32_e32 v1, 2, v1
	ds_store_b32 v1, v25
.LBB771_157:
	s_or_b32 exec_lo, exec_lo, s0
	v_and_b32_e32 v1, 1, v52
	s_mov_b32 s0, exec_lo
	s_delay_alu instid0(VALU_DEP_1)
	v_cmpx_eq_u32_e32 1, v1
	s_cbranch_execz .LBB771_159
; %bb.158:
	v_sub_nc_u32_e32 v1, v45, v30
	s_delay_alu instid0(VALU_DEP_1)
	v_lshlrev_b32_e32 v1, 2, v1
	ds_store_b32 v1, v26
.LBB771_159:
	s_or_b32 exec_lo, exec_lo, s0
	v_and_b32_e32 v1, 1, v51
	s_mov_b32 s0, exec_lo
	s_delay_alu instid0(VALU_DEP_1)
	;; [unrolled: 12-line block ×7, first 2 shown]
	v_cmpx_eq_u32_e32 1, v1
	s_cbranch_execz .LBB771_171
; %bb.170:
	v_sub_nc_u32_e32 v1, v33, v30
	s_delay_alu instid0(VALU_DEP_1)
	v_lshlrev_b32_e32 v1, 2, v1
	ds_store_b32 v1, v20
.LBB771_171:
	s_or_b32 exec_lo, exec_lo, s0
	s_delay_alu instid0(SALU_CYCLE_1)
	s_mov_b32 s1, exec_lo
	s_waitcnt lgkmcnt(0)
	s_waitcnt_vscnt null, 0x0
	s_barrier
	buffer_gl0_inv
	v_cmpx_lt_u32_e64 v0, v29
	s_cbranch_execz .LBB771_174
; %bb.172:
	v_dual_mov_b32 v2, 0 :: v_dual_mov_b32 v1, v30
	v_lshlrev_b64 v[3:4], 2, v[17:18]
	s_mov_b32 s3, 0
	s_delay_alu instid0(VALU_DEP_2) | instskip(NEXT) | instid1(VALU_DEP_1)
	v_lshlrev_b64 v[1:2], 2, v[1:2]
	v_add_co_u32 v1, vcc_lo, v3, v1
	s_delay_alu instid0(VALU_DEP_2) | instskip(SKIP_1) | instid1(VALU_DEP_3)
	v_add_co_ci_u32_e32 v2, vcc_lo, v4, v2, vcc_lo
	v_lshlrev_b32_e32 v3, 2, v0
	v_add_co_u32 v1, vcc_lo, s10, v1
	s_delay_alu instid0(VALU_DEP_3) | instskip(NEXT) | instid1(VALU_DEP_2)
	v_add_co_ci_u32_e32 v2, vcc_lo, s11, v2, vcc_lo
	v_add_co_u32 v1, vcc_lo, v1, v3
	s_delay_alu instid0(VALU_DEP_2)
	v_add_co_ci_u32_e32 v2, vcc_lo, 0, v2, vcc_lo
	.p2align	6
.LBB771_173:                            ; =>This Inner Loop Header: Depth=1
	ds_load_b32 v4, v3
	v_add_nc_u32_e32 v0, 0x200, v0
	v_add_nc_u32_e32 v3, 0x800, v3
	s_delay_alu instid0(VALU_DEP_2) | instskip(SKIP_4) | instid1(VALU_DEP_1)
	v_cmp_ge_u32_e32 vcc_lo, v0, v29
	s_or_b32 s3, vcc_lo, s3
	s_waitcnt lgkmcnt(0)
	global_store_b32 v[1:2], v4, off
	v_add_co_u32 v1, s0, 0x800, v1
	v_add_co_ci_u32_e64 v2, s0, 0, v2, s0
	s_and_not1_b32 exec_lo, exec_lo, s3
	s_cbranch_execnz .LBB771_173
.LBB771_174:
	s_or_b32 exec_lo, exec_lo, s1
	s_and_b32 s0, s2, s14
	s_delay_alu instid0(SALU_CYCLE_1)
	s_and_saveexec_b32 s1, s0
	s_cbranch_execnz .LBB771_153
.LBB771_175:
	s_nop 0
	s_sendmsg sendmsg(MSG_DEALLOC_VGPRS)
	s_endpgm
	.section	.rodata,"a",@progbits
	.p2align	6, 0x0
	.amdhsa_kernel _ZN7rocprim17ROCPRIM_400000_NS6detail17trampoline_kernelINS0_14default_configENS1_25partition_config_selectorILNS1_17partition_subalgoE9EyjbEEZZNS1_14partition_implILS5_9ELb0ES3_jN6thrust23THRUST_200600_302600_NS6detail15normal_iteratorINS9_10device_ptrIyEEEENSB_INSC_IjEEEEPNS0_10empty_typeENS0_5tupleIJNS9_16discard_iteratorINS9_11use_defaultEEESH_EEENSJ_IJSG_SI_EEENS0_18inequality_wrapperINS9_8equal_toIyEEEEPmJSH_EEE10hipError_tPvRmT3_T4_T5_T6_T7_T9_mT8_P12ihipStream_tbDpT10_ENKUlT_T0_E_clISt17integral_constantIbLb1EES1D_EEDaS18_S19_EUlS18_E_NS1_11comp_targetILNS1_3genE9ELNS1_11target_archE1100ELNS1_3gpuE3ELNS1_3repE0EEENS1_30default_config_static_selectorELNS0_4arch9wavefront6targetE0EEEvT1_
		.amdhsa_group_segment_fixed_size 33800
		.amdhsa_private_segment_fixed_size 0
		.amdhsa_kernarg_size 136
		.amdhsa_user_sgpr_count 15
		.amdhsa_user_sgpr_dispatch_ptr 0
		.amdhsa_user_sgpr_queue_ptr 0
		.amdhsa_user_sgpr_kernarg_segment_ptr 1
		.amdhsa_user_sgpr_dispatch_id 0
		.amdhsa_user_sgpr_private_segment_size 0
		.amdhsa_wavefront_size32 1
		.amdhsa_uses_dynamic_stack 0
		.amdhsa_enable_private_segment 0
		.amdhsa_system_sgpr_workgroup_id_x 1
		.amdhsa_system_sgpr_workgroup_id_y 0
		.amdhsa_system_sgpr_workgroup_id_z 0
		.amdhsa_system_sgpr_workgroup_info 0
		.amdhsa_system_vgpr_workitem_id 0
		.amdhsa_next_free_vgpr 61
		.amdhsa_next_free_sgpr 26
		.amdhsa_reserve_vcc 1
		.amdhsa_float_round_mode_32 0
		.amdhsa_float_round_mode_16_64 0
		.amdhsa_float_denorm_mode_32 3
		.amdhsa_float_denorm_mode_16_64 3
		.amdhsa_dx10_clamp 1
		.amdhsa_ieee_mode 1
		.amdhsa_fp16_overflow 0
		.amdhsa_workgroup_processor_mode 1
		.amdhsa_memory_ordered 1
		.amdhsa_forward_progress 0
		.amdhsa_shared_vgpr_count 0
		.amdhsa_exception_fp_ieee_invalid_op 0
		.amdhsa_exception_fp_denorm_src 0
		.amdhsa_exception_fp_ieee_div_zero 0
		.amdhsa_exception_fp_ieee_overflow 0
		.amdhsa_exception_fp_ieee_underflow 0
		.amdhsa_exception_fp_ieee_inexact 0
		.amdhsa_exception_int_div_zero 0
	.end_amdhsa_kernel
	.section	.text._ZN7rocprim17ROCPRIM_400000_NS6detail17trampoline_kernelINS0_14default_configENS1_25partition_config_selectorILNS1_17partition_subalgoE9EyjbEEZZNS1_14partition_implILS5_9ELb0ES3_jN6thrust23THRUST_200600_302600_NS6detail15normal_iteratorINS9_10device_ptrIyEEEENSB_INSC_IjEEEEPNS0_10empty_typeENS0_5tupleIJNS9_16discard_iteratorINS9_11use_defaultEEESH_EEENSJ_IJSG_SI_EEENS0_18inequality_wrapperINS9_8equal_toIyEEEEPmJSH_EEE10hipError_tPvRmT3_T4_T5_T6_T7_T9_mT8_P12ihipStream_tbDpT10_ENKUlT_T0_E_clISt17integral_constantIbLb1EES1D_EEDaS18_S19_EUlS18_E_NS1_11comp_targetILNS1_3genE9ELNS1_11target_archE1100ELNS1_3gpuE3ELNS1_3repE0EEENS1_30default_config_static_selectorELNS0_4arch9wavefront6targetE0EEEvT1_,"axG",@progbits,_ZN7rocprim17ROCPRIM_400000_NS6detail17trampoline_kernelINS0_14default_configENS1_25partition_config_selectorILNS1_17partition_subalgoE9EyjbEEZZNS1_14partition_implILS5_9ELb0ES3_jN6thrust23THRUST_200600_302600_NS6detail15normal_iteratorINS9_10device_ptrIyEEEENSB_INSC_IjEEEEPNS0_10empty_typeENS0_5tupleIJNS9_16discard_iteratorINS9_11use_defaultEEESH_EEENSJ_IJSG_SI_EEENS0_18inequality_wrapperINS9_8equal_toIyEEEEPmJSH_EEE10hipError_tPvRmT3_T4_T5_T6_T7_T9_mT8_P12ihipStream_tbDpT10_ENKUlT_T0_E_clISt17integral_constantIbLb1EES1D_EEDaS18_S19_EUlS18_E_NS1_11comp_targetILNS1_3genE9ELNS1_11target_archE1100ELNS1_3gpuE3ELNS1_3repE0EEENS1_30default_config_static_selectorELNS0_4arch9wavefront6targetE0EEEvT1_,comdat
.Lfunc_end771:
	.size	_ZN7rocprim17ROCPRIM_400000_NS6detail17trampoline_kernelINS0_14default_configENS1_25partition_config_selectorILNS1_17partition_subalgoE9EyjbEEZZNS1_14partition_implILS5_9ELb0ES3_jN6thrust23THRUST_200600_302600_NS6detail15normal_iteratorINS9_10device_ptrIyEEEENSB_INSC_IjEEEEPNS0_10empty_typeENS0_5tupleIJNS9_16discard_iteratorINS9_11use_defaultEEESH_EEENSJ_IJSG_SI_EEENS0_18inequality_wrapperINS9_8equal_toIyEEEEPmJSH_EEE10hipError_tPvRmT3_T4_T5_T6_T7_T9_mT8_P12ihipStream_tbDpT10_ENKUlT_T0_E_clISt17integral_constantIbLb1EES1D_EEDaS18_S19_EUlS18_E_NS1_11comp_targetILNS1_3genE9ELNS1_11target_archE1100ELNS1_3gpuE3ELNS1_3repE0EEENS1_30default_config_static_selectorELNS0_4arch9wavefront6targetE0EEEvT1_, .Lfunc_end771-_ZN7rocprim17ROCPRIM_400000_NS6detail17trampoline_kernelINS0_14default_configENS1_25partition_config_selectorILNS1_17partition_subalgoE9EyjbEEZZNS1_14partition_implILS5_9ELb0ES3_jN6thrust23THRUST_200600_302600_NS6detail15normal_iteratorINS9_10device_ptrIyEEEENSB_INSC_IjEEEEPNS0_10empty_typeENS0_5tupleIJNS9_16discard_iteratorINS9_11use_defaultEEESH_EEENSJ_IJSG_SI_EEENS0_18inequality_wrapperINS9_8equal_toIyEEEEPmJSH_EEE10hipError_tPvRmT3_T4_T5_T6_T7_T9_mT8_P12ihipStream_tbDpT10_ENKUlT_T0_E_clISt17integral_constantIbLb1EES1D_EEDaS18_S19_EUlS18_E_NS1_11comp_targetILNS1_3genE9ELNS1_11target_archE1100ELNS1_3gpuE3ELNS1_3repE0EEENS1_30default_config_static_selectorELNS0_4arch9wavefront6targetE0EEEvT1_
                                        ; -- End function
	.section	.AMDGPU.csdata,"",@progbits
; Kernel info:
; codeLenInByte = 8676
; NumSgprs: 28
; NumVgprs: 61
; ScratchSize: 0
; MemoryBound: 0
; FloatMode: 240
; IeeeMode: 1
; LDSByteSize: 33800 bytes/workgroup (compile time only)
; SGPRBlocks: 3
; VGPRBlocks: 7
; NumSGPRsForWavesPerEU: 28
; NumVGPRsForWavesPerEU: 61
; Occupancy: 12
; WaveLimiterHint : 1
; COMPUTE_PGM_RSRC2:SCRATCH_EN: 0
; COMPUTE_PGM_RSRC2:USER_SGPR: 15
; COMPUTE_PGM_RSRC2:TRAP_HANDLER: 0
; COMPUTE_PGM_RSRC2:TGID_X_EN: 1
; COMPUTE_PGM_RSRC2:TGID_Y_EN: 0
; COMPUTE_PGM_RSRC2:TGID_Z_EN: 0
; COMPUTE_PGM_RSRC2:TIDIG_COMP_CNT: 0
	.section	.text._ZN7rocprim17ROCPRIM_400000_NS6detail17trampoline_kernelINS0_14default_configENS1_25partition_config_selectorILNS1_17partition_subalgoE9EyjbEEZZNS1_14partition_implILS5_9ELb0ES3_jN6thrust23THRUST_200600_302600_NS6detail15normal_iteratorINS9_10device_ptrIyEEEENSB_INSC_IjEEEEPNS0_10empty_typeENS0_5tupleIJNS9_16discard_iteratorINS9_11use_defaultEEESH_EEENSJ_IJSG_SI_EEENS0_18inequality_wrapperINS9_8equal_toIyEEEEPmJSH_EEE10hipError_tPvRmT3_T4_T5_T6_T7_T9_mT8_P12ihipStream_tbDpT10_ENKUlT_T0_E_clISt17integral_constantIbLb1EES1D_EEDaS18_S19_EUlS18_E_NS1_11comp_targetILNS1_3genE8ELNS1_11target_archE1030ELNS1_3gpuE2ELNS1_3repE0EEENS1_30default_config_static_selectorELNS0_4arch9wavefront6targetE0EEEvT1_,"axG",@progbits,_ZN7rocprim17ROCPRIM_400000_NS6detail17trampoline_kernelINS0_14default_configENS1_25partition_config_selectorILNS1_17partition_subalgoE9EyjbEEZZNS1_14partition_implILS5_9ELb0ES3_jN6thrust23THRUST_200600_302600_NS6detail15normal_iteratorINS9_10device_ptrIyEEEENSB_INSC_IjEEEEPNS0_10empty_typeENS0_5tupleIJNS9_16discard_iteratorINS9_11use_defaultEEESH_EEENSJ_IJSG_SI_EEENS0_18inequality_wrapperINS9_8equal_toIyEEEEPmJSH_EEE10hipError_tPvRmT3_T4_T5_T6_T7_T9_mT8_P12ihipStream_tbDpT10_ENKUlT_T0_E_clISt17integral_constantIbLb1EES1D_EEDaS18_S19_EUlS18_E_NS1_11comp_targetILNS1_3genE8ELNS1_11target_archE1030ELNS1_3gpuE2ELNS1_3repE0EEENS1_30default_config_static_selectorELNS0_4arch9wavefront6targetE0EEEvT1_,comdat
	.protected	_ZN7rocprim17ROCPRIM_400000_NS6detail17trampoline_kernelINS0_14default_configENS1_25partition_config_selectorILNS1_17partition_subalgoE9EyjbEEZZNS1_14partition_implILS5_9ELb0ES3_jN6thrust23THRUST_200600_302600_NS6detail15normal_iteratorINS9_10device_ptrIyEEEENSB_INSC_IjEEEEPNS0_10empty_typeENS0_5tupleIJNS9_16discard_iteratorINS9_11use_defaultEEESH_EEENSJ_IJSG_SI_EEENS0_18inequality_wrapperINS9_8equal_toIyEEEEPmJSH_EEE10hipError_tPvRmT3_T4_T5_T6_T7_T9_mT8_P12ihipStream_tbDpT10_ENKUlT_T0_E_clISt17integral_constantIbLb1EES1D_EEDaS18_S19_EUlS18_E_NS1_11comp_targetILNS1_3genE8ELNS1_11target_archE1030ELNS1_3gpuE2ELNS1_3repE0EEENS1_30default_config_static_selectorELNS0_4arch9wavefront6targetE0EEEvT1_ ; -- Begin function _ZN7rocprim17ROCPRIM_400000_NS6detail17trampoline_kernelINS0_14default_configENS1_25partition_config_selectorILNS1_17partition_subalgoE9EyjbEEZZNS1_14partition_implILS5_9ELb0ES3_jN6thrust23THRUST_200600_302600_NS6detail15normal_iteratorINS9_10device_ptrIyEEEENSB_INSC_IjEEEEPNS0_10empty_typeENS0_5tupleIJNS9_16discard_iteratorINS9_11use_defaultEEESH_EEENSJ_IJSG_SI_EEENS0_18inequality_wrapperINS9_8equal_toIyEEEEPmJSH_EEE10hipError_tPvRmT3_T4_T5_T6_T7_T9_mT8_P12ihipStream_tbDpT10_ENKUlT_T0_E_clISt17integral_constantIbLb1EES1D_EEDaS18_S19_EUlS18_E_NS1_11comp_targetILNS1_3genE8ELNS1_11target_archE1030ELNS1_3gpuE2ELNS1_3repE0EEENS1_30default_config_static_selectorELNS0_4arch9wavefront6targetE0EEEvT1_
	.globl	_ZN7rocprim17ROCPRIM_400000_NS6detail17trampoline_kernelINS0_14default_configENS1_25partition_config_selectorILNS1_17partition_subalgoE9EyjbEEZZNS1_14partition_implILS5_9ELb0ES3_jN6thrust23THRUST_200600_302600_NS6detail15normal_iteratorINS9_10device_ptrIyEEEENSB_INSC_IjEEEEPNS0_10empty_typeENS0_5tupleIJNS9_16discard_iteratorINS9_11use_defaultEEESH_EEENSJ_IJSG_SI_EEENS0_18inequality_wrapperINS9_8equal_toIyEEEEPmJSH_EEE10hipError_tPvRmT3_T4_T5_T6_T7_T9_mT8_P12ihipStream_tbDpT10_ENKUlT_T0_E_clISt17integral_constantIbLb1EES1D_EEDaS18_S19_EUlS18_E_NS1_11comp_targetILNS1_3genE8ELNS1_11target_archE1030ELNS1_3gpuE2ELNS1_3repE0EEENS1_30default_config_static_selectorELNS0_4arch9wavefront6targetE0EEEvT1_
	.p2align	8
	.type	_ZN7rocprim17ROCPRIM_400000_NS6detail17trampoline_kernelINS0_14default_configENS1_25partition_config_selectorILNS1_17partition_subalgoE9EyjbEEZZNS1_14partition_implILS5_9ELb0ES3_jN6thrust23THRUST_200600_302600_NS6detail15normal_iteratorINS9_10device_ptrIyEEEENSB_INSC_IjEEEEPNS0_10empty_typeENS0_5tupleIJNS9_16discard_iteratorINS9_11use_defaultEEESH_EEENSJ_IJSG_SI_EEENS0_18inequality_wrapperINS9_8equal_toIyEEEEPmJSH_EEE10hipError_tPvRmT3_T4_T5_T6_T7_T9_mT8_P12ihipStream_tbDpT10_ENKUlT_T0_E_clISt17integral_constantIbLb1EES1D_EEDaS18_S19_EUlS18_E_NS1_11comp_targetILNS1_3genE8ELNS1_11target_archE1030ELNS1_3gpuE2ELNS1_3repE0EEENS1_30default_config_static_selectorELNS0_4arch9wavefront6targetE0EEEvT1_,@function
_ZN7rocprim17ROCPRIM_400000_NS6detail17trampoline_kernelINS0_14default_configENS1_25partition_config_selectorILNS1_17partition_subalgoE9EyjbEEZZNS1_14partition_implILS5_9ELb0ES3_jN6thrust23THRUST_200600_302600_NS6detail15normal_iteratorINS9_10device_ptrIyEEEENSB_INSC_IjEEEEPNS0_10empty_typeENS0_5tupleIJNS9_16discard_iteratorINS9_11use_defaultEEESH_EEENSJ_IJSG_SI_EEENS0_18inequality_wrapperINS9_8equal_toIyEEEEPmJSH_EEE10hipError_tPvRmT3_T4_T5_T6_T7_T9_mT8_P12ihipStream_tbDpT10_ENKUlT_T0_E_clISt17integral_constantIbLb1EES1D_EEDaS18_S19_EUlS18_E_NS1_11comp_targetILNS1_3genE8ELNS1_11target_archE1030ELNS1_3gpuE2ELNS1_3repE0EEENS1_30default_config_static_selectorELNS0_4arch9wavefront6targetE0EEEvT1_: ; @_ZN7rocprim17ROCPRIM_400000_NS6detail17trampoline_kernelINS0_14default_configENS1_25partition_config_selectorILNS1_17partition_subalgoE9EyjbEEZZNS1_14partition_implILS5_9ELb0ES3_jN6thrust23THRUST_200600_302600_NS6detail15normal_iteratorINS9_10device_ptrIyEEEENSB_INSC_IjEEEEPNS0_10empty_typeENS0_5tupleIJNS9_16discard_iteratorINS9_11use_defaultEEESH_EEENSJ_IJSG_SI_EEENS0_18inequality_wrapperINS9_8equal_toIyEEEEPmJSH_EEE10hipError_tPvRmT3_T4_T5_T6_T7_T9_mT8_P12ihipStream_tbDpT10_ENKUlT_T0_E_clISt17integral_constantIbLb1EES1D_EEDaS18_S19_EUlS18_E_NS1_11comp_targetILNS1_3genE8ELNS1_11target_archE1030ELNS1_3gpuE2ELNS1_3repE0EEENS1_30default_config_static_selectorELNS0_4arch9wavefront6targetE0EEEvT1_
; %bb.0:
	.section	.rodata,"a",@progbits
	.p2align	6, 0x0
	.amdhsa_kernel _ZN7rocprim17ROCPRIM_400000_NS6detail17trampoline_kernelINS0_14default_configENS1_25partition_config_selectorILNS1_17partition_subalgoE9EyjbEEZZNS1_14partition_implILS5_9ELb0ES3_jN6thrust23THRUST_200600_302600_NS6detail15normal_iteratorINS9_10device_ptrIyEEEENSB_INSC_IjEEEEPNS0_10empty_typeENS0_5tupleIJNS9_16discard_iteratorINS9_11use_defaultEEESH_EEENSJ_IJSG_SI_EEENS0_18inequality_wrapperINS9_8equal_toIyEEEEPmJSH_EEE10hipError_tPvRmT3_T4_T5_T6_T7_T9_mT8_P12ihipStream_tbDpT10_ENKUlT_T0_E_clISt17integral_constantIbLb1EES1D_EEDaS18_S19_EUlS18_E_NS1_11comp_targetILNS1_3genE8ELNS1_11target_archE1030ELNS1_3gpuE2ELNS1_3repE0EEENS1_30default_config_static_selectorELNS0_4arch9wavefront6targetE0EEEvT1_
		.amdhsa_group_segment_fixed_size 0
		.amdhsa_private_segment_fixed_size 0
		.amdhsa_kernarg_size 136
		.amdhsa_user_sgpr_count 15
		.amdhsa_user_sgpr_dispatch_ptr 0
		.amdhsa_user_sgpr_queue_ptr 0
		.amdhsa_user_sgpr_kernarg_segment_ptr 1
		.amdhsa_user_sgpr_dispatch_id 0
		.amdhsa_user_sgpr_private_segment_size 0
		.amdhsa_wavefront_size32 1
		.amdhsa_uses_dynamic_stack 0
		.amdhsa_enable_private_segment 0
		.amdhsa_system_sgpr_workgroup_id_x 1
		.amdhsa_system_sgpr_workgroup_id_y 0
		.amdhsa_system_sgpr_workgroup_id_z 0
		.amdhsa_system_sgpr_workgroup_info 0
		.amdhsa_system_vgpr_workitem_id 0
		.amdhsa_next_free_vgpr 1
		.amdhsa_next_free_sgpr 1
		.amdhsa_reserve_vcc 0
		.amdhsa_float_round_mode_32 0
		.amdhsa_float_round_mode_16_64 0
		.amdhsa_float_denorm_mode_32 3
		.amdhsa_float_denorm_mode_16_64 3
		.amdhsa_dx10_clamp 1
		.amdhsa_ieee_mode 1
		.amdhsa_fp16_overflow 0
		.amdhsa_workgroup_processor_mode 1
		.amdhsa_memory_ordered 1
		.amdhsa_forward_progress 0
		.amdhsa_shared_vgpr_count 0
		.amdhsa_exception_fp_ieee_invalid_op 0
		.amdhsa_exception_fp_denorm_src 0
		.amdhsa_exception_fp_ieee_div_zero 0
		.amdhsa_exception_fp_ieee_overflow 0
		.amdhsa_exception_fp_ieee_underflow 0
		.amdhsa_exception_fp_ieee_inexact 0
		.amdhsa_exception_int_div_zero 0
	.end_amdhsa_kernel
	.section	.text._ZN7rocprim17ROCPRIM_400000_NS6detail17trampoline_kernelINS0_14default_configENS1_25partition_config_selectorILNS1_17partition_subalgoE9EyjbEEZZNS1_14partition_implILS5_9ELb0ES3_jN6thrust23THRUST_200600_302600_NS6detail15normal_iteratorINS9_10device_ptrIyEEEENSB_INSC_IjEEEEPNS0_10empty_typeENS0_5tupleIJNS9_16discard_iteratorINS9_11use_defaultEEESH_EEENSJ_IJSG_SI_EEENS0_18inequality_wrapperINS9_8equal_toIyEEEEPmJSH_EEE10hipError_tPvRmT3_T4_T5_T6_T7_T9_mT8_P12ihipStream_tbDpT10_ENKUlT_T0_E_clISt17integral_constantIbLb1EES1D_EEDaS18_S19_EUlS18_E_NS1_11comp_targetILNS1_3genE8ELNS1_11target_archE1030ELNS1_3gpuE2ELNS1_3repE0EEENS1_30default_config_static_selectorELNS0_4arch9wavefront6targetE0EEEvT1_,"axG",@progbits,_ZN7rocprim17ROCPRIM_400000_NS6detail17trampoline_kernelINS0_14default_configENS1_25partition_config_selectorILNS1_17partition_subalgoE9EyjbEEZZNS1_14partition_implILS5_9ELb0ES3_jN6thrust23THRUST_200600_302600_NS6detail15normal_iteratorINS9_10device_ptrIyEEEENSB_INSC_IjEEEEPNS0_10empty_typeENS0_5tupleIJNS9_16discard_iteratorINS9_11use_defaultEEESH_EEENSJ_IJSG_SI_EEENS0_18inequality_wrapperINS9_8equal_toIyEEEEPmJSH_EEE10hipError_tPvRmT3_T4_T5_T6_T7_T9_mT8_P12ihipStream_tbDpT10_ENKUlT_T0_E_clISt17integral_constantIbLb1EES1D_EEDaS18_S19_EUlS18_E_NS1_11comp_targetILNS1_3genE8ELNS1_11target_archE1030ELNS1_3gpuE2ELNS1_3repE0EEENS1_30default_config_static_selectorELNS0_4arch9wavefront6targetE0EEEvT1_,comdat
.Lfunc_end772:
	.size	_ZN7rocprim17ROCPRIM_400000_NS6detail17trampoline_kernelINS0_14default_configENS1_25partition_config_selectorILNS1_17partition_subalgoE9EyjbEEZZNS1_14partition_implILS5_9ELb0ES3_jN6thrust23THRUST_200600_302600_NS6detail15normal_iteratorINS9_10device_ptrIyEEEENSB_INSC_IjEEEEPNS0_10empty_typeENS0_5tupleIJNS9_16discard_iteratorINS9_11use_defaultEEESH_EEENSJ_IJSG_SI_EEENS0_18inequality_wrapperINS9_8equal_toIyEEEEPmJSH_EEE10hipError_tPvRmT3_T4_T5_T6_T7_T9_mT8_P12ihipStream_tbDpT10_ENKUlT_T0_E_clISt17integral_constantIbLb1EES1D_EEDaS18_S19_EUlS18_E_NS1_11comp_targetILNS1_3genE8ELNS1_11target_archE1030ELNS1_3gpuE2ELNS1_3repE0EEENS1_30default_config_static_selectorELNS0_4arch9wavefront6targetE0EEEvT1_, .Lfunc_end772-_ZN7rocprim17ROCPRIM_400000_NS6detail17trampoline_kernelINS0_14default_configENS1_25partition_config_selectorILNS1_17partition_subalgoE9EyjbEEZZNS1_14partition_implILS5_9ELb0ES3_jN6thrust23THRUST_200600_302600_NS6detail15normal_iteratorINS9_10device_ptrIyEEEENSB_INSC_IjEEEEPNS0_10empty_typeENS0_5tupleIJNS9_16discard_iteratorINS9_11use_defaultEEESH_EEENSJ_IJSG_SI_EEENS0_18inequality_wrapperINS9_8equal_toIyEEEEPmJSH_EEE10hipError_tPvRmT3_T4_T5_T6_T7_T9_mT8_P12ihipStream_tbDpT10_ENKUlT_T0_E_clISt17integral_constantIbLb1EES1D_EEDaS18_S19_EUlS18_E_NS1_11comp_targetILNS1_3genE8ELNS1_11target_archE1030ELNS1_3gpuE2ELNS1_3repE0EEENS1_30default_config_static_selectorELNS0_4arch9wavefront6targetE0EEEvT1_
                                        ; -- End function
	.section	.AMDGPU.csdata,"",@progbits
; Kernel info:
; codeLenInByte = 0
; NumSgprs: 0
; NumVgprs: 0
; ScratchSize: 0
; MemoryBound: 0
; FloatMode: 240
; IeeeMode: 1
; LDSByteSize: 0 bytes/workgroup (compile time only)
; SGPRBlocks: 0
; VGPRBlocks: 0
; NumSGPRsForWavesPerEU: 1
; NumVGPRsForWavesPerEU: 1
; Occupancy: 16
; WaveLimiterHint : 0
; COMPUTE_PGM_RSRC2:SCRATCH_EN: 0
; COMPUTE_PGM_RSRC2:USER_SGPR: 15
; COMPUTE_PGM_RSRC2:TRAP_HANDLER: 0
; COMPUTE_PGM_RSRC2:TGID_X_EN: 1
; COMPUTE_PGM_RSRC2:TGID_Y_EN: 0
; COMPUTE_PGM_RSRC2:TGID_Z_EN: 0
; COMPUTE_PGM_RSRC2:TIDIG_COMP_CNT: 0
	.section	.text._ZN7rocprim17ROCPRIM_400000_NS6detail17trampoline_kernelINS0_14default_configENS1_25partition_config_selectorILNS1_17partition_subalgoE9EyjbEEZZNS1_14partition_implILS5_9ELb0ES3_jN6thrust23THRUST_200600_302600_NS6detail15normal_iteratorINS9_10device_ptrIyEEEENSB_INSC_IjEEEEPNS0_10empty_typeENS0_5tupleIJNS9_16discard_iteratorINS9_11use_defaultEEESH_EEENSJ_IJSG_SI_EEENS0_18inequality_wrapperINS9_8equal_toIyEEEEPmJSH_EEE10hipError_tPvRmT3_T4_T5_T6_T7_T9_mT8_P12ihipStream_tbDpT10_ENKUlT_T0_E_clISt17integral_constantIbLb1EES1C_IbLb0EEEEDaS18_S19_EUlS18_E_NS1_11comp_targetILNS1_3genE0ELNS1_11target_archE4294967295ELNS1_3gpuE0ELNS1_3repE0EEENS1_30default_config_static_selectorELNS0_4arch9wavefront6targetE0EEEvT1_,"axG",@progbits,_ZN7rocprim17ROCPRIM_400000_NS6detail17trampoline_kernelINS0_14default_configENS1_25partition_config_selectorILNS1_17partition_subalgoE9EyjbEEZZNS1_14partition_implILS5_9ELb0ES3_jN6thrust23THRUST_200600_302600_NS6detail15normal_iteratorINS9_10device_ptrIyEEEENSB_INSC_IjEEEEPNS0_10empty_typeENS0_5tupleIJNS9_16discard_iteratorINS9_11use_defaultEEESH_EEENSJ_IJSG_SI_EEENS0_18inequality_wrapperINS9_8equal_toIyEEEEPmJSH_EEE10hipError_tPvRmT3_T4_T5_T6_T7_T9_mT8_P12ihipStream_tbDpT10_ENKUlT_T0_E_clISt17integral_constantIbLb1EES1C_IbLb0EEEEDaS18_S19_EUlS18_E_NS1_11comp_targetILNS1_3genE0ELNS1_11target_archE4294967295ELNS1_3gpuE0ELNS1_3repE0EEENS1_30default_config_static_selectorELNS0_4arch9wavefront6targetE0EEEvT1_,comdat
	.protected	_ZN7rocprim17ROCPRIM_400000_NS6detail17trampoline_kernelINS0_14default_configENS1_25partition_config_selectorILNS1_17partition_subalgoE9EyjbEEZZNS1_14partition_implILS5_9ELb0ES3_jN6thrust23THRUST_200600_302600_NS6detail15normal_iteratorINS9_10device_ptrIyEEEENSB_INSC_IjEEEEPNS0_10empty_typeENS0_5tupleIJNS9_16discard_iteratorINS9_11use_defaultEEESH_EEENSJ_IJSG_SI_EEENS0_18inequality_wrapperINS9_8equal_toIyEEEEPmJSH_EEE10hipError_tPvRmT3_T4_T5_T6_T7_T9_mT8_P12ihipStream_tbDpT10_ENKUlT_T0_E_clISt17integral_constantIbLb1EES1C_IbLb0EEEEDaS18_S19_EUlS18_E_NS1_11comp_targetILNS1_3genE0ELNS1_11target_archE4294967295ELNS1_3gpuE0ELNS1_3repE0EEENS1_30default_config_static_selectorELNS0_4arch9wavefront6targetE0EEEvT1_ ; -- Begin function _ZN7rocprim17ROCPRIM_400000_NS6detail17trampoline_kernelINS0_14default_configENS1_25partition_config_selectorILNS1_17partition_subalgoE9EyjbEEZZNS1_14partition_implILS5_9ELb0ES3_jN6thrust23THRUST_200600_302600_NS6detail15normal_iteratorINS9_10device_ptrIyEEEENSB_INSC_IjEEEEPNS0_10empty_typeENS0_5tupleIJNS9_16discard_iteratorINS9_11use_defaultEEESH_EEENSJ_IJSG_SI_EEENS0_18inequality_wrapperINS9_8equal_toIyEEEEPmJSH_EEE10hipError_tPvRmT3_T4_T5_T6_T7_T9_mT8_P12ihipStream_tbDpT10_ENKUlT_T0_E_clISt17integral_constantIbLb1EES1C_IbLb0EEEEDaS18_S19_EUlS18_E_NS1_11comp_targetILNS1_3genE0ELNS1_11target_archE4294967295ELNS1_3gpuE0ELNS1_3repE0EEENS1_30default_config_static_selectorELNS0_4arch9wavefront6targetE0EEEvT1_
	.globl	_ZN7rocprim17ROCPRIM_400000_NS6detail17trampoline_kernelINS0_14default_configENS1_25partition_config_selectorILNS1_17partition_subalgoE9EyjbEEZZNS1_14partition_implILS5_9ELb0ES3_jN6thrust23THRUST_200600_302600_NS6detail15normal_iteratorINS9_10device_ptrIyEEEENSB_INSC_IjEEEEPNS0_10empty_typeENS0_5tupleIJNS9_16discard_iteratorINS9_11use_defaultEEESH_EEENSJ_IJSG_SI_EEENS0_18inequality_wrapperINS9_8equal_toIyEEEEPmJSH_EEE10hipError_tPvRmT3_T4_T5_T6_T7_T9_mT8_P12ihipStream_tbDpT10_ENKUlT_T0_E_clISt17integral_constantIbLb1EES1C_IbLb0EEEEDaS18_S19_EUlS18_E_NS1_11comp_targetILNS1_3genE0ELNS1_11target_archE4294967295ELNS1_3gpuE0ELNS1_3repE0EEENS1_30default_config_static_selectorELNS0_4arch9wavefront6targetE0EEEvT1_
	.p2align	8
	.type	_ZN7rocprim17ROCPRIM_400000_NS6detail17trampoline_kernelINS0_14default_configENS1_25partition_config_selectorILNS1_17partition_subalgoE9EyjbEEZZNS1_14partition_implILS5_9ELb0ES3_jN6thrust23THRUST_200600_302600_NS6detail15normal_iteratorINS9_10device_ptrIyEEEENSB_INSC_IjEEEEPNS0_10empty_typeENS0_5tupleIJNS9_16discard_iteratorINS9_11use_defaultEEESH_EEENSJ_IJSG_SI_EEENS0_18inequality_wrapperINS9_8equal_toIyEEEEPmJSH_EEE10hipError_tPvRmT3_T4_T5_T6_T7_T9_mT8_P12ihipStream_tbDpT10_ENKUlT_T0_E_clISt17integral_constantIbLb1EES1C_IbLb0EEEEDaS18_S19_EUlS18_E_NS1_11comp_targetILNS1_3genE0ELNS1_11target_archE4294967295ELNS1_3gpuE0ELNS1_3repE0EEENS1_30default_config_static_selectorELNS0_4arch9wavefront6targetE0EEEvT1_,@function
_ZN7rocprim17ROCPRIM_400000_NS6detail17trampoline_kernelINS0_14default_configENS1_25partition_config_selectorILNS1_17partition_subalgoE9EyjbEEZZNS1_14partition_implILS5_9ELb0ES3_jN6thrust23THRUST_200600_302600_NS6detail15normal_iteratorINS9_10device_ptrIyEEEENSB_INSC_IjEEEEPNS0_10empty_typeENS0_5tupleIJNS9_16discard_iteratorINS9_11use_defaultEEESH_EEENSJ_IJSG_SI_EEENS0_18inequality_wrapperINS9_8equal_toIyEEEEPmJSH_EEE10hipError_tPvRmT3_T4_T5_T6_T7_T9_mT8_P12ihipStream_tbDpT10_ENKUlT_T0_E_clISt17integral_constantIbLb1EES1C_IbLb0EEEEDaS18_S19_EUlS18_E_NS1_11comp_targetILNS1_3genE0ELNS1_11target_archE4294967295ELNS1_3gpuE0ELNS1_3repE0EEENS1_30default_config_static_selectorELNS0_4arch9wavefront6targetE0EEEvT1_: ; @_ZN7rocprim17ROCPRIM_400000_NS6detail17trampoline_kernelINS0_14default_configENS1_25partition_config_selectorILNS1_17partition_subalgoE9EyjbEEZZNS1_14partition_implILS5_9ELb0ES3_jN6thrust23THRUST_200600_302600_NS6detail15normal_iteratorINS9_10device_ptrIyEEEENSB_INSC_IjEEEEPNS0_10empty_typeENS0_5tupleIJNS9_16discard_iteratorINS9_11use_defaultEEESH_EEENSJ_IJSG_SI_EEENS0_18inequality_wrapperINS9_8equal_toIyEEEEPmJSH_EEE10hipError_tPvRmT3_T4_T5_T6_T7_T9_mT8_P12ihipStream_tbDpT10_ENKUlT_T0_E_clISt17integral_constantIbLb1EES1C_IbLb0EEEEDaS18_S19_EUlS18_E_NS1_11comp_targetILNS1_3genE0ELNS1_11target_archE4294967295ELNS1_3gpuE0ELNS1_3repE0EEENS1_30default_config_static_selectorELNS0_4arch9wavefront6targetE0EEEvT1_
; %bb.0:
	.section	.rodata,"a",@progbits
	.p2align	6, 0x0
	.amdhsa_kernel _ZN7rocprim17ROCPRIM_400000_NS6detail17trampoline_kernelINS0_14default_configENS1_25partition_config_selectorILNS1_17partition_subalgoE9EyjbEEZZNS1_14partition_implILS5_9ELb0ES3_jN6thrust23THRUST_200600_302600_NS6detail15normal_iteratorINS9_10device_ptrIyEEEENSB_INSC_IjEEEEPNS0_10empty_typeENS0_5tupleIJNS9_16discard_iteratorINS9_11use_defaultEEESH_EEENSJ_IJSG_SI_EEENS0_18inequality_wrapperINS9_8equal_toIyEEEEPmJSH_EEE10hipError_tPvRmT3_T4_T5_T6_T7_T9_mT8_P12ihipStream_tbDpT10_ENKUlT_T0_E_clISt17integral_constantIbLb1EES1C_IbLb0EEEEDaS18_S19_EUlS18_E_NS1_11comp_targetILNS1_3genE0ELNS1_11target_archE4294967295ELNS1_3gpuE0ELNS1_3repE0EEENS1_30default_config_static_selectorELNS0_4arch9wavefront6targetE0EEEvT1_
		.amdhsa_group_segment_fixed_size 0
		.amdhsa_private_segment_fixed_size 0
		.amdhsa_kernarg_size 120
		.amdhsa_user_sgpr_count 15
		.amdhsa_user_sgpr_dispatch_ptr 0
		.amdhsa_user_sgpr_queue_ptr 0
		.amdhsa_user_sgpr_kernarg_segment_ptr 1
		.amdhsa_user_sgpr_dispatch_id 0
		.amdhsa_user_sgpr_private_segment_size 0
		.amdhsa_wavefront_size32 1
		.amdhsa_uses_dynamic_stack 0
		.amdhsa_enable_private_segment 0
		.amdhsa_system_sgpr_workgroup_id_x 1
		.amdhsa_system_sgpr_workgroup_id_y 0
		.amdhsa_system_sgpr_workgroup_id_z 0
		.amdhsa_system_sgpr_workgroup_info 0
		.amdhsa_system_vgpr_workitem_id 0
		.amdhsa_next_free_vgpr 1
		.amdhsa_next_free_sgpr 1
		.amdhsa_reserve_vcc 0
		.amdhsa_float_round_mode_32 0
		.amdhsa_float_round_mode_16_64 0
		.amdhsa_float_denorm_mode_32 3
		.amdhsa_float_denorm_mode_16_64 3
		.amdhsa_dx10_clamp 1
		.amdhsa_ieee_mode 1
		.amdhsa_fp16_overflow 0
		.amdhsa_workgroup_processor_mode 1
		.amdhsa_memory_ordered 1
		.amdhsa_forward_progress 0
		.amdhsa_shared_vgpr_count 0
		.amdhsa_exception_fp_ieee_invalid_op 0
		.amdhsa_exception_fp_denorm_src 0
		.amdhsa_exception_fp_ieee_div_zero 0
		.amdhsa_exception_fp_ieee_overflow 0
		.amdhsa_exception_fp_ieee_underflow 0
		.amdhsa_exception_fp_ieee_inexact 0
		.amdhsa_exception_int_div_zero 0
	.end_amdhsa_kernel
	.section	.text._ZN7rocprim17ROCPRIM_400000_NS6detail17trampoline_kernelINS0_14default_configENS1_25partition_config_selectorILNS1_17partition_subalgoE9EyjbEEZZNS1_14partition_implILS5_9ELb0ES3_jN6thrust23THRUST_200600_302600_NS6detail15normal_iteratorINS9_10device_ptrIyEEEENSB_INSC_IjEEEEPNS0_10empty_typeENS0_5tupleIJNS9_16discard_iteratorINS9_11use_defaultEEESH_EEENSJ_IJSG_SI_EEENS0_18inequality_wrapperINS9_8equal_toIyEEEEPmJSH_EEE10hipError_tPvRmT3_T4_T5_T6_T7_T9_mT8_P12ihipStream_tbDpT10_ENKUlT_T0_E_clISt17integral_constantIbLb1EES1C_IbLb0EEEEDaS18_S19_EUlS18_E_NS1_11comp_targetILNS1_3genE0ELNS1_11target_archE4294967295ELNS1_3gpuE0ELNS1_3repE0EEENS1_30default_config_static_selectorELNS0_4arch9wavefront6targetE0EEEvT1_,"axG",@progbits,_ZN7rocprim17ROCPRIM_400000_NS6detail17trampoline_kernelINS0_14default_configENS1_25partition_config_selectorILNS1_17partition_subalgoE9EyjbEEZZNS1_14partition_implILS5_9ELb0ES3_jN6thrust23THRUST_200600_302600_NS6detail15normal_iteratorINS9_10device_ptrIyEEEENSB_INSC_IjEEEEPNS0_10empty_typeENS0_5tupleIJNS9_16discard_iteratorINS9_11use_defaultEEESH_EEENSJ_IJSG_SI_EEENS0_18inequality_wrapperINS9_8equal_toIyEEEEPmJSH_EEE10hipError_tPvRmT3_T4_T5_T6_T7_T9_mT8_P12ihipStream_tbDpT10_ENKUlT_T0_E_clISt17integral_constantIbLb1EES1C_IbLb0EEEEDaS18_S19_EUlS18_E_NS1_11comp_targetILNS1_3genE0ELNS1_11target_archE4294967295ELNS1_3gpuE0ELNS1_3repE0EEENS1_30default_config_static_selectorELNS0_4arch9wavefront6targetE0EEEvT1_,comdat
.Lfunc_end773:
	.size	_ZN7rocprim17ROCPRIM_400000_NS6detail17trampoline_kernelINS0_14default_configENS1_25partition_config_selectorILNS1_17partition_subalgoE9EyjbEEZZNS1_14partition_implILS5_9ELb0ES3_jN6thrust23THRUST_200600_302600_NS6detail15normal_iteratorINS9_10device_ptrIyEEEENSB_INSC_IjEEEEPNS0_10empty_typeENS0_5tupleIJNS9_16discard_iteratorINS9_11use_defaultEEESH_EEENSJ_IJSG_SI_EEENS0_18inequality_wrapperINS9_8equal_toIyEEEEPmJSH_EEE10hipError_tPvRmT3_T4_T5_T6_T7_T9_mT8_P12ihipStream_tbDpT10_ENKUlT_T0_E_clISt17integral_constantIbLb1EES1C_IbLb0EEEEDaS18_S19_EUlS18_E_NS1_11comp_targetILNS1_3genE0ELNS1_11target_archE4294967295ELNS1_3gpuE0ELNS1_3repE0EEENS1_30default_config_static_selectorELNS0_4arch9wavefront6targetE0EEEvT1_, .Lfunc_end773-_ZN7rocprim17ROCPRIM_400000_NS6detail17trampoline_kernelINS0_14default_configENS1_25partition_config_selectorILNS1_17partition_subalgoE9EyjbEEZZNS1_14partition_implILS5_9ELb0ES3_jN6thrust23THRUST_200600_302600_NS6detail15normal_iteratorINS9_10device_ptrIyEEEENSB_INSC_IjEEEEPNS0_10empty_typeENS0_5tupleIJNS9_16discard_iteratorINS9_11use_defaultEEESH_EEENSJ_IJSG_SI_EEENS0_18inequality_wrapperINS9_8equal_toIyEEEEPmJSH_EEE10hipError_tPvRmT3_T4_T5_T6_T7_T9_mT8_P12ihipStream_tbDpT10_ENKUlT_T0_E_clISt17integral_constantIbLb1EES1C_IbLb0EEEEDaS18_S19_EUlS18_E_NS1_11comp_targetILNS1_3genE0ELNS1_11target_archE4294967295ELNS1_3gpuE0ELNS1_3repE0EEENS1_30default_config_static_selectorELNS0_4arch9wavefront6targetE0EEEvT1_
                                        ; -- End function
	.section	.AMDGPU.csdata,"",@progbits
; Kernel info:
; codeLenInByte = 0
; NumSgprs: 0
; NumVgprs: 0
; ScratchSize: 0
; MemoryBound: 0
; FloatMode: 240
; IeeeMode: 1
; LDSByteSize: 0 bytes/workgroup (compile time only)
; SGPRBlocks: 0
; VGPRBlocks: 0
; NumSGPRsForWavesPerEU: 1
; NumVGPRsForWavesPerEU: 1
; Occupancy: 16
; WaveLimiterHint : 0
; COMPUTE_PGM_RSRC2:SCRATCH_EN: 0
; COMPUTE_PGM_RSRC2:USER_SGPR: 15
; COMPUTE_PGM_RSRC2:TRAP_HANDLER: 0
; COMPUTE_PGM_RSRC2:TGID_X_EN: 1
; COMPUTE_PGM_RSRC2:TGID_Y_EN: 0
; COMPUTE_PGM_RSRC2:TGID_Z_EN: 0
; COMPUTE_PGM_RSRC2:TIDIG_COMP_CNT: 0
	.section	.text._ZN7rocprim17ROCPRIM_400000_NS6detail17trampoline_kernelINS0_14default_configENS1_25partition_config_selectorILNS1_17partition_subalgoE9EyjbEEZZNS1_14partition_implILS5_9ELb0ES3_jN6thrust23THRUST_200600_302600_NS6detail15normal_iteratorINS9_10device_ptrIyEEEENSB_INSC_IjEEEEPNS0_10empty_typeENS0_5tupleIJNS9_16discard_iteratorINS9_11use_defaultEEESH_EEENSJ_IJSG_SI_EEENS0_18inequality_wrapperINS9_8equal_toIyEEEEPmJSH_EEE10hipError_tPvRmT3_T4_T5_T6_T7_T9_mT8_P12ihipStream_tbDpT10_ENKUlT_T0_E_clISt17integral_constantIbLb1EES1C_IbLb0EEEEDaS18_S19_EUlS18_E_NS1_11comp_targetILNS1_3genE5ELNS1_11target_archE942ELNS1_3gpuE9ELNS1_3repE0EEENS1_30default_config_static_selectorELNS0_4arch9wavefront6targetE0EEEvT1_,"axG",@progbits,_ZN7rocprim17ROCPRIM_400000_NS6detail17trampoline_kernelINS0_14default_configENS1_25partition_config_selectorILNS1_17partition_subalgoE9EyjbEEZZNS1_14partition_implILS5_9ELb0ES3_jN6thrust23THRUST_200600_302600_NS6detail15normal_iteratorINS9_10device_ptrIyEEEENSB_INSC_IjEEEEPNS0_10empty_typeENS0_5tupleIJNS9_16discard_iteratorINS9_11use_defaultEEESH_EEENSJ_IJSG_SI_EEENS0_18inequality_wrapperINS9_8equal_toIyEEEEPmJSH_EEE10hipError_tPvRmT3_T4_T5_T6_T7_T9_mT8_P12ihipStream_tbDpT10_ENKUlT_T0_E_clISt17integral_constantIbLb1EES1C_IbLb0EEEEDaS18_S19_EUlS18_E_NS1_11comp_targetILNS1_3genE5ELNS1_11target_archE942ELNS1_3gpuE9ELNS1_3repE0EEENS1_30default_config_static_selectorELNS0_4arch9wavefront6targetE0EEEvT1_,comdat
	.protected	_ZN7rocprim17ROCPRIM_400000_NS6detail17trampoline_kernelINS0_14default_configENS1_25partition_config_selectorILNS1_17partition_subalgoE9EyjbEEZZNS1_14partition_implILS5_9ELb0ES3_jN6thrust23THRUST_200600_302600_NS6detail15normal_iteratorINS9_10device_ptrIyEEEENSB_INSC_IjEEEEPNS0_10empty_typeENS0_5tupleIJNS9_16discard_iteratorINS9_11use_defaultEEESH_EEENSJ_IJSG_SI_EEENS0_18inequality_wrapperINS9_8equal_toIyEEEEPmJSH_EEE10hipError_tPvRmT3_T4_T5_T6_T7_T9_mT8_P12ihipStream_tbDpT10_ENKUlT_T0_E_clISt17integral_constantIbLb1EES1C_IbLb0EEEEDaS18_S19_EUlS18_E_NS1_11comp_targetILNS1_3genE5ELNS1_11target_archE942ELNS1_3gpuE9ELNS1_3repE0EEENS1_30default_config_static_selectorELNS0_4arch9wavefront6targetE0EEEvT1_ ; -- Begin function _ZN7rocprim17ROCPRIM_400000_NS6detail17trampoline_kernelINS0_14default_configENS1_25partition_config_selectorILNS1_17partition_subalgoE9EyjbEEZZNS1_14partition_implILS5_9ELb0ES3_jN6thrust23THRUST_200600_302600_NS6detail15normal_iteratorINS9_10device_ptrIyEEEENSB_INSC_IjEEEEPNS0_10empty_typeENS0_5tupleIJNS9_16discard_iteratorINS9_11use_defaultEEESH_EEENSJ_IJSG_SI_EEENS0_18inequality_wrapperINS9_8equal_toIyEEEEPmJSH_EEE10hipError_tPvRmT3_T4_T5_T6_T7_T9_mT8_P12ihipStream_tbDpT10_ENKUlT_T0_E_clISt17integral_constantIbLb1EES1C_IbLb0EEEEDaS18_S19_EUlS18_E_NS1_11comp_targetILNS1_3genE5ELNS1_11target_archE942ELNS1_3gpuE9ELNS1_3repE0EEENS1_30default_config_static_selectorELNS0_4arch9wavefront6targetE0EEEvT1_
	.globl	_ZN7rocprim17ROCPRIM_400000_NS6detail17trampoline_kernelINS0_14default_configENS1_25partition_config_selectorILNS1_17partition_subalgoE9EyjbEEZZNS1_14partition_implILS5_9ELb0ES3_jN6thrust23THRUST_200600_302600_NS6detail15normal_iteratorINS9_10device_ptrIyEEEENSB_INSC_IjEEEEPNS0_10empty_typeENS0_5tupleIJNS9_16discard_iteratorINS9_11use_defaultEEESH_EEENSJ_IJSG_SI_EEENS0_18inequality_wrapperINS9_8equal_toIyEEEEPmJSH_EEE10hipError_tPvRmT3_T4_T5_T6_T7_T9_mT8_P12ihipStream_tbDpT10_ENKUlT_T0_E_clISt17integral_constantIbLb1EES1C_IbLb0EEEEDaS18_S19_EUlS18_E_NS1_11comp_targetILNS1_3genE5ELNS1_11target_archE942ELNS1_3gpuE9ELNS1_3repE0EEENS1_30default_config_static_selectorELNS0_4arch9wavefront6targetE0EEEvT1_
	.p2align	8
	.type	_ZN7rocprim17ROCPRIM_400000_NS6detail17trampoline_kernelINS0_14default_configENS1_25partition_config_selectorILNS1_17partition_subalgoE9EyjbEEZZNS1_14partition_implILS5_9ELb0ES3_jN6thrust23THRUST_200600_302600_NS6detail15normal_iteratorINS9_10device_ptrIyEEEENSB_INSC_IjEEEEPNS0_10empty_typeENS0_5tupleIJNS9_16discard_iteratorINS9_11use_defaultEEESH_EEENSJ_IJSG_SI_EEENS0_18inequality_wrapperINS9_8equal_toIyEEEEPmJSH_EEE10hipError_tPvRmT3_T4_T5_T6_T7_T9_mT8_P12ihipStream_tbDpT10_ENKUlT_T0_E_clISt17integral_constantIbLb1EES1C_IbLb0EEEEDaS18_S19_EUlS18_E_NS1_11comp_targetILNS1_3genE5ELNS1_11target_archE942ELNS1_3gpuE9ELNS1_3repE0EEENS1_30default_config_static_selectorELNS0_4arch9wavefront6targetE0EEEvT1_,@function
_ZN7rocprim17ROCPRIM_400000_NS6detail17trampoline_kernelINS0_14default_configENS1_25partition_config_selectorILNS1_17partition_subalgoE9EyjbEEZZNS1_14partition_implILS5_9ELb0ES3_jN6thrust23THRUST_200600_302600_NS6detail15normal_iteratorINS9_10device_ptrIyEEEENSB_INSC_IjEEEEPNS0_10empty_typeENS0_5tupleIJNS9_16discard_iteratorINS9_11use_defaultEEESH_EEENSJ_IJSG_SI_EEENS0_18inequality_wrapperINS9_8equal_toIyEEEEPmJSH_EEE10hipError_tPvRmT3_T4_T5_T6_T7_T9_mT8_P12ihipStream_tbDpT10_ENKUlT_T0_E_clISt17integral_constantIbLb1EES1C_IbLb0EEEEDaS18_S19_EUlS18_E_NS1_11comp_targetILNS1_3genE5ELNS1_11target_archE942ELNS1_3gpuE9ELNS1_3repE0EEENS1_30default_config_static_selectorELNS0_4arch9wavefront6targetE0EEEvT1_: ; @_ZN7rocprim17ROCPRIM_400000_NS6detail17trampoline_kernelINS0_14default_configENS1_25partition_config_selectorILNS1_17partition_subalgoE9EyjbEEZZNS1_14partition_implILS5_9ELb0ES3_jN6thrust23THRUST_200600_302600_NS6detail15normal_iteratorINS9_10device_ptrIyEEEENSB_INSC_IjEEEEPNS0_10empty_typeENS0_5tupleIJNS9_16discard_iteratorINS9_11use_defaultEEESH_EEENSJ_IJSG_SI_EEENS0_18inequality_wrapperINS9_8equal_toIyEEEEPmJSH_EEE10hipError_tPvRmT3_T4_T5_T6_T7_T9_mT8_P12ihipStream_tbDpT10_ENKUlT_T0_E_clISt17integral_constantIbLb1EES1C_IbLb0EEEEDaS18_S19_EUlS18_E_NS1_11comp_targetILNS1_3genE5ELNS1_11target_archE942ELNS1_3gpuE9ELNS1_3repE0EEENS1_30default_config_static_selectorELNS0_4arch9wavefront6targetE0EEEvT1_
; %bb.0:
	.section	.rodata,"a",@progbits
	.p2align	6, 0x0
	.amdhsa_kernel _ZN7rocprim17ROCPRIM_400000_NS6detail17trampoline_kernelINS0_14default_configENS1_25partition_config_selectorILNS1_17partition_subalgoE9EyjbEEZZNS1_14partition_implILS5_9ELb0ES3_jN6thrust23THRUST_200600_302600_NS6detail15normal_iteratorINS9_10device_ptrIyEEEENSB_INSC_IjEEEEPNS0_10empty_typeENS0_5tupleIJNS9_16discard_iteratorINS9_11use_defaultEEESH_EEENSJ_IJSG_SI_EEENS0_18inequality_wrapperINS9_8equal_toIyEEEEPmJSH_EEE10hipError_tPvRmT3_T4_T5_T6_T7_T9_mT8_P12ihipStream_tbDpT10_ENKUlT_T0_E_clISt17integral_constantIbLb1EES1C_IbLb0EEEEDaS18_S19_EUlS18_E_NS1_11comp_targetILNS1_3genE5ELNS1_11target_archE942ELNS1_3gpuE9ELNS1_3repE0EEENS1_30default_config_static_selectorELNS0_4arch9wavefront6targetE0EEEvT1_
		.amdhsa_group_segment_fixed_size 0
		.amdhsa_private_segment_fixed_size 0
		.amdhsa_kernarg_size 120
		.amdhsa_user_sgpr_count 15
		.amdhsa_user_sgpr_dispatch_ptr 0
		.amdhsa_user_sgpr_queue_ptr 0
		.amdhsa_user_sgpr_kernarg_segment_ptr 1
		.amdhsa_user_sgpr_dispatch_id 0
		.amdhsa_user_sgpr_private_segment_size 0
		.amdhsa_wavefront_size32 1
		.amdhsa_uses_dynamic_stack 0
		.amdhsa_enable_private_segment 0
		.amdhsa_system_sgpr_workgroup_id_x 1
		.amdhsa_system_sgpr_workgroup_id_y 0
		.amdhsa_system_sgpr_workgroup_id_z 0
		.amdhsa_system_sgpr_workgroup_info 0
		.amdhsa_system_vgpr_workitem_id 0
		.amdhsa_next_free_vgpr 1
		.amdhsa_next_free_sgpr 1
		.amdhsa_reserve_vcc 0
		.amdhsa_float_round_mode_32 0
		.amdhsa_float_round_mode_16_64 0
		.amdhsa_float_denorm_mode_32 3
		.amdhsa_float_denorm_mode_16_64 3
		.amdhsa_dx10_clamp 1
		.amdhsa_ieee_mode 1
		.amdhsa_fp16_overflow 0
		.amdhsa_workgroup_processor_mode 1
		.amdhsa_memory_ordered 1
		.amdhsa_forward_progress 0
		.amdhsa_shared_vgpr_count 0
		.amdhsa_exception_fp_ieee_invalid_op 0
		.amdhsa_exception_fp_denorm_src 0
		.amdhsa_exception_fp_ieee_div_zero 0
		.amdhsa_exception_fp_ieee_overflow 0
		.amdhsa_exception_fp_ieee_underflow 0
		.amdhsa_exception_fp_ieee_inexact 0
		.amdhsa_exception_int_div_zero 0
	.end_amdhsa_kernel
	.section	.text._ZN7rocprim17ROCPRIM_400000_NS6detail17trampoline_kernelINS0_14default_configENS1_25partition_config_selectorILNS1_17partition_subalgoE9EyjbEEZZNS1_14partition_implILS5_9ELb0ES3_jN6thrust23THRUST_200600_302600_NS6detail15normal_iteratorINS9_10device_ptrIyEEEENSB_INSC_IjEEEEPNS0_10empty_typeENS0_5tupleIJNS9_16discard_iteratorINS9_11use_defaultEEESH_EEENSJ_IJSG_SI_EEENS0_18inequality_wrapperINS9_8equal_toIyEEEEPmJSH_EEE10hipError_tPvRmT3_T4_T5_T6_T7_T9_mT8_P12ihipStream_tbDpT10_ENKUlT_T0_E_clISt17integral_constantIbLb1EES1C_IbLb0EEEEDaS18_S19_EUlS18_E_NS1_11comp_targetILNS1_3genE5ELNS1_11target_archE942ELNS1_3gpuE9ELNS1_3repE0EEENS1_30default_config_static_selectorELNS0_4arch9wavefront6targetE0EEEvT1_,"axG",@progbits,_ZN7rocprim17ROCPRIM_400000_NS6detail17trampoline_kernelINS0_14default_configENS1_25partition_config_selectorILNS1_17partition_subalgoE9EyjbEEZZNS1_14partition_implILS5_9ELb0ES3_jN6thrust23THRUST_200600_302600_NS6detail15normal_iteratorINS9_10device_ptrIyEEEENSB_INSC_IjEEEEPNS0_10empty_typeENS0_5tupleIJNS9_16discard_iteratorINS9_11use_defaultEEESH_EEENSJ_IJSG_SI_EEENS0_18inequality_wrapperINS9_8equal_toIyEEEEPmJSH_EEE10hipError_tPvRmT3_T4_T5_T6_T7_T9_mT8_P12ihipStream_tbDpT10_ENKUlT_T0_E_clISt17integral_constantIbLb1EES1C_IbLb0EEEEDaS18_S19_EUlS18_E_NS1_11comp_targetILNS1_3genE5ELNS1_11target_archE942ELNS1_3gpuE9ELNS1_3repE0EEENS1_30default_config_static_selectorELNS0_4arch9wavefront6targetE0EEEvT1_,comdat
.Lfunc_end774:
	.size	_ZN7rocprim17ROCPRIM_400000_NS6detail17trampoline_kernelINS0_14default_configENS1_25partition_config_selectorILNS1_17partition_subalgoE9EyjbEEZZNS1_14partition_implILS5_9ELb0ES3_jN6thrust23THRUST_200600_302600_NS6detail15normal_iteratorINS9_10device_ptrIyEEEENSB_INSC_IjEEEEPNS0_10empty_typeENS0_5tupleIJNS9_16discard_iteratorINS9_11use_defaultEEESH_EEENSJ_IJSG_SI_EEENS0_18inequality_wrapperINS9_8equal_toIyEEEEPmJSH_EEE10hipError_tPvRmT3_T4_T5_T6_T7_T9_mT8_P12ihipStream_tbDpT10_ENKUlT_T0_E_clISt17integral_constantIbLb1EES1C_IbLb0EEEEDaS18_S19_EUlS18_E_NS1_11comp_targetILNS1_3genE5ELNS1_11target_archE942ELNS1_3gpuE9ELNS1_3repE0EEENS1_30default_config_static_selectorELNS0_4arch9wavefront6targetE0EEEvT1_, .Lfunc_end774-_ZN7rocprim17ROCPRIM_400000_NS6detail17trampoline_kernelINS0_14default_configENS1_25partition_config_selectorILNS1_17partition_subalgoE9EyjbEEZZNS1_14partition_implILS5_9ELb0ES3_jN6thrust23THRUST_200600_302600_NS6detail15normal_iteratorINS9_10device_ptrIyEEEENSB_INSC_IjEEEEPNS0_10empty_typeENS0_5tupleIJNS9_16discard_iteratorINS9_11use_defaultEEESH_EEENSJ_IJSG_SI_EEENS0_18inequality_wrapperINS9_8equal_toIyEEEEPmJSH_EEE10hipError_tPvRmT3_T4_T5_T6_T7_T9_mT8_P12ihipStream_tbDpT10_ENKUlT_T0_E_clISt17integral_constantIbLb1EES1C_IbLb0EEEEDaS18_S19_EUlS18_E_NS1_11comp_targetILNS1_3genE5ELNS1_11target_archE942ELNS1_3gpuE9ELNS1_3repE0EEENS1_30default_config_static_selectorELNS0_4arch9wavefront6targetE0EEEvT1_
                                        ; -- End function
	.section	.AMDGPU.csdata,"",@progbits
; Kernel info:
; codeLenInByte = 0
; NumSgprs: 0
; NumVgprs: 0
; ScratchSize: 0
; MemoryBound: 0
; FloatMode: 240
; IeeeMode: 1
; LDSByteSize: 0 bytes/workgroup (compile time only)
; SGPRBlocks: 0
; VGPRBlocks: 0
; NumSGPRsForWavesPerEU: 1
; NumVGPRsForWavesPerEU: 1
; Occupancy: 16
; WaveLimiterHint : 0
; COMPUTE_PGM_RSRC2:SCRATCH_EN: 0
; COMPUTE_PGM_RSRC2:USER_SGPR: 15
; COMPUTE_PGM_RSRC2:TRAP_HANDLER: 0
; COMPUTE_PGM_RSRC2:TGID_X_EN: 1
; COMPUTE_PGM_RSRC2:TGID_Y_EN: 0
; COMPUTE_PGM_RSRC2:TGID_Z_EN: 0
; COMPUTE_PGM_RSRC2:TIDIG_COMP_CNT: 0
	.section	.text._ZN7rocprim17ROCPRIM_400000_NS6detail17trampoline_kernelINS0_14default_configENS1_25partition_config_selectorILNS1_17partition_subalgoE9EyjbEEZZNS1_14partition_implILS5_9ELb0ES3_jN6thrust23THRUST_200600_302600_NS6detail15normal_iteratorINS9_10device_ptrIyEEEENSB_INSC_IjEEEEPNS0_10empty_typeENS0_5tupleIJNS9_16discard_iteratorINS9_11use_defaultEEESH_EEENSJ_IJSG_SI_EEENS0_18inequality_wrapperINS9_8equal_toIyEEEEPmJSH_EEE10hipError_tPvRmT3_T4_T5_T6_T7_T9_mT8_P12ihipStream_tbDpT10_ENKUlT_T0_E_clISt17integral_constantIbLb1EES1C_IbLb0EEEEDaS18_S19_EUlS18_E_NS1_11comp_targetILNS1_3genE4ELNS1_11target_archE910ELNS1_3gpuE8ELNS1_3repE0EEENS1_30default_config_static_selectorELNS0_4arch9wavefront6targetE0EEEvT1_,"axG",@progbits,_ZN7rocprim17ROCPRIM_400000_NS6detail17trampoline_kernelINS0_14default_configENS1_25partition_config_selectorILNS1_17partition_subalgoE9EyjbEEZZNS1_14partition_implILS5_9ELb0ES3_jN6thrust23THRUST_200600_302600_NS6detail15normal_iteratorINS9_10device_ptrIyEEEENSB_INSC_IjEEEEPNS0_10empty_typeENS0_5tupleIJNS9_16discard_iteratorINS9_11use_defaultEEESH_EEENSJ_IJSG_SI_EEENS0_18inequality_wrapperINS9_8equal_toIyEEEEPmJSH_EEE10hipError_tPvRmT3_T4_T5_T6_T7_T9_mT8_P12ihipStream_tbDpT10_ENKUlT_T0_E_clISt17integral_constantIbLb1EES1C_IbLb0EEEEDaS18_S19_EUlS18_E_NS1_11comp_targetILNS1_3genE4ELNS1_11target_archE910ELNS1_3gpuE8ELNS1_3repE0EEENS1_30default_config_static_selectorELNS0_4arch9wavefront6targetE0EEEvT1_,comdat
	.protected	_ZN7rocprim17ROCPRIM_400000_NS6detail17trampoline_kernelINS0_14default_configENS1_25partition_config_selectorILNS1_17partition_subalgoE9EyjbEEZZNS1_14partition_implILS5_9ELb0ES3_jN6thrust23THRUST_200600_302600_NS6detail15normal_iteratorINS9_10device_ptrIyEEEENSB_INSC_IjEEEEPNS0_10empty_typeENS0_5tupleIJNS9_16discard_iteratorINS9_11use_defaultEEESH_EEENSJ_IJSG_SI_EEENS0_18inequality_wrapperINS9_8equal_toIyEEEEPmJSH_EEE10hipError_tPvRmT3_T4_T5_T6_T7_T9_mT8_P12ihipStream_tbDpT10_ENKUlT_T0_E_clISt17integral_constantIbLb1EES1C_IbLb0EEEEDaS18_S19_EUlS18_E_NS1_11comp_targetILNS1_3genE4ELNS1_11target_archE910ELNS1_3gpuE8ELNS1_3repE0EEENS1_30default_config_static_selectorELNS0_4arch9wavefront6targetE0EEEvT1_ ; -- Begin function _ZN7rocprim17ROCPRIM_400000_NS6detail17trampoline_kernelINS0_14default_configENS1_25partition_config_selectorILNS1_17partition_subalgoE9EyjbEEZZNS1_14partition_implILS5_9ELb0ES3_jN6thrust23THRUST_200600_302600_NS6detail15normal_iteratorINS9_10device_ptrIyEEEENSB_INSC_IjEEEEPNS0_10empty_typeENS0_5tupleIJNS9_16discard_iteratorINS9_11use_defaultEEESH_EEENSJ_IJSG_SI_EEENS0_18inequality_wrapperINS9_8equal_toIyEEEEPmJSH_EEE10hipError_tPvRmT3_T4_T5_T6_T7_T9_mT8_P12ihipStream_tbDpT10_ENKUlT_T0_E_clISt17integral_constantIbLb1EES1C_IbLb0EEEEDaS18_S19_EUlS18_E_NS1_11comp_targetILNS1_3genE4ELNS1_11target_archE910ELNS1_3gpuE8ELNS1_3repE0EEENS1_30default_config_static_selectorELNS0_4arch9wavefront6targetE0EEEvT1_
	.globl	_ZN7rocprim17ROCPRIM_400000_NS6detail17trampoline_kernelINS0_14default_configENS1_25partition_config_selectorILNS1_17partition_subalgoE9EyjbEEZZNS1_14partition_implILS5_9ELb0ES3_jN6thrust23THRUST_200600_302600_NS6detail15normal_iteratorINS9_10device_ptrIyEEEENSB_INSC_IjEEEEPNS0_10empty_typeENS0_5tupleIJNS9_16discard_iteratorINS9_11use_defaultEEESH_EEENSJ_IJSG_SI_EEENS0_18inequality_wrapperINS9_8equal_toIyEEEEPmJSH_EEE10hipError_tPvRmT3_T4_T5_T6_T7_T9_mT8_P12ihipStream_tbDpT10_ENKUlT_T0_E_clISt17integral_constantIbLb1EES1C_IbLb0EEEEDaS18_S19_EUlS18_E_NS1_11comp_targetILNS1_3genE4ELNS1_11target_archE910ELNS1_3gpuE8ELNS1_3repE0EEENS1_30default_config_static_selectorELNS0_4arch9wavefront6targetE0EEEvT1_
	.p2align	8
	.type	_ZN7rocprim17ROCPRIM_400000_NS6detail17trampoline_kernelINS0_14default_configENS1_25partition_config_selectorILNS1_17partition_subalgoE9EyjbEEZZNS1_14partition_implILS5_9ELb0ES3_jN6thrust23THRUST_200600_302600_NS6detail15normal_iteratorINS9_10device_ptrIyEEEENSB_INSC_IjEEEEPNS0_10empty_typeENS0_5tupleIJNS9_16discard_iteratorINS9_11use_defaultEEESH_EEENSJ_IJSG_SI_EEENS0_18inequality_wrapperINS9_8equal_toIyEEEEPmJSH_EEE10hipError_tPvRmT3_T4_T5_T6_T7_T9_mT8_P12ihipStream_tbDpT10_ENKUlT_T0_E_clISt17integral_constantIbLb1EES1C_IbLb0EEEEDaS18_S19_EUlS18_E_NS1_11comp_targetILNS1_3genE4ELNS1_11target_archE910ELNS1_3gpuE8ELNS1_3repE0EEENS1_30default_config_static_selectorELNS0_4arch9wavefront6targetE0EEEvT1_,@function
_ZN7rocprim17ROCPRIM_400000_NS6detail17trampoline_kernelINS0_14default_configENS1_25partition_config_selectorILNS1_17partition_subalgoE9EyjbEEZZNS1_14partition_implILS5_9ELb0ES3_jN6thrust23THRUST_200600_302600_NS6detail15normal_iteratorINS9_10device_ptrIyEEEENSB_INSC_IjEEEEPNS0_10empty_typeENS0_5tupleIJNS9_16discard_iteratorINS9_11use_defaultEEESH_EEENSJ_IJSG_SI_EEENS0_18inequality_wrapperINS9_8equal_toIyEEEEPmJSH_EEE10hipError_tPvRmT3_T4_T5_T6_T7_T9_mT8_P12ihipStream_tbDpT10_ENKUlT_T0_E_clISt17integral_constantIbLb1EES1C_IbLb0EEEEDaS18_S19_EUlS18_E_NS1_11comp_targetILNS1_3genE4ELNS1_11target_archE910ELNS1_3gpuE8ELNS1_3repE0EEENS1_30default_config_static_selectorELNS0_4arch9wavefront6targetE0EEEvT1_: ; @_ZN7rocprim17ROCPRIM_400000_NS6detail17trampoline_kernelINS0_14default_configENS1_25partition_config_selectorILNS1_17partition_subalgoE9EyjbEEZZNS1_14partition_implILS5_9ELb0ES3_jN6thrust23THRUST_200600_302600_NS6detail15normal_iteratorINS9_10device_ptrIyEEEENSB_INSC_IjEEEEPNS0_10empty_typeENS0_5tupleIJNS9_16discard_iteratorINS9_11use_defaultEEESH_EEENSJ_IJSG_SI_EEENS0_18inequality_wrapperINS9_8equal_toIyEEEEPmJSH_EEE10hipError_tPvRmT3_T4_T5_T6_T7_T9_mT8_P12ihipStream_tbDpT10_ENKUlT_T0_E_clISt17integral_constantIbLb1EES1C_IbLb0EEEEDaS18_S19_EUlS18_E_NS1_11comp_targetILNS1_3genE4ELNS1_11target_archE910ELNS1_3gpuE8ELNS1_3repE0EEENS1_30default_config_static_selectorELNS0_4arch9wavefront6targetE0EEEvT1_
; %bb.0:
	.section	.rodata,"a",@progbits
	.p2align	6, 0x0
	.amdhsa_kernel _ZN7rocprim17ROCPRIM_400000_NS6detail17trampoline_kernelINS0_14default_configENS1_25partition_config_selectorILNS1_17partition_subalgoE9EyjbEEZZNS1_14partition_implILS5_9ELb0ES3_jN6thrust23THRUST_200600_302600_NS6detail15normal_iteratorINS9_10device_ptrIyEEEENSB_INSC_IjEEEEPNS0_10empty_typeENS0_5tupleIJNS9_16discard_iteratorINS9_11use_defaultEEESH_EEENSJ_IJSG_SI_EEENS0_18inequality_wrapperINS9_8equal_toIyEEEEPmJSH_EEE10hipError_tPvRmT3_T4_T5_T6_T7_T9_mT8_P12ihipStream_tbDpT10_ENKUlT_T0_E_clISt17integral_constantIbLb1EES1C_IbLb0EEEEDaS18_S19_EUlS18_E_NS1_11comp_targetILNS1_3genE4ELNS1_11target_archE910ELNS1_3gpuE8ELNS1_3repE0EEENS1_30default_config_static_selectorELNS0_4arch9wavefront6targetE0EEEvT1_
		.amdhsa_group_segment_fixed_size 0
		.amdhsa_private_segment_fixed_size 0
		.amdhsa_kernarg_size 120
		.amdhsa_user_sgpr_count 15
		.amdhsa_user_sgpr_dispatch_ptr 0
		.amdhsa_user_sgpr_queue_ptr 0
		.amdhsa_user_sgpr_kernarg_segment_ptr 1
		.amdhsa_user_sgpr_dispatch_id 0
		.amdhsa_user_sgpr_private_segment_size 0
		.amdhsa_wavefront_size32 1
		.amdhsa_uses_dynamic_stack 0
		.amdhsa_enable_private_segment 0
		.amdhsa_system_sgpr_workgroup_id_x 1
		.amdhsa_system_sgpr_workgroup_id_y 0
		.amdhsa_system_sgpr_workgroup_id_z 0
		.amdhsa_system_sgpr_workgroup_info 0
		.amdhsa_system_vgpr_workitem_id 0
		.amdhsa_next_free_vgpr 1
		.amdhsa_next_free_sgpr 1
		.amdhsa_reserve_vcc 0
		.amdhsa_float_round_mode_32 0
		.amdhsa_float_round_mode_16_64 0
		.amdhsa_float_denorm_mode_32 3
		.amdhsa_float_denorm_mode_16_64 3
		.amdhsa_dx10_clamp 1
		.amdhsa_ieee_mode 1
		.amdhsa_fp16_overflow 0
		.amdhsa_workgroup_processor_mode 1
		.amdhsa_memory_ordered 1
		.amdhsa_forward_progress 0
		.amdhsa_shared_vgpr_count 0
		.amdhsa_exception_fp_ieee_invalid_op 0
		.amdhsa_exception_fp_denorm_src 0
		.amdhsa_exception_fp_ieee_div_zero 0
		.amdhsa_exception_fp_ieee_overflow 0
		.amdhsa_exception_fp_ieee_underflow 0
		.amdhsa_exception_fp_ieee_inexact 0
		.amdhsa_exception_int_div_zero 0
	.end_amdhsa_kernel
	.section	.text._ZN7rocprim17ROCPRIM_400000_NS6detail17trampoline_kernelINS0_14default_configENS1_25partition_config_selectorILNS1_17partition_subalgoE9EyjbEEZZNS1_14partition_implILS5_9ELb0ES3_jN6thrust23THRUST_200600_302600_NS6detail15normal_iteratorINS9_10device_ptrIyEEEENSB_INSC_IjEEEEPNS0_10empty_typeENS0_5tupleIJNS9_16discard_iteratorINS9_11use_defaultEEESH_EEENSJ_IJSG_SI_EEENS0_18inequality_wrapperINS9_8equal_toIyEEEEPmJSH_EEE10hipError_tPvRmT3_T4_T5_T6_T7_T9_mT8_P12ihipStream_tbDpT10_ENKUlT_T0_E_clISt17integral_constantIbLb1EES1C_IbLb0EEEEDaS18_S19_EUlS18_E_NS1_11comp_targetILNS1_3genE4ELNS1_11target_archE910ELNS1_3gpuE8ELNS1_3repE0EEENS1_30default_config_static_selectorELNS0_4arch9wavefront6targetE0EEEvT1_,"axG",@progbits,_ZN7rocprim17ROCPRIM_400000_NS6detail17trampoline_kernelINS0_14default_configENS1_25partition_config_selectorILNS1_17partition_subalgoE9EyjbEEZZNS1_14partition_implILS5_9ELb0ES3_jN6thrust23THRUST_200600_302600_NS6detail15normal_iteratorINS9_10device_ptrIyEEEENSB_INSC_IjEEEEPNS0_10empty_typeENS0_5tupleIJNS9_16discard_iteratorINS9_11use_defaultEEESH_EEENSJ_IJSG_SI_EEENS0_18inequality_wrapperINS9_8equal_toIyEEEEPmJSH_EEE10hipError_tPvRmT3_T4_T5_T6_T7_T9_mT8_P12ihipStream_tbDpT10_ENKUlT_T0_E_clISt17integral_constantIbLb1EES1C_IbLb0EEEEDaS18_S19_EUlS18_E_NS1_11comp_targetILNS1_3genE4ELNS1_11target_archE910ELNS1_3gpuE8ELNS1_3repE0EEENS1_30default_config_static_selectorELNS0_4arch9wavefront6targetE0EEEvT1_,comdat
.Lfunc_end775:
	.size	_ZN7rocprim17ROCPRIM_400000_NS6detail17trampoline_kernelINS0_14default_configENS1_25partition_config_selectorILNS1_17partition_subalgoE9EyjbEEZZNS1_14partition_implILS5_9ELb0ES3_jN6thrust23THRUST_200600_302600_NS6detail15normal_iteratorINS9_10device_ptrIyEEEENSB_INSC_IjEEEEPNS0_10empty_typeENS0_5tupleIJNS9_16discard_iteratorINS9_11use_defaultEEESH_EEENSJ_IJSG_SI_EEENS0_18inequality_wrapperINS9_8equal_toIyEEEEPmJSH_EEE10hipError_tPvRmT3_T4_T5_T6_T7_T9_mT8_P12ihipStream_tbDpT10_ENKUlT_T0_E_clISt17integral_constantIbLb1EES1C_IbLb0EEEEDaS18_S19_EUlS18_E_NS1_11comp_targetILNS1_3genE4ELNS1_11target_archE910ELNS1_3gpuE8ELNS1_3repE0EEENS1_30default_config_static_selectorELNS0_4arch9wavefront6targetE0EEEvT1_, .Lfunc_end775-_ZN7rocprim17ROCPRIM_400000_NS6detail17trampoline_kernelINS0_14default_configENS1_25partition_config_selectorILNS1_17partition_subalgoE9EyjbEEZZNS1_14partition_implILS5_9ELb0ES3_jN6thrust23THRUST_200600_302600_NS6detail15normal_iteratorINS9_10device_ptrIyEEEENSB_INSC_IjEEEEPNS0_10empty_typeENS0_5tupleIJNS9_16discard_iteratorINS9_11use_defaultEEESH_EEENSJ_IJSG_SI_EEENS0_18inequality_wrapperINS9_8equal_toIyEEEEPmJSH_EEE10hipError_tPvRmT3_T4_T5_T6_T7_T9_mT8_P12ihipStream_tbDpT10_ENKUlT_T0_E_clISt17integral_constantIbLb1EES1C_IbLb0EEEEDaS18_S19_EUlS18_E_NS1_11comp_targetILNS1_3genE4ELNS1_11target_archE910ELNS1_3gpuE8ELNS1_3repE0EEENS1_30default_config_static_selectorELNS0_4arch9wavefront6targetE0EEEvT1_
                                        ; -- End function
	.section	.AMDGPU.csdata,"",@progbits
; Kernel info:
; codeLenInByte = 0
; NumSgprs: 0
; NumVgprs: 0
; ScratchSize: 0
; MemoryBound: 0
; FloatMode: 240
; IeeeMode: 1
; LDSByteSize: 0 bytes/workgroup (compile time only)
; SGPRBlocks: 0
; VGPRBlocks: 0
; NumSGPRsForWavesPerEU: 1
; NumVGPRsForWavesPerEU: 1
; Occupancy: 15
; WaveLimiterHint : 0
; COMPUTE_PGM_RSRC2:SCRATCH_EN: 0
; COMPUTE_PGM_RSRC2:USER_SGPR: 15
; COMPUTE_PGM_RSRC2:TRAP_HANDLER: 0
; COMPUTE_PGM_RSRC2:TGID_X_EN: 1
; COMPUTE_PGM_RSRC2:TGID_Y_EN: 0
; COMPUTE_PGM_RSRC2:TGID_Z_EN: 0
; COMPUTE_PGM_RSRC2:TIDIG_COMP_CNT: 0
	.section	.text._ZN7rocprim17ROCPRIM_400000_NS6detail17trampoline_kernelINS0_14default_configENS1_25partition_config_selectorILNS1_17partition_subalgoE9EyjbEEZZNS1_14partition_implILS5_9ELb0ES3_jN6thrust23THRUST_200600_302600_NS6detail15normal_iteratorINS9_10device_ptrIyEEEENSB_INSC_IjEEEEPNS0_10empty_typeENS0_5tupleIJNS9_16discard_iteratorINS9_11use_defaultEEESH_EEENSJ_IJSG_SI_EEENS0_18inequality_wrapperINS9_8equal_toIyEEEEPmJSH_EEE10hipError_tPvRmT3_T4_T5_T6_T7_T9_mT8_P12ihipStream_tbDpT10_ENKUlT_T0_E_clISt17integral_constantIbLb1EES1C_IbLb0EEEEDaS18_S19_EUlS18_E_NS1_11comp_targetILNS1_3genE3ELNS1_11target_archE908ELNS1_3gpuE7ELNS1_3repE0EEENS1_30default_config_static_selectorELNS0_4arch9wavefront6targetE0EEEvT1_,"axG",@progbits,_ZN7rocprim17ROCPRIM_400000_NS6detail17trampoline_kernelINS0_14default_configENS1_25partition_config_selectorILNS1_17partition_subalgoE9EyjbEEZZNS1_14partition_implILS5_9ELb0ES3_jN6thrust23THRUST_200600_302600_NS6detail15normal_iteratorINS9_10device_ptrIyEEEENSB_INSC_IjEEEEPNS0_10empty_typeENS0_5tupleIJNS9_16discard_iteratorINS9_11use_defaultEEESH_EEENSJ_IJSG_SI_EEENS0_18inequality_wrapperINS9_8equal_toIyEEEEPmJSH_EEE10hipError_tPvRmT3_T4_T5_T6_T7_T9_mT8_P12ihipStream_tbDpT10_ENKUlT_T0_E_clISt17integral_constantIbLb1EES1C_IbLb0EEEEDaS18_S19_EUlS18_E_NS1_11comp_targetILNS1_3genE3ELNS1_11target_archE908ELNS1_3gpuE7ELNS1_3repE0EEENS1_30default_config_static_selectorELNS0_4arch9wavefront6targetE0EEEvT1_,comdat
	.protected	_ZN7rocprim17ROCPRIM_400000_NS6detail17trampoline_kernelINS0_14default_configENS1_25partition_config_selectorILNS1_17partition_subalgoE9EyjbEEZZNS1_14partition_implILS5_9ELb0ES3_jN6thrust23THRUST_200600_302600_NS6detail15normal_iteratorINS9_10device_ptrIyEEEENSB_INSC_IjEEEEPNS0_10empty_typeENS0_5tupleIJNS9_16discard_iteratorINS9_11use_defaultEEESH_EEENSJ_IJSG_SI_EEENS0_18inequality_wrapperINS9_8equal_toIyEEEEPmJSH_EEE10hipError_tPvRmT3_T4_T5_T6_T7_T9_mT8_P12ihipStream_tbDpT10_ENKUlT_T0_E_clISt17integral_constantIbLb1EES1C_IbLb0EEEEDaS18_S19_EUlS18_E_NS1_11comp_targetILNS1_3genE3ELNS1_11target_archE908ELNS1_3gpuE7ELNS1_3repE0EEENS1_30default_config_static_selectorELNS0_4arch9wavefront6targetE0EEEvT1_ ; -- Begin function _ZN7rocprim17ROCPRIM_400000_NS6detail17trampoline_kernelINS0_14default_configENS1_25partition_config_selectorILNS1_17partition_subalgoE9EyjbEEZZNS1_14partition_implILS5_9ELb0ES3_jN6thrust23THRUST_200600_302600_NS6detail15normal_iteratorINS9_10device_ptrIyEEEENSB_INSC_IjEEEEPNS0_10empty_typeENS0_5tupleIJNS9_16discard_iteratorINS9_11use_defaultEEESH_EEENSJ_IJSG_SI_EEENS0_18inequality_wrapperINS9_8equal_toIyEEEEPmJSH_EEE10hipError_tPvRmT3_T4_T5_T6_T7_T9_mT8_P12ihipStream_tbDpT10_ENKUlT_T0_E_clISt17integral_constantIbLb1EES1C_IbLb0EEEEDaS18_S19_EUlS18_E_NS1_11comp_targetILNS1_3genE3ELNS1_11target_archE908ELNS1_3gpuE7ELNS1_3repE0EEENS1_30default_config_static_selectorELNS0_4arch9wavefront6targetE0EEEvT1_
	.globl	_ZN7rocprim17ROCPRIM_400000_NS6detail17trampoline_kernelINS0_14default_configENS1_25partition_config_selectorILNS1_17partition_subalgoE9EyjbEEZZNS1_14partition_implILS5_9ELb0ES3_jN6thrust23THRUST_200600_302600_NS6detail15normal_iteratorINS9_10device_ptrIyEEEENSB_INSC_IjEEEEPNS0_10empty_typeENS0_5tupleIJNS9_16discard_iteratorINS9_11use_defaultEEESH_EEENSJ_IJSG_SI_EEENS0_18inequality_wrapperINS9_8equal_toIyEEEEPmJSH_EEE10hipError_tPvRmT3_T4_T5_T6_T7_T9_mT8_P12ihipStream_tbDpT10_ENKUlT_T0_E_clISt17integral_constantIbLb1EES1C_IbLb0EEEEDaS18_S19_EUlS18_E_NS1_11comp_targetILNS1_3genE3ELNS1_11target_archE908ELNS1_3gpuE7ELNS1_3repE0EEENS1_30default_config_static_selectorELNS0_4arch9wavefront6targetE0EEEvT1_
	.p2align	8
	.type	_ZN7rocprim17ROCPRIM_400000_NS6detail17trampoline_kernelINS0_14default_configENS1_25partition_config_selectorILNS1_17partition_subalgoE9EyjbEEZZNS1_14partition_implILS5_9ELb0ES3_jN6thrust23THRUST_200600_302600_NS6detail15normal_iteratorINS9_10device_ptrIyEEEENSB_INSC_IjEEEEPNS0_10empty_typeENS0_5tupleIJNS9_16discard_iteratorINS9_11use_defaultEEESH_EEENSJ_IJSG_SI_EEENS0_18inequality_wrapperINS9_8equal_toIyEEEEPmJSH_EEE10hipError_tPvRmT3_T4_T5_T6_T7_T9_mT8_P12ihipStream_tbDpT10_ENKUlT_T0_E_clISt17integral_constantIbLb1EES1C_IbLb0EEEEDaS18_S19_EUlS18_E_NS1_11comp_targetILNS1_3genE3ELNS1_11target_archE908ELNS1_3gpuE7ELNS1_3repE0EEENS1_30default_config_static_selectorELNS0_4arch9wavefront6targetE0EEEvT1_,@function
_ZN7rocprim17ROCPRIM_400000_NS6detail17trampoline_kernelINS0_14default_configENS1_25partition_config_selectorILNS1_17partition_subalgoE9EyjbEEZZNS1_14partition_implILS5_9ELb0ES3_jN6thrust23THRUST_200600_302600_NS6detail15normal_iteratorINS9_10device_ptrIyEEEENSB_INSC_IjEEEEPNS0_10empty_typeENS0_5tupleIJNS9_16discard_iteratorINS9_11use_defaultEEESH_EEENSJ_IJSG_SI_EEENS0_18inequality_wrapperINS9_8equal_toIyEEEEPmJSH_EEE10hipError_tPvRmT3_T4_T5_T6_T7_T9_mT8_P12ihipStream_tbDpT10_ENKUlT_T0_E_clISt17integral_constantIbLb1EES1C_IbLb0EEEEDaS18_S19_EUlS18_E_NS1_11comp_targetILNS1_3genE3ELNS1_11target_archE908ELNS1_3gpuE7ELNS1_3repE0EEENS1_30default_config_static_selectorELNS0_4arch9wavefront6targetE0EEEvT1_: ; @_ZN7rocprim17ROCPRIM_400000_NS6detail17trampoline_kernelINS0_14default_configENS1_25partition_config_selectorILNS1_17partition_subalgoE9EyjbEEZZNS1_14partition_implILS5_9ELb0ES3_jN6thrust23THRUST_200600_302600_NS6detail15normal_iteratorINS9_10device_ptrIyEEEENSB_INSC_IjEEEEPNS0_10empty_typeENS0_5tupleIJNS9_16discard_iteratorINS9_11use_defaultEEESH_EEENSJ_IJSG_SI_EEENS0_18inequality_wrapperINS9_8equal_toIyEEEEPmJSH_EEE10hipError_tPvRmT3_T4_T5_T6_T7_T9_mT8_P12ihipStream_tbDpT10_ENKUlT_T0_E_clISt17integral_constantIbLb1EES1C_IbLb0EEEEDaS18_S19_EUlS18_E_NS1_11comp_targetILNS1_3genE3ELNS1_11target_archE908ELNS1_3gpuE7ELNS1_3repE0EEENS1_30default_config_static_selectorELNS0_4arch9wavefront6targetE0EEEvT1_
; %bb.0:
	.section	.rodata,"a",@progbits
	.p2align	6, 0x0
	.amdhsa_kernel _ZN7rocprim17ROCPRIM_400000_NS6detail17trampoline_kernelINS0_14default_configENS1_25partition_config_selectorILNS1_17partition_subalgoE9EyjbEEZZNS1_14partition_implILS5_9ELb0ES3_jN6thrust23THRUST_200600_302600_NS6detail15normal_iteratorINS9_10device_ptrIyEEEENSB_INSC_IjEEEEPNS0_10empty_typeENS0_5tupleIJNS9_16discard_iteratorINS9_11use_defaultEEESH_EEENSJ_IJSG_SI_EEENS0_18inequality_wrapperINS9_8equal_toIyEEEEPmJSH_EEE10hipError_tPvRmT3_T4_T5_T6_T7_T9_mT8_P12ihipStream_tbDpT10_ENKUlT_T0_E_clISt17integral_constantIbLb1EES1C_IbLb0EEEEDaS18_S19_EUlS18_E_NS1_11comp_targetILNS1_3genE3ELNS1_11target_archE908ELNS1_3gpuE7ELNS1_3repE0EEENS1_30default_config_static_selectorELNS0_4arch9wavefront6targetE0EEEvT1_
		.amdhsa_group_segment_fixed_size 0
		.amdhsa_private_segment_fixed_size 0
		.amdhsa_kernarg_size 120
		.amdhsa_user_sgpr_count 15
		.amdhsa_user_sgpr_dispatch_ptr 0
		.amdhsa_user_sgpr_queue_ptr 0
		.amdhsa_user_sgpr_kernarg_segment_ptr 1
		.amdhsa_user_sgpr_dispatch_id 0
		.amdhsa_user_sgpr_private_segment_size 0
		.amdhsa_wavefront_size32 1
		.amdhsa_uses_dynamic_stack 0
		.amdhsa_enable_private_segment 0
		.amdhsa_system_sgpr_workgroup_id_x 1
		.amdhsa_system_sgpr_workgroup_id_y 0
		.amdhsa_system_sgpr_workgroup_id_z 0
		.amdhsa_system_sgpr_workgroup_info 0
		.amdhsa_system_vgpr_workitem_id 0
		.amdhsa_next_free_vgpr 1
		.amdhsa_next_free_sgpr 1
		.amdhsa_reserve_vcc 0
		.amdhsa_float_round_mode_32 0
		.amdhsa_float_round_mode_16_64 0
		.amdhsa_float_denorm_mode_32 3
		.amdhsa_float_denorm_mode_16_64 3
		.amdhsa_dx10_clamp 1
		.amdhsa_ieee_mode 1
		.amdhsa_fp16_overflow 0
		.amdhsa_workgroup_processor_mode 1
		.amdhsa_memory_ordered 1
		.amdhsa_forward_progress 0
		.amdhsa_shared_vgpr_count 0
		.amdhsa_exception_fp_ieee_invalid_op 0
		.amdhsa_exception_fp_denorm_src 0
		.amdhsa_exception_fp_ieee_div_zero 0
		.amdhsa_exception_fp_ieee_overflow 0
		.amdhsa_exception_fp_ieee_underflow 0
		.amdhsa_exception_fp_ieee_inexact 0
		.amdhsa_exception_int_div_zero 0
	.end_amdhsa_kernel
	.section	.text._ZN7rocprim17ROCPRIM_400000_NS6detail17trampoline_kernelINS0_14default_configENS1_25partition_config_selectorILNS1_17partition_subalgoE9EyjbEEZZNS1_14partition_implILS5_9ELb0ES3_jN6thrust23THRUST_200600_302600_NS6detail15normal_iteratorINS9_10device_ptrIyEEEENSB_INSC_IjEEEEPNS0_10empty_typeENS0_5tupleIJNS9_16discard_iteratorINS9_11use_defaultEEESH_EEENSJ_IJSG_SI_EEENS0_18inequality_wrapperINS9_8equal_toIyEEEEPmJSH_EEE10hipError_tPvRmT3_T4_T5_T6_T7_T9_mT8_P12ihipStream_tbDpT10_ENKUlT_T0_E_clISt17integral_constantIbLb1EES1C_IbLb0EEEEDaS18_S19_EUlS18_E_NS1_11comp_targetILNS1_3genE3ELNS1_11target_archE908ELNS1_3gpuE7ELNS1_3repE0EEENS1_30default_config_static_selectorELNS0_4arch9wavefront6targetE0EEEvT1_,"axG",@progbits,_ZN7rocprim17ROCPRIM_400000_NS6detail17trampoline_kernelINS0_14default_configENS1_25partition_config_selectorILNS1_17partition_subalgoE9EyjbEEZZNS1_14partition_implILS5_9ELb0ES3_jN6thrust23THRUST_200600_302600_NS6detail15normal_iteratorINS9_10device_ptrIyEEEENSB_INSC_IjEEEEPNS0_10empty_typeENS0_5tupleIJNS9_16discard_iteratorINS9_11use_defaultEEESH_EEENSJ_IJSG_SI_EEENS0_18inequality_wrapperINS9_8equal_toIyEEEEPmJSH_EEE10hipError_tPvRmT3_T4_T5_T6_T7_T9_mT8_P12ihipStream_tbDpT10_ENKUlT_T0_E_clISt17integral_constantIbLb1EES1C_IbLb0EEEEDaS18_S19_EUlS18_E_NS1_11comp_targetILNS1_3genE3ELNS1_11target_archE908ELNS1_3gpuE7ELNS1_3repE0EEENS1_30default_config_static_selectorELNS0_4arch9wavefront6targetE0EEEvT1_,comdat
.Lfunc_end776:
	.size	_ZN7rocprim17ROCPRIM_400000_NS6detail17trampoline_kernelINS0_14default_configENS1_25partition_config_selectorILNS1_17partition_subalgoE9EyjbEEZZNS1_14partition_implILS5_9ELb0ES3_jN6thrust23THRUST_200600_302600_NS6detail15normal_iteratorINS9_10device_ptrIyEEEENSB_INSC_IjEEEEPNS0_10empty_typeENS0_5tupleIJNS9_16discard_iteratorINS9_11use_defaultEEESH_EEENSJ_IJSG_SI_EEENS0_18inequality_wrapperINS9_8equal_toIyEEEEPmJSH_EEE10hipError_tPvRmT3_T4_T5_T6_T7_T9_mT8_P12ihipStream_tbDpT10_ENKUlT_T0_E_clISt17integral_constantIbLb1EES1C_IbLb0EEEEDaS18_S19_EUlS18_E_NS1_11comp_targetILNS1_3genE3ELNS1_11target_archE908ELNS1_3gpuE7ELNS1_3repE0EEENS1_30default_config_static_selectorELNS0_4arch9wavefront6targetE0EEEvT1_, .Lfunc_end776-_ZN7rocprim17ROCPRIM_400000_NS6detail17trampoline_kernelINS0_14default_configENS1_25partition_config_selectorILNS1_17partition_subalgoE9EyjbEEZZNS1_14partition_implILS5_9ELb0ES3_jN6thrust23THRUST_200600_302600_NS6detail15normal_iteratorINS9_10device_ptrIyEEEENSB_INSC_IjEEEEPNS0_10empty_typeENS0_5tupleIJNS9_16discard_iteratorINS9_11use_defaultEEESH_EEENSJ_IJSG_SI_EEENS0_18inequality_wrapperINS9_8equal_toIyEEEEPmJSH_EEE10hipError_tPvRmT3_T4_T5_T6_T7_T9_mT8_P12ihipStream_tbDpT10_ENKUlT_T0_E_clISt17integral_constantIbLb1EES1C_IbLb0EEEEDaS18_S19_EUlS18_E_NS1_11comp_targetILNS1_3genE3ELNS1_11target_archE908ELNS1_3gpuE7ELNS1_3repE0EEENS1_30default_config_static_selectorELNS0_4arch9wavefront6targetE0EEEvT1_
                                        ; -- End function
	.section	.AMDGPU.csdata,"",@progbits
; Kernel info:
; codeLenInByte = 0
; NumSgprs: 0
; NumVgprs: 0
; ScratchSize: 0
; MemoryBound: 0
; FloatMode: 240
; IeeeMode: 1
; LDSByteSize: 0 bytes/workgroup (compile time only)
; SGPRBlocks: 0
; VGPRBlocks: 0
; NumSGPRsForWavesPerEU: 1
; NumVGPRsForWavesPerEU: 1
; Occupancy: 16
; WaveLimiterHint : 0
; COMPUTE_PGM_RSRC2:SCRATCH_EN: 0
; COMPUTE_PGM_RSRC2:USER_SGPR: 15
; COMPUTE_PGM_RSRC2:TRAP_HANDLER: 0
; COMPUTE_PGM_RSRC2:TGID_X_EN: 1
; COMPUTE_PGM_RSRC2:TGID_Y_EN: 0
; COMPUTE_PGM_RSRC2:TGID_Z_EN: 0
; COMPUTE_PGM_RSRC2:TIDIG_COMP_CNT: 0
	.section	.text._ZN7rocprim17ROCPRIM_400000_NS6detail17trampoline_kernelINS0_14default_configENS1_25partition_config_selectorILNS1_17partition_subalgoE9EyjbEEZZNS1_14partition_implILS5_9ELb0ES3_jN6thrust23THRUST_200600_302600_NS6detail15normal_iteratorINS9_10device_ptrIyEEEENSB_INSC_IjEEEEPNS0_10empty_typeENS0_5tupleIJNS9_16discard_iteratorINS9_11use_defaultEEESH_EEENSJ_IJSG_SI_EEENS0_18inequality_wrapperINS9_8equal_toIyEEEEPmJSH_EEE10hipError_tPvRmT3_T4_T5_T6_T7_T9_mT8_P12ihipStream_tbDpT10_ENKUlT_T0_E_clISt17integral_constantIbLb1EES1C_IbLb0EEEEDaS18_S19_EUlS18_E_NS1_11comp_targetILNS1_3genE2ELNS1_11target_archE906ELNS1_3gpuE6ELNS1_3repE0EEENS1_30default_config_static_selectorELNS0_4arch9wavefront6targetE0EEEvT1_,"axG",@progbits,_ZN7rocprim17ROCPRIM_400000_NS6detail17trampoline_kernelINS0_14default_configENS1_25partition_config_selectorILNS1_17partition_subalgoE9EyjbEEZZNS1_14partition_implILS5_9ELb0ES3_jN6thrust23THRUST_200600_302600_NS6detail15normal_iteratorINS9_10device_ptrIyEEEENSB_INSC_IjEEEEPNS0_10empty_typeENS0_5tupleIJNS9_16discard_iteratorINS9_11use_defaultEEESH_EEENSJ_IJSG_SI_EEENS0_18inequality_wrapperINS9_8equal_toIyEEEEPmJSH_EEE10hipError_tPvRmT3_T4_T5_T6_T7_T9_mT8_P12ihipStream_tbDpT10_ENKUlT_T0_E_clISt17integral_constantIbLb1EES1C_IbLb0EEEEDaS18_S19_EUlS18_E_NS1_11comp_targetILNS1_3genE2ELNS1_11target_archE906ELNS1_3gpuE6ELNS1_3repE0EEENS1_30default_config_static_selectorELNS0_4arch9wavefront6targetE0EEEvT1_,comdat
	.protected	_ZN7rocprim17ROCPRIM_400000_NS6detail17trampoline_kernelINS0_14default_configENS1_25partition_config_selectorILNS1_17partition_subalgoE9EyjbEEZZNS1_14partition_implILS5_9ELb0ES3_jN6thrust23THRUST_200600_302600_NS6detail15normal_iteratorINS9_10device_ptrIyEEEENSB_INSC_IjEEEEPNS0_10empty_typeENS0_5tupleIJNS9_16discard_iteratorINS9_11use_defaultEEESH_EEENSJ_IJSG_SI_EEENS0_18inequality_wrapperINS9_8equal_toIyEEEEPmJSH_EEE10hipError_tPvRmT3_T4_T5_T6_T7_T9_mT8_P12ihipStream_tbDpT10_ENKUlT_T0_E_clISt17integral_constantIbLb1EES1C_IbLb0EEEEDaS18_S19_EUlS18_E_NS1_11comp_targetILNS1_3genE2ELNS1_11target_archE906ELNS1_3gpuE6ELNS1_3repE0EEENS1_30default_config_static_selectorELNS0_4arch9wavefront6targetE0EEEvT1_ ; -- Begin function _ZN7rocprim17ROCPRIM_400000_NS6detail17trampoline_kernelINS0_14default_configENS1_25partition_config_selectorILNS1_17partition_subalgoE9EyjbEEZZNS1_14partition_implILS5_9ELb0ES3_jN6thrust23THRUST_200600_302600_NS6detail15normal_iteratorINS9_10device_ptrIyEEEENSB_INSC_IjEEEEPNS0_10empty_typeENS0_5tupleIJNS9_16discard_iteratorINS9_11use_defaultEEESH_EEENSJ_IJSG_SI_EEENS0_18inequality_wrapperINS9_8equal_toIyEEEEPmJSH_EEE10hipError_tPvRmT3_T4_T5_T6_T7_T9_mT8_P12ihipStream_tbDpT10_ENKUlT_T0_E_clISt17integral_constantIbLb1EES1C_IbLb0EEEEDaS18_S19_EUlS18_E_NS1_11comp_targetILNS1_3genE2ELNS1_11target_archE906ELNS1_3gpuE6ELNS1_3repE0EEENS1_30default_config_static_selectorELNS0_4arch9wavefront6targetE0EEEvT1_
	.globl	_ZN7rocprim17ROCPRIM_400000_NS6detail17trampoline_kernelINS0_14default_configENS1_25partition_config_selectorILNS1_17partition_subalgoE9EyjbEEZZNS1_14partition_implILS5_9ELb0ES3_jN6thrust23THRUST_200600_302600_NS6detail15normal_iteratorINS9_10device_ptrIyEEEENSB_INSC_IjEEEEPNS0_10empty_typeENS0_5tupleIJNS9_16discard_iteratorINS9_11use_defaultEEESH_EEENSJ_IJSG_SI_EEENS0_18inequality_wrapperINS9_8equal_toIyEEEEPmJSH_EEE10hipError_tPvRmT3_T4_T5_T6_T7_T9_mT8_P12ihipStream_tbDpT10_ENKUlT_T0_E_clISt17integral_constantIbLb1EES1C_IbLb0EEEEDaS18_S19_EUlS18_E_NS1_11comp_targetILNS1_3genE2ELNS1_11target_archE906ELNS1_3gpuE6ELNS1_3repE0EEENS1_30default_config_static_selectorELNS0_4arch9wavefront6targetE0EEEvT1_
	.p2align	8
	.type	_ZN7rocprim17ROCPRIM_400000_NS6detail17trampoline_kernelINS0_14default_configENS1_25partition_config_selectorILNS1_17partition_subalgoE9EyjbEEZZNS1_14partition_implILS5_9ELb0ES3_jN6thrust23THRUST_200600_302600_NS6detail15normal_iteratorINS9_10device_ptrIyEEEENSB_INSC_IjEEEEPNS0_10empty_typeENS0_5tupleIJNS9_16discard_iteratorINS9_11use_defaultEEESH_EEENSJ_IJSG_SI_EEENS0_18inequality_wrapperINS9_8equal_toIyEEEEPmJSH_EEE10hipError_tPvRmT3_T4_T5_T6_T7_T9_mT8_P12ihipStream_tbDpT10_ENKUlT_T0_E_clISt17integral_constantIbLb1EES1C_IbLb0EEEEDaS18_S19_EUlS18_E_NS1_11comp_targetILNS1_3genE2ELNS1_11target_archE906ELNS1_3gpuE6ELNS1_3repE0EEENS1_30default_config_static_selectorELNS0_4arch9wavefront6targetE0EEEvT1_,@function
_ZN7rocprim17ROCPRIM_400000_NS6detail17trampoline_kernelINS0_14default_configENS1_25partition_config_selectorILNS1_17partition_subalgoE9EyjbEEZZNS1_14partition_implILS5_9ELb0ES3_jN6thrust23THRUST_200600_302600_NS6detail15normal_iteratorINS9_10device_ptrIyEEEENSB_INSC_IjEEEEPNS0_10empty_typeENS0_5tupleIJNS9_16discard_iteratorINS9_11use_defaultEEESH_EEENSJ_IJSG_SI_EEENS0_18inequality_wrapperINS9_8equal_toIyEEEEPmJSH_EEE10hipError_tPvRmT3_T4_T5_T6_T7_T9_mT8_P12ihipStream_tbDpT10_ENKUlT_T0_E_clISt17integral_constantIbLb1EES1C_IbLb0EEEEDaS18_S19_EUlS18_E_NS1_11comp_targetILNS1_3genE2ELNS1_11target_archE906ELNS1_3gpuE6ELNS1_3repE0EEENS1_30default_config_static_selectorELNS0_4arch9wavefront6targetE0EEEvT1_: ; @_ZN7rocprim17ROCPRIM_400000_NS6detail17trampoline_kernelINS0_14default_configENS1_25partition_config_selectorILNS1_17partition_subalgoE9EyjbEEZZNS1_14partition_implILS5_9ELb0ES3_jN6thrust23THRUST_200600_302600_NS6detail15normal_iteratorINS9_10device_ptrIyEEEENSB_INSC_IjEEEEPNS0_10empty_typeENS0_5tupleIJNS9_16discard_iteratorINS9_11use_defaultEEESH_EEENSJ_IJSG_SI_EEENS0_18inequality_wrapperINS9_8equal_toIyEEEEPmJSH_EEE10hipError_tPvRmT3_T4_T5_T6_T7_T9_mT8_P12ihipStream_tbDpT10_ENKUlT_T0_E_clISt17integral_constantIbLb1EES1C_IbLb0EEEEDaS18_S19_EUlS18_E_NS1_11comp_targetILNS1_3genE2ELNS1_11target_archE906ELNS1_3gpuE6ELNS1_3repE0EEENS1_30default_config_static_selectorELNS0_4arch9wavefront6targetE0EEEvT1_
; %bb.0:
	.section	.rodata,"a",@progbits
	.p2align	6, 0x0
	.amdhsa_kernel _ZN7rocprim17ROCPRIM_400000_NS6detail17trampoline_kernelINS0_14default_configENS1_25partition_config_selectorILNS1_17partition_subalgoE9EyjbEEZZNS1_14partition_implILS5_9ELb0ES3_jN6thrust23THRUST_200600_302600_NS6detail15normal_iteratorINS9_10device_ptrIyEEEENSB_INSC_IjEEEEPNS0_10empty_typeENS0_5tupleIJNS9_16discard_iteratorINS9_11use_defaultEEESH_EEENSJ_IJSG_SI_EEENS0_18inequality_wrapperINS9_8equal_toIyEEEEPmJSH_EEE10hipError_tPvRmT3_T4_T5_T6_T7_T9_mT8_P12ihipStream_tbDpT10_ENKUlT_T0_E_clISt17integral_constantIbLb1EES1C_IbLb0EEEEDaS18_S19_EUlS18_E_NS1_11comp_targetILNS1_3genE2ELNS1_11target_archE906ELNS1_3gpuE6ELNS1_3repE0EEENS1_30default_config_static_selectorELNS0_4arch9wavefront6targetE0EEEvT1_
		.amdhsa_group_segment_fixed_size 0
		.amdhsa_private_segment_fixed_size 0
		.amdhsa_kernarg_size 120
		.amdhsa_user_sgpr_count 15
		.amdhsa_user_sgpr_dispatch_ptr 0
		.amdhsa_user_sgpr_queue_ptr 0
		.amdhsa_user_sgpr_kernarg_segment_ptr 1
		.amdhsa_user_sgpr_dispatch_id 0
		.amdhsa_user_sgpr_private_segment_size 0
		.amdhsa_wavefront_size32 1
		.amdhsa_uses_dynamic_stack 0
		.amdhsa_enable_private_segment 0
		.amdhsa_system_sgpr_workgroup_id_x 1
		.amdhsa_system_sgpr_workgroup_id_y 0
		.amdhsa_system_sgpr_workgroup_id_z 0
		.amdhsa_system_sgpr_workgroup_info 0
		.amdhsa_system_vgpr_workitem_id 0
		.amdhsa_next_free_vgpr 1
		.amdhsa_next_free_sgpr 1
		.amdhsa_reserve_vcc 0
		.amdhsa_float_round_mode_32 0
		.amdhsa_float_round_mode_16_64 0
		.amdhsa_float_denorm_mode_32 3
		.amdhsa_float_denorm_mode_16_64 3
		.amdhsa_dx10_clamp 1
		.amdhsa_ieee_mode 1
		.amdhsa_fp16_overflow 0
		.amdhsa_workgroup_processor_mode 1
		.amdhsa_memory_ordered 1
		.amdhsa_forward_progress 0
		.amdhsa_shared_vgpr_count 0
		.amdhsa_exception_fp_ieee_invalid_op 0
		.amdhsa_exception_fp_denorm_src 0
		.amdhsa_exception_fp_ieee_div_zero 0
		.amdhsa_exception_fp_ieee_overflow 0
		.amdhsa_exception_fp_ieee_underflow 0
		.amdhsa_exception_fp_ieee_inexact 0
		.amdhsa_exception_int_div_zero 0
	.end_amdhsa_kernel
	.section	.text._ZN7rocprim17ROCPRIM_400000_NS6detail17trampoline_kernelINS0_14default_configENS1_25partition_config_selectorILNS1_17partition_subalgoE9EyjbEEZZNS1_14partition_implILS5_9ELb0ES3_jN6thrust23THRUST_200600_302600_NS6detail15normal_iteratorINS9_10device_ptrIyEEEENSB_INSC_IjEEEEPNS0_10empty_typeENS0_5tupleIJNS9_16discard_iteratorINS9_11use_defaultEEESH_EEENSJ_IJSG_SI_EEENS0_18inequality_wrapperINS9_8equal_toIyEEEEPmJSH_EEE10hipError_tPvRmT3_T4_T5_T6_T7_T9_mT8_P12ihipStream_tbDpT10_ENKUlT_T0_E_clISt17integral_constantIbLb1EES1C_IbLb0EEEEDaS18_S19_EUlS18_E_NS1_11comp_targetILNS1_3genE2ELNS1_11target_archE906ELNS1_3gpuE6ELNS1_3repE0EEENS1_30default_config_static_selectorELNS0_4arch9wavefront6targetE0EEEvT1_,"axG",@progbits,_ZN7rocprim17ROCPRIM_400000_NS6detail17trampoline_kernelINS0_14default_configENS1_25partition_config_selectorILNS1_17partition_subalgoE9EyjbEEZZNS1_14partition_implILS5_9ELb0ES3_jN6thrust23THRUST_200600_302600_NS6detail15normal_iteratorINS9_10device_ptrIyEEEENSB_INSC_IjEEEEPNS0_10empty_typeENS0_5tupleIJNS9_16discard_iteratorINS9_11use_defaultEEESH_EEENSJ_IJSG_SI_EEENS0_18inequality_wrapperINS9_8equal_toIyEEEEPmJSH_EEE10hipError_tPvRmT3_T4_T5_T6_T7_T9_mT8_P12ihipStream_tbDpT10_ENKUlT_T0_E_clISt17integral_constantIbLb1EES1C_IbLb0EEEEDaS18_S19_EUlS18_E_NS1_11comp_targetILNS1_3genE2ELNS1_11target_archE906ELNS1_3gpuE6ELNS1_3repE0EEENS1_30default_config_static_selectorELNS0_4arch9wavefront6targetE0EEEvT1_,comdat
.Lfunc_end777:
	.size	_ZN7rocprim17ROCPRIM_400000_NS6detail17trampoline_kernelINS0_14default_configENS1_25partition_config_selectorILNS1_17partition_subalgoE9EyjbEEZZNS1_14partition_implILS5_9ELb0ES3_jN6thrust23THRUST_200600_302600_NS6detail15normal_iteratorINS9_10device_ptrIyEEEENSB_INSC_IjEEEEPNS0_10empty_typeENS0_5tupleIJNS9_16discard_iteratorINS9_11use_defaultEEESH_EEENSJ_IJSG_SI_EEENS0_18inequality_wrapperINS9_8equal_toIyEEEEPmJSH_EEE10hipError_tPvRmT3_T4_T5_T6_T7_T9_mT8_P12ihipStream_tbDpT10_ENKUlT_T0_E_clISt17integral_constantIbLb1EES1C_IbLb0EEEEDaS18_S19_EUlS18_E_NS1_11comp_targetILNS1_3genE2ELNS1_11target_archE906ELNS1_3gpuE6ELNS1_3repE0EEENS1_30default_config_static_selectorELNS0_4arch9wavefront6targetE0EEEvT1_, .Lfunc_end777-_ZN7rocprim17ROCPRIM_400000_NS6detail17trampoline_kernelINS0_14default_configENS1_25partition_config_selectorILNS1_17partition_subalgoE9EyjbEEZZNS1_14partition_implILS5_9ELb0ES3_jN6thrust23THRUST_200600_302600_NS6detail15normal_iteratorINS9_10device_ptrIyEEEENSB_INSC_IjEEEEPNS0_10empty_typeENS0_5tupleIJNS9_16discard_iteratorINS9_11use_defaultEEESH_EEENSJ_IJSG_SI_EEENS0_18inequality_wrapperINS9_8equal_toIyEEEEPmJSH_EEE10hipError_tPvRmT3_T4_T5_T6_T7_T9_mT8_P12ihipStream_tbDpT10_ENKUlT_T0_E_clISt17integral_constantIbLb1EES1C_IbLb0EEEEDaS18_S19_EUlS18_E_NS1_11comp_targetILNS1_3genE2ELNS1_11target_archE906ELNS1_3gpuE6ELNS1_3repE0EEENS1_30default_config_static_selectorELNS0_4arch9wavefront6targetE0EEEvT1_
                                        ; -- End function
	.section	.AMDGPU.csdata,"",@progbits
; Kernel info:
; codeLenInByte = 0
; NumSgprs: 0
; NumVgprs: 0
; ScratchSize: 0
; MemoryBound: 0
; FloatMode: 240
; IeeeMode: 1
; LDSByteSize: 0 bytes/workgroup (compile time only)
; SGPRBlocks: 0
; VGPRBlocks: 0
; NumSGPRsForWavesPerEU: 1
; NumVGPRsForWavesPerEU: 1
; Occupancy: 16
; WaveLimiterHint : 0
; COMPUTE_PGM_RSRC2:SCRATCH_EN: 0
; COMPUTE_PGM_RSRC2:USER_SGPR: 15
; COMPUTE_PGM_RSRC2:TRAP_HANDLER: 0
; COMPUTE_PGM_RSRC2:TGID_X_EN: 1
; COMPUTE_PGM_RSRC2:TGID_Y_EN: 0
; COMPUTE_PGM_RSRC2:TGID_Z_EN: 0
; COMPUTE_PGM_RSRC2:TIDIG_COMP_CNT: 0
	.section	.text._ZN7rocprim17ROCPRIM_400000_NS6detail17trampoline_kernelINS0_14default_configENS1_25partition_config_selectorILNS1_17partition_subalgoE9EyjbEEZZNS1_14partition_implILS5_9ELb0ES3_jN6thrust23THRUST_200600_302600_NS6detail15normal_iteratorINS9_10device_ptrIyEEEENSB_INSC_IjEEEEPNS0_10empty_typeENS0_5tupleIJNS9_16discard_iteratorINS9_11use_defaultEEESH_EEENSJ_IJSG_SI_EEENS0_18inequality_wrapperINS9_8equal_toIyEEEEPmJSH_EEE10hipError_tPvRmT3_T4_T5_T6_T7_T9_mT8_P12ihipStream_tbDpT10_ENKUlT_T0_E_clISt17integral_constantIbLb1EES1C_IbLb0EEEEDaS18_S19_EUlS18_E_NS1_11comp_targetILNS1_3genE10ELNS1_11target_archE1200ELNS1_3gpuE4ELNS1_3repE0EEENS1_30default_config_static_selectorELNS0_4arch9wavefront6targetE0EEEvT1_,"axG",@progbits,_ZN7rocprim17ROCPRIM_400000_NS6detail17trampoline_kernelINS0_14default_configENS1_25partition_config_selectorILNS1_17partition_subalgoE9EyjbEEZZNS1_14partition_implILS5_9ELb0ES3_jN6thrust23THRUST_200600_302600_NS6detail15normal_iteratorINS9_10device_ptrIyEEEENSB_INSC_IjEEEEPNS0_10empty_typeENS0_5tupleIJNS9_16discard_iteratorINS9_11use_defaultEEESH_EEENSJ_IJSG_SI_EEENS0_18inequality_wrapperINS9_8equal_toIyEEEEPmJSH_EEE10hipError_tPvRmT3_T4_T5_T6_T7_T9_mT8_P12ihipStream_tbDpT10_ENKUlT_T0_E_clISt17integral_constantIbLb1EES1C_IbLb0EEEEDaS18_S19_EUlS18_E_NS1_11comp_targetILNS1_3genE10ELNS1_11target_archE1200ELNS1_3gpuE4ELNS1_3repE0EEENS1_30default_config_static_selectorELNS0_4arch9wavefront6targetE0EEEvT1_,comdat
	.protected	_ZN7rocprim17ROCPRIM_400000_NS6detail17trampoline_kernelINS0_14default_configENS1_25partition_config_selectorILNS1_17partition_subalgoE9EyjbEEZZNS1_14partition_implILS5_9ELb0ES3_jN6thrust23THRUST_200600_302600_NS6detail15normal_iteratorINS9_10device_ptrIyEEEENSB_INSC_IjEEEEPNS0_10empty_typeENS0_5tupleIJNS9_16discard_iteratorINS9_11use_defaultEEESH_EEENSJ_IJSG_SI_EEENS0_18inequality_wrapperINS9_8equal_toIyEEEEPmJSH_EEE10hipError_tPvRmT3_T4_T5_T6_T7_T9_mT8_P12ihipStream_tbDpT10_ENKUlT_T0_E_clISt17integral_constantIbLb1EES1C_IbLb0EEEEDaS18_S19_EUlS18_E_NS1_11comp_targetILNS1_3genE10ELNS1_11target_archE1200ELNS1_3gpuE4ELNS1_3repE0EEENS1_30default_config_static_selectorELNS0_4arch9wavefront6targetE0EEEvT1_ ; -- Begin function _ZN7rocprim17ROCPRIM_400000_NS6detail17trampoline_kernelINS0_14default_configENS1_25partition_config_selectorILNS1_17partition_subalgoE9EyjbEEZZNS1_14partition_implILS5_9ELb0ES3_jN6thrust23THRUST_200600_302600_NS6detail15normal_iteratorINS9_10device_ptrIyEEEENSB_INSC_IjEEEEPNS0_10empty_typeENS0_5tupleIJNS9_16discard_iteratorINS9_11use_defaultEEESH_EEENSJ_IJSG_SI_EEENS0_18inequality_wrapperINS9_8equal_toIyEEEEPmJSH_EEE10hipError_tPvRmT3_T4_T5_T6_T7_T9_mT8_P12ihipStream_tbDpT10_ENKUlT_T0_E_clISt17integral_constantIbLb1EES1C_IbLb0EEEEDaS18_S19_EUlS18_E_NS1_11comp_targetILNS1_3genE10ELNS1_11target_archE1200ELNS1_3gpuE4ELNS1_3repE0EEENS1_30default_config_static_selectorELNS0_4arch9wavefront6targetE0EEEvT1_
	.globl	_ZN7rocprim17ROCPRIM_400000_NS6detail17trampoline_kernelINS0_14default_configENS1_25partition_config_selectorILNS1_17partition_subalgoE9EyjbEEZZNS1_14partition_implILS5_9ELb0ES3_jN6thrust23THRUST_200600_302600_NS6detail15normal_iteratorINS9_10device_ptrIyEEEENSB_INSC_IjEEEEPNS0_10empty_typeENS0_5tupleIJNS9_16discard_iteratorINS9_11use_defaultEEESH_EEENSJ_IJSG_SI_EEENS0_18inequality_wrapperINS9_8equal_toIyEEEEPmJSH_EEE10hipError_tPvRmT3_T4_T5_T6_T7_T9_mT8_P12ihipStream_tbDpT10_ENKUlT_T0_E_clISt17integral_constantIbLb1EES1C_IbLb0EEEEDaS18_S19_EUlS18_E_NS1_11comp_targetILNS1_3genE10ELNS1_11target_archE1200ELNS1_3gpuE4ELNS1_3repE0EEENS1_30default_config_static_selectorELNS0_4arch9wavefront6targetE0EEEvT1_
	.p2align	8
	.type	_ZN7rocprim17ROCPRIM_400000_NS6detail17trampoline_kernelINS0_14default_configENS1_25partition_config_selectorILNS1_17partition_subalgoE9EyjbEEZZNS1_14partition_implILS5_9ELb0ES3_jN6thrust23THRUST_200600_302600_NS6detail15normal_iteratorINS9_10device_ptrIyEEEENSB_INSC_IjEEEEPNS0_10empty_typeENS0_5tupleIJNS9_16discard_iteratorINS9_11use_defaultEEESH_EEENSJ_IJSG_SI_EEENS0_18inequality_wrapperINS9_8equal_toIyEEEEPmJSH_EEE10hipError_tPvRmT3_T4_T5_T6_T7_T9_mT8_P12ihipStream_tbDpT10_ENKUlT_T0_E_clISt17integral_constantIbLb1EES1C_IbLb0EEEEDaS18_S19_EUlS18_E_NS1_11comp_targetILNS1_3genE10ELNS1_11target_archE1200ELNS1_3gpuE4ELNS1_3repE0EEENS1_30default_config_static_selectorELNS0_4arch9wavefront6targetE0EEEvT1_,@function
_ZN7rocprim17ROCPRIM_400000_NS6detail17trampoline_kernelINS0_14default_configENS1_25partition_config_selectorILNS1_17partition_subalgoE9EyjbEEZZNS1_14partition_implILS5_9ELb0ES3_jN6thrust23THRUST_200600_302600_NS6detail15normal_iteratorINS9_10device_ptrIyEEEENSB_INSC_IjEEEEPNS0_10empty_typeENS0_5tupleIJNS9_16discard_iteratorINS9_11use_defaultEEESH_EEENSJ_IJSG_SI_EEENS0_18inequality_wrapperINS9_8equal_toIyEEEEPmJSH_EEE10hipError_tPvRmT3_T4_T5_T6_T7_T9_mT8_P12ihipStream_tbDpT10_ENKUlT_T0_E_clISt17integral_constantIbLb1EES1C_IbLb0EEEEDaS18_S19_EUlS18_E_NS1_11comp_targetILNS1_3genE10ELNS1_11target_archE1200ELNS1_3gpuE4ELNS1_3repE0EEENS1_30default_config_static_selectorELNS0_4arch9wavefront6targetE0EEEvT1_: ; @_ZN7rocprim17ROCPRIM_400000_NS6detail17trampoline_kernelINS0_14default_configENS1_25partition_config_selectorILNS1_17partition_subalgoE9EyjbEEZZNS1_14partition_implILS5_9ELb0ES3_jN6thrust23THRUST_200600_302600_NS6detail15normal_iteratorINS9_10device_ptrIyEEEENSB_INSC_IjEEEEPNS0_10empty_typeENS0_5tupleIJNS9_16discard_iteratorINS9_11use_defaultEEESH_EEENSJ_IJSG_SI_EEENS0_18inequality_wrapperINS9_8equal_toIyEEEEPmJSH_EEE10hipError_tPvRmT3_T4_T5_T6_T7_T9_mT8_P12ihipStream_tbDpT10_ENKUlT_T0_E_clISt17integral_constantIbLb1EES1C_IbLb0EEEEDaS18_S19_EUlS18_E_NS1_11comp_targetILNS1_3genE10ELNS1_11target_archE1200ELNS1_3gpuE4ELNS1_3repE0EEENS1_30default_config_static_selectorELNS0_4arch9wavefront6targetE0EEEvT1_
; %bb.0:
	.section	.rodata,"a",@progbits
	.p2align	6, 0x0
	.amdhsa_kernel _ZN7rocprim17ROCPRIM_400000_NS6detail17trampoline_kernelINS0_14default_configENS1_25partition_config_selectorILNS1_17partition_subalgoE9EyjbEEZZNS1_14partition_implILS5_9ELb0ES3_jN6thrust23THRUST_200600_302600_NS6detail15normal_iteratorINS9_10device_ptrIyEEEENSB_INSC_IjEEEEPNS0_10empty_typeENS0_5tupleIJNS9_16discard_iteratorINS9_11use_defaultEEESH_EEENSJ_IJSG_SI_EEENS0_18inequality_wrapperINS9_8equal_toIyEEEEPmJSH_EEE10hipError_tPvRmT3_T4_T5_T6_T7_T9_mT8_P12ihipStream_tbDpT10_ENKUlT_T0_E_clISt17integral_constantIbLb1EES1C_IbLb0EEEEDaS18_S19_EUlS18_E_NS1_11comp_targetILNS1_3genE10ELNS1_11target_archE1200ELNS1_3gpuE4ELNS1_3repE0EEENS1_30default_config_static_selectorELNS0_4arch9wavefront6targetE0EEEvT1_
		.amdhsa_group_segment_fixed_size 0
		.amdhsa_private_segment_fixed_size 0
		.amdhsa_kernarg_size 120
		.amdhsa_user_sgpr_count 15
		.amdhsa_user_sgpr_dispatch_ptr 0
		.amdhsa_user_sgpr_queue_ptr 0
		.amdhsa_user_sgpr_kernarg_segment_ptr 1
		.amdhsa_user_sgpr_dispatch_id 0
		.amdhsa_user_sgpr_private_segment_size 0
		.amdhsa_wavefront_size32 1
		.amdhsa_uses_dynamic_stack 0
		.amdhsa_enable_private_segment 0
		.amdhsa_system_sgpr_workgroup_id_x 1
		.amdhsa_system_sgpr_workgroup_id_y 0
		.amdhsa_system_sgpr_workgroup_id_z 0
		.amdhsa_system_sgpr_workgroup_info 0
		.amdhsa_system_vgpr_workitem_id 0
		.amdhsa_next_free_vgpr 1
		.amdhsa_next_free_sgpr 1
		.amdhsa_reserve_vcc 0
		.amdhsa_float_round_mode_32 0
		.amdhsa_float_round_mode_16_64 0
		.amdhsa_float_denorm_mode_32 3
		.amdhsa_float_denorm_mode_16_64 3
		.amdhsa_dx10_clamp 1
		.amdhsa_ieee_mode 1
		.amdhsa_fp16_overflow 0
		.amdhsa_workgroup_processor_mode 1
		.amdhsa_memory_ordered 1
		.amdhsa_forward_progress 0
		.amdhsa_shared_vgpr_count 0
		.amdhsa_exception_fp_ieee_invalid_op 0
		.amdhsa_exception_fp_denorm_src 0
		.amdhsa_exception_fp_ieee_div_zero 0
		.amdhsa_exception_fp_ieee_overflow 0
		.amdhsa_exception_fp_ieee_underflow 0
		.amdhsa_exception_fp_ieee_inexact 0
		.amdhsa_exception_int_div_zero 0
	.end_amdhsa_kernel
	.section	.text._ZN7rocprim17ROCPRIM_400000_NS6detail17trampoline_kernelINS0_14default_configENS1_25partition_config_selectorILNS1_17partition_subalgoE9EyjbEEZZNS1_14partition_implILS5_9ELb0ES3_jN6thrust23THRUST_200600_302600_NS6detail15normal_iteratorINS9_10device_ptrIyEEEENSB_INSC_IjEEEEPNS0_10empty_typeENS0_5tupleIJNS9_16discard_iteratorINS9_11use_defaultEEESH_EEENSJ_IJSG_SI_EEENS0_18inequality_wrapperINS9_8equal_toIyEEEEPmJSH_EEE10hipError_tPvRmT3_T4_T5_T6_T7_T9_mT8_P12ihipStream_tbDpT10_ENKUlT_T0_E_clISt17integral_constantIbLb1EES1C_IbLb0EEEEDaS18_S19_EUlS18_E_NS1_11comp_targetILNS1_3genE10ELNS1_11target_archE1200ELNS1_3gpuE4ELNS1_3repE0EEENS1_30default_config_static_selectorELNS0_4arch9wavefront6targetE0EEEvT1_,"axG",@progbits,_ZN7rocprim17ROCPRIM_400000_NS6detail17trampoline_kernelINS0_14default_configENS1_25partition_config_selectorILNS1_17partition_subalgoE9EyjbEEZZNS1_14partition_implILS5_9ELb0ES3_jN6thrust23THRUST_200600_302600_NS6detail15normal_iteratorINS9_10device_ptrIyEEEENSB_INSC_IjEEEEPNS0_10empty_typeENS0_5tupleIJNS9_16discard_iteratorINS9_11use_defaultEEESH_EEENSJ_IJSG_SI_EEENS0_18inequality_wrapperINS9_8equal_toIyEEEEPmJSH_EEE10hipError_tPvRmT3_T4_T5_T6_T7_T9_mT8_P12ihipStream_tbDpT10_ENKUlT_T0_E_clISt17integral_constantIbLb1EES1C_IbLb0EEEEDaS18_S19_EUlS18_E_NS1_11comp_targetILNS1_3genE10ELNS1_11target_archE1200ELNS1_3gpuE4ELNS1_3repE0EEENS1_30default_config_static_selectorELNS0_4arch9wavefront6targetE0EEEvT1_,comdat
.Lfunc_end778:
	.size	_ZN7rocprim17ROCPRIM_400000_NS6detail17trampoline_kernelINS0_14default_configENS1_25partition_config_selectorILNS1_17partition_subalgoE9EyjbEEZZNS1_14partition_implILS5_9ELb0ES3_jN6thrust23THRUST_200600_302600_NS6detail15normal_iteratorINS9_10device_ptrIyEEEENSB_INSC_IjEEEEPNS0_10empty_typeENS0_5tupleIJNS9_16discard_iteratorINS9_11use_defaultEEESH_EEENSJ_IJSG_SI_EEENS0_18inequality_wrapperINS9_8equal_toIyEEEEPmJSH_EEE10hipError_tPvRmT3_T4_T5_T6_T7_T9_mT8_P12ihipStream_tbDpT10_ENKUlT_T0_E_clISt17integral_constantIbLb1EES1C_IbLb0EEEEDaS18_S19_EUlS18_E_NS1_11comp_targetILNS1_3genE10ELNS1_11target_archE1200ELNS1_3gpuE4ELNS1_3repE0EEENS1_30default_config_static_selectorELNS0_4arch9wavefront6targetE0EEEvT1_, .Lfunc_end778-_ZN7rocprim17ROCPRIM_400000_NS6detail17trampoline_kernelINS0_14default_configENS1_25partition_config_selectorILNS1_17partition_subalgoE9EyjbEEZZNS1_14partition_implILS5_9ELb0ES3_jN6thrust23THRUST_200600_302600_NS6detail15normal_iteratorINS9_10device_ptrIyEEEENSB_INSC_IjEEEEPNS0_10empty_typeENS0_5tupleIJNS9_16discard_iteratorINS9_11use_defaultEEESH_EEENSJ_IJSG_SI_EEENS0_18inequality_wrapperINS9_8equal_toIyEEEEPmJSH_EEE10hipError_tPvRmT3_T4_T5_T6_T7_T9_mT8_P12ihipStream_tbDpT10_ENKUlT_T0_E_clISt17integral_constantIbLb1EES1C_IbLb0EEEEDaS18_S19_EUlS18_E_NS1_11comp_targetILNS1_3genE10ELNS1_11target_archE1200ELNS1_3gpuE4ELNS1_3repE0EEENS1_30default_config_static_selectorELNS0_4arch9wavefront6targetE0EEEvT1_
                                        ; -- End function
	.section	.AMDGPU.csdata,"",@progbits
; Kernel info:
; codeLenInByte = 0
; NumSgprs: 0
; NumVgprs: 0
; ScratchSize: 0
; MemoryBound: 0
; FloatMode: 240
; IeeeMode: 1
; LDSByteSize: 0 bytes/workgroup (compile time only)
; SGPRBlocks: 0
; VGPRBlocks: 0
; NumSGPRsForWavesPerEU: 1
; NumVGPRsForWavesPerEU: 1
; Occupancy: 15
; WaveLimiterHint : 0
; COMPUTE_PGM_RSRC2:SCRATCH_EN: 0
; COMPUTE_PGM_RSRC2:USER_SGPR: 15
; COMPUTE_PGM_RSRC2:TRAP_HANDLER: 0
; COMPUTE_PGM_RSRC2:TGID_X_EN: 1
; COMPUTE_PGM_RSRC2:TGID_Y_EN: 0
; COMPUTE_PGM_RSRC2:TGID_Z_EN: 0
; COMPUTE_PGM_RSRC2:TIDIG_COMP_CNT: 0
	.section	.text._ZN7rocprim17ROCPRIM_400000_NS6detail17trampoline_kernelINS0_14default_configENS1_25partition_config_selectorILNS1_17partition_subalgoE9EyjbEEZZNS1_14partition_implILS5_9ELb0ES3_jN6thrust23THRUST_200600_302600_NS6detail15normal_iteratorINS9_10device_ptrIyEEEENSB_INSC_IjEEEEPNS0_10empty_typeENS0_5tupleIJNS9_16discard_iteratorINS9_11use_defaultEEESH_EEENSJ_IJSG_SI_EEENS0_18inequality_wrapperINS9_8equal_toIyEEEEPmJSH_EEE10hipError_tPvRmT3_T4_T5_T6_T7_T9_mT8_P12ihipStream_tbDpT10_ENKUlT_T0_E_clISt17integral_constantIbLb1EES1C_IbLb0EEEEDaS18_S19_EUlS18_E_NS1_11comp_targetILNS1_3genE9ELNS1_11target_archE1100ELNS1_3gpuE3ELNS1_3repE0EEENS1_30default_config_static_selectorELNS0_4arch9wavefront6targetE0EEEvT1_,"axG",@progbits,_ZN7rocprim17ROCPRIM_400000_NS6detail17trampoline_kernelINS0_14default_configENS1_25partition_config_selectorILNS1_17partition_subalgoE9EyjbEEZZNS1_14partition_implILS5_9ELb0ES3_jN6thrust23THRUST_200600_302600_NS6detail15normal_iteratorINS9_10device_ptrIyEEEENSB_INSC_IjEEEEPNS0_10empty_typeENS0_5tupleIJNS9_16discard_iteratorINS9_11use_defaultEEESH_EEENSJ_IJSG_SI_EEENS0_18inequality_wrapperINS9_8equal_toIyEEEEPmJSH_EEE10hipError_tPvRmT3_T4_T5_T6_T7_T9_mT8_P12ihipStream_tbDpT10_ENKUlT_T0_E_clISt17integral_constantIbLb1EES1C_IbLb0EEEEDaS18_S19_EUlS18_E_NS1_11comp_targetILNS1_3genE9ELNS1_11target_archE1100ELNS1_3gpuE3ELNS1_3repE0EEENS1_30default_config_static_selectorELNS0_4arch9wavefront6targetE0EEEvT1_,comdat
	.protected	_ZN7rocprim17ROCPRIM_400000_NS6detail17trampoline_kernelINS0_14default_configENS1_25partition_config_selectorILNS1_17partition_subalgoE9EyjbEEZZNS1_14partition_implILS5_9ELb0ES3_jN6thrust23THRUST_200600_302600_NS6detail15normal_iteratorINS9_10device_ptrIyEEEENSB_INSC_IjEEEEPNS0_10empty_typeENS0_5tupleIJNS9_16discard_iteratorINS9_11use_defaultEEESH_EEENSJ_IJSG_SI_EEENS0_18inequality_wrapperINS9_8equal_toIyEEEEPmJSH_EEE10hipError_tPvRmT3_T4_T5_T6_T7_T9_mT8_P12ihipStream_tbDpT10_ENKUlT_T0_E_clISt17integral_constantIbLb1EES1C_IbLb0EEEEDaS18_S19_EUlS18_E_NS1_11comp_targetILNS1_3genE9ELNS1_11target_archE1100ELNS1_3gpuE3ELNS1_3repE0EEENS1_30default_config_static_selectorELNS0_4arch9wavefront6targetE0EEEvT1_ ; -- Begin function _ZN7rocprim17ROCPRIM_400000_NS6detail17trampoline_kernelINS0_14default_configENS1_25partition_config_selectorILNS1_17partition_subalgoE9EyjbEEZZNS1_14partition_implILS5_9ELb0ES3_jN6thrust23THRUST_200600_302600_NS6detail15normal_iteratorINS9_10device_ptrIyEEEENSB_INSC_IjEEEEPNS0_10empty_typeENS0_5tupleIJNS9_16discard_iteratorINS9_11use_defaultEEESH_EEENSJ_IJSG_SI_EEENS0_18inequality_wrapperINS9_8equal_toIyEEEEPmJSH_EEE10hipError_tPvRmT3_T4_T5_T6_T7_T9_mT8_P12ihipStream_tbDpT10_ENKUlT_T0_E_clISt17integral_constantIbLb1EES1C_IbLb0EEEEDaS18_S19_EUlS18_E_NS1_11comp_targetILNS1_3genE9ELNS1_11target_archE1100ELNS1_3gpuE3ELNS1_3repE0EEENS1_30default_config_static_selectorELNS0_4arch9wavefront6targetE0EEEvT1_
	.globl	_ZN7rocprim17ROCPRIM_400000_NS6detail17trampoline_kernelINS0_14default_configENS1_25partition_config_selectorILNS1_17partition_subalgoE9EyjbEEZZNS1_14partition_implILS5_9ELb0ES3_jN6thrust23THRUST_200600_302600_NS6detail15normal_iteratorINS9_10device_ptrIyEEEENSB_INSC_IjEEEEPNS0_10empty_typeENS0_5tupleIJNS9_16discard_iteratorINS9_11use_defaultEEESH_EEENSJ_IJSG_SI_EEENS0_18inequality_wrapperINS9_8equal_toIyEEEEPmJSH_EEE10hipError_tPvRmT3_T4_T5_T6_T7_T9_mT8_P12ihipStream_tbDpT10_ENKUlT_T0_E_clISt17integral_constantIbLb1EES1C_IbLb0EEEEDaS18_S19_EUlS18_E_NS1_11comp_targetILNS1_3genE9ELNS1_11target_archE1100ELNS1_3gpuE3ELNS1_3repE0EEENS1_30default_config_static_selectorELNS0_4arch9wavefront6targetE0EEEvT1_
	.p2align	8
	.type	_ZN7rocprim17ROCPRIM_400000_NS6detail17trampoline_kernelINS0_14default_configENS1_25partition_config_selectorILNS1_17partition_subalgoE9EyjbEEZZNS1_14partition_implILS5_9ELb0ES3_jN6thrust23THRUST_200600_302600_NS6detail15normal_iteratorINS9_10device_ptrIyEEEENSB_INSC_IjEEEEPNS0_10empty_typeENS0_5tupleIJNS9_16discard_iteratorINS9_11use_defaultEEESH_EEENSJ_IJSG_SI_EEENS0_18inequality_wrapperINS9_8equal_toIyEEEEPmJSH_EEE10hipError_tPvRmT3_T4_T5_T6_T7_T9_mT8_P12ihipStream_tbDpT10_ENKUlT_T0_E_clISt17integral_constantIbLb1EES1C_IbLb0EEEEDaS18_S19_EUlS18_E_NS1_11comp_targetILNS1_3genE9ELNS1_11target_archE1100ELNS1_3gpuE3ELNS1_3repE0EEENS1_30default_config_static_selectorELNS0_4arch9wavefront6targetE0EEEvT1_,@function
_ZN7rocprim17ROCPRIM_400000_NS6detail17trampoline_kernelINS0_14default_configENS1_25partition_config_selectorILNS1_17partition_subalgoE9EyjbEEZZNS1_14partition_implILS5_9ELb0ES3_jN6thrust23THRUST_200600_302600_NS6detail15normal_iteratorINS9_10device_ptrIyEEEENSB_INSC_IjEEEEPNS0_10empty_typeENS0_5tupleIJNS9_16discard_iteratorINS9_11use_defaultEEESH_EEENSJ_IJSG_SI_EEENS0_18inequality_wrapperINS9_8equal_toIyEEEEPmJSH_EEE10hipError_tPvRmT3_T4_T5_T6_T7_T9_mT8_P12ihipStream_tbDpT10_ENKUlT_T0_E_clISt17integral_constantIbLb1EES1C_IbLb0EEEEDaS18_S19_EUlS18_E_NS1_11comp_targetILNS1_3genE9ELNS1_11target_archE1100ELNS1_3gpuE3ELNS1_3repE0EEENS1_30default_config_static_selectorELNS0_4arch9wavefront6targetE0EEEvT1_: ; @_ZN7rocprim17ROCPRIM_400000_NS6detail17trampoline_kernelINS0_14default_configENS1_25partition_config_selectorILNS1_17partition_subalgoE9EyjbEEZZNS1_14partition_implILS5_9ELb0ES3_jN6thrust23THRUST_200600_302600_NS6detail15normal_iteratorINS9_10device_ptrIyEEEENSB_INSC_IjEEEEPNS0_10empty_typeENS0_5tupleIJNS9_16discard_iteratorINS9_11use_defaultEEESH_EEENSJ_IJSG_SI_EEENS0_18inequality_wrapperINS9_8equal_toIyEEEEPmJSH_EEE10hipError_tPvRmT3_T4_T5_T6_T7_T9_mT8_P12ihipStream_tbDpT10_ENKUlT_T0_E_clISt17integral_constantIbLb1EES1C_IbLb0EEEEDaS18_S19_EUlS18_E_NS1_11comp_targetILNS1_3genE9ELNS1_11target_archE1100ELNS1_3gpuE3ELNS1_3repE0EEENS1_30default_config_static_selectorELNS0_4arch9wavefront6targetE0EEEvT1_
; %bb.0:
	s_clause 0x4
	s_load_b128 s[4:7], s[0:1], 0x8
	s_load_b32 s14, s[0:1], 0x70
	s_load_b128 s[16:19], s[0:1], 0x48
	s_load_b64 s[2:3], s[0:1], 0x58
	s_load_b64 s[12:13], s[0:1], 0x18
	s_mov_b32 s9, 0
	v_lshlrev_b32_e32 v29, 3, v0
	v_lshrrev_b32_e32 v24, 2, v0
	v_or_b32_e32 v21, 0x200, v0
	v_or_b32_e32 v20, 0x400, v0
	;; [unrolled: 1-line block ×7, first 2 shown]
	s_waitcnt lgkmcnt(0)
	s_lshl_b64 s[10:11], s[6:7], 3
	s_delay_alu instid0(SALU_CYCLE_1)
	s_add_u32 s21, s4, s10
	s_addc_u32 s22, s5, s11
	s_add_i32 s20, s14, -1
	s_load_b64 s[10:11], s[18:19], 0x0
	s_lshl_b32 s4, s20, 12
	s_lshl_b32 s5, s14, 12
	s_add_i32 s4, s6, s4
	s_lshl_b32 s8, s15, 12
	s_sub_i32 s19, s2, s4
	s_add_u32 s4, s6, s5
	s_addc_u32 s5, s7, 0
	s_cmp_eq_u32 s15, s20
	v_cmp_ge_u64_e64 s2, s[4:5], s[2:3]
	s_cselect_b32 s14, -1, 0
	s_mov_b32 s5, -1
	s_delay_alu instid0(VALU_DEP_1)
	s_and_b32 s20, s14, s2
	s_lshl_b64 s[2:3], s[8:9], 3
	s_xor_b32 s18, s20, -1
	s_add_u32 s4, s21, s2
	s_addc_u32 s3, s22, s3
	s_and_b32 vcc_lo, exec_lo, s18
	s_cbranch_vccz .LBB779_2
; %bb.1:
	v_add_co_u32 v1, s2, s4, v29
	s_delay_alu instid0(VALU_DEP_1) | instskip(SKIP_1) | instid1(VALU_DEP_3)
	v_add_co_ci_u32_e64 v2, null, s3, 0, s2
	v_lshrrev_b32_e32 v26, 2, v21
	v_add_co_u32 v3, vcc_lo, 0x1000, v1
	s_delay_alu instid0(VALU_DEP_3)
	v_add_co_ci_u32_e32 v4, vcc_lo, 0, v2, vcc_lo
	v_add_co_u32 v5, vcc_lo, 0x2000, v1
	v_add_co_ci_u32_e32 v6, vcc_lo, 0, v2, vcc_lo
	v_add_co_u32 v7, vcc_lo, 0x3000, v1
	v_add_co_ci_u32_e32 v8, vcc_lo, 0, v2, vcc_lo
	v_add_co_u32 v9, vcc_lo, 0x4000, v1
	v_add_co_ci_u32_e32 v10, vcc_lo, 0, v2, vcc_lo
	v_add_co_u32 v11, vcc_lo, 0x5000, v1
	v_add_co_ci_u32_e32 v12, vcc_lo, 0, v2, vcc_lo
	v_add_co_u32 v13, vcc_lo, 0x6000, v1
	v_add_co_ci_u32_e32 v14, vcc_lo, 0, v2, vcc_lo
	v_add_co_u32 v15, vcc_lo, 0x7000, v1
	v_add_co_ci_u32_e32 v16, vcc_lo, 0, v2, vcc_lo
	s_clause 0x7
	flat_load_b64 v[1:2], v[1:2]
	flat_load_b64 v[3:4], v[3:4]
	;; [unrolled: 1-line block ×8, first 2 shown]
	v_lshrrev_b32_e32 v27, 2, v20
	v_lshrrev_b32_e32 v28, 2, v23
	v_lshrrev_b32_e32 v30, 2, v22
	v_and_b32_e32 v25, 0x78, v24
	v_lshrrev_b32_e32 v31, 2, v18
	v_lshrrev_b32_e32 v32, 2, v17
	;; [unrolled: 1-line block ×3, first 2 shown]
	v_and_b32_e32 v26, 0xf8, v26
	v_and_b32_e32 v27, 0x178, v27
	;; [unrolled: 1-line block ×4, first 2 shown]
	v_add_nc_u32_e32 v25, v25, v29
	v_and_b32_e32 v31, 0x2f8, v31
	v_and_b32_e32 v32, 0x378, v32
	;; [unrolled: 1-line block ×3, first 2 shown]
	v_add_nc_u32_e32 v26, v26, v29
	v_add_nc_u32_e32 v27, v27, v29
	;; [unrolled: 1-line block ×4, first 2 shown]
	s_mov_b32 s5, s9
	v_add_nc_u32_e32 v31, v31, v29
	v_add_nc_u32_e32 v32, v32, v29
	;; [unrolled: 1-line block ×3, first 2 shown]
	s_waitcnt vmcnt(7) lgkmcnt(0)
	ds_store_b64 v25, v[1:2]
	s_waitcnt vmcnt(6)
	ds_store_b64 v26, v[3:4] offset:4096
	s_waitcnt vmcnt(5)
	ds_store_b64 v27, v[5:6] offset:8192
	;; [unrolled: 2-line block ×7, first 2 shown]
	s_waitcnt lgkmcnt(0)
	s_barrier
.LBB779_2:
	v_cmp_gt_u32_e64 s2, s19, v0
	s_and_not1_b32 vcc_lo, exec_lo, s5
	s_cbranch_vccnz .LBB779_20
; %bb.3:
                                        ; implicit-def: $vgpr1_vgpr2_vgpr3_vgpr4_vgpr5_vgpr6_vgpr7_vgpr8_vgpr9_vgpr10_vgpr11_vgpr12_vgpr13_vgpr14_vgpr15_vgpr16
	s_delay_alu instid0(VALU_DEP_1)
	s_and_saveexec_b32 s5, s2
	s_cbranch_execz .LBB779_11
; %bb.4:
	v_add_co_u32 v1, s2, s4, v29
	s_delay_alu instid0(VALU_DEP_1) | instskip(SKIP_2) | instid1(SALU_CYCLE_1)
	v_add_co_ci_u32_e64 v2, null, s3, 0, s2
	flat_load_b64 v[1:2], v[1:2]
	s_or_b32 exec_lo, exec_lo, s5
	s_mov_b32 s2, exec_lo
	v_cmpx_gt_u32_e64 s19, v21
	s_cbranch_execnz .LBB779_12
.LBB779_5:
	s_or_b32 exec_lo, exec_lo, s2
	s_delay_alu instid0(SALU_CYCLE_1)
	s_mov_b32 s2, exec_lo
	v_cmpx_gt_u32_e64 s19, v20
	s_cbranch_execz .LBB779_13
.LBB779_6:
	v_lshlrev_b32_e32 v5, 3, v20
	s_delay_alu instid0(VALU_DEP_1) | instskip(NEXT) | instid1(VALU_DEP_1)
	v_add_co_u32 v5, s5, s4, v5
	v_add_co_ci_u32_e64 v6, null, s3, 0, s5
	flat_load_b64 v[5:6], v[5:6]
	s_or_b32 exec_lo, exec_lo, s2
	s_delay_alu instid0(SALU_CYCLE_1)
	s_mov_b32 s2, exec_lo
	v_cmpx_gt_u32_e64 s19, v23
	s_cbranch_execnz .LBB779_14
.LBB779_7:
	s_or_b32 exec_lo, exec_lo, s2
	s_delay_alu instid0(SALU_CYCLE_1)
	s_mov_b32 s2, exec_lo
	v_cmpx_gt_u32_e64 s19, v22
	s_cbranch_execz .LBB779_15
.LBB779_8:
	v_lshlrev_b32_e32 v9, 3, v22
	s_delay_alu instid0(VALU_DEP_1) | instskip(NEXT) | instid1(VALU_DEP_1)
	v_add_co_u32 v9, s5, s4, v9
	v_add_co_ci_u32_e64 v10, null, s3, 0, s5
	flat_load_b64 v[9:10], v[9:10]
	s_or_b32 exec_lo, exec_lo, s2
	s_delay_alu instid0(SALU_CYCLE_1)
	s_mov_b32 s2, exec_lo
	v_cmpx_gt_u32_e64 s19, v18
	s_cbranch_execnz .LBB779_16
.LBB779_9:
	s_or_b32 exec_lo, exec_lo, s2
	s_delay_alu instid0(SALU_CYCLE_1)
	s_mov_b32 s2, exec_lo
	v_cmpx_gt_u32_e64 s19, v17
	s_cbranch_execz .LBB779_17
.LBB779_10:
	v_lshlrev_b32_e32 v13, 3, v17
	s_delay_alu instid0(VALU_DEP_1) | instskip(NEXT) | instid1(VALU_DEP_1)
	v_add_co_u32 v13, s5, s4, v13
	v_add_co_ci_u32_e64 v14, null, s3, 0, s5
	flat_load_b64 v[13:14], v[13:14]
	s_or_b32 exec_lo, exec_lo, s2
	s_delay_alu instid0(SALU_CYCLE_1)
	s_mov_b32 s2, exec_lo
	v_cmpx_gt_u32_e64 s19, v19
	s_cbranch_execnz .LBB779_18
	s_branch .LBB779_19
.LBB779_11:
	s_or_b32 exec_lo, exec_lo, s5
	s_delay_alu instid0(SALU_CYCLE_1)
	s_mov_b32 s2, exec_lo
	v_cmpx_gt_u32_e64 s19, v21
	s_cbranch_execz .LBB779_5
.LBB779_12:
	v_lshlrev_b32_e32 v3, 3, v21
	s_delay_alu instid0(VALU_DEP_1) | instskip(NEXT) | instid1(VALU_DEP_1)
	v_add_co_u32 v3, s5, s4, v3
	v_add_co_ci_u32_e64 v4, null, s3, 0, s5
	flat_load_b64 v[3:4], v[3:4]
	s_or_b32 exec_lo, exec_lo, s2
	s_delay_alu instid0(SALU_CYCLE_1)
	s_mov_b32 s2, exec_lo
	v_cmpx_gt_u32_e64 s19, v20
	s_cbranch_execnz .LBB779_6
.LBB779_13:
	s_or_b32 exec_lo, exec_lo, s2
	s_delay_alu instid0(SALU_CYCLE_1)
	s_mov_b32 s2, exec_lo
	v_cmpx_gt_u32_e64 s19, v23
	s_cbranch_execz .LBB779_7
.LBB779_14:
	v_lshlrev_b32_e32 v7, 3, v23
	s_delay_alu instid0(VALU_DEP_1) | instskip(NEXT) | instid1(VALU_DEP_1)
	v_add_co_u32 v7, s5, s4, v7
	v_add_co_ci_u32_e64 v8, null, s3, 0, s5
	flat_load_b64 v[7:8], v[7:8]
	s_or_b32 exec_lo, exec_lo, s2
	s_delay_alu instid0(SALU_CYCLE_1)
	s_mov_b32 s2, exec_lo
	v_cmpx_gt_u32_e64 s19, v22
	s_cbranch_execnz .LBB779_8
.LBB779_15:
	s_or_b32 exec_lo, exec_lo, s2
	s_delay_alu instid0(SALU_CYCLE_1)
	s_mov_b32 s2, exec_lo
	v_cmpx_gt_u32_e64 s19, v18
	s_cbranch_execz .LBB779_9
.LBB779_16:
	v_lshlrev_b32_e32 v11, 3, v18
	s_delay_alu instid0(VALU_DEP_1) | instskip(NEXT) | instid1(VALU_DEP_1)
	v_add_co_u32 v11, s5, s4, v11
	v_add_co_ci_u32_e64 v12, null, s3, 0, s5
	flat_load_b64 v[11:12], v[11:12]
	s_or_b32 exec_lo, exec_lo, s2
	s_delay_alu instid0(SALU_CYCLE_1)
	s_mov_b32 s2, exec_lo
	v_cmpx_gt_u32_e64 s19, v17
	s_cbranch_execnz .LBB779_10
.LBB779_17:
	s_or_b32 exec_lo, exec_lo, s2
	s_delay_alu instid0(SALU_CYCLE_1)
	s_mov_b32 s2, exec_lo
	v_cmpx_gt_u32_e64 s19, v19
	s_cbranch_execz .LBB779_19
.LBB779_18:
	v_lshlrev_b32_e32 v15, 3, v19
	s_delay_alu instid0(VALU_DEP_1) | instskip(NEXT) | instid1(VALU_DEP_1)
	v_add_co_u32 v15, s5, s4, v15
	v_add_co_ci_u32_e64 v16, null, s3, 0, s5
	flat_load_b64 v[15:16], v[15:16]
.LBB779_19:
	s_or_b32 exec_lo, exec_lo, s2
	v_lshrrev_b32_e32 v25, 2, v21
	v_lshrrev_b32_e32 v26, 2, v20
	;; [unrolled: 1-line block ×4, first 2 shown]
	v_and_b32_e32 v27, 0x78, v24
	v_lshrrev_b32_e32 v31, 2, v18
	v_lshrrev_b32_e32 v32, 2, v17
	;; [unrolled: 1-line block ×3, first 2 shown]
	v_and_b32_e32 v25, 0xf8, v25
	v_and_b32_e32 v26, 0x1f8, v26
	v_and_b32_e32 v28, 0x1f8, v28
	v_and_b32_e32 v30, 0x3f8, v30
	v_add_nc_u32_e32 v27, v27, v29
	v_and_b32_e32 v31, 0x3f8, v31
	v_and_b32_e32 v32, 0x3f8, v32
	;; [unrolled: 1-line block ×3, first 2 shown]
	v_add_nc_u32_e32 v25, v25, v29
	v_add_nc_u32_e32 v26, v26, v29
	;; [unrolled: 1-line block ×7, first 2 shown]
	s_waitcnt vmcnt(0) lgkmcnt(0)
	ds_store_b64 v27, v[1:2]
	ds_store_b64 v25, v[3:4] offset:4096
	ds_store_b64 v26, v[5:6] offset:8192
	;; [unrolled: 1-line block ×7, first 2 shown]
	s_waitcnt lgkmcnt(0)
	s_barrier
.LBB779_20:
	v_add_nc_u32_e32 v24, v24, v29
	s_waitcnt lgkmcnt(0)
	buffer_gl0_inv
	s_lshl_b64 s[22:23], s[6:7], 2
	v_lshrrev_b32_e32 v26, 3, v0
	s_add_u32 s2, s12, s22
	v_lshlrev_b32_e32 v25, 3, v24
	s_addc_u32 s5, s13, s23
	s_lshl_b64 s[8:9], s[8:9], 2
	ds_load_2addr_b64 v[13:16], v25 offset1:1
	ds_load_2addr_b64 v[9:12], v25 offset0:2 offset1:3
	ds_load_2addr_b64 v[5:8], v25 offset0:4 offset1:5
	;; [unrolled: 1-line block ×3, first 2 shown]
	s_add_u32 s2, s2, s8
	s_addc_u32 s5, s5, s9
	s_and_b32 vcc_lo, exec_lo, s18
	s_mov_b32 s8, -1
	s_waitcnt lgkmcnt(0)
	s_barrier
	buffer_gl0_inv
	s_cbranch_vccz .LBB779_22
; %bb.21:
	v_lshlrev_b32_e32 v36, 2, v0
	v_lshrrev_b32_e32 v38, 3, v21
	v_lshrrev_b32_e32 v39, 3, v20
	;; [unrolled: 1-line block ×4, first 2 shown]
	v_add_co_u32 v27, s8, s2, v36
	s_delay_alu instid0(VALU_DEP_1) | instskip(SKIP_1) | instid1(VALU_DEP_3)
	v_add_co_ci_u32_e64 v28, null, s5, 0, s8
	v_lshrrev_b32_e32 v42, 3, v18
	v_add_co_u32 v30, vcc_lo, 0x1000, v27
	s_delay_alu instid0(VALU_DEP_3)
	v_add_co_ci_u32_e32 v31, vcc_lo, 0, v28, vcc_lo
	v_add_co_u32 v32, vcc_lo, 0x2000, v27
	v_add_co_ci_u32_e32 v33, vcc_lo, 0, v28, vcc_lo
	v_add_co_u32 v34, vcc_lo, 0x3000, v27
	v_add_co_ci_u32_e32 v35, vcc_lo, 0, v28, vcc_lo
	s_clause 0x7
	flat_load_b32 v37, v[27:28]
	flat_load_b32 v27, v[27:28] offset:2048
	flat_load_b32 v28, v[30:31]
	flat_load_b32 v30, v[30:31] offset:2048
	;; [unrolled: 2-line block ×4, first 2 shown]
	v_and_b32_e32 v35, 60, v26
	v_lshrrev_b32_e32 v43, 3, v17
	v_lshrrev_b32_e32 v44, 3, v19
	v_and_b32_e32 v38, 0x7c, v38
	v_and_b32_e32 v39, 0xbc, v39
	;; [unrolled: 1-line block ×4, first 2 shown]
	v_add_nc_u32_e32 v35, v35, v36
	v_and_b32_e32 v42, 0x17c, v42
	v_and_b32_e32 v43, 0x1bc, v43
	;; [unrolled: 1-line block ×3, first 2 shown]
	v_add_nc_u32_e32 v38, v38, v36
	v_add_nc_u32_e32 v39, v39, v36
	;; [unrolled: 1-line block ×4, first 2 shown]
	s_mov_b32 s8, 0
	v_add_nc_u32_e32 v42, v42, v36
	v_add_nc_u32_e32 v43, v43, v36
	;; [unrolled: 1-line block ×3, first 2 shown]
	s_waitcnt vmcnt(7) lgkmcnt(7)
	ds_store_b32 v35, v37
	s_waitcnt vmcnt(6) lgkmcnt(7)
	ds_store_b32 v38, v27 offset:2048
	s_waitcnt vmcnt(5) lgkmcnt(7)
	ds_store_b32 v39, v28 offset:4096
	;; [unrolled: 2-line block ×7, first 2 shown]
	s_waitcnt lgkmcnt(0)
	s_barrier
.LBB779_22:
	s_and_not1_b32 vcc_lo, exec_lo, s8
	s_cbranch_vccnz .LBB779_40
; %bb.23:
	s_mov_b32 s8, exec_lo
                                        ; implicit-def: $vgpr27
	v_cmpx_gt_u32_e64 s19, v0
	s_cbranch_execz .LBB779_25
; %bb.24:
	v_lshlrev_b32_e32 v27, 2, v0
	s_delay_alu instid0(VALU_DEP_1) | instskip(NEXT) | instid1(VALU_DEP_1)
	v_add_co_u32 v27, s9, s2, v27
	v_add_co_ci_u32_e64 v28, null, s5, 0, s9
	flat_load_b32 v27, v[27:28]
.LBB779_25:
	s_or_b32 exec_lo, exec_lo, s8
	s_delay_alu instid0(SALU_CYCLE_1)
	s_mov_b32 s8, exec_lo
                                        ; implicit-def: $vgpr28
	v_cmpx_gt_u32_e64 s19, v21
	s_cbranch_execz .LBB779_27
; %bb.26:
	v_lshlrev_b32_e32 v28, 2, v0
	s_delay_alu instid0(VALU_DEP_1) | instskip(NEXT) | instid1(VALU_DEP_1)
	v_add_co_u32 v30, s9, s2, v28
	v_add_co_ci_u32_e64 v31, null, s5, 0, s9
	flat_load_b32 v28, v[30:31] offset:2048
.LBB779_27:
	s_or_b32 exec_lo, exec_lo, s8
	s_delay_alu instid0(SALU_CYCLE_1)
	s_mov_b32 s8, exec_lo
                                        ; implicit-def: $vgpr30
	v_cmpx_gt_u32_e64 s19, v20
	s_cbranch_execz .LBB779_29
; %bb.28:
	v_lshlrev_b32_e32 v30, 2, v20
	s_delay_alu instid0(VALU_DEP_1) | instskip(NEXT) | instid1(VALU_DEP_1)
	v_add_co_u32 v30, s9, s2, v30
	v_add_co_ci_u32_e64 v31, null, s5, 0, s9
	flat_load_b32 v30, v[30:31]
.LBB779_29:
	s_or_b32 exec_lo, exec_lo, s8
	s_delay_alu instid0(SALU_CYCLE_1)
	s_mov_b32 s8, exec_lo
                                        ; implicit-def: $vgpr31
	v_cmpx_gt_u32_e64 s19, v23
	s_cbranch_execz .LBB779_31
; %bb.30:
	v_lshlrev_b32_e32 v31, 2, v23
	s_delay_alu instid0(VALU_DEP_1) | instskip(NEXT) | instid1(VALU_DEP_1)
	v_add_co_u32 v31, s9, s2, v31
	v_add_co_ci_u32_e64 v32, null, s5, 0, s9
	flat_load_b32 v31, v[31:32]
.LBB779_31:
	s_or_b32 exec_lo, exec_lo, s8
	s_delay_alu instid0(SALU_CYCLE_1)
	s_mov_b32 s8, exec_lo
                                        ; implicit-def: $vgpr32
	v_cmpx_gt_u32_e64 s19, v22
	s_cbranch_execz .LBB779_33
; %bb.32:
	v_lshlrev_b32_e32 v32, 2, v22
	s_delay_alu instid0(VALU_DEP_1) | instskip(NEXT) | instid1(VALU_DEP_1)
	v_add_co_u32 v32, s9, s2, v32
	v_add_co_ci_u32_e64 v33, null, s5, 0, s9
	flat_load_b32 v32, v[32:33]
.LBB779_33:
	s_or_b32 exec_lo, exec_lo, s8
	s_delay_alu instid0(SALU_CYCLE_1)
	s_mov_b32 s8, exec_lo
                                        ; implicit-def: $vgpr33
	v_cmpx_gt_u32_e64 s19, v18
	s_cbranch_execz .LBB779_35
; %bb.34:
	v_lshlrev_b32_e32 v33, 2, v18
	s_delay_alu instid0(VALU_DEP_1) | instskip(NEXT) | instid1(VALU_DEP_1)
	v_add_co_u32 v33, s9, s2, v33
	v_add_co_ci_u32_e64 v34, null, s5, 0, s9
	flat_load_b32 v33, v[33:34]
.LBB779_35:
	s_or_b32 exec_lo, exec_lo, s8
	s_delay_alu instid0(SALU_CYCLE_1)
	s_mov_b32 s8, exec_lo
                                        ; implicit-def: $vgpr34
	v_cmpx_gt_u32_e64 s19, v17
	s_cbranch_execz .LBB779_37
; %bb.36:
	v_lshlrev_b32_e32 v34, 2, v17
	s_delay_alu instid0(VALU_DEP_1) | instskip(NEXT) | instid1(VALU_DEP_1)
	v_add_co_u32 v34, s9, s2, v34
	v_add_co_ci_u32_e64 v35, null, s5, 0, s9
	flat_load_b32 v34, v[34:35]
.LBB779_37:
	s_or_b32 exec_lo, exec_lo, s8
	s_delay_alu instid0(SALU_CYCLE_1)
	s_mov_b32 s8, exec_lo
                                        ; implicit-def: $vgpr35
	v_cmpx_gt_u32_e64 s19, v19
	s_cbranch_execz .LBB779_39
; %bb.38:
	v_lshlrev_b32_e32 v35, 2, v19
	s_delay_alu instid0(VALU_DEP_1) | instskip(NEXT) | instid1(VALU_DEP_1)
	v_add_co_u32 v35, s2, s2, v35
	v_add_co_ci_u32_e64 v36, null, s5, 0, s2
	flat_load_b32 v35, v[35:36]
.LBB779_39:
	s_or_b32 exec_lo, exec_lo, s8
	v_lshrrev_b32_e32 v21, 3, v21
	v_lshrrev_b32_e32 v20, 3, v20
	;; [unrolled: 1-line block ×4, first 2 shown]
	v_and_b32_e32 v26, 60, v26
	v_lshlrev_b32_e32 v36, 2, v0
	v_lshrrev_b32_e32 v18, 3, v18
	v_lshrrev_b32_e32 v17, 3, v17
	;; [unrolled: 1-line block ×3, first 2 shown]
	v_and_b32_e32 v21, 0x7c, v21
	v_and_b32_e32 v20, 0xfc, v20
	;; [unrolled: 1-line block ×4, first 2 shown]
	v_add_nc_u32_e32 v26, v26, v36
	v_and_b32_e32 v18, 0x1fc, v18
	v_and_b32_e32 v17, 0x1fc, v17
	v_and_b32_e32 v19, 0x1fc, v19
	v_add_nc_u32_e32 v21, v21, v36
	v_add_nc_u32_e32 v20, v20, v36
	;; [unrolled: 1-line block ×7, first 2 shown]
	s_waitcnt vmcnt(0) lgkmcnt(0)
	ds_store_b32 v26, v27
	ds_store_b32 v21, v28 offset:2048
	ds_store_b32 v20, v30 offset:4096
	;; [unrolled: 1-line block ×7, first 2 shown]
	s_waitcnt lgkmcnt(0)
	s_barrier
.LBB779_40:
	v_lshlrev_b32_e32 v17, 2, v24
	buffer_gl0_inv
	s_cmp_lg_u32 s15, 0
	s_mov_b32 s12, 0
	s_cselect_b32 s9, -1, 0
	v_sub_nc_u32_e32 v17, v25, v17
	s_cmp_lg_u64 s[6:7], 0
	ds_load_2addr_b32 v[23:24], v17 offset1:1
	ds_load_2addr_b32 v[21:22], v17 offset0:2 offset1:3
	ds_load_2addr_b32 v[19:20], v17 offset0:4 offset1:5
	;; [unrolled: 1-line block ×3, first 2 shown]
	s_cselect_b32 s2, -1, 0
	s_waitcnt lgkmcnt(0)
	s_or_b32 s2, s9, s2
	s_barrier
	s_and_b32 vcc_lo, exec_lo, s2
	buffer_gl0_inv
	s_cbranch_vccz .LBB779_45
; %bb.41:
	v_add_co_u32 v25, s2, -8, s4
	s_delay_alu instid0(VALU_DEP_1)
	v_add_co_ci_u32_e64 v26, null, -1, s3, s2
	s_mov_b32 s3, -1
	s_and_b32 vcc_lo, exec_lo, s18
	flat_load_b64 v[27:28], v[25:26]
	ds_store_b64 v29, v[3:4]
	s_cbranch_vccz .LBB779_46
; %bb.42:
	s_waitcnt vmcnt(0) lgkmcnt(1)
	v_dual_mov_b32 v25, v27 :: v_dual_mov_b32 v26, v28
	s_mov_b32 s3, 0
	s_mov_b32 s2, exec_lo
	s_waitcnt lgkmcnt(0)
	s_barrier
	buffer_gl0_inv
	v_cmpx_ne_u32_e32 0, v0
	s_cbranch_execz .LBB779_44
; %bb.43:
	v_add_nc_u32_e32 v25, -8, v29
	ds_load_b64 v[25:26], v25
.LBB779_44:
	s_or_b32 exec_lo, exec_lo, s2
	v_cmp_ne_u64_e32 vcc_lo, v[1:2], v[3:4]
	s_waitcnt lgkmcnt(0)
	v_cmp_ne_u64_e64 s2, v[25:26], v[13:14]
	v_cndmask_b32_e64 v30, 0, 1, vcc_lo
	v_cmp_ne_u64_e32 vcc_lo, v[7:8], v[1:2]
	s_delay_alu instid0(VALU_DEP_2) | instskip(SKIP_2) | instid1(VALU_DEP_2)
	v_lshlrev_b16 v30, 8, v30
	v_cndmask_b32_e64 v31, 0, 1, vcc_lo
	v_cmp_ne_u64_e32 vcc_lo, v[5:6], v[7:8]
	v_or_b32_e32 v30, v31, v30
	v_cndmask_b32_e64 v32, 0, 1, vcc_lo
	v_cmp_ne_u64_e32 vcc_lo, v[9:10], v[11:12]
	s_delay_alu instid0(VALU_DEP_3) | instskip(NEXT) | instid1(VALU_DEP_3)
	v_lshlrev_b32_e32 v30, 16, v30
	v_lshlrev_b16 v32, 8, v32
	v_cndmask_b32_e64 v33, 0, 1, vcc_lo
	v_cmp_ne_u64_e32 vcc_lo, v[11:12], v[5:6]
	s_delay_alu instid0(VALU_DEP_2) | instskip(SKIP_2) | instid1(VALU_DEP_2)
	v_lshlrev_b16 v33, 8, v33
	v_cndmask_b32_e64 v34, 0, 1, vcc_lo
	v_cmp_ne_u64_e32 vcc_lo, v[15:16], v[9:10]
	v_or_b32_e32 v32, v34, v32
	v_cndmask_b32_e64 v35, 0, 1, vcc_lo
	v_cmp_ne_u64_e32 vcc_lo, v[13:14], v[15:16]
	s_delay_alu instid0(VALU_DEP_3) | instskip(NEXT) | instid1(VALU_DEP_3)
	v_and_b32_e32 v32, 0xffff, v32
	v_or_b32_e32 v33, v35, v33
	v_cndmask_b32_e64 v36, 0, 1, vcc_lo
	s_delay_alu instid0(VALU_DEP_3) | instskip(NEXT) | instid1(VALU_DEP_3)
	v_or_b32_e32 v26, v32, v30
	v_lshlrev_b32_e32 v31, 16, v33
	s_delay_alu instid0(VALU_DEP_3) | instskip(NEXT) | instid1(VALU_DEP_1)
	v_lshlrev_b16 v35, 8, v36
	v_and_b32_e32 v33, 0xffff, v35
	s_delay_alu instid0(VALU_DEP_1)
	v_or_b32_e32 v25, v33, v31
	s_and_b32 vcc_lo, exec_lo, s3
	s_cbranch_vccnz .LBB779_47
	s_branch .LBB779_50
.LBB779_45:
                                        ; implicit-def: $sgpr2
                                        ; implicit-def: $vgpr26
	s_branch .LBB779_51
.LBB779_46:
                                        ; implicit-def: $sgpr2
                                        ; implicit-def: $vgpr26
	s_and_b32 vcc_lo, exec_lo, s3
	s_cbranch_vccz .LBB779_50
.LBB779_47:
	s_mov_b32 s2, exec_lo
	s_waitcnt vmcnt(0) lgkmcnt(0)
	s_barrier
	buffer_gl0_inv
	v_cmpx_ne_u32_e32 0, v0
	s_cbranch_execz .LBB779_49
; %bb.48:
	v_add_nc_u32_e32 v25, -8, v29
	ds_load_b64 v[27:28], v25
.LBB779_49:
	s_or_b32 exec_lo, exec_lo, s2
	v_or_b32_e32 v25, 7, v29
	v_or_b32_e32 v26, 6, v29
	v_cmp_ne_u64_e32 vcc_lo, v[1:2], v[3:4]
	v_or_b32_e32 v30, 5, v29
	v_cmp_ne_u64_e64 s3, v[7:8], v[1:2]
	v_cmp_gt_u32_e64 s2, s19, v25
	v_cmp_gt_u32_e64 s4, s19, v26
	v_cmp_ne_u64_e64 s5, v[5:6], v[7:8]
	v_cmp_gt_u32_e64 s6, s19, v30
	v_or_b32_e32 v30, 3, v29
	s_and_b32 s2, s2, vcc_lo
	v_or_b32_e32 v31, 4, v29
	v_cndmask_b32_e64 v25, 0, 1, s2
	s_and_b32 s2, s4, s3
	v_cmp_ne_u64_e32 vcc_lo, v[9:10], v[11:12]
	v_cndmask_b32_e64 v26, 0, 1, s2
	s_and_b32 s2, s6, s5
	v_cmp_gt_u32_e64 s3, s19, v31
	v_cndmask_b32_e64 v32, 0, 1, s2
	v_cmp_gt_u32_e64 s2, s19, v30
	v_or_b32_e32 v30, 2, v29
	v_or_b32_e32 v31, 1, v29
	v_cmp_ne_u64_e64 s4, v[11:12], v[5:6]
	v_cmp_ne_u64_e64 s6, v[13:14], v[15:16]
	s_and_b32 s2, s2, vcc_lo
	v_cmp_ne_u64_e32 vcc_lo, v[15:16], v[9:10]
	v_cndmask_b32_e64 v33, 0, 1, s2
	v_cmp_gt_u32_e64 s2, s19, v30
	v_cmp_gt_u32_e64 s5, s19, v31
	s_and_b32 s3, s3, s4
	v_lshlrev_b16 v32, 8, v32
	v_cndmask_b32_e64 v30, 0, 1, s3
	s_and_b32 s2, s2, vcc_lo
	v_lshlrev_b16 v33, 8, v33
	v_cndmask_b32_e64 v31, 0, 1, s2
	s_and_b32 s2, s5, s6
	v_lshlrev_b16 v25, 8, v25
	v_cndmask_b32_e64 v34, 0, 1, s2
	v_or_b32_e32 v30, v30, v32
	v_or_b32_e32 v31, v31, v33
	s_waitcnt lgkmcnt(0)
	v_cmp_ne_u64_e32 vcc_lo, v[27:28], v[13:14]
	v_or_b32_e32 v25, v26, v25
	v_lshlrev_b16 v33, 8, v34
	v_and_b32_e32 v30, 0xffff, v30
	v_lshlrev_b32_e32 v26, 16, v31
	v_cmp_gt_u32_e64 s2, s19, v29
	v_lshlrev_b32_e32 v32, 16, v25
	v_and_b32_e32 v31, 0xffff, v33
	s_delay_alu instid0(VALU_DEP_3) | instskip(NEXT) | instid1(VALU_DEP_1)
	s_and_b32 s2, s2, vcc_lo
	v_or_b32_e32 v25, v31, v26
	s_delay_alu instid0(VALU_DEP_3)
	v_or_b32_e32 v26, v30, v32
.LBB779_50:
	s_mov_b32 s12, -1
	s_cbranch_execnz .LBB779_59
.LBB779_51:
	v_cmp_ne_u64_e64 s3, v[1:2], v[3:4]
	v_cmp_ne_u64_e64 s4, v[7:8], v[1:2]
	v_cmp_ne_u64_e64 s5, v[5:6], v[7:8]
	v_cmp_ne_u64_e64 s6, v[11:12], v[5:6]
	v_cmp_ne_u64_e64 s7, v[9:10], v[11:12]
	v_cmp_ne_u64_e64 s2, v[15:16], v[9:10]
	v_cmp_ne_u64_e64 s8, v[13:14], v[15:16]
	s_and_b32 vcc_lo, exec_lo, s18
	ds_store_b64 v29, v[3:4]
	s_cbranch_vccz .LBB779_55
; %bb.52:
	v_cndmask_b32_e64 v25, 0, 1, s3
	s_waitcnt vmcnt(0) lgkmcnt(2)
	v_cndmask_b32_e64 v27, 0, 1, s5
	v_cndmask_b32_e64 v30, 0, 1, s7
	v_cndmask_b32_e64 v31, 0, 1, s8
	v_cndmask_b32_e64 v26, 0, 1, s4
	v_cndmask_b32_e64 v28, 0, 1, s6
	v_cndmask_b32_e64 v32, 0, 1, s2
	v_lshlrev_b16 v27, 8, v27
	v_lshlrev_b16 v25, 8, v25
	;; [unrolled: 1-line block ×4, first 2 shown]
	s_mov_b32 s3, 0
	v_or_b32_e32 v27, v28, v27
	v_or_b32_e32 v25, v26, v25
	;; [unrolled: 1-line block ×4, first 2 shown]
	s_mov_b32 s4, exec_lo
	v_and_b32_e32 v27, 0xffff, v27
	v_lshlrev_b32_e32 v25, 16, v25
	v_lshlrev_b32_e32 v30, 16, v26
	v_and_b32_e32 v28, 0xffff, v28
	s_waitcnt lgkmcnt(0)
	s_barrier
	v_or_b32_e32 v26, v27, v25
	buffer_gl0_inv
	v_or_b32_e32 v25, v28, v30
                                        ; implicit-def: $sgpr2
	v_cmpx_ne_u32_e32 0, v0
	s_xor_b32 s4, exec_lo, s4
	s_cbranch_execz .LBB779_54
; %bb.53:
	v_add_nc_u32_e32 v27, -8, v29
	s_or_b32 s12, s12, exec_lo
	ds_load_b64 v[27:28], v27
	s_waitcnt lgkmcnt(0)
	v_cmp_ne_u64_e32 vcc_lo, v[27:28], v[13:14]
	s_and_b32 s2, vcc_lo, exec_lo
.LBB779_54:
	s_or_b32 exec_lo, exec_lo, s4
	s_delay_alu instid0(SALU_CYCLE_1)
	s_and_b32 vcc_lo, exec_lo, s3
	s_cbranch_vccnz .LBB779_56
	s_branch .LBB779_59
.LBB779_55:
                                        ; implicit-def: $sgpr2
                                        ; implicit-def: $vgpr26
	s_cbranch_execz .LBB779_59
.LBB779_56:
	v_or_b32_e32 v25, 7, v29
	v_or_b32_e32 v26, 6, v29
	v_cmp_ne_u64_e32 vcc_lo, v[1:2], v[3:4]
	v_cmp_ne_u64_e64 s2, v[7:8], v[1:2]
	s_waitcnt vmcnt(0) lgkmcnt(2)
	v_or_b32_e32 v27, 4, v29
	v_cmp_gt_u32_e64 s3, s19, v25
	v_or_b32_e32 v25, 5, v29
	v_cmp_gt_u32_e64 s5, s19, v26
	v_cmp_ne_u64_e64 s4, v[5:6], v[7:8]
	v_cmp_ne_u64_e64 s6, v[11:12], v[5:6]
	s_and_b32 s3, s3, vcc_lo
	v_cmp_gt_u32_e32 vcc_lo, s19, v25
	v_cndmask_b32_e64 v26, 0, 1, s3
	v_cmp_gt_u32_e64 s3, s19, v27
	s_and_b32 s2, s5, s2
	v_or_b32_e32 v28, 3, v29
	v_cndmask_b32_e64 v25, 0, 1, s2
	s_and_b32 s2, vcc_lo, s4
	v_or_b32_e32 v31, 1, v29
	v_cndmask_b32_e64 v27, 0, 1, s2
	s_and_b32 s2, s3, s6
	v_cmp_ne_u64_e32 vcc_lo, v[9:10], v[11:12]
	v_cndmask_b32_e64 v30, 0, 1, s2
	v_cmp_gt_u32_e64 s2, s19, v28
	v_cmp_ne_u64_e64 s3, v[13:14], v[15:16]
	v_or_b32_e32 v32, 2, v29
	v_cmp_gt_u32_e64 s4, s19, v31
	v_cmp_ne_u64_e64 s5, v[15:16], v[9:10]
	s_and_b32 s2, s2, vcc_lo
	v_lshlrev_b16 v27, 8, v27
	v_cmp_gt_u32_e64 s6, s19, v32
	v_cndmask_b32_e64 v28, 0, 1, s2
	s_and_b32 s2, s4, s3
	v_lshlrev_b16 v26, 8, v26
	v_cndmask_b32_e64 v31, 0, 1, s2
	s_and_b32 s2, s6, s5
	v_lshlrev_b16 v28, 8, v28
	v_cndmask_b32_e64 v32, 0, 1, s2
	v_or_b32_e32 v27, v30, v27
	v_lshlrev_b16 v31, 8, v31
	v_or_b32_e32 v25, v25, v26
	s_mov_b32 s3, exec_lo
	v_or_b32_e32 v26, v32, v28
	v_and_b32_e32 v27, 0xffff, v27
	v_or_b32_e32 v28, 1, v31
	v_lshlrev_b32_e32 v25, 16, v25
	s_waitcnt lgkmcnt(0)
	v_lshlrev_b32_e32 v30, 16, v26
	s_barrier
	v_and_b32_e32 v28, 0xffff, v28
	v_or_b32_e32 v26, v27, v25
	buffer_gl0_inv
                                        ; implicit-def: $sgpr2
	v_or_b32_e32 v25, v28, v30
	v_cmpx_ne_u32_e32 0, v0
	s_cbranch_execz .LBB779_58
; %bb.57:
	v_add_nc_u32_e32 v27, -8, v29
	v_cmp_gt_u32_e64 s2, s19, v29
	s_or_b32 s12, s12, exec_lo
	ds_load_b64 v[27:28], v27
	s_waitcnt lgkmcnt(0)
	v_cmp_ne_u64_e32 vcc_lo, v[27:28], v[13:14]
	s_and_b32 s2, s2, vcc_lo
	s_delay_alu instid0(SALU_CYCLE_1)
	s_and_b32 s2, s2, exec_lo
.LBB779_58:
	s_or_b32 exec_lo, exec_lo, s3
.LBB779_59:
	s_and_saveexec_b32 s3, s12
	s_cbranch_execz .LBB779_61
; %bb.60:
	s_waitcnt vmcnt(0) lgkmcnt(1)
	v_and_b32_e32 v27, 0xffffff00, v25
	v_cndmask_b32_e64 v28, 0, 1, s2
	s_delay_alu instid0(VALU_DEP_1) | instskip(NEXT) | instid1(VALU_DEP_1)
	v_or_b32_e32 v27, v28, v27
	v_and_b32_e32 v27, 0xffff, v27
	s_delay_alu instid0(VALU_DEP_1)
	v_and_or_b32 v25, 0xffff0000, v25, v27
.LBB779_61:
	s_or_b32 exec_lo, exec_lo, s3
	s_load_b64 s[12:13], s[0:1], 0x68
	s_and_not1_b32 vcc_lo, exec_lo, s20
	s_cbranch_vccnz .LBB779_63
; %bb.62:
	v_cmp_gt_u32_e32 vcc_lo, s19, v29
	s_waitcnt vmcnt(0) lgkmcnt(0)
	v_or_b32_e32 v28, 1, v29
	v_or_b32_e32 v31, 2, v29
	v_dual_cndmask_b32 v27, 0, v25 :: v_dual_and_b32 v30, 0xffffff00, v26
	s_delay_alu instid0(VALU_DEP_3) | instskip(SKIP_1) | instid1(VALU_DEP_4)
	v_cmp_gt_u32_e32 vcc_lo, s19, v28
	v_or_b32_e32 v28, 4, v29
	v_cmp_gt_u32_e64 s2, s19, v31
	v_or_b32_e32 v31, 3, v29
	v_and_b32_e32 v27, 0xff, v27
	s_delay_alu instid0(VALU_DEP_2) | instskip(NEXT) | instid1(VALU_DEP_2)
	v_cmp_gt_u32_e64 s3, s19, v31
	v_cndmask_b32_e32 v27, v27, v25, vcc_lo
	v_cmp_gt_u32_e32 vcc_lo, s19, v28
	v_cndmask_b32_e32 v28, v30, v26, vcc_lo
	v_or_b32_e32 v30, 5, v29
	s_delay_alu instid0(VALU_DEP_2) | instskip(SKIP_1) | instid1(VALU_DEP_1)
	v_and_b32_e32 v28, 0xffff00ff, v28
	v_and_b32_e32 v27, 0xffff, v27
	v_cndmask_b32_e64 v27, v27, v25, s2
	s_delay_alu instid0(VALU_DEP_4) | instskip(SKIP_2) | instid1(VALU_DEP_4)
	v_cmp_gt_u32_e64 s2, s19, v30
	v_or_b32_e32 v30, 6, v29
	v_or_b32_e32 v29, 7, v29
	v_and_b32_e32 v27, 0xffffff, v27
	s_delay_alu instid0(VALU_DEP_4) | instskip(NEXT) | instid1(VALU_DEP_2)
	v_cndmask_b32_e64 v28, v28, v26, s2
	v_cndmask_b32_e64 v27, v27, v25, s3
	s_delay_alu instid0(VALU_DEP_1) | instskip(SKIP_1) | instid1(VALU_DEP_2)
	v_dual_cndmask_b32 v27, v27, v25 :: v_dual_and_b32 v28, 0xff00ffff, v28
	v_cmp_gt_u32_e32 vcc_lo, s19, v30
	v_cndmask_b32_e64 v27, v27, v25, s2
	s_delay_alu instid0(VALU_DEP_1) | instskip(NEXT) | instid1(VALU_DEP_1)
	v_dual_cndmask_b32 v28, v28, v26 :: v_dual_cndmask_b32 v27, v27, v25
	v_and_b32_e32 v28, 0xffffff, v28
	v_cmp_gt_u32_e32 vcc_lo, s19, v29
	s_delay_alu instid0(VALU_DEP_2)
	v_dual_cndmask_b32 v26, v28, v26 :: v_dual_cndmask_b32 v25, v27, v25
.LBB779_63:
	s_delay_alu instid0(VALU_DEP_1) | instskip(SKIP_1) | instid1(VALU_DEP_2)
	v_and_b32_e32 v36, 0xff, v25
	s_waitcnt vmcnt(0) lgkmcnt(0)
	v_alignbit_b32 v27, v26, v25, 24
	v_bfe_u32 v38, v25, 8, 8
	v_bfe_u32 v40, v25, 16, 8
	v_and_b32_e32 v44, 0xff, v26
	v_bfe_u32 v46, v26, 8, 8
	v_and_b32_e32 v42, 0xff, v27
	v_add_nc_u32_e32 v27, v38, v36
	v_mbcnt_lo_u32_b32 v49, -1, 0
	v_bfe_u32 v48, v26, 16, 8
	v_lshrrev_b32_e32 v47, 24, v26
	v_lshrrev_b32_e32 v50, 5, v0
	v_add3_u32 v27, v27, v40, v42
	v_and_b32_e32 v28, 15, v49
	v_and_b32_e32 v29, 16, v49
	s_and_b32 vcc_lo, exec_lo, s9
	s_mov_b32 s19, -1
	v_add3_u32 v27, v27, v44, v46
	v_cmp_eq_u32_e64 s4, 0, v28
	v_cmp_lt_u32_e64 s2, 1, v28
	v_cmp_lt_u32_e64 s5, 3, v28
	;; [unrolled: 1-line block ×3, first 2 shown]
	v_add3_u32 v51, v27, v48, v47
	v_or_b32_e32 v27, 31, v0
	v_cmp_eq_u32_e64 s7, 0, v29
	s_barrier
	buffer_gl0_inv
	v_cmp_eq_u32_e64 s6, v27, v0
	s_cbranch_vccz .LBB779_94
; %bb.64:
	v_mov_b32_dpp v27, v51 row_shr:1 row_mask:0xf bank_mask:0xf
	s_delay_alu instid0(VALU_DEP_1) | instskip(NEXT) | instid1(VALU_DEP_1)
	v_cndmask_b32_e64 v27, v27, 0, s4
	v_add_nc_u32_e32 v27, v27, v51
	s_delay_alu instid0(VALU_DEP_1) | instskip(NEXT) | instid1(VALU_DEP_1)
	v_mov_b32_dpp v28, v27 row_shr:2 row_mask:0xf bank_mask:0xf
	v_cndmask_b32_e64 v28, 0, v28, s2
	s_delay_alu instid0(VALU_DEP_1) | instskip(NEXT) | instid1(VALU_DEP_1)
	v_add_nc_u32_e32 v27, v27, v28
	v_mov_b32_dpp v28, v27 row_shr:4 row_mask:0xf bank_mask:0xf
	s_delay_alu instid0(VALU_DEP_1) | instskip(NEXT) | instid1(VALU_DEP_1)
	v_cndmask_b32_e64 v28, 0, v28, s5
	v_add_nc_u32_e32 v27, v27, v28
	s_delay_alu instid0(VALU_DEP_1) | instskip(NEXT) | instid1(VALU_DEP_1)
	v_mov_b32_dpp v28, v27 row_shr:8 row_mask:0xf bank_mask:0xf
	v_cndmask_b32_e64 v28, 0, v28, s3
	s_delay_alu instid0(VALU_DEP_1) | instskip(SKIP_3) | instid1(VALU_DEP_1)
	v_add_nc_u32_e32 v27, v27, v28
	ds_swizzle_b32 v28, v27 offset:swizzle(BROADCAST,32,15)
	s_waitcnt lgkmcnt(0)
	v_cndmask_b32_e64 v28, v28, 0, s7
	v_add_nc_u32_e32 v27, v27, v28
	s_and_saveexec_b32 s8, s6
	s_cbranch_execz .LBB779_66
; %bb.65:
	v_lshlrev_b32_e32 v28, 2, v50
	ds_store_b32 v28, v27
.LBB779_66:
	s_or_b32 exec_lo, exec_lo, s8
	s_delay_alu instid0(SALU_CYCLE_1)
	s_mov_b32 s8, exec_lo
	s_waitcnt lgkmcnt(0)
	s_barrier
	buffer_gl0_inv
	v_cmpx_gt_u32_e32 16, v0
	s_cbranch_execz .LBB779_68
; %bb.67:
	v_lshlrev_b32_e32 v28, 2, v0
	ds_load_b32 v29, v28
	s_waitcnt lgkmcnt(0)
	v_mov_b32_dpp v30, v29 row_shr:1 row_mask:0xf bank_mask:0xf
	s_delay_alu instid0(VALU_DEP_1) | instskip(NEXT) | instid1(VALU_DEP_1)
	v_cndmask_b32_e64 v30, v30, 0, s4
	v_add_nc_u32_e32 v29, v30, v29
	s_delay_alu instid0(VALU_DEP_1) | instskip(NEXT) | instid1(VALU_DEP_1)
	v_mov_b32_dpp v30, v29 row_shr:2 row_mask:0xf bank_mask:0xf
	v_cndmask_b32_e64 v30, 0, v30, s2
	s_delay_alu instid0(VALU_DEP_1) | instskip(NEXT) | instid1(VALU_DEP_1)
	v_add_nc_u32_e32 v29, v29, v30
	v_mov_b32_dpp v30, v29 row_shr:4 row_mask:0xf bank_mask:0xf
	s_delay_alu instid0(VALU_DEP_1) | instskip(NEXT) | instid1(VALU_DEP_1)
	v_cndmask_b32_e64 v30, 0, v30, s5
	v_add_nc_u32_e32 v29, v29, v30
	s_delay_alu instid0(VALU_DEP_1) | instskip(NEXT) | instid1(VALU_DEP_1)
	v_mov_b32_dpp v30, v29 row_shr:8 row_mask:0xf bank_mask:0xf
	v_cndmask_b32_e64 v30, 0, v30, s3
	s_delay_alu instid0(VALU_DEP_1)
	v_add_nc_u32_e32 v29, v29, v30
	ds_store_b32 v28, v29
.LBB779_68:
	s_or_b32 exec_lo, exec_lo, s8
	v_cmp_gt_u32_e32 vcc_lo, 32, v0
	s_mov_b32 s9, exec_lo
	s_waitcnt lgkmcnt(0)
	s_barrier
	buffer_gl0_inv
                                        ; implicit-def: $vgpr35
	v_cmpx_lt_u32_e32 31, v0
	s_cbranch_execz .LBB779_70
; %bb.69:
	v_lshl_add_u32 v28, v50, 2, -4
	ds_load_b32 v35, v28
	s_waitcnt lgkmcnt(0)
	v_add_nc_u32_e32 v27, v35, v27
.LBB779_70:
	s_or_b32 exec_lo, exec_lo, s9
	v_add_nc_u32_e32 v28, -1, v49
	s_delay_alu instid0(VALU_DEP_1) | instskip(NEXT) | instid1(VALU_DEP_1)
	v_cmp_gt_i32_e64 s8, 0, v28
	v_cndmask_b32_e64 v28, v28, v49, s8
	v_cmp_eq_u32_e64 s8, 0, v49
	s_delay_alu instid0(VALU_DEP_2)
	v_lshlrev_b32_e32 v28, 2, v28
	ds_bpermute_b32 v37, v28, v27
	s_and_saveexec_b32 s9, vcc_lo
	s_cbranch_execz .LBB779_93
; %bb.71:
	v_mov_b32_e32 v31, 0
	ds_load_b32 v27, v31 offset:60
	s_and_saveexec_b32 s19, s8
	s_cbranch_execz .LBB779_73
; %bb.72:
	s_add_i32 s20, s15, 32
	s_mov_b32 s21, 0
	v_mov_b32_e32 v28, 1
	s_lshl_b64 s[20:21], s[20:21], 3
	s_delay_alu instid0(SALU_CYCLE_1)
	s_add_u32 s20, s12, s20
	s_addc_u32 s21, s13, s21
	s_waitcnt lgkmcnt(0)
	global_store_b64 v31, v[27:28], s[20:21]
.LBB779_73:
	s_or_b32 exec_lo, exec_lo, s19
	v_xad_u32 v29, v49, -1, s15
	s_mov_b32 s20, 0
	s_mov_b32 s19, exec_lo
	s_delay_alu instid0(VALU_DEP_1) | instskip(NEXT) | instid1(VALU_DEP_1)
	v_add_nc_u32_e32 v30, 32, v29
	v_lshlrev_b64 v[30:31], 3, v[30:31]
	s_delay_alu instid0(VALU_DEP_1) | instskip(NEXT) | instid1(VALU_DEP_2)
	v_add_co_u32 v33, vcc_lo, s12, v30
	v_add_co_ci_u32_e32 v34, vcc_lo, s13, v31, vcc_lo
	global_load_b64 v[31:32], v[33:34], off glc
	s_waitcnt vmcnt(0)
	v_and_b32_e32 v28, 0xff, v32
	s_delay_alu instid0(VALU_DEP_1)
	v_cmpx_eq_u16_e32 0, v28
	s_cbranch_execz .LBB779_79
; %bb.74:
	s_mov_b32 s21, 1
	.p2align	6
.LBB779_75:                             ; =>This Loop Header: Depth=1
                                        ;     Child Loop BB779_76 Depth 2
	s_delay_alu instid0(SALU_CYCLE_1)
	s_max_u32 s22, s21, 1
.LBB779_76:                             ;   Parent Loop BB779_75 Depth=1
                                        ; =>  This Inner Loop Header: Depth=2
	s_delay_alu instid0(SALU_CYCLE_1)
	s_add_i32 s22, s22, -1
	s_sleep 1
	s_cmp_eq_u32 s22, 0
	s_cbranch_scc0 .LBB779_76
; %bb.77:                               ;   in Loop: Header=BB779_75 Depth=1
	global_load_b64 v[31:32], v[33:34], off glc
	s_cmp_lt_u32 s21, 32
	s_cselect_b32 s22, -1, 0
	s_delay_alu instid0(SALU_CYCLE_1) | instskip(SKIP_3) | instid1(VALU_DEP_1)
	s_cmp_lg_u32 s22, 0
	s_addc_u32 s21, s21, 0
	s_waitcnt vmcnt(0)
	v_and_b32_e32 v28, 0xff, v32
	v_cmp_ne_u16_e32 vcc_lo, 0, v28
	s_or_b32 s20, vcc_lo, s20
	s_delay_alu instid0(SALU_CYCLE_1)
	s_and_not1_b32 exec_lo, exec_lo, s20
	s_cbranch_execnz .LBB779_75
; %bb.78:
	s_or_b32 exec_lo, exec_lo, s20
.LBB779_79:
	s_delay_alu instid0(SALU_CYCLE_1)
	s_or_b32 exec_lo, exec_lo, s19
	v_cmp_ne_u32_e32 vcc_lo, 31, v49
	v_lshlrev_b32_e64 v41, v49, -1
	v_add_nc_u32_e32 v45, 2, v49
	v_add_nc_u32_e32 v53, 4, v49
	;; [unrolled: 1-line block ×3, first 2 shown]
	v_add_co_ci_u32_e32 v28, vcc_lo, 0, v49, vcc_lo
	v_add_nc_u32_e32 v57, 16, v49
	s_delay_alu instid0(VALU_DEP_2)
	v_lshlrev_b32_e32 v39, 2, v28
	v_and_b32_e32 v28, 0xff, v32
	ds_bpermute_b32 v30, v39, v31
	v_cmp_eq_u16_e32 vcc_lo, 2, v28
	v_and_or_b32 v28, vcc_lo, v41, 0x80000000
	v_cmp_gt_u32_e32 vcc_lo, 30, v49
	s_delay_alu instid0(VALU_DEP_2) | instskip(SKIP_1) | instid1(VALU_DEP_2)
	v_ctz_i32_b32_e32 v28, v28
	v_cndmask_b32_e64 v33, 0, 1, vcc_lo
	v_cmp_lt_u32_e32 vcc_lo, v49, v28
	s_waitcnt lgkmcnt(0)
	s_delay_alu instid0(VALU_DEP_2) | instskip(NEXT) | instid1(VALU_DEP_1)
	v_dual_cndmask_b32 v30, 0, v30 :: v_dual_lshlrev_b32 v33, 1, v33
	v_add_lshl_u32 v43, v33, v49, 2
	v_cmp_gt_u32_e32 vcc_lo, 28, v49
	s_delay_alu instid0(VALU_DEP_3) | instskip(SKIP_4) | instid1(VALU_DEP_1)
	v_add_nc_u32_e32 v30, v30, v31
	v_cndmask_b32_e64 v33, 0, 1, vcc_lo
	v_cmp_le_u32_e32 vcc_lo, v45, v28
	ds_bpermute_b32 v31, v43, v30
	v_lshlrev_b32_e32 v33, 2, v33
	v_add_lshl_u32 v52, v33, v49, 2
	s_waitcnt lgkmcnt(0)
	v_cndmask_b32_e32 v31, 0, v31, vcc_lo
	v_cmp_gt_u32_e32 vcc_lo, 24, v49
	s_delay_alu instid0(VALU_DEP_2) | instskip(SKIP_4) | instid1(VALU_DEP_1)
	v_add_nc_u32_e32 v30, v30, v31
	v_cndmask_b32_e64 v33, 0, 1, vcc_lo
	v_cmp_le_u32_e32 vcc_lo, v53, v28
	ds_bpermute_b32 v31, v52, v30
	v_lshlrev_b32_e32 v33, 3, v33
	v_add_lshl_u32 v54, v33, v49, 2
	s_waitcnt lgkmcnt(0)
	v_cndmask_b32_e32 v31, 0, v31, vcc_lo
	v_cmp_gt_u32_e32 vcc_lo, 16, v49
	s_delay_alu instid0(VALU_DEP_2) | instskip(SKIP_4) | instid1(VALU_DEP_1)
	v_add_nc_u32_e32 v30, v30, v31
	v_cndmask_b32_e64 v33, 0, 1, vcc_lo
	v_cmp_le_u32_e32 vcc_lo, v55, v28
	ds_bpermute_b32 v31, v54, v30
	v_lshlrev_b32_e32 v33, 4, v33
	v_add_lshl_u32 v56, v33, v49, 2
	s_waitcnt lgkmcnt(0)
	v_cndmask_b32_e32 v31, 0, v31, vcc_lo
	v_cmp_le_u32_e32 vcc_lo, v57, v28
	s_delay_alu instid0(VALU_DEP_2) | instskip(SKIP_3) | instid1(VALU_DEP_1)
	v_add_nc_u32_e32 v30, v30, v31
	ds_bpermute_b32 v31, v56, v30
	s_waitcnt lgkmcnt(0)
	v_cndmask_b32_e32 v28, 0, v31, vcc_lo
	v_dual_mov_b32 v30, 0 :: v_dual_add_nc_u32 v31, v30, v28
	s_branch .LBB779_81
.LBB779_80:                             ;   in Loop: Header=BB779_81 Depth=1
	s_or_b32 exec_lo, exec_lo, s19
	ds_bpermute_b32 v34, v39, v31
	v_and_b32_e32 v33, 0xff, v32
	v_subrev_nc_u32_e32 v29, 32, v29
	s_delay_alu instid0(VALU_DEP_2) | instskip(SKIP_1) | instid1(VALU_DEP_1)
	v_cmp_eq_u16_e32 vcc_lo, 2, v33
	v_and_or_b32 v33, vcc_lo, v41, 0x80000000
	v_ctz_i32_b32_e32 v33, v33
	s_delay_alu instid0(VALU_DEP_1) | instskip(SKIP_3) | instid1(VALU_DEP_2)
	v_cmp_lt_u32_e32 vcc_lo, v49, v33
	s_waitcnt lgkmcnt(0)
	v_cndmask_b32_e32 v34, 0, v34, vcc_lo
	v_cmp_le_u32_e32 vcc_lo, v45, v33
	v_add_nc_u32_e32 v31, v34, v31
	ds_bpermute_b32 v34, v43, v31
	s_waitcnt lgkmcnt(0)
	v_cndmask_b32_e32 v34, 0, v34, vcc_lo
	v_cmp_le_u32_e32 vcc_lo, v53, v33
	s_delay_alu instid0(VALU_DEP_2) | instskip(SKIP_4) | instid1(VALU_DEP_2)
	v_add_nc_u32_e32 v31, v31, v34
	ds_bpermute_b32 v34, v52, v31
	s_waitcnt lgkmcnt(0)
	v_cndmask_b32_e32 v34, 0, v34, vcc_lo
	v_cmp_le_u32_e32 vcc_lo, v55, v33
	v_add_nc_u32_e32 v31, v31, v34
	ds_bpermute_b32 v34, v54, v31
	s_waitcnt lgkmcnt(0)
	v_cndmask_b32_e32 v34, 0, v34, vcc_lo
	v_cmp_le_u32_e32 vcc_lo, v57, v33
	s_delay_alu instid0(VALU_DEP_2) | instskip(SKIP_3) | instid1(VALU_DEP_1)
	v_add_nc_u32_e32 v31, v31, v34
	ds_bpermute_b32 v34, v56, v31
	s_waitcnt lgkmcnt(0)
	v_cndmask_b32_e32 v33, 0, v34, vcc_lo
	v_add3_u32 v31, v33, v28, v31
.LBB779_81:                             ; =>This Loop Header: Depth=1
                                        ;     Child Loop BB779_84 Depth 2
                                        ;       Child Loop BB779_85 Depth 3
	v_and_b32_e32 v28, 0xff, v32
	s_delay_alu instid0(VALU_DEP_1) | instskip(SKIP_2) | instid1(VALU_DEP_1)
	v_cmp_ne_u16_e32 vcc_lo, 2, v28
	v_cndmask_b32_e64 v28, 0, 1, vcc_lo
	;;#ASMSTART
	;;#ASMEND
	v_cmp_ne_u32_e32 vcc_lo, 0, v28
	v_mov_b32_e32 v28, v31
	s_cmp_lg_u32 vcc_lo, exec_lo
	s_cbranch_scc1 .LBB779_88
; %bb.82:                               ;   in Loop: Header=BB779_81 Depth=1
	v_lshlrev_b64 v[31:32], 3, v[29:30]
	s_mov_b32 s19, exec_lo
	s_delay_alu instid0(VALU_DEP_1) | instskip(NEXT) | instid1(VALU_DEP_2)
	v_add_co_u32 v33, vcc_lo, s12, v31
	v_add_co_ci_u32_e32 v34, vcc_lo, s13, v32, vcc_lo
	global_load_b64 v[31:32], v[33:34], off glc
	s_waitcnt vmcnt(0)
	v_and_b32_e32 v58, 0xff, v32
	s_delay_alu instid0(VALU_DEP_1)
	v_cmpx_eq_u16_e32 0, v58
	s_cbranch_execz .LBB779_80
; %bb.83:                               ;   in Loop: Header=BB779_81 Depth=1
	s_mov_b32 s21, 1
	s_mov_b32 s20, 0
	.p2align	6
.LBB779_84:                             ;   Parent Loop BB779_81 Depth=1
                                        ; =>  This Loop Header: Depth=2
                                        ;       Child Loop BB779_85 Depth 3
	s_max_u32 s22, s21, 1
.LBB779_85:                             ;   Parent Loop BB779_81 Depth=1
                                        ;     Parent Loop BB779_84 Depth=2
                                        ; =>    This Inner Loop Header: Depth=3
	s_delay_alu instid0(SALU_CYCLE_1)
	s_add_i32 s22, s22, -1
	s_sleep 1
	s_cmp_eq_u32 s22, 0
	s_cbranch_scc0 .LBB779_85
; %bb.86:                               ;   in Loop: Header=BB779_84 Depth=2
	global_load_b64 v[31:32], v[33:34], off glc
	s_cmp_lt_u32 s21, 32
	s_cselect_b32 s22, -1, 0
	s_delay_alu instid0(SALU_CYCLE_1) | instskip(SKIP_3) | instid1(VALU_DEP_1)
	s_cmp_lg_u32 s22, 0
	s_addc_u32 s21, s21, 0
	s_waitcnt vmcnt(0)
	v_and_b32_e32 v58, 0xff, v32
	v_cmp_ne_u16_e32 vcc_lo, 0, v58
	s_or_b32 s20, vcc_lo, s20
	s_delay_alu instid0(SALU_CYCLE_1)
	s_and_not1_b32 exec_lo, exec_lo, s20
	s_cbranch_execnz .LBB779_84
; %bb.87:                               ;   in Loop: Header=BB779_81 Depth=1
	s_or_b32 exec_lo, exec_lo, s20
	s_branch .LBB779_80
.LBB779_88:                             ;   in Loop: Header=BB779_81 Depth=1
                                        ; implicit-def: $vgpr31
                                        ; implicit-def: $vgpr32
	s_cbranch_execz .LBB779_81
; %bb.89:
	s_and_saveexec_b32 s19, s8
	s_cbranch_execz .LBB779_91
; %bb.90:
	s_add_i32 s20, s15, 32
	s_mov_b32 s21, 0
	v_dual_mov_b32 v30, 2 :: v_dual_add_nc_u32 v29, v28, v27
	s_lshl_b64 s[20:21], s[20:21], 3
	v_mov_b32_e32 v31, 0
	s_add_u32 s20, s12, s20
	s_addc_u32 s21, s13, s21
	global_store_b64 v31, v[29:30], s[20:21]
	ds_store_b64 v31, v[27:28] offset:33792
.LBB779_91:
	s_or_b32 exec_lo, exec_lo, s19
	v_cmp_eq_u32_e32 vcc_lo, 0, v0
	s_and_b32 exec_lo, exec_lo, vcc_lo
	s_cbranch_execz .LBB779_93
; %bb.92:
	v_mov_b32_e32 v27, 0
	ds_store_b32 v27, v28 offset:60
.LBB779_93:
	s_or_b32 exec_lo, exec_lo, s9
	v_mov_b32_e32 v27, 0
	s_waitcnt lgkmcnt(0)
	s_waitcnt_vscnt null, 0x0
	s_barrier
	buffer_gl0_inv
	v_cndmask_b32_e64 v29, v37, v35, s8
	ds_load_b32 v28, v27 offset:60
	v_cmp_ne_u32_e32 vcc_lo, 0, v0
	s_waitcnt lgkmcnt(0)
	s_barrier
	buffer_gl0_inv
	v_cndmask_b32_e32 v29, 0, v29, vcc_lo
	s_delay_alu instid0(VALU_DEP_1) | instskip(SKIP_2) | instid1(VALU_DEP_1)
	v_add_nc_u32_e32 v45, v28, v29
	ds_load_b64 v[27:28], v27 offset:33792
	v_add_nc_u32_e32 v43, v45, v36
	v_add_nc_u32_e32 v41, v43, v38
	s_delay_alu instid0(VALU_DEP_1) | instskip(NEXT) | instid1(VALU_DEP_1)
	v_add_nc_u32_e32 v39, v41, v40
	v_add_nc_u32_e32 v37, v39, v42
	s_delay_alu instid0(VALU_DEP_1) | instskip(NEXT) | instid1(VALU_DEP_1)
	v_add_nc_u32_e32 v35, v37, v44
	v_add_nc_u32_e32 v33, v35, v46
	s_delay_alu instid0(VALU_DEP_1)
	v_add_nc_u32_e32 v31, v33, v48
	s_load_b64 s[8:9], s[0:1], 0x38
	v_lshrrev_b64 v[29:30], 24, v[25:26]
	s_branch .LBB779_104
.LBB779_94:
                                        ; implicit-def: $vgpr31
                                        ; implicit-def: $vgpr33
                                        ; implicit-def: $vgpr35
                                        ; implicit-def: $vgpr37
                                        ; implicit-def: $vgpr39
                                        ; implicit-def: $vgpr41
                                        ; implicit-def: $vgpr43
                                        ; implicit-def: $vgpr45
                                        ; implicit-def: $vgpr28
	s_load_b64 s[8:9], s[0:1], 0x38
	v_lshrrev_b64 v[29:30], 24, v[25:26]
	s_and_b32 vcc_lo, exec_lo, s19
	s_cbranch_vccz .LBB779_104
; %bb.95:
	s_waitcnt lgkmcnt(0)
	v_mov_b32_dpp v27, v51 row_shr:1 row_mask:0xf bank_mask:0xf
	s_delay_alu instid0(VALU_DEP_1) | instskip(NEXT) | instid1(VALU_DEP_1)
	v_cndmask_b32_e64 v27, v27, 0, s4
	v_add_nc_u32_e32 v27, v27, v51
	s_delay_alu instid0(VALU_DEP_1) | instskip(NEXT) | instid1(VALU_DEP_1)
	v_mov_b32_dpp v28, v27 row_shr:2 row_mask:0xf bank_mask:0xf
	v_cndmask_b32_e64 v28, 0, v28, s2
	s_delay_alu instid0(VALU_DEP_1) | instskip(NEXT) | instid1(VALU_DEP_1)
	v_add_nc_u32_e32 v27, v27, v28
	v_mov_b32_dpp v28, v27 row_shr:4 row_mask:0xf bank_mask:0xf
	s_delay_alu instid0(VALU_DEP_1) | instskip(NEXT) | instid1(VALU_DEP_1)
	v_cndmask_b32_e64 v28, 0, v28, s5
	v_add_nc_u32_e32 v27, v27, v28
	s_delay_alu instid0(VALU_DEP_1) | instskip(NEXT) | instid1(VALU_DEP_1)
	v_mov_b32_dpp v28, v27 row_shr:8 row_mask:0xf bank_mask:0xf
	v_cndmask_b32_e64 v28, 0, v28, s3
	s_delay_alu instid0(VALU_DEP_1) | instskip(SKIP_3) | instid1(VALU_DEP_1)
	v_add_nc_u32_e32 v27, v27, v28
	ds_swizzle_b32 v28, v27 offset:swizzle(BROADCAST,32,15)
	s_waitcnt lgkmcnt(0)
	v_cndmask_b32_e64 v28, v28, 0, s7
	v_add_nc_u32_e32 v27, v27, v28
	s_and_saveexec_b32 s0, s6
	s_cbranch_execz .LBB779_97
; %bb.96:
	v_lshlrev_b32_e32 v28, 2, v50
	ds_store_b32 v28, v27
.LBB779_97:
	s_or_b32 exec_lo, exec_lo, s0
	s_delay_alu instid0(SALU_CYCLE_1)
	s_mov_b32 s0, exec_lo
	s_waitcnt lgkmcnt(0)
	s_barrier
	buffer_gl0_inv
	v_cmpx_gt_u32_e32 16, v0
	s_cbranch_execz .LBB779_99
; %bb.98:
	v_lshlrev_b32_e32 v28, 2, v0
	ds_load_b32 v30, v28
	s_waitcnt lgkmcnt(0)
	v_mov_b32_dpp v31, v30 row_shr:1 row_mask:0xf bank_mask:0xf
	s_delay_alu instid0(VALU_DEP_1) | instskip(NEXT) | instid1(VALU_DEP_1)
	v_cndmask_b32_e64 v31, v31, 0, s4
	v_add_nc_u32_e32 v30, v31, v30
	s_delay_alu instid0(VALU_DEP_1) | instskip(NEXT) | instid1(VALU_DEP_1)
	v_mov_b32_dpp v31, v30 row_shr:2 row_mask:0xf bank_mask:0xf
	v_cndmask_b32_e64 v31, 0, v31, s2
	s_delay_alu instid0(VALU_DEP_1) | instskip(NEXT) | instid1(VALU_DEP_1)
	v_add_nc_u32_e32 v30, v30, v31
	v_mov_b32_dpp v31, v30 row_shr:4 row_mask:0xf bank_mask:0xf
	s_delay_alu instid0(VALU_DEP_1) | instskip(NEXT) | instid1(VALU_DEP_1)
	v_cndmask_b32_e64 v31, 0, v31, s5
	v_add_nc_u32_e32 v30, v30, v31
	s_delay_alu instid0(VALU_DEP_1) | instskip(NEXT) | instid1(VALU_DEP_1)
	v_mov_b32_dpp v31, v30 row_shr:8 row_mask:0xf bank_mask:0xf
	v_cndmask_b32_e64 v31, 0, v31, s3
	s_delay_alu instid0(VALU_DEP_1)
	v_add_nc_u32_e32 v30, v30, v31
	ds_store_b32 v28, v30
.LBB779_99:
	s_or_b32 exec_lo, exec_lo, s0
	v_mov_b32_e32 v28, 0
	v_mov_b32_e32 v30, 0
	s_mov_b32 s0, exec_lo
	s_waitcnt lgkmcnt(0)
	s_barrier
	buffer_gl0_inv
	v_cmpx_lt_u32_e32 31, v0
	s_cbranch_execz .LBB779_101
; %bb.100:
	v_lshl_add_u32 v30, v50, 2, -4
	ds_load_b32 v30, v30
.LBB779_101:
	s_or_b32 exec_lo, exec_lo, s0
	v_add_nc_u32_e32 v31, -1, v49
	s_waitcnt lgkmcnt(0)
	v_add_nc_u32_e32 v27, v30, v27
	s_delay_alu instid0(VALU_DEP_2) | instskip(SKIP_2) | instid1(VALU_DEP_2)
	v_cmp_gt_i32_e32 vcc_lo, 0, v31
	v_cndmask_b32_e32 v31, v31, v49, vcc_lo
	v_cmp_eq_u32_e32 vcc_lo, 0, v0
	v_lshlrev_b32_e32 v31, 2, v31
	ds_bpermute_b32 v31, v31, v27
	ds_load_b32 v27, v28 offset:60
	s_and_saveexec_b32 s0, vcc_lo
	s_cbranch_execz .LBB779_103
; %bb.102:
	v_mov_b32_e32 v32, 0
	v_mov_b32_e32 v28, 2
	s_waitcnt lgkmcnt(0)
	global_store_b64 v32, v[27:28], s[12:13] offset:256
.LBB779_103:
	s_or_b32 exec_lo, exec_lo, s0
	v_cmp_eq_u32_e64 s0, 0, v49
	s_waitcnt lgkmcnt(0)
	s_waitcnt_vscnt null, 0x0
	s_barrier
	buffer_gl0_inv
	v_cndmask_b32_e64 v28, v31, v30, s0
	s_delay_alu instid0(VALU_DEP_1) | instskip(NEXT) | instid1(VALU_DEP_1)
	v_cndmask_b32_e64 v45, v28, 0, vcc_lo
	v_dual_mov_b32 v28, 0 :: v_dual_add_nc_u32 v43, v45, v36
	s_delay_alu instid0(VALU_DEP_1) | instskip(NEXT) | instid1(VALU_DEP_1)
	v_add_nc_u32_e32 v41, v43, v38
	v_add_nc_u32_e32 v39, v41, v40
	s_delay_alu instid0(VALU_DEP_1) | instskip(NEXT) | instid1(VALU_DEP_1)
	v_add_nc_u32_e32 v37, v39, v42
	v_add_nc_u32_e32 v35, v37, v44
	;; [unrolled: 3-line block ×3, first 2 shown]
.LBB779_104:
	v_lshrrev_b32_e32 v50, 8, v25
	v_lshrrev_b32_e32 v49, 16, v25
	v_and_b32_e32 v25, 1, v25
	s_waitcnt lgkmcnt(0)
	v_cmp_gt_u32_e64 s0, 0x201, v27
	v_lshrrev_b32_e32 v48, 8, v26
	v_lshrrev_b32_e32 v30, 16, v26
	v_cmp_eq_u32_e64 s1, 1, v25
	s_delay_alu instid0(VALU_DEP_4)
	s_and_b32 vcc_lo, exec_lo, s0
	s_cbranch_vccnz .LBB779_122
; %bb.105:
	s_delay_alu instid0(VALU_DEP_1)
	s_and_saveexec_b32 s2, s1
	s_cbranch_execz .LBB779_107
; %bb.106:
	v_sub_nc_u32_e32 v32, v45, v28
	s_delay_alu instid0(VALU_DEP_1)
	v_lshlrev_b32_e32 v32, 3, v32
	ds_store_b64 v32, v[13:14]
.LBB779_107:
	s_or_b32 exec_lo, exec_lo, s2
	v_and_b32_e32 v13, 1, v50
	s_mov_b32 s1, exec_lo
	s_delay_alu instid0(VALU_DEP_1)
	v_cmpx_eq_u32_e32 1, v13
	s_cbranch_execz .LBB779_109
; %bb.108:
	v_sub_nc_u32_e32 v13, v43, v28
	s_delay_alu instid0(VALU_DEP_1)
	v_lshlrev_b32_e32 v13, 3, v13
	ds_store_b64 v13, v[15:16]
.LBB779_109:
	s_or_b32 exec_lo, exec_lo, s1
	v_and_b32_e32 v13, 1, v49
	s_mov_b32 s1, exec_lo
	s_delay_alu instid0(VALU_DEP_1)
	v_cmpx_eq_u32_e32 1, v13
	s_cbranch_execz .LBB779_111
; %bb.110:
	v_sub_nc_u32_e32 v13, v41, v28
	s_delay_alu instid0(VALU_DEP_1)
	v_lshlrev_b32_e32 v13, 3, v13
	ds_store_b64 v13, v[9:10]
.LBB779_111:
	s_or_b32 exec_lo, exec_lo, s1
	v_and_b32_e32 v9, 1, v29
	s_mov_b32 s1, exec_lo
	s_delay_alu instid0(VALU_DEP_1)
	v_cmpx_eq_u32_e32 1, v9
	s_cbranch_execz .LBB779_113
; %bb.112:
	v_sub_nc_u32_e32 v9, v39, v28
	s_delay_alu instid0(VALU_DEP_1)
	v_lshlrev_b32_e32 v9, 3, v9
	ds_store_b64 v9, v[11:12]
.LBB779_113:
	s_or_b32 exec_lo, exec_lo, s1
	v_and_b32_e32 v9, 1, v26
	s_mov_b32 s1, exec_lo
	s_delay_alu instid0(VALU_DEP_1)
	v_cmpx_eq_u32_e32 1, v9
	s_cbranch_execz .LBB779_115
; %bb.114:
	v_sub_nc_u32_e32 v9, v37, v28
	s_delay_alu instid0(VALU_DEP_1)
	v_lshlrev_b32_e32 v9, 3, v9
	ds_store_b64 v9, v[5:6]
.LBB779_115:
	s_or_b32 exec_lo, exec_lo, s1
	v_and_b32_e32 v5, 1, v48
	s_mov_b32 s1, exec_lo
	s_delay_alu instid0(VALU_DEP_1)
	v_cmpx_eq_u32_e32 1, v5
	s_cbranch_execz .LBB779_117
; %bb.116:
	v_sub_nc_u32_e32 v5, v35, v28
	s_delay_alu instid0(VALU_DEP_1)
	v_lshlrev_b32_e32 v5, 3, v5
	ds_store_b64 v5, v[7:8]
.LBB779_117:
	s_or_b32 exec_lo, exec_lo, s1
	v_and_b32_e32 v5, 1, v30
	s_mov_b32 s1, exec_lo
	s_delay_alu instid0(VALU_DEP_1)
	v_cmpx_eq_u32_e32 1, v5
	s_cbranch_execz .LBB779_119
; %bb.118:
	v_sub_nc_u32_e32 v5, v33, v28
	s_delay_alu instid0(VALU_DEP_1)
	v_lshlrev_b32_e32 v5, 3, v5
	ds_store_b64 v5, v[1:2]
.LBB779_119:
	s_or_b32 exec_lo, exec_lo, s1
	v_and_b32_e32 v1, 1, v47
	s_mov_b32 s1, exec_lo
	s_delay_alu instid0(VALU_DEP_1)
	v_cmpx_eq_u32_e32 1, v1
	s_cbranch_execz .LBB779_121
; %bb.120:
	v_sub_nc_u32_e32 v1, v31, v28
	s_delay_alu instid0(VALU_DEP_1)
	v_lshlrev_b32_e32 v1, 3, v1
	ds_store_b64 v1, v[3:4]
.LBB779_121:
	s_or_b32 exec_lo, exec_lo, s1
	s_waitcnt lgkmcnt(0)
	s_barrier
	buffer_gl0_inv
.LBB779_122:
	s_and_b32 vcc_lo, exec_lo, s0
	s_mov_b32 s0, -1
	s_barrier
	buffer_gl0_inv
	s_cbranch_vccz .LBB779_150
; %bb.123:
	v_add_nc_u32_e32 v1, v28, v27
	s_lshl_b64 s[0:1], s[10:11], 2
	s_delay_alu instid0(SALU_CYCLE_1) | instskip(SKIP_1) | instid1(VALU_DEP_1)
	s_add_u32 s0, s8, s0
	s_addc_u32 s1, s9, s1
	v_cmp_lt_u32_e32 vcc_lo, v45, v1
	s_or_b32 s3, s18, vcc_lo
	s_delay_alu instid0(SALU_CYCLE_1)
	s_and_saveexec_b32 s2, s3
	s_cbranch_execz .LBB779_126
; %bb.124:
	v_cmp_eq_u32_e32 vcc_lo, 1, v25
	s_and_b32 exec_lo, exec_lo, vcc_lo
	s_cbranch_execz .LBB779_126
; %bb.125:
	v_mov_b32_e32 v46, 0
	s_delay_alu instid0(VALU_DEP_1) | instskip(NEXT) | instid1(VALU_DEP_1)
	v_lshlrev_b64 v[2:3], 2, v[45:46]
	v_add_co_u32 v2, vcc_lo, s0, v2
	s_delay_alu instid0(VALU_DEP_2)
	v_add_co_ci_u32_e32 v3, vcc_lo, s1, v3, vcc_lo
	global_store_b32 v[2:3], v23, off
.LBB779_126:
	s_or_b32 exec_lo, exec_lo, s2
	v_cmp_lt_u32_e32 vcc_lo, v43, v1
	s_or_b32 s3, s18, vcc_lo
	s_delay_alu instid0(SALU_CYCLE_1)
	s_and_saveexec_b32 s2, s3
	s_cbranch_execz .LBB779_129
; %bb.127:
	v_and_b32_e32 v2, 1, v50
	s_delay_alu instid0(VALU_DEP_1)
	v_cmp_eq_u32_e32 vcc_lo, 1, v2
	s_and_b32 exec_lo, exec_lo, vcc_lo
	s_cbranch_execz .LBB779_129
; %bb.128:
	v_mov_b32_e32 v44, 0
	s_delay_alu instid0(VALU_DEP_1) | instskip(NEXT) | instid1(VALU_DEP_1)
	v_lshlrev_b64 v[2:3], 2, v[43:44]
	v_add_co_u32 v2, vcc_lo, s0, v2
	s_delay_alu instid0(VALU_DEP_2)
	v_add_co_ci_u32_e32 v3, vcc_lo, s1, v3, vcc_lo
	global_store_b32 v[2:3], v24, off
.LBB779_129:
	s_or_b32 exec_lo, exec_lo, s2
	v_cmp_lt_u32_e32 vcc_lo, v41, v1
	s_or_b32 s3, s18, vcc_lo
	s_delay_alu instid0(SALU_CYCLE_1)
	s_and_saveexec_b32 s2, s3
	s_cbranch_execz .LBB779_132
; %bb.130:
	v_and_b32_e32 v2, 1, v49
	s_delay_alu instid0(VALU_DEP_1)
	v_cmp_eq_u32_e32 vcc_lo, 1, v2
	s_and_b32 exec_lo, exec_lo, vcc_lo
	s_cbranch_execz .LBB779_132
; %bb.131:
	v_mov_b32_e32 v42, 0
	s_delay_alu instid0(VALU_DEP_1) | instskip(NEXT) | instid1(VALU_DEP_1)
	v_lshlrev_b64 v[2:3], 2, v[41:42]
	v_add_co_u32 v2, vcc_lo, s0, v2
	s_delay_alu instid0(VALU_DEP_2)
	v_add_co_ci_u32_e32 v3, vcc_lo, s1, v3, vcc_lo
	global_store_b32 v[2:3], v21, off
.LBB779_132:
	;; [unrolled: 21-line block ×7, first 2 shown]
	s_or_b32 exec_lo, exec_lo, s2
.LBB779_148:
	v_cmp_eq_u32_e32 vcc_lo, 0, v0
	s_and_b32 s0, vcc_lo, s14
	s_delay_alu instid0(SALU_CYCLE_1)
	s_and_saveexec_b32 s1, s0
	s_cbranch_execz .LBB779_171
.LBB779_149:
	v_add_co_u32 v0, s0, s10, v27
	s_delay_alu instid0(VALU_DEP_1) | instskip(SKIP_1) | instid1(VALU_DEP_3)
	v_add_co_ci_u32_e64 v1, null, s11, 0, s0
	v_mov_b32_e32 v2, 0
	v_add_co_u32 v0, vcc_lo, v0, v28
	s_delay_alu instid0(VALU_DEP_3)
	v_add_co_ci_u32_e32 v1, vcc_lo, 0, v1, vcc_lo
	global_store_b64 v2, v[0:1], s[16:17]
	s_nop 0
	s_sendmsg sendmsg(MSG_DEALLOC_VGPRS)
	s_endpgm
.LBB779_150:
	s_and_b32 vcc_lo, exec_lo, s0
	s_cbranch_vccz .LBB779_148
; %bb.151:
	s_mov_b32 s0, exec_lo
	v_cmpx_eq_u32_e32 1, v25
	s_cbranch_execz .LBB779_153
; %bb.152:
	v_sub_nc_u32_e32 v1, v45, v28
	s_delay_alu instid0(VALU_DEP_1)
	v_lshlrev_b32_e32 v1, 2, v1
	ds_store_b32 v1, v23
.LBB779_153:
	s_or_b32 exec_lo, exec_lo, s0
	v_and_b32_e32 v1, 1, v50
	s_mov_b32 s0, exec_lo
	s_delay_alu instid0(VALU_DEP_1)
	v_cmpx_eq_u32_e32 1, v1
	s_cbranch_execz .LBB779_155
; %bb.154:
	v_sub_nc_u32_e32 v1, v43, v28
	s_delay_alu instid0(VALU_DEP_1)
	v_lshlrev_b32_e32 v1, 2, v1
	ds_store_b32 v1, v24
.LBB779_155:
	s_or_b32 exec_lo, exec_lo, s0
	v_and_b32_e32 v1, 1, v49
	s_mov_b32 s0, exec_lo
	s_delay_alu instid0(VALU_DEP_1)
	;; [unrolled: 12-line block ×7, first 2 shown]
	v_cmpx_eq_u32_e32 1, v1
	s_cbranch_execz .LBB779_167
; %bb.166:
	v_sub_nc_u32_e32 v1, v31, v28
	s_delay_alu instid0(VALU_DEP_1)
	v_lshlrev_b32_e32 v1, 2, v1
	ds_store_b32 v1, v18
.LBB779_167:
	s_or_b32 exec_lo, exec_lo, s0
	s_delay_alu instid0(SALU_CYCLE_1)
	s_mov_b32 s1, exec_lo
	s_waitcnt lgkmcnt(0)
	s_waitcnt_vscnt null, 0x0
	s_barrier
	buffer_gl0_inv
	v_cmpx_lt_u32_e64 v0, v27
	s_cbranch_execz .LBB779_170
; %bb.168:
	v_dual_mov_b32 v2, 0 :: v_dual_mov_b32 v1, v28
	s_lshl_b64 s[2:3], s[10:11], 2
	v_dual_mov_b32 v4, v0 :: v_dual_lshlrev_b32 v3, 2, v0
	s_delay_alu instid0(VALU_DEP_2) | instskip(NEXT) | instid1(VALU_DEP_1)
	v_lshlrev_b64 v[1:2], 2, v[1:2]
	v_add_co_u32 v1, vcc_lo, s2, v1
	s_delay_alu instid0(VALU_DEP_2) | instskip(SKIP_1) | instid1(VALU_DEP_2)
	v_add_co_ci_u32_e32 v2, vcc_lo, s3, v2, vcc_lo
	s_mov_b32 s2, 0
	v_add_co_u32 v1, vcc_lo, s8, v1
	s_delay_alu instid0(VALU_DEP_2) | instskip(NEXT) | instid1(VALU_DEP_2)
	v_add_co_ci_u32_e32 v2, vcc_lo, s9, v2, vcc_lo
	v_add_co_u32 v1, vcc_lo, v1, v3
	s_delay_alu instid0(VALU_DEP_2)
	v_add_co_ci_u32_e32 v2, vcc_lo, 0, v2, vcc_lo
	.p2align	6
.LBB779_169:                            ; =>This Inner Loop Header: Depth=1
	ds_load_b32 v5, v3
	v_add_nc_u32_e32 v4, 0x200, v4
	v_add_nc_u32_e32 v3, 0x800, v3
	s_delay_alu instid0(VALU_DEP_2) | instskip(SKIP_4) | instid1(VALU_DEP_1)
	v_cmp_ge_u32_e32 vcc_lo, v4, v27
	s_or_b32 s2, vcc_lo, s2
	s_waitcnt lgkmcnt(0)
	global_store_b32 v[1:2], v5, off
	v_add_co_u32 v1, s0, 0x800, v1
	v_add_co_ci_u32_e64 v2, s0, 0, v2, s0
	s_and_not1_b32 exec_lo, exec_lo, s2
	s_cbranch_execnz .LBB779_169
.LBB779_170:
	s_or_b32 exec_lo, exec_lo, s1
	v_cmp_eq_u32_e32 vcc_lo, 0, v0
	s_and_b32 s0, vcc_lo, s14
	s_delay_alu instid0(SALU_CYCLE_1)
	s_and_saveexec_b32 s1, s0
	s_cbranch_execnz .LBB779_149
.LBB779_171:
	s_nop 0
	s_sendmsg sendmsg(MSG_DEALLOC_VGPRS)
	s_endpgm
	.section	.rodata,"a",@progbits
	.p2align	6, 0x0
	.amdhsa_kernel _ZN7rocprim17ROCPRIM_400000_NS6detail17trampoline_kernelINS0_14default_configENS1_25partition_config_selectorILNS1_17partition_subalgoE9EyjbEEZZNS1_14partition_implILS5_9ELb0ES3_jN6thrust23THRUST_200600_302600_NS6detail15normal_iteratorINS9_10device_ptrIyEEEENSB_INSC_IjEEEEPNS0_10empty_typeENS0_5tupleIJNS9_16discard_iteratorINS9_11use_defaultEEESH_EEENSJ_IJSG_SI_EEENS0_18inequality_wrapperINS9_8equal_toIyEEEEPmJSH_EEE10hipError_tPvRmT3_T4_T5_T6_T7_T9_mT8_P12ihipStream_tbDpT10_ENKUlT_T0_E_clISt17integral_constantIbLb1EES1C_IbLb0EEEEDaS18_S19_EUlS18_E_NS1_11comp_targetILNS1_3genE9ELNS1_11target_archE1100ELNS1_3gpuE3ELNS1_3repE0EEENS1_30default_config_static_selectorELNS0_4arch9wavefront6targetE0EEEvT1_
		.amdhsa_group_segment_fixed_size 33800
		.amdhsa_private_segment_fixed_size 0
		.amdhsa_kernarg_size 120
		.amdhsa_user_sgpr_count 15
		.amdhsa_user_sgpr_dispatch_ptr 0
		.amdhsa_user_sgpr_queue_ptr 0
		.amdhsa_user_sgpr_kernarg_segment_ptr 1
		.amdhsa_user_sgpr_dispatch_id 0
		.amdhsa_user_sgpr_private_segment_size 0
		.amdhsa_wavefront_size32 1
		.amdhsa_uses_dynamic_stack 0
		.amdhsa_enable_private_segment 0
		.amdhsa_system_sgpr_workgroup_id_x 1
		.amdhsa_system_sgpr_workgroup_id_y 0
		.amdhsa_system_sgpr_workgroup_id_z 0
		.amdhsa_system_sgpr_workgroup_info 0
		.amdhsa_system_vgpr_workitem_id 0
		.amdhsa_next_free_vgpr 59
		.amdhsa_next_free_sgpr 24
		.amdhsa_reserve_vcc 1
		.amdhsa_float_round_mode_32 0
		.amdhsa_float_round_mode_16_64 0
		.amdhsa_float_denorm_mode_32 3
		.amdhsa_float_denorm_mode_16_64 3
		.amdhsa_dx10_clamp 1
		.amdhsa_ieee_mode 1
		.amdhsa_fp16_overflow 0
		.amdhsa_workgroup_processor_mode 1
		.amdhsa_memory_ordered 1
		.amdhsa_forward_progress 0
		.amdhsa_shared_vgpr_count 0
		.amdhsa_exception_fp_ieee_invalid_op 0
		.amdhsa_exception_fp_denorm_src 0
		.amdhsa_exception_fp_ieee_div_zero 0
		.amdhsa_exception_fp_ieee_overflow 0
		.amdhsa_exception_fp_ieee_underflow 0
		.amdhsa_exception_fp_ieee_inexact 0
		.amdhsa_exception_int_div_zero 0
	.end_amdhsa_kernel
	.section	.text._ZN7rocprim17ROCPRIM_400000_NS6detail17trampoline_kernelINS0_14default_configENS1_25partition_config_selectorILNS1_17partition_subalgoE9EyjbEEZZNS1_14partition_implILS5_9ELb0ES3_jN6thrust23THRUST_200600_302600_NS6detail15normal_iteratorINS9_10device_ptrIyEEEENSB_INSC_IjEEEEPNS0_10empty_typeENS0_5tupleIJNS9_16discard_iteratorINS9_11use_defaultEEESH_EEENSJ_IJSG_SI_EEENS0_18inequality_wrapperINS9_8equal_toIyEEEEPmJSH_EEE10hipError_tPvRmT3_T4_T5_T6_T7_T9_mT8_P12ihipStream_tbDpT10_ENKUlT_T0_E_clISt17integral_constantIbLb1EES1C_IbLb0EEEEDaS18_S19_EUlS18_E_NS1_11comp_targetILNS1_3genE9ELNS1_11target_archE1100ELNS1_3gpuE3ELNS1_3repE0EEENS1_30default_config_static_selectorELNS0_4arch9wavefront6targetE0EEEvT1_,"axG",@progbits,_ZN7rocprim17ROCPRIM_400000_NS6detail17trampoline_kernelINS0_14default_configENS1_25partition_config_selectorILNS1_17partition_subalgoE9EyjbEEZZNS1_14partition_implILS5_9ELb0ES3_jN6thrust23THRUST_200600_302600_NS6detail15normal_iteratorINS9_10device_ptrIyEEEENSB_INSC_IjEEEEPNS0_10empty_typeENS0_5tupleIJNS9_16discard_iteratorINS9_11use_defaultEEESH_EEENSJ_IJSG_SI_EEENS0_18inequality_wrapperINS9_8equal_toIyEEEEPmJSH_EEE10hipError_tPvRmT3_T4_T5_T6_T7_T9_mT8_P12ihipStream_tbDpT10_ENKUlT_T0_E_clISt17integral_constantIbLb1EES1C_IbLb0EEEEDaS18_S19_EUlS18_E_NS1_11comp_targetILNS1_3genE9ELNS1_11target_archE1100ELNS1_3gpuE3ELNS1_3repE0EEENS1_30default_config_static_selectorELNS0_4arch9wavefront6targetE0EEEvT1_,comdat
.Lfunc_end779:
	.size	_ZN7rocprim17ROCPRIM_400000_NS6detail17trampoline_kernelINS0_14default_configENS1_25partition_config_selectorILNS1_17partition_subalgoE9EyjbEEZZNS1_14partition_implILS5_9ELb0ES3_jN6thrust23THRUST_200600_302600_NS6detail15normal_iteratorINS9_10device_ptrIyEEEENSB_INSC_IjEEEEPNS0_10empty_typeENS0_5tupleIJNS9_16discard_iteratorINS9_11use_defaultEEESH_EEENSJ_IJSG_SI_EEENS0_18inequality_wrapperINS9_8equal_toIyEEEEPmJSH_EEE10hipError_tPvRmT3_T4_T5_T6_T7_T9_mT8_P12ihipStream_tbDpT10_ENKUlT_T0_E_clISt17integral_constantIbLb1EES1C_IbLb0EEEEDaS18_S19_EUlS18_E_NS1_11comp_targetILNS1_3genE9ELNS1_11target_archE1100ELNS1_3gpuE3ELNS1_3repE0EEENS1_30default_config_static_selectorELNS0_4arch9wavefront6targetE0EEEvT1_, .Lfunc_end779-_ZN7rocprim17ROCPRIM_400000_NS6detail17trampoline_kernelINS0_14default_configENS1_25partition_config_selectorILNS1_17partition_subalgoE9EyjbEEZZNS1_14partition_implILS5_9ELb0ES3_jN6thrust23THRUST_200600_302600_NS6detail15normal_iteratorINS9_10device_ptrIyEEEENSB_INSC_IjEEEEPNS0_10empty_typeENS0_5tupleIJNS9_16discard_iteratorINS9_11use_defaultEEESH_EEENSJ_IJSG_SI_EEENS0_18inequality_wrapperINS9_8equal_toIyEEEEPmJSH_EEE10hipError_tPvRmT3_T4_T5_T6_T7_T9_mT8_P12ihipStream_tbDpT10_ENKUlT_T0_E_clISt17integral_constantIbLb1EES1C_IbLb0EEEEDaS18_S19_EUlS18_E_NS1_11comp_targetILNS1_3genE9ELNS1_11target_archE1100ELNS1_3gpuE3ELNS1_3repE0EEENS1_30default_config_static_selectorELNS0_4arch9wavefront6targetE0EEEvT1_
                                        ; -- End function
	.section	.AMDGPU.csdata,"",@progbits
; Kernel info:
; codeLenInByte = 8556
; NumSgprs: 26
; NumVgprs: 59
; ScratchSize: 0
; MemoryBound: 0
; FloatMode: 240
; IeeeMode: 1
; LDSByteSize: 33800 bytes/workgroup (compile time only)
; SGPRBlocks: 3
; VGPRBlocks: 7
; NumSGPRsForWavesPerEU: 26
; NumVGPRsForWavesPerEU: 59
; Occupancy: 12
; WaveLimiterHint : 1
; COMPUTE_PGM_RSRC2:SCRATCH_EN: 0
; COMPUTE_PGM_RSRC2:USER_SGPR: 15
; COMPUTE_PGM_RSRC2:TRAP_HANDLER: 0
; COMPUTE_PGM_RSRC2:TGID_X_EN: 1
; COMPUTE_PGM_RSRC2:TGID_Y_EN: 0
; COMPUTE_PGM_RSRC2:TGID_Z_EN: 0
; COMPUTE_PGM_RSRC2:TIDIG_COMP_CNT: 0
	.section	.text._ZN7rocprim17ROCPRIM_400000_NS6detail17trampoline_kernelINS0_14default_configENS1_25partition_config_selectorILNS1_17partition_subalgoE9EyjbEEZZNS1_14partition_implILS5_9ELb0ES3_jN6thrust23THRUST_200600_302600_NS6detail15normal_iteratorINS9_10device_ptrIyEEEENSB_INSC_IjEEEEPNS0_10empty_typeENS0_5tupleIJNS9_16discard_iteratorINS9_11use_defaultEEESH_EEENSJ_IJSG_SI_EEENS0_18inequality_wrapperINS9_8equal_toIyEEEEPmJSH_EEE10hipError_tPvRmT3_T4_T5_T6_T7_T9_mT8_P12ihipStream_tbDpT10_ENKUlT_T0_E_clISt17integral_constantIbLb1EES1C_IbLb0EEEEDaS18_S19_EUlS18_E_NS1_11comp_targetILNS1_3genE8ELNS1_11target_archE1030ELNS1_3gpuE2ELNS1_3repE0EEENS1_30default_config_static_selectorELNS0_4arch9wavefront6targetE0EEEvT1_,"axG",@progbits,_ZN7rocprim17ROCPRIM_400000_NS6detail17trampoline_kernelINS0_14default_configENS1_25partition_config_selectorILNS1_17partition_subalgoE9EyjbEEZZNS1_14partition_implILS5_9ELb0ES3_jN6thrust23THRUST_200600_302600_NS6detail15normal_iteratorINS9_10device_ptrIyEEEENSB_INSC_IjEEEEPNS0_10empty_typeENS0_5tupleIJNS9_16discard_iteratorINS9_11use_defaultEEESH_EEENSJ_IJSG_SI_EEENS0_18inequality_wrapperINS9_8equal_toIyEEEEPmJSH_EEE10hipError_tPvRmT3_T4_T5_T6_T7_T9_mT8_P12ihipStream_tbDpT10_ENKUlT_T0_E_clISt17integral_constantIbLb1EES1C_IbLb0EEEEDaS18_S19_EUlS18_E_NS1_11comp_targetILNS1_3genE8ELNS1_11target_archE1030ELNS1_3gpuE2ELNS1_3repE0EEENS1_30default_config_static_selectorELNS0_4arch9wavefront6targetE0EEEvT1_,comdat
	.protected	_ZN7rocprim17ROCPRIM_400000_NS6detail17trampoline_kernelINS0_14default_configENS1_25partition_config_selectorILNS1_17partition_subalgoE9EyjbEEZZNS1_14partition_implILS5_9ELb0ES3_jN6thrust23THRUST_200600_302600_NS6detail15normal_iteratorINS9_10device_ptrIyEEEENSB_INSC_IjEEEEPNS0_10empty_typeENS0_5tupleIJNS9_16discard_iteratorINS9_11use_defaultEEESH_EEENSJ_IJSG_SI_EEENS0_18inequality_wrapperINS9_8equal_toIyEEEEPmJSH_EEE10hipError_tPvRmT3_T4_T5_T6_T7_T9_mT8_P12ihipStream_tbDpT10_ENKUlT_T0_E_clISt17integral_constantIbLb1EES1C_IbLb0EEEEDaS18_S19_EUlS18_E_NS1_11comp_targetILNS1_3genE8ELNS1_11target_archE1030ELNS1_3gpuE2ELNS1_3repE0EEENS1_30default_config_static_selectorELNS0_4arch9wavefront6targetE0EEEvT1_ ; -- Begin function _ZN7rocprim17ROCPRIM_400000_NS6detail17trampoline_kernelINS0_14default_configENS1_25partition_config_selectorILNS1_17partition_subalgoE9EyjbEEZZNS1_14partition_implILS5_9ELb0ES3_jN6thrust23THRUST_200600_302600_NS6detail15normal_iteratorINS9_10device_ptrIyEEEENSB_INSC_IjEEEEPNS0_10empty_typeENS0_5tupleIJNS9_16discard_iteratorINS9_11use_defaultEEESH_EEENSJ_IJSG_SI_EEENS0_18inequality_wrapperINS9_8equal_toIyEEEEPmJSH_EEE10hipError_tPvRmT3_T4_T5_T6_T7_T9_mT8_P12ihipStream_tbDpT10_ENKUlT_T0_E_clISt17integral_constantIbLb1EES1C_IbLb0EEEEDaS18_S19_EUlS18_E_NS1_11comp_targetILNS1_3genE8ELNS1_11target_archE1030ELNS1_3gpuE2ELNS1_3repE0EEENS1_30default_config_static_selectorELNS0_4arch9wavefront6targetE0EEEvT1_
	.globl	_ZN7rocprim17ROCPRIM_400000_NS6detail17trampoline_kernelINS0_14default_configENS1_25partition_config_selectorILNS1_17partition_subalgoE9EyjbEEZZNS1_14partition_implILS5_9ELb0ES3_jN6thrust23THRUST_200600_302600_NS6detail15normal_iteratorINS9_10device_ptrIyEEEENSB_INSC_IjEEEEPNS0_10empty_typeENS0_5tupleIJNS9_16discard_iteratorINS9_11use_defaultEEESH_EEENSJ_IJSG_SI_EEENS0_18inequality_wrapperINS9_8equal_toIyEEEEPmJSH_EEE10hipError_tPvRmT3_T4_T5_T6_T7_T9_mT8_P12ihipStream_tbDpT10_ENKUlT_T0_E_clISt17integral_constantIbLb1EES1C_IbLb0EEEEDaS18_S19_EUlS18_E_NS1_11comp_targetILNS1_3genE8ELNS1_11target_archE1030ELNS1_3gpuE2ELNS1_3repE0EEENS1_30default_config_static_selectorELNS0_4arch9wavefront6targetE0EEEvT1_
	.p2align	8
	.type	_ZN7rocprim17ROCPRIM_400000_NS6detail17trampoline_kernelINS0_14default_configENS1_25partition_config_selectorILNS1_17partition_subalgoE9EyjbEEZZNS1_14partition_implILS5_9ELb0ES3_jN6thrust23THRUST_200600_302600_NS6detail15normal_iteratorINS9_10device_ptrIyEEEENSB_INSC_IjEEEEPNS0_10empty_typeENS0_5tupleIJNS9_16discard_iteratorINS9_11use_defaultEEESH_EEENSJ_IJSG_SI_EEENS0_18inequality_wrapperINS9_8equal_toIyEEEEPmJSH_EEE10hipError_tPvRmT3_T4_T5_T6_T7_T9_mT8_P12ihipStream_tbDpT10_ENKUlT_T0_E_clISt17integral_constantIbLb1EES1C_IbLb0EEEEDaS18_S19_EUlS18_E_NS1_11comp_targetILNS1_3genE8ELNS1_11target_archE1030ELNS1_3gpuE2ELNS1_3repE0EEENS1_30default_config_static_selectorELNS0_4arch9wavefront6targetE0EEEvT1_,@function
_ZN7rocprim17ROCPRIM_400000_NS6detail17trampoline_kernelINS0_14default_configENS1_25partition_config_selectorILNS1_17partition_subalgoE9EyjbEEZZNS1_14partition_implILS5_9ELb0ES3_jN6thrust23THRUST_200600_302600_NS6detail15normal_iteratorINS9_10device_ptrIyEEEENSB_INSC_IjEEEEPNS0_10empty_typeENS0_5tupleIJNS9_16discard_iteratorINS9_11use_defaultEEESH_EEENSJ_IJSG_SI_EEENS0_18inequality_wrapperINS9_8equal_toIyEEEEPmJSH_EEE10hipError_tPvRmT3_T4_T5_T6_T7_T9_mT8_P12ihipStream_tbDpT10_ENKUlT_T0_E_clISt17integral_constantIbLb1EES1C_IbLb0EEEEDaS18_S19_EUlS18_E_NS1_11comp_targetILNS1_3genE8ELNS1_11target_archE1030ELNS1_3gpuE2ELNS1_3repE0EEENS1_30default_config_static_selectorELNS0_4arch9wavefront6targetE0EEEvT1_: ; @_ZN7rocprim17ROCPRIM_400000_NS6detail17trampoline_kernelINS0_14default_configENS1_25partition_config_selectorILNS1_17partition_subalgoE9EyjbEEZZNS1_14partition_implILS5_9ELb0ES3_jN6thrust23THRUST_200600_302600_NS6detail15normal_iteratorINS9_10device_ptrIyEEEENSB_INSC_IjEEEEPNS0_10empty_typeENS0_5tupleIJNS9_16discard_iteratorINS9_11use_defaultEEESH_EEENSJ_IJSG_SI_EEENS0_18inequality_wrapperINS9_8equal_toIyEEEEPmJSH_EEE10hipError_tPvRmT3_T4_T5_T6_T7_T9_mT8_P12ihipStream_tbDpT10_ENKUlT_T0_E_clISt17integral_constantIbLb1EES1C_IbLb0EEEEDaS18_S19_EUlS18_E_NS1_11comp_targetILNS1_3genE8ELNS1_11target_archE1030ELNS1_3gpuE2ELNS1_3repE0EEENS1_30default_config_static_selectorELNS0_4arch9wavefront6targetE0EEEvT1_
; %bb.0:
	.section	.rodata,"a",@progbits
	.p2align	6, 0x0
	.amdhsa_kernel _ZN7rocprim17ROCPRIM_400000_NS6detail17trampoline_kernelINS0_14default_configENS1_25partition_config_selectorILNS1_17partition_subalgoE9EyjbEEZZNS1_14partition_implILS5_9ELb0ES3_jN6thrust23THRUST_200600_302600_NS6detail15normal_iteratorINS9_10device_ptrIyEEEENSB_INSC_IjEEEEPNS0_10empty_typeENS0_5tupleIJNS9_16discard_iteratorINS9_11use_defaultEEESH_EEENSJ_IJSG_SI_EEENS0_18inequality_wrapperINS9_8equal_toIyEEEEPmJSH_EEE10hipError_tPvRmT3_T4_T5_T6_T7_T9_mT8_P12ihipStream_tbDpT10_ENKUlT_T0_E_clISt17integral_constantIbLb1EES1C_IbLb0EEEEDaS18_S19_EUlS18_E_NS1_11comp_targetILNS1_3genE8ELNS1_11target_archE1030ELNS1_3gpuE2ELNS1_3repE0EEENS1_30default_config_static_selectorELNS0_4arch9wavefront6targetE0EEEvT1_
		.amdhsa_group_segment_fixed_size 0
		.amdhsa_private_segment_fixed_size 0
		.amdhsa_kernarg_size 120
		.amdhsa_user_sgpr_count 15
		.amdhsa_user_sgpr_dispatch_ptr 0
		.amdhsa_user_sgpr_queue_ptr 0
		.amdhsa_user_sgpr_kernarg_segment_ptr 1
		.amdhsa_user_sgpr_dispatch_id 0
		.amdhsa_user_sgpr_private_segment_size 0
		.amdhsa_wavefront_size32 1
		.amdhsa_uses_dynamic_stack 0
		.amdhsa_enable_private_segment 0
		.amdhsa_system_sgpr_workgroup_id_x 1
		.amdhsa_system_sgpr_workgroup_id_y 0
		.amdhsa_system_sgpr_workgroup_id_z 0
		.amdhsa_system_sgpr_workgroup_info 0
		.amdhsa_system_vgpr_workitem_id 0
		.amdhsa_next_free_vgpr 1
		.amdhsa_next_free_sgpr 1
		.amdhsa_reserve_vcc 0
		.amdhsa_float_round_mode_32 0
		.amdhsa_float_round_mode_16_64 0
		.amdhsa_float_denorm_mode_32 3
		.amdhsa_float_denorm_mode_16_64 3
		.amdhsa_dx10_clamp 1
		.amdhsa_ieee_mode 1
		.amdhsa_fp16_overflow 0
		.amdhsa_workgroup_processor_mode 1
		.amdhsa_memory_ordered 1
		.amdhsa_forward_progress 0
		.amdhsa_shared_vgpr_count 0
		.amdhsa_exception_fp_ieee_invalid_op 0
		.amdhsa_exception_fp_denorm_src 0
		.amdhsa_exception_fp_ieee_div_zero 0
		.amdhsa_exception_fp_ieee_overflow 0
		.amdhsa_exception_fp_ieee_underflow 0
		.amdhsa_exception_fp_ieee_inexact 0
		.amdhsa_exception_int_div_zero 0
	.end_amdhsa_kernel
	.section	.text._ZN7rocprim17ROCPRIM_400000_NS6detail17trampoline_kernelINS0_14default_configENS1_25partition_config_selectorILNS1_17partition_subalgoE9EyjbEEZZNS1_14partition_implILS5_9ELb0ES3_jN6thrust23THRUST_200600_302600_NS6detail15normal_iteratorINS9_10device_ptrIyEEEENSB_INSC_IjEEEEPNS0_10empty_typeENS0_5tupleIJNS9_16discard_iteratorINS9_11use_defaultEEESH_EEENSJ_IJSG_SI_EEENS0_18inequality_wrapperINS9_8equal_toIyEEEEPmJSH_EEE10hipError_tPvRmT3_T4_T5_T6_T7_T9_mT8_P12ihipStream_tbDpT10_ENKUlT_T0_E_clISt17integral_constantIbLb1EES1C_IbLb0EEEEDaS18_S19_EUlS18_E_NS1_11comp_targetILNS1_3genE8ELNS1_11target_archE1030ELNS1_3gpuE2ELNS1_3repE0EEENS1_30default_config_static_selectorELNS0_4arch9wavefront6targetE0EEEvT1_,"axG",@progbits,_ZN7rocprim17ROCPRIM_400000_NS6detail17trampoline_kernelINS0_14default_configENS1_25partition_config_selectorILNS1_17partition_subalgoE9EyjbEEZZNS1_14partition_implILS5_9ELb0ES3_jN6thrust23THRUST_200600_302600_NS6detail15normal_iteratorINS9_10device_ptrIyEEEENSB_INSC_IjEEEEPNS0_10empty_typeENS0_5tupleIJNS9_16discard_iteratorINS9_11use_defaultEEESH_EEENSJ_IJSG_SI_EEENS0_18inequality_wrapperINS9_8equal_toIyEEEEPmJSH_EEE10hipError_tPvRmT3_T4_T5_T6_T7_T9_mT8_P12ihipStream_tbDpT10_ENKUlT_T0_E_clISt17integral_constantIbLb1EES1C_IbLb0EEEEDaS18_S19_EUlS18_E_NS1_11comp_targetILNS1_3genE8ELNS1_11target_archE1030ELNS1_3gpuE2ELNS1_3repE0EEENS1_30default_config_static_selectorELNS0_4arch9wavefront6targetE0EEEvT1_,comdat
.Lfunc_end780:
	.size	_ZN7rocprim17ROCPRIM_400000_NS6detail17trampoline_kernelINS0_14default_configENS1_25partition_config_selectorILNS1_17partition_subalgoE9EyjbEEZZNS1_14partition_implILS5_9ELb0ES3_jN6thrust23THRUST_200600_302600_NS6detail15normal_iteratorINS9_10device_ptrIyEEEENSB_INSC_IjEEEEPNS0_10empty_typeENS0_5tupleIJNS9_16discard_iteratorINS9_11use_defaultEEESH_EEENSJ_IJSG_SI_EEENS0_18inequality_wrapperINS9_8equal_toIyEEEEPmJSH_EEE10hipError_tPvRmT3_T4_T5_T6_T7_T9_mT8_P12ihipStream_tbDpT10_ENKUlT_T0_E_clISt17integral_constantIbLb1EES1C_IbLb0EEEEDaS18_S19_EUlS18_E_NS1_11comp_targetILNS1_3genE8ELNS1_11target_archE1030ELNS1_3gpuE2ELNS1_3repE0EEENS1_30default_config_static_selectorELNS0_4arch9wavefront6targetE0EEEvT1_, .Lfunc_end780-_ZN7rocprim17ROCPRIM_400000_NS6detail17trampoline_kernelINS0_14default_configENS1_25partition_config_selectorILNS1_17partition_subalgoE9EyjbEEZZNS1_14partition_implILS5_9ELb0ES3_jN6thrust23THRUST_200600_302600_NS6detail15normal_iteratorINS9_10device_ptrIyEEEENSB_INSC_IjEEEEPNS0_10empty_typeENS0_5tupleIJNS9_16discard_iteratorINS9_11use_defaultEEESH_EEENSJ_IJSG_SI_EEENS0_18inequality_wrapperINS9_8equal_toIyEEEEPmJSH_EEE10hipError_tPvRmT3_T4_T5_T6_T7_T9_mT8_P12ihipStream_tbDpT10_ENKUlT_T0_E_clISt17integral_constantIbLb1EES1C_IbLb0EEEEDaS18_S19_EUlS18_E_NS1_11comp_targetILNS1_3genE8ELNS1_11target_archE1030ELNS1_3gpuE2ELNS1_3repE0EEENS1_30default_config_static_selectorELNS0_4arch9wavefront6targetE0EEEvT1_
                                        ; -- End function
	.section	.AMDGPU.csdata,"",@progbits
; Kernel info:
; codeLenInByte = 0
; NumSgprs: 0
; NumVgprs: 0
; ScratchSize: 0
; MemoryBound: 0
; FloatMode: 240
; IeeeMode: 1
; LDSByteSize: 0 bytes/workgroup (compile time only)
; SGPRBlocks: 0
; VGPRBlocks: 0
; NumSGPRsForWavesPerEU: 1
; NumVGPRsForWavesPerEU: 1
; Occupancy: 16
; WaveLimiterHint : 0
; COMPUTE_PGM_RSRC2:SCRATCH_EN: 0
; COMPUTE_PGM_RSRC2:USER_SGPR: 15
; COMPUTE_PGM_RSRC2:TRAP_HANDLER: 0
; COMPUTE_PGM_RSRC2:TGID_X_EN: 1
; COMPUTE_PGM_RSRC2:TGID_Y_EN: 0
; COMPUTE_PGM_RSRC2:TGID_Z_EN: 0
; COMPUTE_PGM_RSRC2:TIDIG_COMP_CNT: 0
	.section	.text._ZN7rocprim17ROCPRIM_400000_NS6detail17trampoline_kernelINS0_14default_configENS1_25partition_config_selectorILNS1_17partition_subalgoE9EyjbEEZZNS1_14partition_implILS5_9ELb0ES3_jN6thrust23THRUST_200600_302600_NS6detail15normal_iteratorINS9_10device_ptrIyEEEENSB_INSC_IjEEEEPNS0_10empty_typeENS0_5tupleIJNS9_16discard_iteratorINS9_11use_defaultEEESH_EEENSJ_IJSG_SI_EEENS0_18inequality_wrapperINS9_8equal_toIyEEEEPmJSH_EEE10hipError_tPvRmT3_T4_T5_T6_T7_T9_mT8_P12ihipStream_tbDpT10_ENKUlT_T0_E_clISt17integral_constantIbLb0EES1C_IbLb1EEEEDaS18_S19_EUlS18_E_NS1_11comp_targetILNS1_3genE0ELNS1_11target_archE4294967295ELNS1_3gpuE0ELNS1_3repE0EEENS1_30default_config_static_selectorELNS0_4arch9wavefront6targetE0EEEvT1_,"axG",@progbits,_ZN7rocprim17ROCPRIM_400000_NS6detail17trampoline_kernelINS0_14default_configENS1_25partition_config_selectorILNS1_17partition_subalgoE9EyjbEEZZNS1_14partition_implILS5_9ELb0ES3_jN6thrust23THRUST_200600_302600_NS6detail15normal_iteratorINS9_10device_ptrIyEEEENSB_INSC_IjEEEEPNS0_10empty_typeENS0_5tupleIJNS9_16discard_iteratorINS9_11use_defaultEEESH_EEENSJ_IJSG_SI_EEENS0_18inequality_wrapperINS9_8equal_toIyEEEEPmJSH_EEE10hipError_tPvRmT3_T4_T5_T6_T7_T9_mT8_P12ihipStream_tbDpT10_ENKUlT_T0_E_clISt17integral_constantIbLb0EES1C_IbLb1EEEEDaS18_S19_EUlS18_E_NS1_11comp_targetILNS1_3genE0ELNS1_11target_archE4294967295ELNS1_3gpuE0ELNS1_3repE0EEENS1_30default_config_static_selectorELNS0_4arch9wavefront6targetE0EEEvT1_,comdat
	.protected	_ZN7rocprim17ROCPRIM_400000_NS6detail17trampoline_kernelINS0_14default_configENS1_25partition_config_selectorILNS1_17partition_subalgoE9EyjbEEZZNS1_14partition_implILS5_9ELb0ES3_jN6thrust23THRUST_200600_302600_NS6detail15normal_iteratorINS9_10device_ptrIyEEEENSB_INSC_IjEEEEPNS0_10empty_typeENS0_5tupleIJNS9_16discard_iteratorINS9_11use_defaultEEESH_EEENSJ_IJSG_SI_EEENS0_18inequality_wrapperINS9_8equal_toIyEEEEPmJSH_EEE10hipError_tPvRmT3_T4_T5_T6_T7_T9_mT8_P12ihipStream_tbDpT10_ENKUlT_T0_E_clISt17integral_constantIbLb0EES1C_IbLb1EEEEDaS18_S19_EUlS18_E_NS1_11comp_targetILNS1_3genE0ELNS1_11target_archE4294967295ELNS1_3gpuE0ELNS1_3repE0EEENS1_30default_config_static_selectorELNS0_4arch9wavefront6targetE0EEEvT1_ ; -- Begin function _ZN7rocprim17ROCPRIM_400000_NS6detail17trampoline_kernelINS0_14default_configENS1_25partition_config_selectorILNS1_17partition_subalgoE9EyjbEEZZNS1_14partition_implILS5_9ELb0ES3_jN6thrust23THRUST_200600_302600_NS6detail15normal_iteratorINS9_10device_ptrIyEEEENSB_INSC_IjEEEEPNS0_10empty_typeENS0_5tupleIJNS9_16discard_iteratorINS9_11use_defaultEEESH_EEENSJ_IJSG_SI_EEENS0_18inequality_wrapperINS9_8equal_toIyEEEEPmJSH_EEE10hipError_tPvRmT3_T4_T5_T6_T7_T9_mT8_P12ihipStream_tbDpT10_ENKUlT_T0_E_clISt17integral_constantIbLb0EES1C_IbLb1EEEEDaS18_S19_EUlS18_E_NS1_11comp_targetILNS1_3genE0ELNS1_11target_archE4294967295ELNS1_3gpuE0ELNS1_3repE0EEENS1_30default_config_static_selectorELNS0_4arch9wavefront6targetE0EEEvT1_
	.globl	_ZN7rocprim17ROCPRIM_400000_NS6detail17trampoline_kernelINS0_14default_configENS1_25partition_config_selectorILNS1_17partition_subalgoE9EyjbEEZZNS1_14partition_implILS5_9ELb0ES3_jN6thrust23THRUST_200600_302600_NS6detail15normal_iteratorINS9_10device_ptrIyEEEENSB_INSC_IjEEEEPNS0_10empty_typeENS0_5tupleIJNS9_16discard_iteratorINS9_11use_defaultEEESH_EEENSJ_IJSG_SI_EEENS0_18inequality_wrapperINS9_8equal_toIyEEEEPmJSH_EEE10hipError_tPvRmT3_T4_T5_T6_T7_T9_mT8_P12ihipStream_tbDpT10_ENKUlT_T0_E_clISt17integral_constantIbLb0EES1C_IbLb1EEEEDaS18_S19_EUlS18_E_NS1_11comp_targetILNS1_3genE0ELNS1_11target_archE4294967295ELNS1_3gpuE0ELNS1_3repE0EEENS1_30default_config_static_selectorELNS0_4arch9wavefront6targetE0EEEvT1_
	.p2align	8
	.type	_ZN7rocprim17ROCPRIM_400000_NS6detail17trampoline_kernelINS0_14default_configENS1_25partition_config_selectorILNS1_17partition_subalgoE9EyjbEEZZNS1_14partition_implILS5_9ELb0ES3_jN6thrust23THRUST_200600_302600_NS6detail15normal_iteratorINS9_10device_ptrIyEEEENSB_INSC_IjEEEEPNS0_10empty_typeENS0_5tupleIJNS9_16discard_iteratorINS9_11use_defaultEEESH_EEENSJ_IJSG_SI_EEENS0_18inequality_wrapperINS9_8equal_toIyEEEEPmJSH_EEE10hipError_tPvRmT3_T4_T5_T6_T7_T9_mT8_P12ihipStream_tbDpT10_ENKUlT_T0_E_clISt17integral_constantIbLb0EES1C_IbLb1EEEEDaS18_S19_EUlS18_E_NS1_11comp_targetILNS1_3genE0ELNS1_11target_archE4294967295ELNS1_3gpuE0ELNS1_3repE0EEENS1_30default_config_static_selectorELNS0_4arch9wavefront6targetE0EEEvT1_,@function
_ZN7rocprim17ROCPRIM_400000_NS6detail17trampoline_kernelINS0_14default_configENS1_25partition_config_selectorILNS1_17partition_subalgoE9EyjbEEZZNS1_14partition_implILS5_9ELb0ES3_jN6thrust23THRUST_200600_302600_NS6detail15normal_iteratorINS9_10device_ptrIyEEEENSB_INSC_IjEEEEPNS0_10empty_typeENS0_5tupleIJNS9_16discard_iteratorINS9_11use_defaultEEESH_EEENSJ_IJSG_SI_EEENS0_18inequality_wrapperINS9_8equal_toIyEEEEPmJSH_EEE10hipError_tPvRmT3_T4_T5_T6_T7_T9_mT8_P12ihipStream_tbDpT10_ENKUlT_T0_E_clISt17integral_constantIbLb0EES1C_IbLb1EEEEDaS18_S19_EUlS18_E_NS1_11comp_targetILNS1_3genE0ELNS1_11target_archE4294967295ELNS1_3gpuE0ELNS1_3repE0EEENS1_30default_config_static_selectorELNS0_4arch9wavefront6targetE0EEEvT1_: ; @_ZN7rocprim17ROCPRIM_400000_NS6detail17trampoline_kernelINS0_14default_configENS1_25partition_config_selectorILNS1_17partition_subalgoE9EyjbEEZZNS1_14partition_implILS5_9ELb0ES3_jN6thrust23THRUST_200600_302600_NS6detail15normal_iteratorINS9_10device_ptrIyEEEENSB_INSC_IjEEEEPNS0_10empty_typeENS0_5tupleIJNS9_16discard_iteratorINS9_11use_defaultEEESH_EEENSJ_IJSG_SI_EEENS0_18inequality_wrapperINS9_8equal_toIyEEEEPmJSH_EEE10hipError_tPvRmT3_T4_T5_T6_T7_T9_mT8_P12ihipStream_tbDpT10_ENKUlT_T0_E_clISt17integral_constantIbLb0EES1C_IbLb1EEEEDaS18_S19_EUlS18_E_NS1_11comp_targetILNS1_3genE0ELNS1_11target_archE4294967295ELNS1_3gpuE0ELNS1_3repE0EEENS1_30default_config_static_selectorELNS0_4arch9wavefront6targetE0EEEvT1_
; %bb.0:
	.section	.rodata,"a",@progbits
	.p2align	6, 0x0
	.amdhsa_kernel _ZN7rocprim17ROCPRIM_400000_NS6detail17trampoline_kernelINS0_14default_configENS1_25partition_config_selectorILNS1_17partition_subalgoE9EyjbEEZZNS1_14partition_implILS5_9ELb0ES3_jN6thrust23THRUST_200600_302600_NS6detail15normal_iteratorINS9_10device_ptrIyEEEENSB_INSC_IjEEEEPNS0_10empty_typeENS0_5tupleIJNS9_16discard_iteratorINS9_11use_defaultEEESH_EEENSJ_IJSG_SI_EEENS0_18inequality_wrapperINS9_8equal_toIyEEEEPmJSH_EEE10hipError_tPvRmT3_T4_T5_T6_T7_T9_mT8_P12ihipStream_tbDpT10_ENKUlT_T0_E_clISt17integral_constantIbLb0EES1C_IbLb1EEEEDaS18_S19_EUlS18_E_NS1_11comp_targetILNS1_3genE0ELNS1_11target_archE4294967295ELNS1_3gpuE0ELNS1_3repE0EEENS1_30default_config_static_selectorELNS0_4arch9wavefront6targetE0EEEvT1_
		.amdhsa_group_segment_fixed_size 0
		.amdhsa_private_segment_fixed_size 0
		.amdhsa_kernarg_size 136
		.amdhsa_user_sgpr_count 15
		.amdhsa_user_sgpr_dispatch_ptr 0
		.amdhsa_user_sgpr_queue_ptr 0
		.amdhsa_user_sgpr_kernarg_segment_ptr 1
		.amdhsa_user_sgpr_dispatch_id 0
		.amdhsa_user_sgpr_private_segment_size 0
		.amdhsa_wavefront_size32 1
		.amdhsa_uses_dynamic_stack 0
		.amdhsa_enable_private_segment 0
		.amdhsa_system_sgpr_workgroup_id_x 1
		.amdhsa_system_sgpr_workgroup_id_y 0
		.amdhsa_system_sgpr_workgroup_id_z 0
		.amdhsa_system_sgpr_workgroup_info 0
		.amdhsa_system_vgpr_workitem_id 0
		.amdhsa_next_free_vgpr 1
		.amdhsa_next_free_sgpr 1
		.amdhsa_reserve_vcc 0
		.amdhsa_float_round_mode_32 0
		.amdhsa_float_round_mode_16_64 0
		.amdhsa_float_denorm_mode_32 3
		.amdhsa_float_denorm_mode_16_64 3
		.amdhsa_dx10_clamp 1
		.amdhsa_ieee_mode 1
		.amdhsa_fp16_overflow 0
		.amdhsa_workgroup_processor_mode 1
		.amdhsa_memory_ordered 1
		.amdhsa_forward_progress 0
		.amdhsa_shared_vgpr_count 0
		.amdhsa_exception_fp_ieee_invalid_op 0
		.amdhsa_exception_fp_denorm_src 0
		.amdhsa_exception_fp_ieee_div_zero 0
		.amdhsa_exception_fp_ieee_overflow 0
		.amdhsa_exception_fp_ieee_underflow 0
		.amdhsa_exception_fp_ieee_inexact 0
		.amdhsa_exception_int_div_zero 0
	.end_amdhsa_kernel
	.section	.text._ZN7rocprim17ROCPRIM_400000_NS6detail17trampoline_kernelINS0_14default_configENS1_25partition_config_selectorILNS1_17partition_subalgoE9EyjbEEZZNS1_14partition_implILS5_9ELb0ES3_jN6thrust23THRUST_200600_302600_NS6detail15normal_iteratorINS9_10device_ptrIyEEEENSB_INSC_IjEEEEPNS0_10empty_typeENS0_5tupleIJNS9_16discard_iteratorINS9_11use_defaultEEESH_EEENSJ_IJSG_SI_EEENS0_18inequality_wrapperINS9_8equal_toIyEEEEPmJSH_EEE10hipError_tPvRmT3_T4_T5_T6_T7_T9_mT8_P12ihipStream_tbDpT10_ENKUlT_T0_E_clISt17integral_constantIbLb0EES1C_IbLb1EEEEDaS18_S19_EUlS18_E_NS1_11comp_targetILNS1_3genE0ELNS1_11target_archE4294967295ELNS1_3gpuE0ELNS1_3repE0EEENS1_30default_config_static_selectorELNS0_4arch9wavefront6targetE0EEEvT1_,"axG",@progbits,_ZN7rocprim17ROCPRIM_400000_NS6detail17trampoline_kernelINS0_14default_configENS1_25partition_config_selectorILNS1_17partition_subalgoE9EyjbEEZZNS1_14partition_implILS5_9ELb0ES3_jN6thrust23THRUST_200600_302600_NS6detail15normal_iteratorINS9_10device_ptrIyEEEENSB_INSC_IjEEEEPNS0_10empty_typeENS0_5tupleIJNS9_16discard_iteratorINS9_11use_defaultEEESH_EEENSJ_IJSG_SI_EEENS0_18inequality_wrapperINS9_8equal_toIyEEEEPmJSH_EEE10hipError_tPvRmT3_T4_T5_T6_T7_T9_mT8_P12ihipStream_tbDpT10_ENKUlT_T0_E_clISt17integral_constantIbLb0EES1C_IbLb1EEEEDaS18_S19_EUlS18_E_NS1_11comp_targetILNS1_3genE0ELNS1_11target_archE4294967295ELNS1_3gpuE0ELNS1_3repE0EEENS1_30default_config_static_selectorELNS0_4arch9wavefront6targetE0EEEvT1_,comdat
.Lfunc_end781:
	.size	_ZN7rocprim17ROCPRIM_400000_NS6detail17trampoline_kernelINS0_14default_configENS1_25partition_config_selectorILNS1_17partition_subalgoE9EyjbEEZZNS1_14partition_implILS5_9ELb0ES3_jN6thrust23THRUST_200600_302600_NS6detail15normal_iteratorINS9_10device_ptrIyEEEENSB_INSC_IjEEEEPNS0_10empty_typeENS0_5tupleIJNS9_16discard_iteratorINS9_11use_defaultEEESH_EEENSJ_IJSG_SI_EEENS0_18inequality_wrapperINS9_8equal_toIyEEEEPmJSH_EEE10hipError_tPvRmT3_T4_T5_T6_T7_T9_mT8_P12ihipStream_tbDpT10_ENKUlT_T0_E_clISt17integral_constantIbLb0EES1C_IbLb1EEEEDaS18_S19_EUlS18_E_NS1_11comp_targetILNS1_3genE0ELNS1_11target_archE4294967295ELNS1_3gpuE0ELNS1_3repE0EEENS1_30default_config_static_selectorELNS0_4arch9wavefront6targetE0EEEvT1_, .Lfunc_end781-_ZN7rocprim17ROCPRIM_400000_NS6detail17trampoline_kernelINS0_14default_configENS1_25partition_config_selectorILNS1_17partition_subalgoE9EyjbEEZZNS1_14partition_implILS5_9ELb0ES3_jN6thrust23THRUST_200600_302600_NS6detail15normal_iteratorINS9_10device_ptrIyEEEENSB_INSC_IjEEEEPNS0_10empty_typeENS0_5tupleIJNS9_16discard_iteratorINS9_11use_defaultEEESH_EEENSJ_IJSG_SI_EEENS0_18inequality_wrapperINS9_8equal_toIyEEEEPmJSH_EEE10hipError_tPvRmT3_T4_T5_T6_T7_T9_mT8_P12ihipStream_tbDpT10_ENKUlT_T0_E_clISt17integral_constantIbLb0EES1C_IbLb1EEEEDaS18_S19_EUlS18_E_NS1_11comp_targetILNS1_3genE0ELNS1_11target_archE4294967295ELNS1_3gpuE0ELNS1_3repE0EEENS1_30default_config_static_selectorELNS0_4arch9wavefront6targetE0EEEvT1_
                                        ; -- End function
	.section	.AMDGPU.csdata,"",@progbits
; Kernel info:
; codeLenInByte = 0
; NumSgprs: 0
; NumVgprs: 0
; ScratchSize: 0
; MemoryBound: 0
; FloatMode: 240
; IeeeMode: 1
; LDSByteSize: 0 bytes/workgroup (compile time only)
; SGPRBlocks: 0
; VGPRBlocks: 0
; NumSGPRsForWavesPerEU: 1
; NumVGPRsForWavesPerEU: 1
; Occupancy: 16
; WaveLimiterHint : 0
; COMPUTE_PGM_RSRC2:SCRATCH_EN: 0
; COMPUTE_PGM_RSRC2:USER_SGPR: 15
; COMPUTE_PGM_RSRC2:TRAP_HANDLER: 0
; COMPUTE_PGM_RSRC2:TGID_X_EN: 1
; COMPUTE_PGM_RSRC2:TGID_Y_EN: 0
; COMPUTE_PGM_RSRC2:TGID_Z_EN: 0
; COMPUTE_PGM_RSRC2:TIDIG_COMP_CNT: 0
	.section	.text._ZN7rocprim17ROCPRIM_400000_NS6detail17trampoline_kernelINS0_14default_configENS1_25partition_config_selectorILNS1_17partition_subalgoE9EyjbEEZZNS1_14partition_implILS5_9ELb0ES3_jN6thrust23THRUST_200600_302600_NS6detail15normal_iteratorINS9_10device_ptrIyEEEENSB_INSC_IjEEEEPNS0_10empty_typeENS0_5tupleIJNS9_16discard_iteratorINS9_11use_defaultEEESH_EEENSJ_IJSG_SI_EEENS0_18inequality_wrapperINS9_8equal_toIyEEEEPmJSH_EEE10hipError_tPvRmT3_T4_T5_T6_T7_T9_mT8_P12ihipStream_tbDpT10_ENKUlT_T0_E_clISt17integral_constantIbLb0EES1C_IbLb1EEEEDaS18_S19_EUlS18_E_NS1_11comp_targetILNS1_3genE5ELNS1_11target_archE942ELNS1_3gpuE9ELNS1_3repE0EEENS1_30default_config_static_selectorELNS0_4arch9wavefront6targetE0EEEvT1_,"axG",@progbits,_ZN7rocprim17ROCPRIM_400000_NS6detail17trampoline_kernelINS0_14default_configENS1_25partition_config_selectorILNS1_17partition_subalgoE9EyjbEEZZNS1_14partition_implILS5_9ELb0ES3_jN6thrust23THRUST_200600_302600_NS6detail15normal_iteratorINS9_10device_ptrIyEEEENSB_INSC_IjEEEEPNS0_10empty_typeENS0_5tupleIJNS9_16discard_iteratorINS9_11use_defaultEEESH_EEENSJ_IJSG_SI_EEENS0_18inequality_wrapperINS9_8equal_toIyEEEEPmJSH_EEE10hipError_tPvRmT3_T4_T5_T6_T7_T9_mT8_P12ihipStream_tbDpT10_ENKUlT_T0_E_clISt17integral_constantIbLb0EES1C_IbLb1EEEEDaS18_S19_EUlS18_E_NS1_11comp_targetILNS1_3genE5ELNS1_11target_archE942ELNS1_3gpuE9ELNS1_3repE0EEENS1_30default_config_static_selectorELNS0_4arch9wavefront6targetE0EEEvT1_,comdat
	.protected	_ZN7rocprim17ROCPRIM_400000_NS6detail17trampoline_kernelINS0_14default_configENS1_25partition_config_selectorILNS1_17partition_subalgoE9EyjbEEZZNS1_14partition_implILS5_9ELb0ES3_jN6thrust23THRUST_200600_302600_NS6detail15normal_iteratorINS9_10device_ptrIyEEEENSB_INSC_IjEEEEPNS0_10empty_typeENS0_5tupleIJNS9_16discard_iteratorINS9_11use_defaultEEESH_EEENSJ_IJSG_SI_EEENS0_18inequality_wrapperINS9_8equal_toIyEEEEPmJSH_EEE10hipError_tPvRmT3_T4_T5_T6_T7_T9_mT8_P12ihipStream_tbDpT10_ENKUlT_T0_E_clISt17integral_constantIbLb0EES1C_IbLb1EEEEDaS18_S19_EUlS18_E_NS1_11comp_targetILNS1_3genE5ELNS1_11target_archE942ELNS1_3gpuE9ELNS1_3repE0EEENS1_30default_config_static_selectorELNS0_4arch9wavefront6targetE0EEEvT1_ ; -- Begin function _ZN7rocprim17ROCPRIM_400000_NS6detail17trampoline_kernelINS0_14default_configENS1_25partition_config_selectorILNS1_17partition_subalgoE9EyjbEEZZNS1_14partition_implILS5_9ELb0ES3_jN6thrust23THRUST_200600_302600_NS6detail15normal_iteratorINS9_10device_ptrIyEEEENSB_INSC_IjEEEEPNS0_10empty_typeENS0_5tupleIJNS9_16discard_iteratorINS9_11use_defaultEEESH_EEENSJ_IJSG_SI_EEENS0_18inequality_wrapperINS9_8equal_toIyEEEEPmJSH_EEE10hipError_tPvRmT3_T4_T5_T6_T7_T9_mT8_P12ihipStream_tbDpT10_ENKUlT_T0_E_clISt17integral_constantIbLb0EES1C_IbLb1EEEEDaS18_S19_EUlS18_E_NS1_11comp_targetILNS1_3genE5ELNS1_11target_archE942ELNS1_3gpuE9ELNS1_3repE0EEENS1_30default_config_static_selectorELNS0_4arch9wavefront6targetE0EEEvT1_
	.globl	_ZN7rocprim17ROCPRIM_400000_NS6detail17trampoline_kernelINS0_14default_configENS1_25partition_config_selectorILNS1_17partition_subalgoE9EyjbEEZZNS1_14partition_implILS5_9ELb0ES3_jN6thrust23THRUST_200600_302600_NS6detail15normal_iteratorINS9_10device_ptrIyEEEENSB_INSC_IjEEEEPNS0_10empty_typeENS0_5tupleIJNS9_16discard_iteratorINS9_11use_defaultEEESH_EEENSJ_IJSG_SI_EEENS0_18inequality_wrapperINS9_8equal_toIyEEEEPmJSH_EEE10hipError_tPvRmT3_T4_T5_T6_T7_T9_mT8_P12ihipStream_tbDpT10_ENKUlT_T0_E_clISt17integral_constantIbLb0EES1C_IbLb1EEEEDaS18_S19_EUlS18_E_NS1_11comp_targetILNS1_3genE5ELNS1_11target_archE942ELNS1_3gpuE9ELNS1_3repE0EEENS1_30default_config_static_selectorELNS0_4arch9wavefront6targetE0EEEvT1_
	.p2align	8
	.type	_ZN7rocprim17ROCPRIM_400000_NS6detail17trampoline_kernelINS0_14default_configENS1_25partition_config_selectorILNS1_17partition_subalgoE9EyjbEEZZNS1_14partition_implILS5_9ELb0ES3_jN6thrust23THRUST_200600_302600_NS6detail15normal_iteratorINS9_10device_ptrIyEEEENSB_INSC_IjEEEEPNS0_10empty_typeENS0_5tupleIJNS9_16discard_iteratorINS9_11use_defaultEEESH_EEENSJ_IJSG_SI_EEENS0_18inequality_wrapperINS9_8equal_toIyEEEEPmJSH_EEE10hipError_tPvRmT3_T4_T5_T6_T7_T9_mT8_P12ihipStream_tbDpT10_ENKUlT_T0_E_clISt17integral_constantIbLb0EES1C_IbLb1EEEEDaS18_S19_EUlS18_E_NS1_11comp_targetILNS1_3genE5ELNS1_11target_archE942ELNS1_3gpuE9ELNS1_3repE0EEENS1_30default_config_static_selectorELNS0_4arch9wavefront6targetE0EEEvT1_,@function
_ZN7rocprim17ROCPRIM_400000_NS6detail17trampoline_kernelINS0_14default_configENS1_25partition_config_selectorILNS1_17partition_subalgoE9EyjbEEZZNS1_14partition_implILS5_9ELb0ES3_jN6thrust23THRUST_200600_302600_NS6detail15normal_iteratorINS9_10device_ptrIyEEEENSB_INSC_IjEEEEPNS0_10empty_typeENS0_5tupleIJNS9_16discard_iteratorINS9_11use_defaultEEESH_EEENSJ_IJSG_SI_EEENS0_18inequality_wrapperINS9_8equal_toIyEEEEPmJSH_EEE10hipError_tPvRmT3_T4_T5_T6_T7_T9_mT8_P12ihipStream_tbDpT10_ENKUlT_T0_E_clISt17integral_constantIbLb0EES1C_IbLb1EEEEDaS18_S19_EUlS18_E_NS1_11comp_targetILNS1_3genE5ELNS1_11target_archE942ELNS1_3gpuE9ELNS1_3repE0EEENS1_30default_config_static_selectorELNS0_4arch9wavefront6targetE0EEEvT1_: ; @_ZN7rocprim17ROCPRIM_400000_NS6detail17trampoline_kernelINS0_14default_configENS1_25partition_config_selectorILNS1_17partition_subalgoE9EyjbEEZZNS1_14partition_implILS5_9ELb0ES3_jN6thrust23THRUST_200600_302600_NS6detail15normal_iteratorINS9_10device_ptrIyEEEENSB_INSC_IjEEEEPNS0_10empty_typeENS0_5tupleIJNS9_16discard_iteratorINS9_11use_defaultEEESH_EEENSJ_IJSG_SI_EEENS0_18inequality_wrapperINS9_8equal_toIyEEEEPmJSH_EEE10hipError_tPvRmT3_T4_T5_T6_T7_T9_mT8_P12ihipStream_tbDpT10_ENKUlT_T0_E_clISt17integral_constantIbLb0EES1C_IbLb1EEEEDaS18_S19_EUlS18_E_NS1_11comp_targetILNS1_3genE5ELNS1_11target_archE942ELNS1_3gpuE9ELNS1_3repE0EEENS1_30default_config_static_selectorELNS0_4arch9wavefront6targetE0EEEvT1_
; %bb.0:
	.section	.rodata,"a",@progbits
	.p2align	6, 0x0
	.amdhsa_kernel _ZN7rocprim17ROCPRIM_400000_NS6detail17trampoline_kernelINS0_14default_configENS1_25partition_config_selectorILNS1_17partition_subalgoE9EyjbEEZZNS1_14partition_implILS5_9ELb0ES3_jN6thrust23THRUST_200600_302600_NS6detail15normal_iteratorINS9_10device_ptrIyEEEENSB_INSC_IjEEEEPNS0_10empty_typeENS0_5tupleIJNS9_16discard_iteratorINS9_11use_defaultEEESH_EEENSJ_IJSG_SI_EEENS0_18inequality_wrapperINS9_8equal_toIyEEEEPmJSH_EEE10hipError_tPvRmT3_T4_T5_T6_T7_T9_mT8_P12ihipStream_tbDpT10_ENKUlT_T0_E_clISt17integral_constantIbLb0EES1C_IbLb1EEEEDaS18_S19_EUlS18_E_NS1_11comp_targetILNS1_3genE5ELNS1_11target_archE942ELNS1_3gpuE9ELNS1_3repE0EEENS1_30default_config_static_selectorELNS0_4arch9wavefront6targetE0EEEvT1_
		.amdhsa_group_segment_fixed_size 0
		.amdhsa_private_segment_fixed_size 0
		.amdhsa_kernarg_size 136
		.amdhsa_user_sgpr_count 15
		.amdhsa_user_sgpr_dispatch_ptr 0
		.amdhsa_user_sgpr_queue_ptr 0
		.amdhsa_user_sgpr_kernarg_segment_ptr 1
		.amdhsa_user_sgpr_dispatch_id 0
		.amdhsa_user_sgpr_private_segment_size 0
		.amdhsa_wavefront_size32 1
		.amdhsa_uses_dynamic_stack 0
		.amdhsa_enable_private_segment 0
		.amdhsa_system_sgpr_workgroup_id_x 1
		.amdhsa_system_sgpr_workgroup_id_y 0
		.amdhsa_system_sgpr_workgroup_id_z 0
		.amdhsa_system_sgpr_workgroup_info 0
		.amdhsa_system_vgpr_workitem_id 0
		.amdhsa_next_free_vgpr 1
		.amdhsa_next_free_sgpr 1
		.amdhsa_reserve_vcc 0
		.amdhsa_float_round_mode_32 0
		.amdhsa_float_round_mode_16_64 0
		.amdhsa_float_denorm_mode_32 3
		.amdhsa_float_denorm_mode_16_64 3
		.amdhsa_dx10_clamp 1
		.amdhsa_ieee_mode 1
		.amdhsa_fp16_overflow 0
		.amdhsa_workgroup_processor_mode 1
		.amdhsa_memory_ordered 1
		.amdhsa_forward_progress 0
		.amdhsa_shared_vgpr_count 0
		.amdhsa_exception_fp_ieee_invalid_op 0
		.amdhsa_exception_fp_denorm_src 0
		.amdhsa_exception_fp_ieee_div_zero 0
		.amdhsa_exception_fp_ieee_overflow 0
		.amdhsa_exception_fp_ieee_underflow 0
		.amdhsa_exception_fp_ieee_inexact 0
		.amdhsa_exception_int_div_zero 0
	.end_amdhsa_kernel
	.section	.text._ZN7rocprim17ROCPRIM_400000_NS6detail17trampoline_kernelINS0_14default_configENS1_25partition_config_selectorILNS1_17partition_subalgoE9EyjbEEZZNS1_14partition_implILS5_9ELb0ES3_jN6thrust23THRUST_200600_302600_NS6detail15normal_iteratorINS9_10device_ptrIyEEEENSB_INSC_IjEEEEPNS0_10empty_typeENS0_5tupleIJNS9_16discard_iteratorINS9_11use_defaultEEESH_EEENSJ_IJSG_SI_EEENS0_18inequality_wrapperINS9_8equal_toIyEEEEPmJSH_EEE10hipError_tPvRmT3_T4_T5_T6_T7_T9_mT8_P12ihipStream_tbDpT10_ENKUlT_T0_E_clISt17integral_constantIbLb0EES1C_IbLb1EEEEDaS18_S19_EUlS18_E_NS1_11comp_targetILNS1_3genE5ELNS1_11target_archE942ELNS1_3gpuE9ELNS1_3repE0EEENS1_30default_config_static_selectorELNS0_4arch9wavefront6targetE0EEEvT1_,"axG",@progbits,_ZN7rocprim17ROCPRIM_400000_NS6detail17trampoline_kernelINS0_14default_configENS1_25partition_config_selectorILNS1_17partition_subalgoE9EyjbEEZZNS1_14partition_implILS5_9ELb0ES3_jN6thrust23THRUST_200600_302600_NS6detail15normal_iteratorINS9_10device_ptrIyEEEENSB_INSC_IjEEEEPNS0_10empty_typeENS0_5tupleIJNS9_16discard_iteratorINS9_11use_defaultEEESH_EEENSJ_IJSG_SI_EEENS0_18inequality_wrapperINS9_8equal_toIyEEEEPmJSH_EEE10hipError_tPvRmT3_T4_T5_T6_T7_T9_mT8_P12ihipStream_tbDpT10_ENKUlT_T0_E_clISt17integral_constantIbLb0EES1C_IbLb1EEEEDaS18_S19_EUlS18_E_NS1_11comp_targetILNS1_3genE5ELNS1_11target_archE942ELNS1_3gpuE9ELNS1_3repE0EEENS1_30default_config_static_selectorELNS0_4arch9wavefront6targetE0EEEvT1_,comdat
.Lfunc_end782:
	.size	_ZN7rocprim17ROCPRIM_400000_NS6detail17trampoline_kernelINS0_14default_configENS1_25partition_config_selectorILNS1_17partition_subalgoE9EyjbEEZZNS1_14partition_implILS5_9ELb0ES3_jN6thrust23THRUST_200600_302600_NS6detail15normal_iteratorINS9_10device_ptrIyEEEENSB_INSC_IjEEEEPNS0_10empty_typeENS0_5tupleIJNS9_16discard_iteratorINS9_11use_defaultEEESH_EEENSJ_IJSG_SI_EEENS0_18inequality_wrapperINS9_8equal_toIyEEEEPmJSH_EEE10hipError_tPvRmT3_T4_T5_T6_T7_T9_mT8_P12ihipStream_tbDpT10_ENKUlT_T0_E_clISt17integral_constantIbLb0EES1C_IbLb1EEEEDaS18_S19_EUlS18_E_NS1_11comp_targetILNS1_3genE5ELNS1_11target_archE942ELNS1_3gpuE9ELNS1_3repE0EEENS1_30default_config_static_selectorELNS0_4arch9wavefront6targetE0EEEvT1_, .Lfunc_end782-_ZN7rocprim17ROCPRIM_400000_NS6detail17trampoline_kernelINS0_14default_configENS1_25partition_config_selectorILNS1_17partition_subalgoE9EyjbEEZZNS1_14partition_implILS5_9ELb0ES3_jN6thrust23THRUST_200600_302600_NS6detail15normal_iteratorINS9_10device_ptrIyEEEENSB_INSC_IjEEEEPNS0_10empty_typeENS0_5tupleIJNS9_16discard_iteratorINS9_11use_defaultEEESH_EEENSJ_IJSG_SI_EEENS0_18inequality_wrapperINS9_8equal_toIyEEEEPmJSH_EEE10hipError_tPvRmT3_T4_T5_T6_T7_T9_mT8_P12ihipStream_tbDpT10_ENKUlT_T0_E_clISt17integral_constantIbLb0EES1C_IbLb1EEEEDaS18_S19_EUlS18_E_NS1_11comp_targetILNS1_3genE5ELNS1_11target_archE942ELNS1_3gpuE9ELNS1_3repE0EEENS1_30default_config_static_selectorELNS0_4arch9wavefront6targetE0EEEvT1_
                                        ; -- End function
	.section	.AMDGPU.csdata,"",@progbits
; Kernel info:
; codeLenInByte = 0
; NumSgprs: 0
; NumVgprs: 0
; ScratchSize: 0
; MemoryBound: 0
; FloatMode: 240
; IeeeMode: 1
; LDSByteSize: 0 bytes/workgroup (compile time only)
; SGPRBlocks: 0
; VGPRBlocks: 0
; NumSGPRsForWavesPerEU: 1
; NumVGPRsForWavesPerEU: 1
; Occupancy: 16
; WaveLimiterHint : 0
; COMPUTE_PGM_RSRC2:SCRATCH_EN: 0
; COMPUTE_PGM_RSRC2:USER_SGPR: 15
; COMPUTE_PGM_RSRC2:TRAP_HANDLER: 0
; COMPUTE_PGM_RSRC2:TGID_X_EN: 1
; COMPUTE_PGM_RSRC2:TGID_Y_EN: 0
; COMPUTE_PGM_RSRC2:TGID_Z_EN: 0
; COMPUTE_PGM_RSRC2:TIDIG_COMP_CNT: 0
	.section	.text._ZN7rocprim17ROCPRIM_400000_NS6detail17trampoline_kernelINS0_14default_configENS1_25partition_config_selectorILNS1_17partition_subalgoE9EyjbEEZZNS1_14partition_implILS5_9ELb0ES3_jN6thrust23THRUST_200600_302600_NS6detail15normal_iteratorINS9_10device_ptrIyEEEENSB_INSC_IjEEEEPNS0_10empty_typeENS0_5tupleIJNS9_16discard_iteratorINS9_11use_defaultEEESH_EEENSJ_IJSG_SI_EEENS0_18inequality_wrapperINS9_8equal_toIyEEEEPmJSH_EEE10hipError_tPvRmT3_T4_T5_T6_T7_T9_mT8_P12ihipStream_tbDpT10_ENKUlT_T0_E_clISt17integral_constantIbLb0EES1C_IbLb1EEEEDaS18_S19_EUlS18_E_NS1_11comp_targetILNS1_3genE4ELNS1_11target_archE910ELNS1_3gpuE8ELNS1_3repE0EEENS1_30default_config_static_selectorELNS0_4arch9wavefront6targetE0EEEvT1_,"axG",@progbits,_ZN7rocprim17ROCPRIM_400000_NS6detail17trampoline_kernelINS0_14default_configENS1_25partition_config_selectorILNS1_17partition_subalgoE9EyjbEEZZNS1_14partition_implILS5_9ELb0ES3_jN6thrust23THRUST_200600_302600_NS6detail15normal_iteratorINS9_10device_ptrIyEEEENSB_INSC_IjEEEEPNS0_10empty_typeENS0_5tupleIJNS9_16discard_iteratorINS9_11use_defaultEEESH_EEENSJ_IJSG_SI_EEENS0_18inequality_wrapperINS9_8equal_toIyEEEEPmJSH_EEE10hipError_tPvRmT3_T4_T5_T6_T7_T9_mT8_P12ihipStream_tbDpT10_ENKUlT_T0_E_clISt17integral_constantIbLb0EES1C_IbLb1EEEEDaS18_S19_EUlS18_E_NS1_11comp_targetILNS1_3genE4ELNS1_11target_archE910ELNS1_3gpuE8ELNS1_3repE0EEENS1_30default_config_static_selectorELNS0_4arch9wavefront6targetE0EEEvT1_,comdat
	.protected	_ZN7rocprim17ROCPRIM_400000_NS6detail17trampoline_kernelINS0_14default_configENS1_25partition_config_selectorILNS1_17partition_subalgoE9EyjbEEZZNS1_14partition_implILS5_9ELb0ES3_jN6thrust23THRUST_200600_302600_NS6detail15normal_iteratorINS9_10device_ptrIyEEEENSB_INSC_IjEEEEPNS0_10empty_typeENS0_5tupleIJNS9_16discard_iteratorINS9_11use_defaultEEESH_EEENSJ_IJSG_SI_EEENS0_18inequality_wrapperINS9_8equal_toIyEEEEPmJSH_EEE10hipError_tPvRmT3_T4_T5_T6_T7_T9_mT8_P12ihipStream_tbDpT10_ENKUlT_T0_E_clISt17integral_constantIbLb0EES1C_IbLb1EEEEDaS18_S19_EUlS18_E_NS1_11comp_targetILNS1_3genE4ELNS1_11target_archE910ELNS1_3gpuE8ELNS1_3repE0EEENS1_30default_config_static_selectorELNS0_4arch9wavefront6targetE0EEEvT1_ ; -- Begin function _ZN7rocprim17ROCPRIM_400000_NS6detail17trampoline_kernelINS0_14default_configENS1_25partition_config_selectorILNS1_17partition_subalgoE9EyjbEEZZNS1_14partition_implILS5_9ELb0ES3_jN6thrust23THRUST_200600_302600_NS6detail15normal_iteratorINS9_10device_ptrIyEEEENSB_INSC_IjEEEEPNS0_10empty_typeENS0_5tupleIJNS9_16discard_iteratorINS9_11use_defaultEEESH_EEENSJ_IJSG_SI_EEENS0_18inequality_wrapperINS9_8equal_toIyEEEEPmJSH_EEE10hipError_tPvRmT3_T4_T5_T6_T7_T9_mT8_P12ihipStream_tbDpT10_ENKUlT_T0_E_clISt17integral_constantIbLb0EES1C_IbLb1EEEEDaS18_S19_EUlS18_E_NS1_11comp_targetILNS1_3genE4ELNS1_11target_archE910ELNS1_3gpuE8ELNS1_3repE0EEENS1_30default_config_static_selectorELNS0_4arch9wavefront6targetE0EEEvT1_
	.globl	_ZN7rocprim17ROCPRIM_400000_NS6detail17trampoline_kernelINS0_14default_configENS1_25partition_config_selectorILNS1_17partition_subalgoE9EyjbEEZZNS1_14partition_implILS5_9ELb0ES3_jN6thrust23THRUST_200600_302600_NS6detail15normal_iteratorINS9_10device_ptrIyEEEENSB_INSC_IjEEEEPNS0_10empty_typeENS0_5tupleIJNS9_16discard_iteratorINS9_11use_defaultEEESH_EEENSJ_IJSG_SI_EEENS0_18inequality_wrapperINS9_8equal_toIyEEEEPmJSH_EEE10hipError_tPvRmT3_T4_T5_T6_T7_T9_mT8_P12ihipStream_tbDpT10_ENKUlT_T0_E_clISt17integral_constantIbLb0EES1C_IbLb1EEEEDaS18_S19_EUlS18_E_NS1_11comp_targetILNS1_3genE4ELNS1_11target_archE910ELNS1_3gpuE8ELNS1_3repE0EEENS1_30default_config_static_selectorELNS0_4arch9wavefront6targetE0EEEvT1_
	.p2align	8
	.type	_ZN7rocprim17ROCPRIM_400000_NS6detail17trampoline_kernelINS0_14default_configENS1_25partition_config_selectorILNS1_17partition_subalgoE9EyjbEEZZNS1_14partition_implILS5_9ELb0ES3_jN6thrust23THRUST_200600_302600_NS6detail15normal_iteratorINS9_10device_ptrIyEEEENSB_INSC_IjEEEEPNS0_10empty_typeENS0_5tupleIJNS9_16discard_iteratorINS9_11use_defaultEEESH_EEENSJ_IJSG_SI_EEENS0_18inequality_wrapperINS9_8equal_toIyEEEEPmJSH_EEE10hipError_tPvRmT3_T4_T5_T6_T7_T9_mT8_P12ihipStream_tbDpT10_ENKUlT_T0_E_clISt17integral_constantIbLb0EES1C_IbLb1EEEEDaS18_S19_EUlS18_E_NS1_11comp_targetILNS1_3genE4ELNS1_11target_archE910ELNS1_3gpuE8ELNS1_3repE0EEENS1_30default_config_static_selectorELNS0_4arch9wavefront6targetE0EEEvT1_,@function
_ZN7rocprim17ROCPRIM_400000_NS6detail17trampoline_kernelINS0_14default_configENS1_25partition_config_selectorILNS1_17partition_subalgoE9EyjbEEZZNS1_14partition_implILS5_9ELb0ES3_jN6thrust23THRUST_200600_302600_NS6detail15normal_iteratorINS9_10device_ptrIyEEEENSB_INSC_IjEEEEPNS0_10empty_typeENS0_5tupleIJNS9_16discard_iteratorINS9_11use_defaultEEESH_EEENSJ_IJSG_SI_EEENS0_18inequality_wrapperINS9_8equal_toIyEEEEPmJSH_EEE10hipError_tPvRmT3_T4_T5_T6_T7_T9_mT8_P12ihipStream_tbDpT10_ENKUlT_T0_E_clISt17integral_constantIbLb0EES1C_IbLb1EEEEDaS18_S19_EUlS18_E_NS1_11comp_targetILNS1_3genE4ELNS1_11target_archE910ELNS1_3gpuE8ELNS1_3repE0EEENS1_30default_config_static_selectorELNS0_4arch9wavefront6targetE0EEEvT1_: ; @_ZN7rocprim17ROCPRIM_400000_NS6detail17trampoline_kernelINS0_14default_configENS1_25partition_config_selectorILNS1_17partition_subalgoE9EyjbEEZZNS1_14partition_implILS5_9ELb0ES3_jN6thrust23THRUST_200600_302600_NS6detail15normal_iteratorINS9_10device_ptrIyEEEENSB_INSC_IjEEEEPNS0_10empty_typeENS0_5tupleIJNS9_16discard_iteratorINS9_11use_defaultEEESH_EEENSJ_IJSG_SI_EEENS0_18inequality_wrapperINS9_8equal_toIyEEEEPmJSH_EEE10hipError_tPvRmT3_T4_T5_T6_T7_T9_mT8_P12ihipStream_tbDpT10_ENKUlT_T0_E_clISt17integral_constantIbLb0EES1C_IbLb1EEEEDaS18_S19_EUlS18_E_NS1_11comp_targetILNS1_3genE4ELNS1_11target_archE910ELNS1_3gpuE8ELNS1_3repE0EEENS1_30default_config_static_selectorELNS0_4arch9wavefront6targetE0EEEvT1_
; %bb.0:
	.section	.rodata,"a",@progbits
	.p2align	6, 0x0
	.amdhsa_kernel _ZN7rocprim17ROCPRIM_400000_NS6detail17trampoline_kernelINS0_14default_configENS1_25partition_config_selectorILNS1_17partition_subalgoE9EyjbEEZZNS1_14partition_implILS5_9ELb0ES3_jN6thrust23THRUST_200600_302600_NS6detail15normal_iteratorINS9_10device_ptrIyEEEENSB_INSC_IjEEEEPNS0_10empty_typeENS0_5tupleIJNS9_16discard_iteratorINS9_11use_defaultEEESH_EEENSJ_IJSG_SI_EEENS0_18inequality_wrapperINS9_8equal_toIyEEEEPmJSH_EEE10hipError_tPvRmT3_T4_T5_T6_T7_T9_mT8_P12ihipStream_tbDpT10_ENKUlT_T0_E_clISt17integral_constantIbLb0EES1C_IbLb1EEEEDaS18_S19_EUlS18_E_NS1_11comp_targetILNS1_3genE4ELNS1_11target_archE910ELNS1_3gpuE8ELNS1_3repE0EEENS1_30default_config_static_selectorELNS0_4arch9wavefront6targetE0EEEvT1_
		.amdhsa_group_segment_fixed_size 0
		.amdhsa_private_segment_fixed_size 0
		.amdhsa_kernarg_size 136
		.amdhsa_user_sgpr_count 15
		.amdhsa_user_sgpr_dispatch_ptr 0
		.amdhsa_user_sgpr_queue_ptr 0
		.amdhsa_user_sgpr_kernarg_segment_ptr 1
		.amdhsa_user_sgpr_dispatch_id 0
		.amdhsa_user_sgpr_private_segment_size 0
		.amdhsa_wavefront_size32 1
		.amdhsa_uses_dynamic_stack 0
		.amdhsa_enable_private_segment 0
		.amdhsa_system_sgpr_workgroup_id_x 1
		.amdhsa_system_sgpr_workgroup_id_y 0
		.amdhsa_system_sgpr_workgroup_id_z 0
		.amdhsa_system_sgpr_workgroup_info 0
		.amdhsa_system_vgpr_workitem_id 0
		.amdhsa_next_free_vgpr 1
		.amdhsa_next_free_sgpr 1
		.amdhsa_reserve_vcc 0
		.amdhsa_float_round_mode_32 0
		.amdhsa_float_round_mode_16_64 0
		.amdhsa_float_denorm_mode_32 3
		.amdhsa_float_denorm_mode_16_64 3
		.amdhsa_dx10_clamp 1
		.amdhsa_ieee_mode 1
		.amdhsa_fp16_overflow 0
		.amdhsa_workgroup_processor_mode 1
		.amdhsa_memory_ordered 1
		.amdhsa_forward_progress 0
		.amdhsa_shared_vgpr_count 0
		.amdhsa_exception_fp_ieee_invalid_op 0
		.amdhsa_exception_fp_denorm_src 0
		.amdhsa_exception_fp_ieee_div_zero 0
		.amdhsa_exception_fp_ieee_overflow 0
		.amdhsa_exception_fp_ieee_underflow 0
		.amdhsa_exception_fp_ieee_inexact 0
		.amdhsa_exception_int_div_zero 0
	.end_amdhsa_kernel
	.section	.text._ZN7rocprim17ROCPRIM_400000_NS6detail17trampoline_kernelINS0_14default_configENS1_25partition_config_selectorILNS1_17partition_subalgoE9EyjbEEZZNS1_14partition_implILS5_9ELb0ES3_jN6thrust23THRUST_200600_302600_NS6detail15normal_iteratorINS9_10device_ptrIyEEEENSB_INSC_IjEEEEPNS0_10empty_typeENS0_5tupleIJNS9_16discard_iteratorINS9_11use_defaultEEESH_EEENSJ_IJSG_SI_EEENS0_18inequality_wrapperINS9_8equal_toIyEEEEPmJSH_EEE10hipError_tPvRmT3_T4_T5_T6_T7_T9_mT8_P12ihipStream_tbDpT10_ENKUlT_T0_E_clISt17integral_constantIbLb0EES1C_IbLb1EEEEDaS18_S19_EUlS18_E_NS1_11comp_targetILNS1_3genE4ELNS1_11target_archE910ELNS1_3gpuE8ELNS1_3repE0EEENS1_30default_config_static_selectorELNS0_4arch9wavefront6targetE0EEEvT1_,"axG",@progbits,_ZN7rocprim17ROCPRIM_400000_NS6detail17trampoline_kernelINS0_14default_configENS1_25partition_config_selectorILNS1_17partition_subalgoE9EyjbEEZZNS1_14partition_implILS5_9ELb0ES3_jN6thrust23THRUST_200600_302600_NS6detail15normal_iteratorINS9_10device_ptrIyEEEENSB_INSC_IjEEEEPNS0_10empty_typeENS0_5tupleIJNS9_16discard_iteratorINS9_11use_defaultEEESH_EEENSJ_IJSG_SI_EEENS0_18inequality_wrapperINS9_8equal_toIyEEEEPmJSH_EEE10hipError_tPvRmT3_T4_T5_T6_T7_T9_mT8_P12ihipStream_tbDpT10_ENKUlT_T0_E_clISt17integral_constantIbLb0EES1C_IbLb1EEEEDaS18_S19_EUlS18_E_NS1_11comp_targetILNS1_3genE4ELNS1_11target_archE910ELNS1_3gpuE8ELNS1_3repE0EEENS1_30default_config_static_selectorELNS0_4arch9wavefront6targetE0EEEvT1_,comdat
.Lfunc_end783:
	.size	_ZN7rocprim17ROCPRIM_400000_NS6detail17trampoline_kernelINS0_14default_configENS1_25partition_config_selectorILNS1_17partition_subalgoE9EyjbEEZZNS1_14partition_implILS5_9ELb0ES3_jN6thrust23THRUST_200600_302600_NS6detail15normal_iteratorINS9_10device_ptrIyEEEENSB_INSC_IjEEEEPNS0_10empty_typeENS0_5tupleIJNS9_16discard_iteratorINS9_11use_defaultEEESH_EEENSJ_IJSG_SI_EEENS0_18inequality_wrapperINS9_8equal_toIyEEEEPmJSH_EEE10hipError_tPvRmT3_T4_T5_T6_T7_T9_mT8_P12ihipStream_tbDpT10_ENKUlT_T0_E_clISt17integral_constantIbLb0EES1C_IbLb1EEEEDaS18_S19_EUlS18_E_NS1_11comp_targetILNS1_3genE4ELNS1_11target_archE910ELNS1_3gpuE8ELNS1_3repE0EEENS1_30default_config_static_selectorELNS0_4arch9wavefront6targetE0EEEvT1_, .Lfunc_end783-_ZN7rocprim17ROCPRIM_400000_NS6detail17trampoline_kernelINS0_14default_configENS1_25partition_config_selectorILNS1_17partition_subalgoE9EyjbEEZZNS1_14partition_implILS5_9ELb0ES3_jN6thrust23THRUST_200600_302600_NS6detail15normal_iteratorINS9_10device_ptrIyEEEENSB_INSC_IjEEEEPNS0_10empty_typeENS0_5tupleIJNS9_16discard_iteratorINS9_11use_defaultEEESH_EEENSJ_IJSG_SI_EEENS0_18inequality_wrapperINS9_8equal_toIyEEEEPmJSH_EEE10hipError_tPvRmT3_T4_T5_T6_T7_T9_mT8_P12ihipStream_tbDpT10_ENKUlT_T0_E_clISt17integral_constantIbLb0EES1C_IbLb1EEEEDaS18_S19_EUlS18_E_NS1_11comp_targetILNS1_3genE4ELNS1_11target_archE910ELNS1_3gpuE8ELNS1_3repE0EEENS1_30default_config_static_selectorELNS0_4arch9wavefront6targetE0EEEvT1_
                                        ; -- End function
	.section	.AMDGPU.csdata,"",@progbits
; Kernel info:
; codeLenInByte = 0
; NumSgprs: 0
; NumVgprs: 0
; ScratchSize: 0
; MemoryBound: 0
; FloatMode: 240
; IeeeMode: 1
; LDSByteSize: 0 bytes/workgroup (compile time only)
; SGPRBlocks: 0
; VGPRBlocks: 0
; NumSGPRsForWavesPerEU: 1
; NumVGPRsForWavesPerEU: 1
; Occupancy: 15
; WaveLimiterHint : 0
; COMPUTE_PGM_RSRC2:SCRATCH_EN: 0
; COMPUTE_PGM_RSRC2:USER_SGPR: 15
; COMPUTE_PGM_RSRC2:TRAP_HANDLER: 0
; COMPUTE_PGM_RSRC2:TGID_X_EN: 1
; COMPUTE_PGM_RSRC2:TGID_Y_EN: 0
; COMPUTE_PGM_RSRC2:TGID_Z_EN: 0
; COMPUTE_PGM_RSRC2:TIDIG_COMP_CNT: 0
	.section	.text._ZN7rocprim17ROCPRIM_400000_NS6detail17trampoline_kernelINS0_14default_configENS1_25partition_config_selectorILNS1_17partition_subalgoE9EyjbEEZZNS1_14partition_implILS5_9ELb0ES3_jN6thrust23THRUST_200600_302600_NS6detail15normal_iteratorINS9_10device_ptrIyEEEENSB_INSC_IjEEEEPNS0_10empty_typeENS0_5tupleIJNS9_16discard_iteratorINS9_11use_defaultEEESH_EEENSJ_IJSG_SI_EEENS0_18inequality_wrapperINS9_8equal_toIyEEEEPmJSH_EEE10hipError_tPvRmT3_T4_T5_T6_T7_T9_mT8_P12ihipStream_tbDpT10_ENKUlT_T0_E_clISt17integral_constantIbLb0EES1C_IbLb1EEEEDaS18_S19_EUlS18_E_NS1_11comp_targetILNS1_3genE3ELNS1_11target_archE908ELNS1_3gpuE7ELNS1_3repE0EEENS1_30default_config_static_selectorELNS0_4arch9wavefront6targetE0EEEvT1_,"axG",@progbits,_ZN7rocprim17ROCPRIM_400000_NS6detail17trampoline_kernelINS0_14default_configENS1_25partition_config_selectorILNS1_17partition_subalgoE9EyjbEEZZNS1_14partition_implILS5_9ELb0ES3_jN6thrust23THRUST_200600_302600_NS6detail15normal_iteratorINS9_10device_ptrIyEEEENSB_INSC_IjEEEEPNS0_10empty_typeENS0_5tupleIJNS9_16discard_iteratorINS9_11use_defaultEEESH_EEENSJ_IJSG_SI_EEENS0_18inequality_wrapperINS9_8equal_toIyEEEEPmJSH_EEE10hipError_tPvRmT3_T4_T5_T6_T7_T9_mT8_P12ihipStream_tbDpT10_ENKUlT_T0_E_clISt17integral_constantIbLb0EES1C_IbLb1EEEEDaS18_S19_EUlS18_E_NS1_11comp_targetILNS1_3genE3ELNS1_11target_archE908ELNS1_3gpuE7ELNS1_3repE0EEENS1_30default_config_static_selectorELNS0_4arch9wavefront6targetE0EEEvT1_,comdat
	.protected	_ZN7rocprim17ROCPRIM_400000_NS6detail17trampoline_kernelINS0_14default_configENS1_25partition_config_selectorILNS1_17partition_subalgoE9EyjbEEZZNS1_14partition_implILS5_9ELb0ES3_jN6thrust23THRUST_200600_302600_NS6detail15normal_iteratorINS9_10device_ptrIyEEEENSB_INSC_IjEEEEPNS0_10empty_typeENS0_5tupleIJNS9_16discard_iteratorINS9_11use_defaultEEESH_EEENSJ_IJSG_SI_EEENS0_18inequality_wrapperINS9_8equal_toIyEEEEPmJSH_EEE10hipError_tPvRmT3_T4_T5_T6_T7_T9_mT8_P12ihipStream_tbDpT10_ENKUlT_T0_E_clISt17integral_constantIbLb0EES1C_IbLb1EEEEDaS18_S19_EUlS18_E_NS1_11comp_targetILNS1_3genE3ELNS1_11target_archE908ELNS1_3gpuE7ELNS1_3repE0EEENS1_30default_config_static_selectorELNS0_4arch9wavefront6targetE0EEEvT1_ ; -- Begin function _ZN7rocprim17ROCPRIM_400000_NS6detail17trampoline_kernelINS0_14default_configENS1_25partition_config_selectorILNS1_17partition_subalgoE9EyjbEEZZNS1_14partition_implILS5_9ELb0ES3_jN6thrust23THRUST_200600_302600_NS6detail15normal_iteratorINS9_10device_ptrIyEEEENSB_INSC_IjEEEEPNS0_10empty_typeENS0_5tupleIJNS9_16discard_iteratorINS9_11use_defaultEEESH_EEENSJ_IJSG_SI_EEENS0_18inequality_wrapperINS9_8equal_toIyEEEEPmJSH_EEE10hipError_tPvRmT3_T4_T5_T6_T7_T9_mT8_P12ihipStream_tbDpT10_ENKUlT_T0_E_clISt17integral_constantIbLb0EES1C_IbLb1EEEEDaS18_S19_EUlS18_E_NS1_11comp_targetILNS1_3genE3ELNS1_11target_archE908ELNS1_3gpuE7ELNS1_3repE0EEENS1_30default_config_static_selectorELNS0_4arch9wavefront6targetE0EEEvT1_
	.globl	_ZN7rocprim17ROCPRIM_400000_NS6detail17trampoline_kernelINS0_14default_configENS1_25partition_config_selectorILNS1_17partition_subalgoE9EyjbEEZZNS1_14partition_implILS5_9ELb0ES3_jN6thrust23THRUST_200600_302600_NS6detail15normal_iteratorINS9_10device_ptrIyEEEENSB_INSC_IjEEEEPNS0_10empty_typeENS0_5tupleIJNS9_16discard_iteratorINS9_11use_defaultEEESH_EEENSJ_IJSG_SI_EEENS0_18inequality_wrapperINS9_8equal_toIyEEEEPmJSH_EEE10hipError_tPvRmT3_T4_T5_T6_T7_T9_mT8_P12ihipStream_tbDpT10_ENKUlT_T0_E_clISt17integral_constantIbLb0EES1C_IbLb1EEEEDaS18_S19_EUlS18_E_NS1_11comp_targetILNS1_3genE3ELNS1_11target_archE908ELNS1_3gpuE7ELNS1_3repE0EEENS1_30default_config_static_selectorELNS0_4arch9wavefront6targetE0EEEvT1_
	.p2align	8
	.type	_ZN7rocprim17ROCPRIM_400000_NS6detail17trampoline_kernelINS0_14default_configENS1_25partition_config_selectorILNS1_17partition_subalgoE9EyjbEEZZNS1_14partition_implILS5_9ELb0ES3_jN6thrust23THRUST_200600_302600_NS6detail15normal_iteratorINS9_10device_ptrIyEEEENSB_INSC_IjEEEEPNS0_10empty_typeENS0_5tupleIJNS9_16discard_iteratorINS9_11use_defaultEEESH_EEENSJ_IJSG_SI_EEENS0_18inequality_wrapperINS9_8equal_toIyEEEEPmJSH_EEE10hipError_tPvRmT3_T4_T5_T6_T7_T9_mT8_P12ihipStream_tbDpT10_ENKUlT_T0_E_clISt17integral_constantIbLb0EES1C_IbLb1EEEEDaS18_S19_EUlS18_E_NS1_11comp_targetILNS1_3genE3ELNS1_11target_archE908ELNS1_3gpuE7ELNS1_3repE0EEENS1_30default_config_static_selectorELNS0_4arch9wavefront6targetE0EEEvT1_,@function
_ZN7rocprim17ROCPRIM_400000_NS6detail17trampoline_kernelINS0_14default_configENS1_25partition_config_selectorILNS1_17partition_subalgoE9EyjbEEZZNS1_14partition_implILS5_9ELb0ES3_jN6thrust23THRUST_200600_302600_NS6detail15normal_iteratorINS9_10device_ptrIyEEEENSB_INSC_IjEEEEPNS0_10empty_typeENS0_5tupleIJNS9_16discard_iteratorINS9_11use_defaultEEESH_EEENSJ_IJSG_SI_EEENS0_18inequality_wrapperINS9_8equal_toIyEEEEPmJSH_EEE10hipError_tPvRmT3_T4_T5_T6_T7_T9_mT8_P12ihipStream_tbDpT10_ENKUlT_T0_E_clISt17integral_constantIbLb0EES1C_IbLb1EEEEDaS18_S19_EUlS18_E_NS1_11comp_targetILNS1_3genE3ELNS1_11target_archE908ELNS1_3gpuE7ELNS1_3repE0EEENS1_30default_config_static_selectorELNS0_4arch9wavefront6targetE0EEEvT1_: ; @_ZN7rocprim17ROCPRIM_400000_NS6detail17trampoline_kernelINS0_14default_configENS1_25partition_config_selectorILNS1_17partition_subalgoE9EyjbEEZZNS1_14partition_implILS5_9ELb0ES3_jN6thrust23THRUST_200600_302600_NS6detail15normal_iteratorINS9_10device_ptrIyEEEENSB_INSC_IjEEEEPNS0_10empty_typeENS0_5tupleIJNS9_16discard_iteratorINS9_11use_defaultEEESH_EEENSJ_IJSG_SI_EEENS0_18inequality_wrapperINS9_8equal_toIyEEEEPmJSH_EEE10hipError_tPvRmT3_T4_T5_T6_T7_T9_mT8_P12ihipStream_tbDpT10_ENKUlT_T0_E_clISt17integral_constantIbLb0EES1C_IbLb1EEEEDaS18_S19_EUlS18_E_NS1_11comp_targetILNS1_3genE3ELNS1_11target_archE908ELNS1_3gpuE7ELNS1_3repE0EEENS1_30default_config_static_selectorELNS0_4arch9wavefront6targetE0EEEvT1_
; %bb.0:
	.section	.rodata,"a",@progbits
	.p2align	6, 0x0
	.amdhsa_kernel _ZN7rocprim17ROCPRIM_400000_NS6detail17trampoline_kernelINS0_14default_configENS1_25partition_config_selectorILNS1_17partition_subalgoE9EyjbEEZZNS1_14partition_implILS5_9ELb0ES3_jN6thrust23THRUST_200600_302600_NS6detail15normal_iteratorINS9_10device_ptrIyEEEENSB_INSC_IjEEEEPNS0_10empty_typeENS0_5tupleIJNS9_16discard_iteratorINS9_11use_defaultEEESH_EEENSJ_IJSG_SI_EEENS0_18inequality_wrapperINS9_8equal_toIyEEEEPmJSH_EEE10hipError_tPvRmT3_T4_T5_T6_T7_T9_mT8_P12ihipStream_tbDpT10_ENKUlT_T0_E_clISt17integral_constantIbLb0EES1C_IbLb1EEEEDaS18_S19_EUlS18_E_NS1_11comp_targetILNS1_3genE3ELNS1_11target_archE908ELNS1_3gpuE7ELNS1_3repE0EEENS1_30default_config_static_selectorELNS0_4arch9wavefront6targetE0EEEvT1_
		.amdhsa_group_segment_fixed_size 0
		.amdhsa_private_segment_fixed_size 0
		.amdhsa_kernarg_size 136
		.amdhsa_user_sgpr_count 15
		.amdhsa_user_sgpr_dispatch_ptr 0
		.amdhsa_user_sgpr_queue_ptr 0
		.amdhsa_user_sgpr_kernarg_segment_ptr 1
		.amdhsa_user_sgpr_dispatch_id 0
		.amdhsa_user_sgpr_private_segment_size 0
		.amdhsa_wavefront_size32 1
		.amdhsa_uses_dynamic_stack 0
		.amdhsa_enable_private_segment 0
		.amdhsa_system_sgpr_workgroup_id_x 1
		.amdhsa_system_sgpr_workgroup_id_y 0
		.amdhsa_system_sgpr_workgroup_id_z 0
		.amdhsa_system_sgpr_workgroup_info 0
		.amdhsa_system_vgpr_workitem_id 0
		.amdhsa_next_free_vgpr 1
		.amdhsa_next_free_sgpr 1
		.amdhsa_reserve_vcc 0
		.amdhsa_float_round_mode_32 0
		.amdhsa_float_round_mode_16_64 0
		.amdhsa_float_denorm_mode_32 3
		.amdhsa_float_denorm_mode_16_64 3
		.amdhsa_dx10_clamp 1
		.amdhsa_ieee_mode 1
		.amdhsa_fp16_overflow 0
		.amdhsa_workgroup_processor_mode 1
		.amdhsa_memory_ordered 1
		.amdhsa_forward_progress 0
		.amdhsa_shared_vgpr_count 0
		.amdhsa_exception_fp_ieee_invalid_op 0
		.amdhsa_exception_fp_denorm_src 0
		.amdhsa_exception_fp_ieee_div_zero 0
		.amdhsa_exception_fp_ieee_overflow 0
		.amdhsa_exception_fp_ieee_underflow 0
		.amdhsa_exception_fp_ieee_inexact 0
		.amdhsa_exception_int_div_zero 0
	.end_amdhsa_kernel
	.section	.text._ZN7rocprim17ROCPRIM_400000_NS6detail17trampoline_kernelINS0_14default_configENS1_25partition_config_selectorILNS1_17partition_subalgoE9EyjbEEZZNS1_14partition_implILS5_9ELb0ES3_jN6thrust23THRUST_200600_302600_NS6detail15normal_iteratorINS9_10device_ptrIyEEEENSB_INSC_IjEEEEPNS0_10empty_typeENS0_5tupleIJNS9_16discard_iteratorINS9_11use_defaultEEESH_EEENSJ_IJSG_SI_EEENS0_18inequality_wrapperINS9_8equal_toIyEEEEPmJSH_EEE10hipError_tPvRmT3_T4_T5_T6_T7_T9_mT8_P12ihipStream_tbDpT10_ENKUlT_T0_E_clISt17integral_constantIbLb0EES1C_IbLb1EEEEDaS18_S19_EUlS18_E_NS1_11comp_targetILNS1_3genE3ELNS1_11target_archE908ELNS1_3gpuE7ELNS1_3repE0EEENS1_30default_config_static_selectorELNS0_4arch9wavefront6targetE0EEEvT1_,"axG",@progbits,_ZN7rocprim17ROCPRIM_400000_NS6detail17trampoline_kernelINS0_14default_configENS1_25partition_config_selectorILNS1_17partition_subalgoE9EyjbEEZZNS1_14partition_implILS5_9ELb0ES3_jN6thrust23THRUST_200600_302600_NS6detail15normal_iteratorINS9_10device_ptrIyEEEENSB_INSC_IjEEEEPNS0_10empty_typeENS0_5tupleIJNS9_16discard_iteratorINS9_11use_defaultEEESH_EEENSJ_IJSG_SI_EEENS0_18inequality_wrapperINS9_8equal_toIyEEEEPmJSH_EEE10hipError_tPvRmT3_T4_T5_T6_T7_T9_mT8_P12ihipStream_tbDpT10_ENKUlT_T0_E_clISt17integral_constantIbLb0EES1C_IbLb1EEEEDaS18_S19_EUlS18_E_NS1_11comp_targetILNS1_3genE3ELNS1_11target_archE908ELNS1_3gpuE7ELNS1_3repE0EEENS1_30default_config_static_selectorELNS0_4arch9wavefront6targetE0EEEvT1_,comdat
.Lfunc_end784:
	.size	_ZN7rocprim17ROCPRIM_400000_NS6detail17trampoline_kernelINS0_14default_configENS1_25partition_config_selectorILNS1_17partition_subalgoE9EyjbEEZZNS1_14partition_implILS5_9ELb0ES3_jN6thrust23THRUST_200600_302600_NS6detail15normal_iteratorINS9_10device_ptrIyEEEENSB_INSC_IjEEEEPNS0_10empty_typeENS0_5tupleIJNS9_16discard_iteratorINS9_11use_defaultEEESH_EEENSJ_IJSG_SI_EEENS0_18inequality_wrapperINS9_8equal_toIyEEEEPmJSH_EEE10hipError_tPvRmT3_T4_T5_T6_T7_T9_mT8_P12ihipStream_tbDpT10_ENKUlT_T0_E_clISt17integral_constantIbLb0EES1C_IbLb1EEEEDaS18_S19_EUlS18_E_NS1_11comp_targetILNS1_3genE3ELNS1_11target_archE908ELNS1_3gpuE7ELNS1_3repE0EEENS1_30default_config_static_selectorELNS0_4arch9wavefront6targetE0EEEvT1_, .Lfunc_end784-_ZN7rocprim17ROCPRIM_400000_NS6detail17trampoline_kernelINS0_14default_configENS1_25partition_config_selectorILNS1_17partition_subalgoE9EyjbEEZZNS1_14partition_implILS5_9ELb0ES3_jN6thrust23THRUST_200600_302600_NS6detail15normal_iteratorINS9_10device_ptrIyEEEENSB_INSC_IjEEEEPNS0_10empty_typeENS0_5tupleIJNS9_16discard_iteratorINS9_11use_defaultEEESH_EEENSJ_IJSG_SI_EEENS0_18inequality_wrapperINS9_8equal_toIyEEEEPmJSH_EEE10hipError_tPvRmT3_T4_T5_T6_T7_T9_mT8_P12ihipStream_tbDpT10_ENKUlT_T0_E_clISt17integral_constantIbLb0EES1C_IbLb1EEEEDaS18_S19_EUlS18_E_NS1_11comp_targetILNS1_3genE3ELNS1_11target_archE908ELNS1_3gpuE7ELNS1_3repE0EEENS1_30default_config_static_selectorELNS0_4arch9wavefront6targetE0EEEvT1_
                                        ; -- End function
	.section	.AMDGPU.csdata,"",@progbits
; Kernel info:
; codeLenInByte = 0
; NumSgprs: 0
; NumVgprs: 0
; ScratchSize: 0
; MemoryBound: 0
; FloatMode: 240
; IeeeMode: 1
; LDSByteSize: 0 bytes/workgroup (compile time only)
; SGPRBlocks: 0
; VGPRBlocks: 0
; NumSGPRsForWavesPerEU: 1
; NumVGPRsForWavesPerEU: 1
; Occupancy: 16
; WaveLimiterHint : 0
; COMPUTE_PGM_RSRC2:SCRATCH_EN: 0
; COMPUTE_PGM_RSRC2:USER_SGPR: 15
; COMPUTE_PGM_RSRC2:TRAP_HANDLER: 0
; COMPUTE_PGM_RSRC2:TGID_X_EN: 1
; COMPUTE_PGM_RSRC2:TGID_Y_EN: 0
; COMPUTE_PGM_RSRC2:TGID_Z_EN: 0
; COMPUTE_PGM_RSRC2:TIDIG_COMP_CNT: 0
	.section	.text._ZN7rocprim17ROCPRIM_400000_NS6detail17trampoline_kernelINS0_14default_configENS1_25partition_config_selectorILNS1_17partition_subalgoE9EyjbEEZZNS1_14partition_implILS5_9ELb0ES3_jN6thrust23THRUST_200600_302600_NS6detail15normal_iteratorINS9_10device_ptrIyEEEENSB_INSC_IjEEEEPNS0_10empty_typeENS0_5tupleIJNS9_16discard_iteratorINS9_11use_defaultEEESH_EEENSJ_IJSG_SI_EEENS0_18inequality_wrapperINS9_8equal_toIyEEEEPmJSH_EEE10hipError_tPvRmT3_T4_T5_T6_T7_T9_mT8_P12ihipStream_tbDpT10_ENKUlT_T0_E_clISt17integral_constantIbLb0EES1C_IbLb1EEEEDaS18_S19_EUlS18_E_NS1_11comp_targetILNS1_3genE2ELNS1_11target_archE906ELNS1_3gpuE6ELNS1_3repE0EEENS1_30default_config_static_selectorELNS0_4arch9wavefront6targetE0EEEvT1_,"axG",@progbits,_ZN7rocprim17ROCPRIM_400000_NS6detail17trampoline_kernelINS0_14default_configENS1_25partition_config_selectorILNS1_17partition_subalgoE9EyjbEEZZNS1_14partition_implILS5_9ELb0ES3_jN6thrust23THRUST_200600_302600_NS6detail15normal_iteratorINS9_10device_ptrIyEEEENSB_INSC_IjEEEEPNS0_10empty_typeENS0_5tupleIJNS9_16discard_iteratorINS9_11use_defaultEEESH_EEENSJ_IJSG_SI_EEENS0_18inequality_wrapperINS9_8equal_toIyEEEEPmJSH_EEE10hipError_tPvRmT3_T4_T5_T6_T7_T9_mT8_P12ihipStream_tbDpT10_ENKUlT_T0_E_clISt17integral_constantIbLb0EES1C_IbLb1EEEEDaS18_S19_EUlS18_E_NS1_11comp_targetILNS1_3genE2ELNS1_11target_archE906ELNS1_3gpuE6ELNS1_3repE0EEENS1_30default_config_static_selectorELNS0_4arch9wavefront6targetE0EEEvT1_,comdat
	.protected	_ZN7rocprim17ROCPRIM_400000_NS6detail17trampoline_kernelINS0_14default_configENS1_25partition_config_selectorILNS1_17partition_subalgoE9EyjbEEZZNS1_14partition_implILS5_9ELb0ES3_jN6thrust23THRUST_200600_302600_NS6detail15normal_iteratorINS9_10device_ptrIyEEEENSB_INSC_IjEEEEPNS0_10empty_typeENS0_5tupleIJNS9_16discard_iteratorINS9_11use_defaultEEESH_EEENSJ_IJSG_SI_EEENS0_18inequality_wrapperINS9_8equal_toIyEEEEPmJSH_EEE10hipError_tPvRmT3_T4_T5_T6_T7_T9_mT8_P12ihipStream_tbDpT10_ENKUlT_T0_E_clISt17integral_constantIbLb0EES1C_IbLb1EEEEDaS18_S19_EUlS18_E_NS1_11comp_targetILNS1_3genE2ELNS1_11target_archE906ELNS1_3gpuE6ELNS1_3repE0EEENS1_30default_config_static_selectorELNS0_4arch9wavefront6targetE0EEEvT1_ ; -- Begin function _ZN7rocprim17ROCPRIM_400000_NS6detail17trampoline_kernelINS0_14default_configENS1_25partition_config_selectorILNS1_17partition_subalgoE9EyjbEEZZNS1_14partition_implILS5_9ELb0ES3_jN6thrust23THRUST_200600_302600_NS6detail15normal_iteratorINS9_10device_ptrIyEEEENSB_INSC_IjEEEEPNS0_10empty_typeENS0_5tupleIJNS9_16discard_iteratorINS9_11use_defaultEEESH_EEENSJ_IJSG_SI_EEENS0_18inequality_wrapperINS9_8equal_toIyEEEEPmJSH_EEE10hipError_tPvRmT3_T4_T5_T6_T7_T9_mT8_P12ihipStream_tbDpT10_ENKUlT_T0_E_clISt17integral_constantIbLb0EES1C_IbLb1EEEEDaS18_S19_EUlS18_E_NS1_11comp_targetILNS1_3genE2ELNS1_11target_archE906ELNS1_3gpuE6ELNS1_3repE0EEENS1_30default_config_static_selectorELNS0_4arch9wavefront6targetE0EEEvT1_
	.globl	_ZN7rocprim17ROCPRIM_400000_NS6detail17trampoline_kernelINS0_14default_configENS1_25partition_config_selectorILNS1_17partition_subalgoE9EyjbEEZZNS1_14partition_implILS5_9ELb0ES3_jN6thrust23THRUST_200600_302600_NS6detail15normal_iteratorINS9_10device_ptrIyEEEENSB_INSC_IjEEEEPNS0_10empty_typeENS0_5tupleIJNS9_16discard_iteratorINS9_11use_defaultEEESH_EEENSJ_IJSG_SI_EEENS0_18inequality_wrapperINS9_8equal_toIyEEEEPmJSH_EEE10hipError_tPvRmT3_T4_T5_T6_T7_T9_mT8_P12ihipStream_tbDpT10_ENKUlT_T0_E_clISt17integral_constantIbLb0EES1C_IbLb1EEEEDaS18_S19_EUlS18_E_NS1_11comp_targetILNS1_3genE2ELNS1_11target_archE906ELNS1_3gpuE6ELNS1_3repE0EEENS1_30default_config_static_selectorELNS0_4arch9wavefront6targetE0EEEvT1_
	.p2align	8
	.type	_ZN7rocprim17ROCPRIM_400000_NS6detail17trampoline_kernelINS0_14default_configENS1_25partition_config_selectorILNS1_17partition_subalgoE9EyjbEEZZNS1_14partition_implILS5_9ELb0ES3_jN6thrust23THRUST_200600_302600_NS6detail15normal_iteratorINS9_10device_ptrIyEEEENSB_INSC_IjEEEEPNS0_10empty_typeENS0_5tupleIJNS9_16discard_iteratorINS9_11use_defaultEEESH_EEENSJ_IJSG_SI_EEENS0_18inequality_wrapperINS9_8equal_toIyEEEEPmJSH_EEE10hipError_tPvRmT3_T4_T5_T6_T7_T9_mT8_P12ihipStream_tbDpT10_ENKUlT_T0_E_clISt17integral_constantIbLb0EES1C_IbLb1EEEEDaS18_S19_EUlS18_E_NS1_11comp_targetILNS1_3genE2ELNS1_11target_archE906ELNS1_3gpuE6ELNS1_3repE0EEENS1_30default_config_static_selectorELNS0_4arch9wavefront6targetE0EEEvT1_,@function
_ZN7rocprim17ROCPRIM_400000_NS6detail17trampoline_kernelINS0_14default_configENS1_25partition_config_selectorILNS1_17partition_subalgoE9EyjbEEZZNS1_14partition_implILS5_9ELb0ES3_jN6thrust23THRUST_200600_302600_NS6detail15normal_iteratorINS9_10device_ptrIyEEEENSB_INSC_IjEEEEPNS0_10empty_typeENS0_5tupleIJNS9_16discard_iteratorINS9_11use_defaultEEESH_EEENSJ_IJSG_SI_EEENS0_18inequality_wrapperINS9_8equal_toIyEEEEPmJSH_EEE10hipError_tPvRmT3_T4_T5_T6_T7_T9_mT8_P12ihipStream_tbDpT10_ENKUlT_T0_E_clISt17integral_constantIbLb0EES1C_IbLb1EEEEDaS18_S19_EUlS18_E_NS1_11comp_targetILNS1_3genE2ELNS1_11target_archE906ELNS1_3gpuE6ELNS1_3repE0EEENS1_30default_config_static_selectorELNS0_4arch9wavefront6targetE0EEEvT1_: ; @_ZN7rocprim17ROCPRIM_400000_NS6detail17trampoline_kernelINS0_14default_configENS1_25partition_config_selectorILNS1_17partition_subalgoE9EyjbEEZZNS1_14partition_implILS5_9ELb0ES3_jN6thrust23THRUST_200600_302600_NS6detail15normal_iteratorINS9_10device_ptrIyEEEENSB_INSC_IjEEEEPNS0_10empty_typeENS0_5tupleIJNS9_16discard_iteratorINS9_11use_defaultEEESH_EEENSJ_IJSG_SI_EEENS0_18inequality_wrapperINS9_8equal_toIyEEEEPmJSH_EEE10hipError_tPvRmT3_T4_T5_T6_T7_T9_mT8_P12ihipStream_tbDpT10_ENKUlT_T0_E_clISt17integral_constantIbLb0EES1C_IbLb1EEEEDaS18_S19_EUlS18_E_NS1_11comp_targetILNS1_3genE2ELNS1_11target_archE906ELNS1_3gpuE6ELNS1_3repE0EEENS1_30default_config_static_selectorELNS0_4arch9wavefront6targetE0EEEvT1_
; %bb.0:
	.section	.rodata,"a",@progbits
	.p2align	6, 0x0
	.amdhsa_kernel _ZN7rocprim17ROCPRIM_400000_NS6detail17trampoline_kernelINS0_14default_configENS1_25partition_config_selectorILNS1_17partition_subalgoE9EyjbEEZZNS1_14partition_implILS5_9ELb0ES3_jN6thrust23THRUST_200600_302600_NS6detail15normal_iteratorINS9_10device_ptrIyEEEENSB_INSC_IjEEEEPNS0_10empty_typeENS0_5tupleIJNS9_16discard_iteratorINS9_11use_defaultEEESH_EEENSJ_IJSG_SI_EEENS0_18inequality_wrapperINS9_8equal_toIyEEEEPmJSH_EEE10hipError_tPvRmT3_T4_T5_T6_T7_T9_mT8_P12ihipStream_tbDpT10_ENKUlT_T0_E_clISt17integral_constantIbLb0EES1C_IbLb1EEEEDaS18_S19_EUlS18_E_NS1_11comp_targetILNS1_3genE2ELNS1_11target_archE906ELNS1_3gpuE6ELNS1_3repE0EEENS1_30default_config_static_selectorELNS0_4arch9wavefront6targetE0EEEvT1_
		.amdhsa_group_segment_fixed_size 0
		.amdhsa_private_segment_fixed_size 0
		.amdhsa_kernarg_size 136
		.amdhsa_user_sgpr_count 15
		.amdhsa_user_sgpr_dispatch_ptr 0
		.amdhsa_user_sgpr_queue_ptr 0
		.amdhsa_user_sgpr_kernarg_segment_ptr 1
		.amdhsa_user_sgpr_dispatch_id 0
		.amdhsa_user_sgpr_private_segment_size 0
		.amdhsa_wavefront_size32 1
		.amdhsa_uses_dynamic_stack 0
		.amdhsa_enable_private_segment 0
		.amdhsa_system_sgpr_workgroup_id_x 1
		.amdhsa_system_sgpr_workgroup_id_y 0
		.amdhsa_system_sgpr_workgroup_id_z 0
		.amdhsa_system_sgpr_workgroup_info 0
		.amdhsa_system_vgpr_workitem_id 0
		.amdhsa_next_free_vgpr 1
		.amdhsa_next_free_sgpr 1
		.amdhsa_reserve_vcc 0
		.amdhsa_float_round_mode_32 0
		.amdhsa_float_round_mode_16_64 0
		.amdhsa_float_denorm_mode_32 3
		.amdhsa_float_denorm_mode_16_64 3
		.amdhsa_dx10_clamp 1
		.amdhsa_ieee_mode 1
		.amdhsa_fp16_overflow 0
		.amdhsa_workgroup_processor_mode 1
		.amdhsa_memory_ordered 1
		.amdhsa_forward_progress 0
		.amdhsa_shared_vgpr_count 0
		.amdhsa_exception_fp_ieee_invalid_op 0
		.amdhsa_exception_fp_denorm_src 0
		.amdhsa_exception_fp_ieee_div_zero 0
		.amdhsa_exception_fp_ieee_overflow 0
		.amdhsa_exception_fp_ieee_underflow 0
		.amdhsa_exception_fp_ieee_inexact 0
		.amdhsa_exception_int_div_zero 0
	.end_amdhsa_kernel
	.section	.text._ZN7rocprim17ROCPRIM_400000_NS6detail17trampoline_kernelINS0_14default_configENS1_25partition_config_selectorILNS1_17partition_subalgoE9EyjbEEZZNS1_14partition_implILS5_9ELb0ES3_jN6thrust23THRUST_200600_302600_NS6detail15normal_iteratorINS9_10device_ptrIyEEEENSB_INSC_IjEEEEPNS0_10empty_typeENS0_5tupleIJNS9_16discard_iteratorINS9_11use_defaultEEESH_EEENSJ_IJSG_SI_EEENS0_18inequality_wrapperINS9_8equal_toIyEEEEPmJSH_EEE10hipError_tPvRmT3_T4_T5_T6_T7_T9_mT8_P12ihipStream_tbDpT10_ENKUlT_T0_E_clISt17integral_constantIbLb0EES1C_IbLb1EEEEDaS18_S19_EUlS18_E_NS1_11comp_targetILNS1_3genE2ELNS1_11target_archE906ELNS1_3gpuE6ELNS1_3repE0EEENS1_30default_config_static_selectorELNS0_4arch9wavefront6targetE0EEEvT1_,"axG",@progbits,_ZN7rocprim17ROCPRIM_400000_NS6detail17trampoline_kernelINS0_14default_configENS1_25partition_config_selectorILNS1_17partition_subalgoE9EyjbEEZZNS1_14partition_implILS5_9ELb0ES3_jN6thrust23THRUST_200600_302600_NS6detail15normal_iteratorINS9_10device_ptrIyEEEENSB_INSC_IjEEEEPNS0_10empty_typeENS0_5tupleIJNS9_16discard_iteratorINS9_11use_defaultEEESH_EEENSJ_IJSG_SI_EEENS0_18inequality_wrapperINS9_8equal_toIyEEEEPmJSH_EEE10hipError_tPvRmT3_T4_T5_T6_T7_T9_mT8_P12ihipStream_tbDpT10_ENKUlT_T0_E_clISt17integral_constantIbLb0EES1C_IbLb1EEEEDaS18_S19_EUlS18_E_NS1_11comp_targetILNS1_3genE2ELNS1_11target_archE906ELNS1_3gpuE6ELNS1_3repE0EEENS1_30default_config_static_selectorELNS0_4arch9wavefront6targetE0EEEvT1_,comdat
.Lfunc_end785:
	.size	_ZN7rocprim17ROCPRIM_400000_NS6detail17trampoline_kernelINS0_14default_configENS1_25partition_config_selectorILNS1_17partition_subalgoE9EyjbEEZZNS1_14partition_implILS5_9ELb0ES3_jN6thrust23THRUST_200600_302600_NS6detail15normal_iteratorINS9_10device_ptrIyEEEENSB_INSC_IjEEEEPNS0_10empty_typeENS0_5tupleIJNS9_16discard_iteratorINS9_11use_defaultEEESH_EEENSJ_IJSG_SI_EEENS0_18inequality_wrapperINS9_8equal_toIyEEEEPmJSH_EEE10hipError_tPvRmT3_T4_T5_T6_T7_T9_mT8_P12ihipStream_tbDpT10_ENKUlT_T0_E_clISt17integral_constantIbLb0EES1C_IbLb1EEEEDaS18_S19_EUlS18_E_NS1_11comp_targetILNS1_3genE2ELNS1_11target_archE906ELNS1_3gpuE6ELNS1_3repE0EEENS1_30default_config_static_selectorELNS0_4arch9wavefront6targetE0EEEvT1_, .Lfunc_end785-_ZN7rocprim17ROCPRIM_400000_NS6detail17trampoline_kernelINS0_14default_configENS1_25partition_config_selectorILNS1_17partition_subalgoE9EyjbEEZZNS1_14partition_implILS5_9ELb0ES3_jN6thrust23THRUST_200600_302600_NS6detail15normal_iteratorINS9_10device_ptrIyEEEENSB_INSC_IjEEEEPNS0_10empty_typeENS0_5tupleIJNS9_16discard_iteratorINS9_11use_defaultEEESH_EEENSJ_IJSG_SI_EEENS0_18inequality_wrapperINS9_8equal_toIyEEEEPmJSH_EEE10hipError_tPvRmT3_T4_T5_T6_T7_T9_mT8_P12ihipStream_tbDpT10_ENKUlT_T0_E_clISt17integral_constantIbLb0EES1C_IbLb1EEEEDaS18_S19_EUlS18_E_NS1_11comp_targetILNS1_3genE2ELNS1_11target_archE906ELNS1_3gpuE6ELNS1_3repE0EEENS1_30default_config_static_selectorELNS0_4arch9wavefront6targetE0EEEvT1_
                                        ; -- End function
	.section	.AMDGPU.csdata,"",@progbits
; Kernel info:
; codeLenInByte = 0
; NumSgprs: 0
; NumVgprs: 0
; ScratchSize: 0
; MemoryBound: 0
; FloatMode: 240
; IeeeMode: 1
; LDSByteSize: 0 bytes/workgroup (compile time only)
; SGPRBlocks: 0
; VGPRBlocks: 0
; NumSGPRsForWavesPerEU: 1
; NumVGPRsForWavesPerEU: 1
; Occupancy: 16
; WaveLimiterHint : 0
; COMPUTE_PGM_RSRC2:SCRATCH_EN: 0
; COMPUTE_PGM_RSRC2:USER_SGPR: 15
; COMPUTE_PGM_RSRC2:TRAP_HANDLER: 0
; COMPUTE_PGM_RSRC2:TGID_X_EN: 1
; COMPUTE_PGM_RSRC2:TGID_Y_EN: 0
; COMPUTE_PGM_RSRC2:TGID_Z_EN: 0
; COMPUTE_PGM_RSRC2:TIDIG_COMP_CNT: 0
	.section	.text._ZN7rocprim17ROCPRIM_400000_NS6detail17trampoline_kernelINS0_14default_configENS1_25partition_config_selectorILNS1_17partition_subalgoE9EyjbEEZZNS1_14partition_implILS5_9ELb0ES3_jN6thrust23THRUST_200600_302600_NS6detail15normal_iteratorINS9_10device_ptrIyEEEENSB_INSC_IjEEEEPNS0_10empty_typeENS0_5tupleIJNS9_16discard_iteratorINS9_11use_defaultEEESH_EEENSJ_IJSG_SI_EEENS0_18inequality_wrapperINS9_8equal_toIyEEEEPmJSH_EEE10hipError_tPvRmT3_T4_T5_T6_T7_T9_mT8_P12ihipStream_tbDpT10_ENKUlT_T0_E_clISt17integral_constantIbLb0EES1C_IbLb1EEEEDaS18_S19_EUlS18_E_NS1_11comp_targetILNS1_3genE10ELNS1_11target_archE1200ELNS1_3gpuE4ELNS1_3repE0EEENS1_30default_config_static_selectorELNS0_4arch9wavefront6targetE0EEEvT1_,"axG",@progbits,_ZN7rocprim17ROCPRIM_400000_NS6detail17trampoline_kernelINS0_14default_configENS1_25partition_config_selectorILNS1_17partition_subalgoE9EyjbEEZZNS1_14partition_implILS5_9ELb0ES3_jN6thrust23THRUST_200600_302600_NS6detail15normal_iteratorINS9_10device_ptrIyEEEENSB_INSC_IjEEEEPNS0_10empty_typeENS0_5tupleIJNS9_16discard_iteratorINS9_11use_defaultEEESH_EEENSJ_IJSG_SI_EEENS0_18inequality_wrapperINS9_8equal_toIyEEEEPmJSH_EEE10hipError_tPvRmT3_T4_T5_T6_T7_T9_mT8_P12ihipStream_tbDpT10_ENKUlT_T0_E_clISt17integral_constantIbLb0EES1C_IbLb1EEEEDaS18_S19_EUlS18_E_NS1_11comp_targetILNS1_3genE10ELNS1_11target_archE1200ELNS1_3gpuE4ELNS1_3repE0EEENS1_30default_config_static_selectorELNS0_4arch9wavefront6targetE0EEEvT1_,comdat
	.protected	_ZN7rocprim17ROCPRIM_400000_NS6detail17trampoline_kernelINS0_14default_configENS1_25partition_config_selectorILNS1_17partition_subalgoE9EyjbEEZZNS1_14partition_implILS5_9ELb0ES3_jN6thrust23THRUST_200600_302600_NS6detail15normal_iteratorINS9_10device_ptrIyEEEENSB_INSC_IjEEEEPNS0_10empty_typeENS0_5tupleIJNS9_16discard_iteratorINS9_11use_defaultEEESH_EEENSJ_IJSG_SI_EEENS0_18inequality_wrapperINS9_8equal_toIyEEEEPmJSH_EEE10hipError_tPvRmT3_T4_T5_T6_T7_T9_mT8_P12ihipStream_tbDpT10_ENKUlT_T0_E_clISt17integral_constantIbLb0EES1C_IbLb1EEEEDaS18_S19_EUlS18_E_NS1_11comp_targetILNS1_3genE10ELNS1_11target_archE1200ELNS1_3gpuE4ELNS1_3repE0EEENS1_30default_config_static_selectorELNS0_4arch9wavefront6targetE0EEEvT1_ ; -- Begin function _ZN7rocprim17ROCPRIM_400000_NS6detail17trampoline_kernelINS0_14default_configENS1_25partition_config_selectorILNS1_17partition_subalgoE9EyjbEEZZNS1_14partition_implILS5_9ELb0ES3_jN6thrust23THRUST_200600_302600_NS6detail15normal_iteratorINS9_10device_ptrIyEEEENSB_INSC_IjEEEEPNS0_10empty_typeENS0_5tupleIJNS9_16discard_iteratorINS9_11use_defaultEEESH_EEENSJ_IJSG_SI_EEENS0_18inequality_wrapperINS9_8equal_toIyEEEEPmJSH_EEE10hipError_tPvRmT3_T4_T5_T6_T7_T9_mT8_P12ihipStream_tbDpT10_ENKUlT_T0_E_clISt17integral_constantIbLb0EES1C_IbLb1EEEEDaS18_S19_EUlS18_E_NS1_11comp_targetILNS1_3genE10ELNS1_11target_archE1200ELNS1_3gpuE4ELNS1_3repE0EEENS1_30default_config_static_selectorELNS0_4arch9wavefront6targetE0EEEvT1_
	.globl	_ZN7rocprim17ROCPRIM_400000_NS6detail17trampoline_kernelINS0_14default_configENS1_25partition_config_selectorILNS1_17partition_subalgoE9EyjbEEZZNS1_14partition_implILS5_9ELb0ES3_jN6thrust23THRUST_200600_302600_NS6detail15normal_iteratorINS9_10device_ptrIyEEEENSB_INSC_IjEEEEPNS0_10empty_typeENS0_5tupleIJNS9_16discard_iteratorINS9_11use_defaultEEESH_EEENSJ_IJSG_SI_EEENS0_18inequality_wrapperINS9_8equal_toIyEEEEPmJSH_EEE10hipError_tPvRmT3_T4_T5_T6_T7_T9_mT8_P12ihipStream_tbDpT10_ENKUlT_T0_E_clISt17integral_constantIbLb0EES1C_IbLb1EEEEDaS18_S19_EUlS18_E_NS1_11comp_targetILNS1_3genE10ELNS1_11target_archE1200ELNS1_3gpuE4ELNS1_3repE0EEENS1_30default_config_static_selectorELNS0_4arch9wavefront6targetE0EEEvT1_
	.p2align	8
	.type	_ZN7rocprim17ROCPRIM_400000_NS6detail17trampoline_kernelINS0_14default_configENS1_25partition_config_selectorILNS1_17partition_subalgoE9EyjbEEZZNS1_14partition_implILS5_9ELb0ES3_jN6thrust23THRUST_200600_302600_NS6detail15normal_iteratorINS9_10device_ptrIyEEEENSB_INSC_IjEEEEPNS0_10empty_typeENS0_5tupleIJNS9_16discard_iteratorINS9_11use_defaultEEESH_EEENSJ_IJSG_SI_EEENS0_18inequality_wrapperINS9_8equal_toIyEEEEPmJSH_EEE10hipError_tPvRmT3_T4_T5_T6_T7_T9_mT8_P12ihipStream_tbDpT10_ENKUlT_T0_E_clISt17integral_constantIbLb0EES1C_IbLb1EEEEDaS18_S19_EUlS18_E_NS1_11comp_targetILNS1_3genE10ELNS1_11target_archE1200ELNS1_3gpuE4ELNS1_3repE0EEENS1_30default_config_static_selectorELNS0_4arch9wavefront6targetE0EEEvT1_,@function
_ZN7rocprim17ROCPRIM_400000_NS6detail17trampoline_kernelINS0_14default_configENS1_25partition_config_selectorILNS1_17partition_subalgoE9EyjbEEZZNS1_14partition_implILS5_9ELb0ES3_jN6thrust23THRUST_200600_302600_NS6detail15normal_iteratorINS9_10device_ptrIyEEEENSB_INSC_IjEEEEPNS0_10empty_typeENS0_5tupleIJNS9_16discard_iteratorINS9_11use_defaultEEESH_EEENSJ_IJSG_SI_EEENS0_18inequality_wrapperINS9_8equal_toIyEEEEPmJSH_EEE10hipError_tPvRmT3_T4_T5_T6_T7_T9_mT8_P12ihipStream_tbDpT10_ENKUlT_T0_E_clISt17integral_constantIbLb0EES1C_IbLb1EEEEDaS18_S19_EUlS18_E_NS1_11comp_targetILNS1_3genE10ELNS1_11target_archE1200ELNS1_3gpuE4ELNS1_3repE0EEENS1_30default_config_static_selectorELNS0_4arch9wavefront6targetE0EEEvT1_: ; @_ZN7rocprim17ROCPRIM_400000_NS6detail17trampoline_kernelINS0_14default_configENS1_25partition_config_selectorILNS1_17partition_subalgoE9EyjbEEZZNS1_14partition_implILS5_9ELb0ES3_jN6thrust23THRUST_200600_302600_NS6detail15normal_iteratorINS9_10device_ptrIyEEEENSB_INSC_IjEEEEPNS0_10empty_typeENS0_5tupleIJNS9_16discard_iteratorINS9_11use_defaultEEESH_EEENSJ_IJSG_SI_EEENS0_18inequality_wrapperINS9_8equal_toIyEEEEPmJSH_EEE10hipError_tPvRmT3_T4_T5_T6_T7_T9_mT8_P12ihipStream_tbDpT10_ENKUlT_T0_E_clISt17integral_constantIbLb0EES1C_IbLb1EEEEDaS18_S19_EUlS18_E_NS1_11comp_targetILNS1_3genE10ELNS1_11target_archE1200ELNS1_3gpuE4ELNS1_3repE0EEENS1_30default_config_static_selectorELNS0_4arch9wavefront6targetE0EEEvT1_
; %bb.0:
	.section	.rodata,"a",@progbits
	.p2align	6, 0x0
	.amdhsa_kernel _ZN7rocprim17ROCPRIM_400000_NS6detail17trampoline_kernelINS0_14default_configENS1_25partition_config_selectorILNS1_17partition_subalgoE9EyjbEEZZNS1_14partition_implILS5_9ELb0ES3_jN6thrust23THRUST_200600_302600_NS6detail15normal_iteratorINS9_10device_ptrIyEEEENSB_INSC_IjEEEEPNS0_10empty_typeENS0_5tupleIJNS9_16discard_iteratorINS9_11use_defaultEEESH_EEENSJ_IJSG_SI_EEENS0_18inequality_wrapperINS9_8equal_toIyEEEEPmJSH_EEE10hipError_tPvRmT3_T4_T5_T6_T7_T9_mT8_P12ihipStream_tbDpT10_ENKUlT_T0_E_clISt17integral_constantIbLb0EES1C_IbLb1EEEEDaS18_S19_EUlS18_E_NS1_11comp_targetILNS1_3genE10ELNS1_11target_archE1200ELNS1_3gpuE4ELNS1_3repE0EEENS1_30default_config_static_selectorELNS0_4arch9wavefront6targetE0EEEvT1_
		.amdhsa_group_segment_fixed_size 0
		.amdhsa_private_segment_fixed_size 0
		.amdhsa_kernarg_size 136
		.amdhsa_user_sgpr_count 15
		.amdhsa_user_sgpr_dispatch_ptr 0
		.amdhsa_user_sgpr_queue_ptr 0
		.amdhsa_user_sgpr_kernarg_segment_ptr 1
		.amdhsa_user_sgpr_dispatch_id 0
		.amdhsa_user_sgpr_private_segment_size 0
		.amdhsa_wavefront_size32 1
		.amdhsa_uses_dynamic_stack 0
		.amdhsa_enable_private_segment 0
		.amdhsa_system_sgpr_workgroup_id_x 1
		.amdhsa_system_sgpr_workgroup_id_y 0
		.amdhsa_system_sgpr_workgroup_id_z 0
		.amdhsa_system_sgpr_workgroup_info 0
		.amdhsa_system_vgpr_workitem_id 0
		.amdhsa_next_free_vgpr 1
		.amdhsa_next_free_sgpr 1
		.amdhsa_reserve_vcc 0
		.amdhsa_float_round_mode_32 0
		.amdhsa_float_round_mode_16_64 0
		.amdhsa_float_denorm_mode_32 3
		.amdhsa_float_denorm_mode_16_64 3
		.amdhsa_dx10_clamp 1
		.amdhsa_ieee_mode 1
		.amdhsa_fp16_overflow 0
		.amdhsa_workgroup_processor_mode 1
		.amdhsa_memory_ordered 1
		.amdhsa_forward_progress 0
		.amdhsa_shared_vgpr_count 0
		.amdhsa_exception_fp_ieee_invalid_op 0
		.amdhsa_exception_fp_denorm_src 0
		.amdhsa_exception_fp_ieee_div_zero 0
		.amdhsa_exception_fp_ieee_overflow 0
		.amdhsa_exception_fp_ieee_underflow 0
		.amdhsa_exception_fp_ieee_inexact 0
		.amdhsa_exception_int_div_zero 0
	.end_amdhsa_kernel
	.section	.text._ZN7rocprim17ROCPRIM_400000_NS6detail17trampoline_kernelINS0_14default_configENS1_25partition_config_selectorILNS1_17partition_subalgoE9EyjbEEZZNS1_14partition_implILS5_9ELb0ES3_jN6thrust23THRUST_200600_302600_NS6detail15normal_iteratorINS9_10device_ptrIyEEEENSB_INSC_IjEEEEPNS0_10empty_typeENS0_5tupleIJNS9_16discard_iteratorINS9_11use_defaultEEESH_EEENSJ_IJSG_SI_EEENS0_18inequality_wrapperINS9_8equal_toIyEEEEPmJSH_EEE10hipError_tPvRmT3_T4_T5_T6_T7_T9_mT8_P12ihipStream_tbDpT10_ENKUlT_T0_E_clISt17integral_constantIbLb0EES1C_IbLb1EEEEDaS18_S19_EUlS18_E_NS1_11comp_targetILNS1_3genE10ELNS1_11target_archE1200ELNS1_3gpuE4ELNS1_3repE0EEENS1_30default_config_static_selectorELNS0_4arch9wavefront6targetE0EEEvT1_,"axG",@progbits,_ZN7rocprim17ROCPRIM_400000_NS6detail17trampoline_kernelINS0_14default_configENS1_25partition_config_selectorILNS1_17partition_subalgoE9EyjbEEZZNS1_14partition_implILS5_9ELb0ES3_jN6thrust23THRUST_200600_302600_NS6detail15normal_iteratorINS9_10device_ptrIyEEEENSB_INSC_IjEEEEPNS0_10empty_typeENS0_5tupleIJNS9_16discard_iteratorINS9_11use_defaultEEESH_EEENSJ_IJSG_SI_EEENS0_18inequality_wrapperINS9_8equal_toIyEEEEPmJSH_EEE10hipError_tPvRmT3_T4_T5_T6_T7_T9_mT8_P12ihipStream_tbDpT10_ENKUlT_T0_E_clISt17integral_constantIbLb0EES1C_IbLb1EEEEDaS18_S19_EUlS18_E_NS1_11comp_targetILNS1_3genE10ELNS1_11target_archE1200ELNS1_3gpuE4ELNS1_3repE0EEENS1_30default_config_static_selectorELNS0_4arch9wavefront6targetE0EEEvT1_,comdat
.Lfunc_end786:
	.size	_ZN7rocprim17ROCPRIM_400000_NS6detail17trampoline_kernelINS0_14default_configENS1_25partition_config_selectorILNS1_17partition_subalgoE9EyjbEEZZNS1_14partition_implILS5_9ELb0ES3_jN6thrust23THRUST_200600_302600_NS6detail15normal_iteratorINS9_10device_ptrIyEEEENSB_INSC_IjEEEEPNS0_10empty_typeENS0_5tupleIJNS9_16discard_iteratorINS9_11use_defaultEEESH_EEENSJ_IJSG_SI_EEENS0_18inequality_wrapperINS9_8equal_toIyEEEEPmJSH_EEE10hipError_tPvRmT3_T4_T5_T6_T7_T9_mT8_P12ihipStream_tbDpT10_ENKUlT_T0_E_clISt17integral_constantIbLb0EES1C_IbLb1EEEEDaS18_S19_EUlS18_E_NS1_11comp_targetILNS1_3genE10ELNS1_11target_archE1200ELNS1_3gpuE4ELNS1_3repE0EEENS1_30default_config_static_selectorELNS0_4arch9wavefront6targetE0EEEvT1_, .Lfunc_end786-_ZN7rocprim17ROCPRIM_400000_NS6detail17trampoline_kernelINS0_14default_configENS1_25partition_config_selectorILNS1_17partition_subalgoE9EyjbEEZZNS1_14partition_implILS5_9ELb0ES3_jN6thrust23THRUST_200600_302600_NS6detail15normal_iteratorINS9_10device_ptrIyEEEENSB_INSC_IjEEEEPNS0_10empty_typeENS0_5tupleIJNS9_16discard_iteratorINS9_11use_defaultEEESH_EEENSJ_IJSG_SI_EEENS0_18inequality_wrapperINS9_8equal_toIyEEEEPmJSH_EEE10hipError_tPvRmT3_T4_T5_T6_T7_T9_mT8_P12ihipStream_tbDpT10_ENKUlT_T0_E_clISt17integral_constantIbLb0EES1C_IbLb1EEEEDaS18_S19_EUlS18_E_NS1_11comp_targetILNS1_3genE10ELNS1_11target_archE1200ELNS1_3gpuE4ELNS1_3repE0EEENS1_30default_config_static_selectorELNS0_4arch9wavefront6targetE0EEEvT1_
                                        ; -- End function
	.section	.AMDGPU.csdata,"",@progbits
; Kernel info:
; codeLenInByte = 0
; NumSgprs: 0
; NumVgprs: 0
; ScratchSize: 0
; MemoryBound: 0
; FloatMode: 240
; IeeeMode: 1
; LDSByteSize: 0 bytes/workgroup (compile time only)
; SGPRBlocks: 0
; VGPRBlocks: 0
; NumSGPRsForWavesPerEU: 1
; NumVGPRsForWavesPerEU: 1
; Occupancy: 15
; WaveLimiterHint : 0
; COMPUTE_PGM_RSRC2:SCRATCH_EN: 0
; COMPUTE_PGM_RSRC2:USER_SGPR: 15
; COMPUTE_PGM_RSRC2:TRAP_HANDLER: 0
; COMPUTE_PGM_RSRC2:TGID_X_EN: 1
; COMPUTE_PGM_RSRC2:TGID_Y_EN: 0
; COMPUTE_PGM_RSRC2:TGID_Z_EN: 0
; COMPUTE_PGM_RSRC2:TIDIG_COMP_CNT: 0
	.section	.text._ZN7rocprim17ROCPRIM_400000_NS6detail17trampoline_kernelINS0_14default_configENS1_25partition_config_selectorILNS1_17partition_subalgoE9EyjbEEZZNS1_14partition_implILS5_9ELb0ES3_jN6thrust23THRUST_200600_302600_NS6detail15normal_iteratorINS9_10device_ptrIyEEEENSB_INSC_IjEEEEPNS0_10empty_typeENS0_5tupleIJNS9_16discard_iteratorINS9_11use_defaultEEESH_EEENSJ_IJSG_SI_EEENS0_18inequality_wrapperINS9_8equal_toIyEEEEPmJSH_EEE10hipError_tPvRmT3_T4_T5_T6_T7_T9_mT8_P12ihipStream_tbDpT10_ENKUlT_T0_E_clISt17integral_constantIbLb0EES1C_IbLb1EEEEDaS18_S19_EUlS18_E_NS1_11comp_targetILNS1_3genE9ELNS1_11target_archE1100ELNS1_3gpuE3ELNS1_3repE0EEENS1_30default_config_static_selectorELNS0_4arch9wavefront6targetE0EEEvT1_,"axG",@progbits,_ZN7rocprim17ROCPRIM_400000_NS6detail17trampoline_kernelINS0_14default_configENS1_25partition_config_selectorILNS1_17partition_subalgoE9EyjbEEZZNS1_14partition_implILS5_9ELb0ES3_jN6thrust23THRUST_200600_302600_NS6detail15normal_iteratorINS9_10device_ptrIyEEEENSB_INSC_IjEEEEPNS0_10empty_typeENS0_5tupleIJNS9_16discard_iteratorINS9_11use_defaultEEESH_EEENSJ_IJSG_SI_EEENS0_18inequality_wrapperINS9_8equal_toIyEEEEPmJSH_EEE10hipError_tPvRmT3_T4_T5_T6_T7_T9_mT8_P12ihipStream_tbDpT10_ENKUlT_T0_E_clISt17integral_constantIbLb0EES1C_IbLb1EEEEDaS18_S19_EUlS18_E_NS1_11comp_targetILNS1_3genE9ELNS1_11target_archE1100ELNS1_3gpuE3ELNS1_3repE0EEENS1_30default_config_static_selectorELNS0_4arch9wavefront6targetE0EEEvT1_,comdat
	.protected	_ZN7rocprim17ROCPRIM_400000_NS6detail17trampoline_kernelINS0_14default_configENS1_25partition_config_selectorILNS1_17partition_subalgoE9EyjbEEZZNS1_14partition_implILS5_9ELb0ES3_jN6thrust23THRUST_200600_302600_NS6detail15normal_iteratorINS9_10device_ptrIyEEEENSB_INSC_IjEEEEPNS0_10empty_typeENS0_5tupleIJNS9_16discard_iteratorINS9_11use_defaultEEESH_EEENSJ_IJSG_SI_EEENS0_18inequality_wrapperINS9_8equal_toIyEEEEPmJSH_EEE10hipError_tPvRmT3_T4_T5_T6_T7_T9_mT8_P12ihipStream_tbDpT10_ENKUlT_T0_E_clISt17integral_constantIbLb0EES1C_IbLb1EEEEDaS18_S19_EUlS18_E_NS1_11comp_targetILNS1_3genE9ELNS1_11target_archE1100ELNS1_3gpuE3ELNS1_3repE0EEENS1_30default_config_static_selectorELNS0_4arch9wavefront6targetE0EEEvT1_ ; -- Begin function _ZN7rocprim17ROCPRIM_400000_NS6detail17trampoline_kernelINS0_14default_configENS1_25partition_config_selectorILNS1_17partition_subalgoE9EyjbEEZZNS1_14partition_implILS5_9ELb0ES3_jN6thrust23THRUST_200600_302600_NS6detail15normal_iteratorINS9_10device_ptrIyEEEENSB_INSC_IjEEEEPNS0_10empty_typeENS0_5tupleIJNS9_16discard_iteratorINS9_11use_defaultEEESH_EEENSJ_IJSG_SI_EEENS0_18inequality_wrapperINS9_8equal_toIyEEEEPmJSH_EEE10hipError_tPvRmT3_T4_T5_T6_T7_T9_mT8_P12ihipStream_tbDpT10_ENKUlT_T0_E_clISt17integral_constantIbLb0EES1C_IbLb1EEEEDaS18_S19_EUlS18_E_NS1_11comp_targetILNS1_3genE9ELNS1_11target_archE1100ELNS1_3gpuE3ELNS1_3repE0EEENS1_30default_config_static_selectorELNS0_4arch9wavefront6targetE0EEEvT1_
	.globl	_ZN7rocprim17ROCPRIM_400000_NS6detail17trampoline_kernelINS0_14default_configENS1_25partition_config_selectorILNS1_17partition_subalgoE9EyjbEEZZNS1_14partition_implILS5_9ELb0ES3_jN6thrust23THRUST_200600_302600_NS6detail15normal_iteratorINS9_10device_ptrIyEEEENSB_INSC_IjEEEEPNS0_10empty_typeENS0_5tupleIJNS9_16discard_iteratorINS9_11use_defaultEEESH_EEENSJ_IJSG_SI_EEENS0_18inequality_wrapperINS9_8equal_toIyEEEEPmJSH_EEE10hipError_tPvRmT3_T4_T5_T6_T7_T9_mT8_P12ihipStream_tbDpT10_ENKUlT_T0_E_clISt17integral_constantIbLb0EES1C_IbLb1EEEEDaS18_S19_EUlS18_E_NS1_11comp_targetILNS1_3genE9ELNS1_11target_archE1100ELNS1_3gpuE3ELNS1_3repE0EEENS1_30default_config_static_selectorELNS0_4arch9wavefront6targetE0EEEvT1_
	.p2align	8
	.type	_ZN7rocprim17ROCPRIM_400000_NS6detail17trampoline_kernelINS0_14default_configENS1_25partition_config_selectorILNS1_17partition_subalgoE9EyjbEEZZNS1_14partition_implILS5_9ELb0ES3_jN6thrust23THRUST_200600_302600_NS6detail15normal_iteratorINS9_10device_ptrIyEEEENSB_INSC_IjEEEEPNS0_10empty_typeENS0_5tupleIJNS9_16discard_iteratorINS9_11use_defaultEEESH_EEENSJ_IJSG_SI_EEENS0_18inequality_wrapperINS9_8equal_toIyEEEEPmJSH_EEE10hipError_tPvRmT3_T4_T5_T6_T7_T9_mT8_P12ihipStream_tbDpT10_ENKUlT_T0_E_clISt17integral_constantIbLb0EES1C_IbLb1EEEEDaS18_S19_EUlS18_E_NS1_11comp_targetILNS1_3genE9ELNS1_11target_archE1100ELNS1_3gpuE3ELNS1_3repE0EEENS1_30default_config_static_selectorELNS0_4arch9wavefront6targetE0EEEvT1_,@function
_ZN7rocprim17ROCPRIM_400000_NS6detail17trampoline_kernelINS0_14default_configENS1_25partition_config_selectorILNS1_17partition_subalgoE9EyjbEEZZNS1_14partition_implILS5_9ELb0ES3_jN6thrust23THRUST_200600_302600_NS6detail15normal_iteratorINS9_10device_ptrIyEEEENSB_INSC_IjEEEEPNS0_10empty_typeENS0_5tupleIJNS9_16discard_iteratorINS9_11use_defaultEEESH_EEENSJ_IJSG_SI_EEENS0_18inequality_wrapperINS9_8equal_toIyEEEEPmJSH_EEE10hipError_tPvRmT3_T4_T5_T6_T7_T9_mT8_P12ihipStream_tbDpT10_ENKUlT_T0_E_clISt17integral_constantIbLb0EES1C_IbLb1EEEEDaS18_S19_EUlS18_E_NS1_11comp_targetILNS1_3genE9ELNS1_11target_archE1100ELNS1_3gpuE3ELNS1_3repE0EEENS1_30default_config_static_selectorELNS0_4arch9wavefront6targetE0EEEvT1_: ; @_ZN7rocprim17ROCPRIM_400000_NS6detail17trampoline_kernelINS0_14default_configENS1_25partition_config_selectorILNS1_17partition_subalgoE9EyjbEEZZNS1_14partition_implILS5_9ELb0ES3_jN6thrust23THRUST_200600_302600_NS6detail15normal_iteratorINS9_10device_ptrIyEEEENSB_INSC_IjEEEEPNS0_10empty_typeENS0_5tupleIJNS9_16discard_iteratorINS9_11use_defaultEEESH_EEENSJ_IJSG_SI_EEENS0_18inequality_wrapperINS9_8equal_toIyEEEEPmJSH_EEE10hipError_tPvRmT3_T4_T5_T6_T7_T9_mT8_P12ihipStream_tbDpT10_ENKUlT_T0_E_clISt17integral_constantIbLb0EES1C_IbLb1EEEEDaS18_S19_EUlS18_E_NS1_11comp_targetILNS1_3genE9ELNS1_11target_archE1100ELNS1_3gpuE3ELNS1_3repE0EEENS1_30default_config_static_selectorELNS0_4arch9wavefront6targetE0EEEvT1_
; %bb.0:
	s_clause 0x5
	s_load_b128 s[4:7], s[0:1], 0x8
	s_load_b64 s[8:9], s[0:1], 0x18
	s_load_b64 s[10:11], s[0:1], 0x38
	s_load_b128 s[12:15], s[0:1], 0x48
	s_load_b64 s[18:19], s[0:1], 0x58
	s_load_b64 s[16:17], s[0:1], 0x68
	v_cmp_ne_u32_e64 s3, 0, v0
	v_cmp_eq_u32_e64 s2, 0, v0
	s_delay_alu instid0(VALU_DEP_1)
	s_and_saveexec_b32 s20, s2
	s_cbranch_execz .LBB787_4
; %bb.1:
	s_mov_b32 s22, exec_lo
	s_mov_b32 s21, exec_lo
	v_mbcnt_lo_u32_b32 v1, s22, 0
                                        ; implicit-def: $vgpr2
	s_delay_alu instid0(VALU_DEP_1)
	v_cmpx_eq_u32_e32 0, v1
	s_cbranch_execz .LBB787_3
; %bb.2:
	s_load_b64 s[24:25], s[0:1], 0x78
	s_bcnt1_i32_b32 s22, s22
	s_delay_alu instid0(SALU_CYCLE_1)
	v_dual_mov_b32 v2, 0 :: v_dual_mov_b32 v3, s22
	s_waitcnt lgkmcnt(0)
	global_atomic_add_u32 v2, v2, v3, s[24:25] glc
.LBB787_3:
	s_or_b32 exec_lo, exec_lo, s21
	s_waitcnt vmcnt(0)
	v_readfirstlane_b32 s21, v2
	s_delay_alu instid0(VALU_DEP_1)
	v_dual_mov_b32 v2, 0 :: v_dual_add_nc_u32 v1, s21, v1
	ds_store_b32 v2, v1
.LBB787_4:
	s_or_b32 exec_lo, exec_lo, s20
	v_mov_b32_e32 v1, 0
	s_waitcnt lgkmcnt(0)
	s_barrier
	buffer_gl0_inv
	s_load_b32 s0, s[0:1], 0x70
	ds_load_b32 v2, v1
	s_waitcnt lgkmcnt(0)
	s_barrier
	buffer_gl0_inv
	global_load_b64 v[17:18], v1, s[14:15]
	s_lshl_b64 s[14:15], s[6:7], 3
	v_lshlrev_b32_e32 v31, 3, v0
	s_add_u32 s22, s4, s14
	s_addc_u32 s23, s5, s15
	v_lshrrev_b32_e32 v26, 2, v0
	v_or_b32_e32 v25, 0x200, v0
	v_or_b32_e32 v24, 0x400, v0
	v_or_b32_e32 v23, 0x600, v0
	v_or_b32_e32 v22, 0x800, v0
	v_or_b32_e32 v21, 0xa00, v0
	v_or_b32_e32 v20, 0xc00, v0
	v_or_b32_e32 v19, 0xe00, v0
	s_add_i32 s5, s0, -1
	v_readfirstlane_b32 s20, v2
	s_lshl_b32 s1, s5, 12
	s_lshl_b32 s0, s0, 12
	s_add_i32 s1, s6, s1
	s_delay_alu instid0(SALU_CYCLE_1)
	s_sub_i32 s21, s18, s1
	s_lshl_b32 s4, s20, 12
	s_add_u32 s0, s6, s0
	s_addc_u32 s1, s7, 0
	s_cmp_eq_u32 s20, s5
	v_cmp_ge_u64_e64 s0, s[0:1], s[18:19]
	s_cselect_b32 s14, -1, 0
	s_mov_b32 s5, 0
	s_delay_alu instid0(VALU_DEP_1)
	s_and_b32 s18, s0, s14
	s_lshl_b64 s[0:1], s[4:5], 3
	s_xor_b32 s15, s18, -1
	s_add_u32 s19, s22, s0
	s_addc_u32 s1, s23, s1
	s_and_b32 vcc_lo, exec_lo, s15
	s_mov_b32 s22, -1
	s_cbranch_vccz .LBB787_6
; %bb.5:
	v_add_co_u32 v1, s0, s19, v31
	s_delay_alu instid0(VALU_DEP_1) | instskip(SKIP_1) | instid1(VALU_DEP_3)
	v_add_co_ci_u32_e64 v2, null, s1, 0, s0
	v_lshrrev_b32_e32 v28, 2, v25
	v_add_co_u32 v3, vcc_lo, 0x1000, v1
	s_delay_alu instid0(VALU_DEP_3)
	v_add_co_ci_u32_e32 v4, vcc_lo, 0, v2, vcc_lo
	v_add_co_u32 v5, vcc_lo, 0x2000, v1
	v_add_co_ci_u32_e32 v6, vcc_lo, 0, v2, vcc_lo
	v_add_co_u32 v7, vcc_lo, 0x3000, v1
	;; [unrolled: 2-line block ×6, first 2 shown]
	v_add_co_ci_u32_e32 v16, vcc_lo, 0, v2, vcc_lo
	s_clause 0x7
	flat_load_b64 v[1:2], v[1:2]
	flat_load_b64 v[3:4], v[3:4]
	flat_load_b64 v[5:6], v[5:6]
	flat_load_b64 v[7:8], v[7:8]
	flat_load_b64 v[9:10], v[9:10]
	flat_load_b64 v[11:12], v[11:12]
	flat_load_b64 v[13:14], v[13:14]
	flat_load_b64 v[15:16], v[15:16]
	v_lshrrev_b32_e32 v29, 2, v24
	v_lshrrev_b32_e32 v30, 2, v23
	v_lshrrev_b32_e32 v32, 2, v22
	v_and_b32_e32 v27, 0x78, v26
	v_lshrrev_b32_e32 v33, 2, v21
	v_lshrrev_b32_e32 v34, 2, v20
	v_lshrrev_b32_e32 v35, 2, v19
	v_and_b32_e32 v28, 0xf8, v28
	v_and_b32_e32 v29, 0x178, v29
	;; [unrolled: 1-line block ×4, first 2 shown]
	v_add_nc_u32_e32 v27, v27, v31
	v_and_b32_e32 v33, 0x2f8, v33
	v_and_b32_e32 v34, 0x378, v34
	;; [unrolled: 1-line block ×3, first 2 shown]
	v_add_nc_u32_e32 v28, v28, v31
	v_add_nc_u32_e32 v29, v29, v31
	;; [unrolled: 1-line block ×4, first 2 shown]
	s_mov_b32 s22, s5
	v_add_nc_u32_e32 v33, v33, v31
	v_add_nc_u32_e32 v34, v34, v31
	v_add_nc_u32_e32 v35, v35, v31
	s_waitcnt vmcnt(7) lgkmcnt(7)
	ds_store_b64 v27, v[1:2]
	s_waitcnt vmcnt(6) lgkmcnt(7)
	ds_store_b64 v28, v[3:4] offset:4096
	s_waitcnt vmcnt(5) lgkmcnt(7)
	ds_store_b64 v29, v[5:6] offset:8192
	;; [unrolled: 2-line block ×7, first 2 shown]
	s_waitcnt lgkmcnt(0)
	s_barrier
.LBB787_6:
	v_cmp_gt_u32_e64 s0, s21, v0
	s_and_not1_b32 vcc_lo, exec_lo, s22
	s_cbranch_vccnz .LBB787_24
; %bb.7:
                                        ; implicit-def: $vgpr1_vgpr2_vgpr3_vgpr4_vgpr5_vgpr6_vgpr7_vgpr8_vgpr9_vgpr10_vgpr11_vgpr12_vgpr13_vgpr14_vgpr15_vgpr16
	s_delay_alu instid0(VALU_DEP_1)
	s_and_saveexec_b32 s22, s0
	s_cbranch_execz .LBB787_15
; %bb.8:
	v_add_co_u32 v1, s0, s19, v31
	s_delay_alu instid0(VALU_DEP_1) | instskip(SKIP_2) | instid1(SALU_CYCLE_1)
	v_add_co_ci_u32_e64 v2, null, s1, 0, s0
	flat_load_b64 v[1:2], v[1:2]
	s_or_b32 exec_lo, exec_lo, s22
	s_mov_b32 s0, exec_lo
	v_cmpx_gt_u32_e64 s21, v25
	s_cbranch_execnz .LBB787_16
.LBB787_9:
	s_or_b32 exec_lo, exec_lo, s0
	s_delay_alu instid0(SALU_CYCLE_1)
	s_mov_b32 s0, exec_lo
	v_cmpx_gt_u32_e64 s21, v24
	s_cbranch_execz .LBB787_17
.LBB787_10:
	v_lshlrev_b32_e32 v5, 3, v24
	s_delay_alu instid0(VALU_DEP_1) | instskip(NEXT) | instid1(VALU_DEP_1)
	v_add_co_u32 v5, s22, s19, v5
	v_add_co_ci_u32_e64 v6, null, s1, 0, s22
	flat_load_b64 v[5:6], v[5:6]
	s_or_b32 exec_lo, exec_lo, s0
	s_delay_alu instid0(SALU_CYCLE_1)
	s_mov_b32 s0, exec_lo
	v_cmpx_gt_u32_e64 s21, v23
	s_cbranch_execnz .LBB787_18
.LBB787_11:
	s_or_b32 exec_lo, exec_lo, s0
	s_delay_alu instid0(SALU_CYCLE_1)
	s_mov_b32 s0, exec_lo
	v_cmpx_gt_u32_e64 s21, v22
	s_cbranch_execz .LBB787_19
.LBB787_12:
	v_lshlrev_b32_e32 v9, 3, v22
	s_delay_alu instid0(VALU_DEP_1) | instskip(NEXT) | instid1(VALU_DEP_1)
	v_add_co_u32 v9, s22, s19, v9
	v_add_co_ci_u32_e64 v10, null, s1, 0, s22
	flat_load_b64 v[9:10], v[9:10]
	s_or_b32 exec_lo, exec_lo, s0
	s_delay_alu instid0(SALU_CYCLE_1)
	s_mov_b32 s0, exec_lo
	v_cmpx_gt_u32_e64 s21, v21
	s_cbranch_execnz .LBB787_20
.LBB787_13:
	s_or_b32 exec_lo, exec_lo, s0
	s_delay_alu instid0(SALU_CYCLE_1)
	s_mov_b32 s0, exec_lo
	v_cmpx_gt_u32_e64 s21, v20
	s_cbranch_execz .LBB787_21
.LBB787_14:
	v_lshlrev_b32_e32 v13, 3, v20
	s_delay_alu instid0(VALU_DEP_1) | instskip(NEXT) | instid1(VALU_DEP_1)
	v_add_co_u32 v13, s22, s19, v13
	v_add_co_ci_u32_e64 v14, null, s1, 0, s22
	flat_load_b64 v[13:14], v[13:14]
	s_or_b32 exec_lo, exec_lo, s0
	s_delay_alu instid0(SALU_CYCLE_1)
	s_mov_b32 s0, exec_lo
	v_cmpx_gt_u32_e64 s21, v19
	s_cbranch_execnz .LBB787_22
	s_branch .LBB787_23
.LBB787_15:
	s_or_b32 exec_lo, exec_lo, s22
	s_delay_alu instid0(SALU_CYCLE_1)
	s_mov_b32 s0, exec_lo
	v_cmpx_gt_u32_e64 s21, v25
	s_cbranch_execz .LBB787_9
.LBB787_16:
	v_lshlrev_b32_e32 v3, 3, v25
	s_delay_alu instid0(VALU_DEP_1) | instskip(NEXT) | instid1(VALU_DEP_1)
	v_add_co_u32 v3, s22, s19, v3
	v_add_co_ci_u32_e64 v4, null, s1, 0, s22
	flat_load_b64 v[3:4], v[3:4]
	s_or_b32 exec_lo, exec_lo, s0
	s_delay_alu instid0(SALU_CYCLE_1)
	s_mov_b32 s0, exec_lo
	v_cmpx_gt_u32_e64 s21, v24
	s_cbranch_execnz .LBB787_10
.LBB787_17:
	s_or_b32 exec_lo, exec_lo, s0
	s_delay_alu instid0(SALU_CYCLE_1)
	s_mov_b32 s0, exec_lo
	v_cmpx_gt_u32_e64 s21, v23
	s_cbranch_execz .LBB787_11
.LBB787_18:
	v_lshlrev_b32_e32 v7, 3, v23
	s_delay_alu instid0(VALU_DEP_1) | instskip(NEXT) | instid1(VALU_DEP_1)
	v_add_co_u32 v7, s22, s19, v7
	v_add_co_ci_u32_e64 v8, null, s1, 0, s22
	flat_load_b64 v[7:8], v[7:8]
	s_or_b32 exec_lo, exec_lo, s0
	s_delay_alu instid0(SALU_CYCLE_1)
	s_mov_b32 s0, exec_lo
	v_cmpx_gt_u32_e64 s21, v22
	s_cbranch_execnz .LBB787_12
.LBB787_19:
	s_or_b32 exec_lo, exec_lo, s0
	s_delay_alu instid0(SALU_CYCLE_1)
	s_mov_b32 s0, exec_lo
	v_cmpx_gt_u32_e64 s21, v21
	s_cbranch_execz .LBB787_13
.LBB787_20:
	v_lshlrev_b32_e32 v11, 3, v21
	s_delay_alu instid0(VALU_DEP_1) | instskip(NEXT) | instid1(VALU_DEP_1)
	v_add_co_u32 v11, s22, s19, v11
	v_add_co_ci_u32_e64 v12, null, s1, 0, s22
	flat_load_b64 v[11:12], v[11:12]
	s_or_b32 exec_lo, exec_lo, s0
	s_delay_alu instid0(SALU_CYCLE_1)
	s_mov_b32 s0, exec_lo
	v_cmpx_gt_u32_e64 s21, v20
	s_cbranch_execnz .LBB787_14
.LBB787_21:
	s_or_b32 exec_lo, exec_lo, s0
	s_delay_alu instid0(SALU_CYCLE_1)
	s_mov_b32 s0, exec_lo
	v_cmpx_gt_u32_e64 s21, v19
	s_cbranch_execz .LBB787_23
.LBB787_22:
	v_lshlrev_b32_e32 v15, 3, v19
	s_delay_alu instid0(VALU_DEP_1) | instskip(NEXT) | instid1(VALU_DEP_1)
	v_add_co_u32 v15, s22, s19, v15
	v_add_co_ci_u32_e64 v16, null, s1, 0, s22
	flat_load_b64 v[15:16], v[15:16]
.LBB787_23:
	s_or_b32 exec_lo, exec_lo, s0
	v_lshrrev_b32_e32 v27, 2, v25
	v_lshrrev_b32_e32 v28, 2, v24
	;; [unrolled: 1-line block ×4, first 2 shown]
	v_and_b32_e32 v29, 0x78, v26
	v_lshrrev_b32_e32 v33, 2, v21
	v_lshrrev_b32_e32 v34, 2, v20
	;; [unrolled: 1-line block ×3, first 2 shown]
	v_and_b32_e32 v27, 0xf8, v27
	v_and_b32_e32 v28, 0x1f8, v28
	;; [unrolled: 1-line block ×4, first 2 shown]
	v_add_nc_u32_e32 v29, v29, v31
	v_and_b32_e32 v33, 0x3f8, v33
	v_and_b32_e32 v34, 0x3f8, v34
	;; [unrolled: 1-line block ×3, first 2 shown]
	v_add_nc_u32_e32 v27, v27, v31
	v_add_nc_u32_e32 v28, v28, v31
	;; [unrolled: 1-line block ×7, first 2 shown]
	s_waitcnt vmcnt(0) lgkmcnt(0)
	ds_store_b64 v29, v[1:2]
	ds_store_b64 v27, v[3:4] offset:4096
	ds_store_b64 v28, v[5:6] offset:8192
	;; [unrolled: 1-line block ×7, first 2 shown]
	s_waitcnt lgkmcnt(0)
	s_barrier
.LBB787_24:
	v_add_nc_u32_e32 v26, v26, v31
	s_waitcnt vmcnt(0)
	buffer_gl0_inv
	s_lshl_b64 s[22:23], s[6:7], 2
	v_lshrrev_b32_e32 v28, 3, v0
	s_add_u32 s0, s8, s22
	v_lshlrev_b32_e32 v27, 3, v26
	s_addc_u32 s8, s9, s23
	s_lshl_b64 s[4:5], s[4:5], 2
	ds_load_2addr_b64 v[13:16], v27 offset1:1
	ds_load_2addr_b64 v[9:12], v27 offset0:2 offset1:3
	ds_load_2addr_b64 v[5:8], v27 offset0:4 offset1:5
	;; [unrolled: 1-line block ×3, first 2 shown]
	s_add_u32 s0, s0, s4
	s_addc_u32 s4, s8, s5
	s_and_b32 vcc_lo, exec_lo, s15
	s_mov_b32 s5, -1
	s_waitcnt lgkmcnt(0)
	s_barrier
	buffer_gl0_inv
	s_cbranch_vccz .LBB787_26
; %bb.25:
	v_lshlrev_b32_e32 v38, 2, v0
	v_lshrrev_b32_e32 v40, 3, v25
	v_lshrrev_b32_e32 v41, 3, v24
	;; [unrolled: 1-line block ×4, first 2 shown]
	v_add_co_u32 v29, s5, s0, v38
	s_delay_alu instid0(VALU_DEP_1) | instskip(SKIP_1) | instid1(VALU_DEP_3)
	v_add_co_ci_u32_e64 v30, null, s4, 0, s5
	v_lshrrev_b32_e32 v44, 3, v21
	v_add_co_u32 v32, vcc_lo, 0x1000, v29
	s_delay_alu instid0(VALU_DEP_3)
	v_add_co_ci_u32_e32 v33, vcc_lo, 0, v30, vcc_lo
	v_add_co_u32 v34, vcc_lo, 0x2000, v29
	v_add_co_ci_u32_e32 v35, vcc_lo, 0, v30, vcc_lo
	v_add_co_u32 v36, vcc_lo, 0x3000, v29
	v_add_co_ci_u32_e32 v37, vcc_lo, 0, v30, vcc_lo
	s_clause 0x7
	flat_load_b32 v39, v[29:30]
	flat_load_b32 v29, v[29:30] offset:2048
	flat_load_b32 v30, v[32:33]
	flat_load_b32 v32, v[32:33] offset:2048
	flat_load_b32 v33, v[34:35]
	flat_load_b32 v34, v[34:35] offset:2048
	flat_load_b32 v35, v[36:37]
	flat_load_b32 v36, v[36:37] offset:2048
	v_and_b32_e32 v37, 60, v28
	v_lshrrev_b32_e32 v45, 3, v20
	v_lshrrev_b32_e32 v46, 3, v19
	v_and_b32_e32 v40, 0x7c, v40
	v_and_b32_e32 v41, 0xbc, v41
	;; [unrolled: 1-line block ×4, first 2 shown]
	v_add_nc_u32_e32 v37, v37, v38
	v_and_b32_e32 v44, 0x17c, v44
	v_and_b32_e32 v45, 0x1bc, v45
	;; [unrolled: 1-line block ×3, first 2 shown]
	v_add_nc_u32_e32 v40, v40, v38
	v_add_nc_u32_e32 v41, v41, v38
	;; [unrolled: 1-line block ×4, first 2 shown]
	s_mov_b32 s5, 0
	v_add_nc_u32_e32 v44, v44, v38
	v_add_nc_u32_e32 v45, v45, v38
	;; [unrolled: 1-line block ×3, first 2 shown]
	s_waitcnt vmcnt(7) lgkmcnt(7)
	ds_store_b32 v37, v39
	s_waitcnt vmcnt(6) lgkmcnt(7)
	ds_store_b32 v40, v29 offset:2048
	s_waitcnt vmcnt(5) lgkmcnt(7)
	ds_store_b32 v41, v30 offset:4096
	;; [unrolled: 2-line block ×7, first 2 shown]
	s_waitcnt lgkmcnt(0)
	s_barrier
.LBB787_26:
	s_and_not1_b32 vcc_lo, exec_lo, s5
	s_cbranch_vccnz .LBB787_44
; %bb.27:
	s_mov_b32 s5, exec_lo
                                        ; implicit-def: $vgpr29
	v_cmpx_gt_u32_e64 s21, v0
	s_cbranch_execz .LBB787_29
; %bb.28:
	v_lshlrev_b32_e32 v29, 2, v0
	s_delay_alu instid0(VALU_DEP_1) | instskip(NEXT) | instid1(VALU_DEP_1)
	v_add_co_u32 v29, s8, s0, v29
	v_add_co_ci_u32_e64 v30, null, s4, 0, s8
	flat_load_b32 v29, v[29:30]
.LBB787_29:
	s_or_b32 exec_lo, exec_lo, s5
	s_delay_alu instid0(SALU_CYCLE_1)
	s_mov_b32 s5, exec_lo
                                        ; implicit-def: $vgpr30
	v_cmpx_gt_u32_e64 s21, v25
	s_cbranch_execz .LBB787_31
; %bb.30:
	v_lshlrev_b32_e32 v30, 2, v0
	s_delay_alu instid0(VALU_DEP_1) | instskip(NEXT) | instid1(VALU_DEP_1)
	v_add_co_u32 v32, s8, s0, v30
	v_add_co_ci_u32_e64 v33, null, s4, 0, s8
	flat_load_b32 v30, v[32:33] offset:2048
.LBB787_31:
	s_or_b32 exec_lo, exec_lo, s5
	s_delay_alu instid0(SALU_CYCLE_1)
	s_mov_b32 s5, exec_lo
                                        ; implicit-def: $vgpr32
	v_cmpx_gt_u32_e64 s21, v24
	s_cbranch_execz .LBB787_33
; %bb.32:
	v_lshlrev_b32_e32 v32, 2, v24
	s_delay_alu instid0(VALU_DEP_1) | instskip(NEXT) | instid1(VALU_DEP_1)
	v_add_co_u32 v32, s8, s0, v32
	v_add_co_ci_u32_e64 v33, null, s4, 0, s8
	flat_load_b32 v32, v[32:33]
.LBB787_33:
	s_or_b32 exec_lo, exec_lo, s5
	s_delay_alu instid0(SALU_CYCLE_1)
	s_mov_b32 s5, exec_lo
                                        ; implicit-def: $vgpr33
	v_cmpx_gt_u32_e64 s21, v23
	s_cbranch_execz .LBB787_35
; %bb.34:
	v_lshlrev_b32_e32 v33, 2, v23
	s_delay_alu instid0(VALU_DEP_1) | instskip(NEXT) | instid1(VALU_DEP_1)
	v_add_co_u32 v33, s8, s0, v33
	v_add_co_ci_u32_e64 v34, null, s4, 0, s8
	flat_load_b32 v33, v[33:34]
.LBB787_35:
	s_or_b32 exec_lo, exec_lo, s5
	s_delay_alu instid0(SALU_CYCLE_1)
	s_mov_b32 s5, exec_lo
                                        ; implicit-def: $vgpr34
	v_cmpx_gt_u32_e64 s21, v22
	s_cbranch_execz .LBB787_37
; %bb.36:
	v_lshlrev_b32_e32 v34, 2, v22
	s_delay_alu instid0(VALU_DEP_1) | instskip(NEXT) | instid1(VALU_DEP_1)
	v_add_co_u32 v34, s8, s0, v34
	v_add_co_ci_u32_e64 v35, null, s4, 0, s8
	flat_load_b32 v34, v[34:35]
.LBB787_37:
	s_or_b32 exec_lo, exec_lo, s5
	s_delay_alu instid0(SALU_CYCLE_1)
	s_mov_b32 s5, exec_lo
                                        ; implicit-def: $vgpr35
	v_cmpx_gt_u32_e64 s21, v21
	s_cbranch_execz .LBB787_39
; %bb.38:
	v_lshlrev_b32_e32 v35, 2, v21
	s_delay_alu instid0(VALU_DEP_1) | instskip(NEXT) | instid1(VALU_DEP_1)
	v_add_co_u32 v35, s8, s0, v35
	v_add_co_ci_u32_e64 v36, null, s4, 0, s8
	flat_load_b32 v35, v[35:36]
.LBB787_39:
	s_or_b32 exec_lo, exec_lo, s5
	s_delay_alu instid0(SALU_CYCLE_1)
	s_mov_b32 s5, exec_lo
                                        ; implicit-def: $vgpr36
	v_cmpx_gt_u32_e64 s21, v20
	s_cbranch_execz .LBB787_41
; %bb.40:
	v_lshlrev_b32_e32 v36, 2, v20
	s_delay_alu instid0(VALU_DEP_1) | instskip(NEXT) | instid1(VALU_DEP_1)
	v_add_co_u32 v36, s8, s0, v36
	v_add_co_ci_u32_e64 v37, null, s4, 0, s8
	flat_load_b32 v36, v[36:37]
.LBB787_41:
	s_or_b32 exec_lo, exec_lo, s5
	s_delay_alu instid0(SALU_CYCLE_1)
	s_mov_b32 s5, exec_lo
                                        ; implicit-def: $vgpr37
	v_cmpx_gt_u32_e64 s21, v19
	s_cbranch_execz .LBB787_43
; %bb.42:
	v_lshlrev_b32_e32 v37, 2, v19
	s_delay_alu instid0(VALU_DEP_1) | instskip(NEXT) | instid1(VALU_DEP_1)
	v_add_co_u32 v37, s0, s0, v37
	v_add_co_ci_u32_e64 v38, null, s4, 0, s0
	flat_load_b32 v37, v[37:38]
.LBB787_43:
	s_or_b32 exec_lo, exec_lo, s5
	v_lshrrev_b32_e32 v25, 3, v25
	v_lshrrev_b32_e32 v24, 3, v24
	;; [unrolled: 1-line block ×4, first 2 shown]
	v_and_b32_e32 v28, 60, v28
	v_lshlrev_b32_e32 v38, 2, v0
	v_lshrrev_b32_e32 v21, 3, v21
	v_lshrrev_b32_e32 v20, 3, v20
	v_lshrrev_b32_e32 v19, 3, v19
	v_and_b32_e32 v25, 0x7c, v25
	v_and_b32_e32 v24, 0xfc, v24
	;; [unrolled: 1-line block ×4, first 2 shown]
	v_add_nc_u32_e32 v28, v28, v38
	v_and_b32_e32 v21, 0x1fc, v21
	v_and_b32_e32 v20, 0x1fc, v20
	;; [unrolled: 1-line block ×3, first 2 shown]
	v_add_nc_u32_e32 v25, v25, v38
	v_add_nc_u32_e32 v24, v24, v38
	;; [unrolled: 1-line block ×7, first 2 shown]
	s_waitcnt vmcnt(0) lgkmcnt(0)
	ds_store_b32 v28, v29
	ds_store_b32 v25, v30 offset:2048
	ds_store_b32 v24, v32 offset:4096
	;; [unrolled: 1-line block ×7, first 2 shown]
	s_waitcnt lgkmcnt(0)
	s_barrier
.LBB787_44:
	v_lshlrev_b32_e32 v19, 2, v26
	buffer_gl0_inv
	s_cmp_lg_u32 s20, 0
	s_mov_b32 s22, 0
	s_cselect_b32 s9, -1, 0
	v_sub_nc_u32_e32 v19, v27, v19
	s_cmp_lg_u64 s[6:7], 0
	ds_load_2addr_b32 v[25:26], v19 offset1:1
	ds_load_2addr_b32 v[23:24], v19 offset0:2 offset1:3
	ds_load_2addr_b32 v[21:22], v19 offset0:4 offset1:5
	;; [unrolled: 1-line block ×3, first 2 shown]
	s_cselect_b32 s0, -1, 0
	s_waitcnt lgkmcnt(0)
	s_or_b32 s0, s0, s9
	s_barrier
	s_and_b32 vcc_lo, exec_lo, s0
	buffer_gl0_inv
	s_cbranch_vccz .LBB787_49
; %bb.45:
	v_add_co_u32 v27, s0, -8, s19
	s_delay_alu instid0(VALU_DEP_1)
	v_add_co_ci_u32_e64 v28, null, -1, s1, s0
	s_mov_b32 s1, -1
	s_and_b32 vcc_lo, exec_lo, s15
	flat_load_b64 v[29:30], v[27:28]
	ds_store_b64 v31, v[3:4]
	s_cbranch_vccz .LBB787_50
; %bb.46:
	s_waitcnt vmcnt(0) lgkmcnt(1)
	v_dual_mov_b32 v27, v29 :: v_dual_mov_b32 v28, v30
	s_waitcnt lgkmcnt(0)
	s_barrier
	buffer_gl0_inv
	s_and_saveexec_b32 s0, s3
	s_cbranch_execz .LBB787_48
; %bb.47:
	v_add_nc_u32_e32 v27, -8, v31
	ds_load_b64 v[27:28], v27
.LBB787_48:
	s_or_b32 exec_lo, exec_lo, s0
	v_cmp_ne_u64_e32 vcc_lo, v[1:2], v[3:4]
	s_waitcnt lgkmcnt(0)
	v_cmp_ne_u64_e64 s0, v[27:28], v[13:14]
	v_cndmask_b32_e64 v32, 0, 1, vcc_lo
	v_cmp_ne_u64_e32 vcc_lo, v[7:8], v[1:2]
	s_delay_alu instid0(VALU_DEP_2) | instskip(SKIP_2) | instid1(VALU_DEP_2)
	v_lshlrev_b16 v32, 8, v32
	v_cndmask_b32_e64 v33, 0, 1, vcc_lo
	v_cmp_ne_u64_e32 vcc_lo, v[5:6], v[7:8]
	v_or_b32_e32 v32, v33, v32
	v_cndmask_b32_e64 v34, 0, 1, vcc_lo
	v_cmp_ne_u64_e32 vcc_lo, v[9:10], v[11:12]
	s_delay_alu instid0(VALU_DEP_3) | instskip(NEXT) | instid1(VALU_DEP_3)
	v_lshlrev_b32_e32 v32, 16, v32
	v_lshlrev_b16 v34, 8, v34
	v_cndmask_b32_e64 v35, 0, 1, vcc_lo
	v_cmp_ne_u64_e32 vcc_lo, v[11:12], v[5:6]
	s_delay_alu instid0(VALU_DEP_2) | instskip(SKIP_2) | instid1(VALU_DEP_2)
	v_lshlrev_b16 v35, 8, v35
	v_cndmask_b32_e64 v36, 0, 1, vcc_lo
	v_cmp_ne_u64_e32 vcc_lo, v[15:16], v[9:10]
	v_or_b32_e32 v34, v36, v34
	v_cndmask_b32_e64 v37, 0, 1, vcc_lo
	v_cmp_ne_u64_e32 vcc_lo, v[13:14], v[15:16]
	s_delay_alu instid0(VALU_DEP_3) | instskip(NEXT) | instid1(VALU_DEP_3)
	v_and_b32_e32 v34, 0xffff, v34
	v_or_b32_e32 v35, v37, v35
	v_cndmask_b32_e64 v38, 0, 1, vcc_lo
	s_delay_alu instid0(VALU_DEP_3) | instskip(NEXT) | instid1(VALU_DEP_3)
	v_or_b32_e32 v28, v34, v32
	v_lshlrev_b32_e32 v33, 16, v35
	s_delay_alu instid0(VALU_DEP_3) | instskip(NEXT) | instid1(VALU_DEP_1)
	v_lshlrev_b16 v37, 8, v38
	v_and_b32_e32 v35, 0xffff, v37
	s_delay_alu instid0(VALU_DEP_1)
	v_or_b32_e32 v27, v35, v33
	s_branch .LBB787_54
.LBB787_49:
                                        ; implicit-def: $sgpr0
                                        ; implicit-def: $vgpr28
	s_branch .LBB787_55
.LBB787_50:
                                        ; implicit-def: $sgpr0
                                        ; implicit-def: $vgpr28
	s_and_b32 vcc_lo, exec_lo, s1
	s_cbranch_vccz .LBB787_54
; %bb.51:
	s_waitcnt vmcnt(0) lgkmcnt(0)
	s_barrier
	buffer_gl0_inv
	s_and_saveexec_b32 s0, s3
	s_cbranch_execz .LBB787_53
; %bb.52:
	v_add_nc_u32_e32 v27, -8, v31
	ds_load_b64 v[29:30], v27
.LBB787_53:
	s_or_b32 exec_lo, exec_lo, s0
	v_or_b32_e32 v27, 7, v31
	v_or_b32_e32 v28, 6, v31
	v_cmp_ne_u64_e32 vcc_lo, v[1:2], v[3:4]
	v_or_b32_e32 v32, 5, v31
	v_cmp_ne_u64_e64 s1, v[7:8], v[1:2]
	v_cmp_gt_u32_e64 s0, s21, v27
	v_cmp_gt_u32_e64 s4, s21, v28
	v_cmp_ne_u64_e64 s5, v[5:6], v[7:8]
	v_cmp_gt_u32_e64 s6, s21, v32
	v_or_b32_e32 v32, 3, v31
	s_and_b32 s0, s0, vcc_lo
	v_or_b32_e32 v33, 4, v31
	v_cndmask_b32_e64 v27, 0, 1, s0
	s_and_b32 s0, s4, s1
	v_cmp_ne_u64_e32 vcc_lo, v[9:10], v[11:12]
	v_cndmask_b32_e64 v28, 0, 1, s0
	s_and_b32 s0, s6, s5
	v_cmp_gt_u32_e64 s1, s21, v33
	v_cndmask_b32_e64 v34, 0, 1, s0
	v_cmp_gt_u32_e64 s0, s21, v32
	v_or_b32_e32 v32, 2, v31
	v_or_b32_e32 v33, 1, v31
	v_cmp_ne_u64_e64 s4, v[11:12], v[5:6]
	v_cmp_ne_u64_e64 s6, v[13:14], v[15:16]
	s_and_b32 s0, s0, vcc_lo
	v_cmp_ne_u64_e32 vcc_lo, v[15:16], v[9:10]
	v_cndmask_b32_e64 v35, 0, 1, s0
	v_cmp_gt_u32_e64 s0, s21, v32
	v_cmp_gt_u32_e64 s5, s21, v33
	s_and_b32 s1, s1, s4
	v_lshlrev_b16 v34, 8, v34
	v_cndmask_b32_e64 v32, 0, 1, s1
	s_and_b32 s0, s0, vcc_lo
	v_lshlrev_b16 v35, 8, v35
	v_cndmask_b32_e64 v33, 0, 1, s0
	s_and_b32 s0, s5, s6
	v_lshlrev_b16 v27, 8, v27
	v_cndmask_b32_e64 v36, 0, 1, s0
	v_or_b32_e32 v32, v32, v34
	v_or_b32_e32 v33, v33, v35
	s_waitcnt lgkmcnt(0)
	v_cmp_ne_u64_e32 vcc_lo, v[29:30], v[13:14]
	v_or_b32_e32 v27, v28, v27
	v_lshlrev_b16 v35, 8, v36
	v_and_b32_e32 v32, 0xffff, v32
	v_lshlrev_b32_e32 v28, 16, v33
	v_cmp_gt_u32_e64 s0, s21, v31
	v_lshlrev_b32_e32 v34, 16, v27
	v_and_b32_e32 v33, 0xffff, v35
	s_delay_alu instid0(VALU_DEP_3) | instskip(NEXT) | instid1(VALU_DEP_1)
	s_and_b32 s0, s0, vcc_lo
	v_or_b32_e32 v27, v33, v28
	s_delay_alu instid0(VALU_DEP_3)
	v_or_b32_e32 v28, v32, v34
.LBB787_54:
	s_mov_b32 s22, -1
	s_cbranch_execnz .LBB787_63
.LBB787_55:
	v_cmp_ne_u64_e64 s1, v[1:2], v[3:4]
	v_cmp_ne_u64_e64 s4, v[7:8], v[1:2]
	;; [unrolled: 1-line block ×7, first 2 shown]
	s_and_b32 vcc_lo, exec_lo, s15
	ds_store_b64 v31, v[3:4]
	s_cbranch_vccz .LBB787_59
; %bb.56:
	v_cndmask_b32_e64 v27, 0, 1, s1
	s_waitcnt vmcnt(0) lgkmcnt(2)
	v_cndmask_b32_e64 v29, 0, 1, s5
	v_cndmask_b32_e64 v32, 0, 1, s7
	;; [unrolled: 1-line block ×6, first 2 shown]
	v_lshlrev_b16 v29, 8, v29
	v_lshlrev_b16 v27, 8, v27
	;; [unrolled: 1-line block ×4, first 2 shown]
	s_waitcnt lgkmcnt(0)
	v_or_b32_e32 v29, v30, v29
	v_or_b32_e32 v27, v28, v27
	;; [unrolled: 1-line block ×4, first 2 shown]
	s_barrier
	v_and_b32_e32 v29, 0xffff, v29
	v_lshlrev_b32_e32 v27, 16, v27
	v_lshlrev_b32_e32 v32, 16, v28
	v_and_b32_e32 v30, 0xffff, v30
	buffer_gl0_inv
                                        ; implicit-def: $sgpr0
	v_or_b32_e32 v28, v29, v27
	v_or_b32_e32 v27, v30, v32
	s_and_saveexec_b32 s1, s3
	s_delay_alu instid0(SALU_CYCLE_1)
	s_xor_b32 s1, exec_lo, s1
	s_cbranch_execz .LBB787_58
; %bb.57:
	v_add_nc_u32_e32 v29, -8, v31
	s_or_b32 s22, s22, exec_lo
	ds_load_b64 v[29:30], v29
	s_waitcnt lgkmcnt(0)
	v_cmp_ne_u64_e32 vcc_lo, v[29:30], v[13:14]
	s_and_b32 s0, vcc_lo, exec_lo
.LBB787_58:
	s_or_b32 exec_lo, exec_lo, s1
	s_branch .LBB787_63
.LBB787_59:
                                        ; implicit-def: $sgpr0
                                        ; implicit-def: $vgpr28
	s_cbranch_execz .LBB787_63
; %bb.60:
	v_or_b32_e32 v27, 7, v31
	v_or_b32_e32 v28, 6, v31
	v_cmp_ne_u64_e32 vcc_lo, v[1:2], v[3:4]
	v_cmp_ne_u64_e64 s0, v[7:8], v[1:2]
	s_waitcnt vmcnt(0) lgkmcnt(2)
	v_or_b32_e32 v29, 4, v31
	v_cmp_gt_u32_e64 s1, s21, v27
	v_or_b32_e32 v27, 5, v31
	v_cmp_gt_u32_e64 s5, s21, v28
	v_cmp_ne_u64_e64 s4, v[5:6], v[7:8]
	v_cmp_ne_u64_e64 s6, v[11:12], v[5:6]
	s_and_b32 s1, s1, vcc_lo
	v_cmp_gt_u32_e32 vcc_lo, s21, v27
	v_cndmask_b32_e64 v28, 0, 1, s1
	v_cmp_gt_u32_e64 s1, s21, v29
	s_and_b32 s0, s5, s0
	v_or_b32_e32 v30, 3, v31
	v_cndmask_b32_e64 v27, 0, 1, s0
	s_and_b32 s0, vcc_lo, s4
	v_or_b32_e32 v33, 1, v31
	v_cndmask_b32_e64 v29, 0, 1, s0
	s_and_b32 s0, s1, s6
	v_cmp_ne_u64_e32 vcc_lo, v[9:10], v[11:12]
	v_cndmask_b32_e64 v32, 0, 1, s0
	v_cmp_gt_u32_e64 s0, s21, v30
	v_cmp_ne_u64_e64 s1, v[13:14], v[15:16]
	v_or_b32_e32 v34, 2, v31
	v_cmp_gt_u32_e64 s4, s21, v33
	v_cmp_ne_u64_e64 s5, v[15:16], v[9:10]
	s_and_b32 s0, s0, vcc_lo
	v_lshlrev_b16 v29, 8, v29
	v_cmp_gt_u32_e64 s6, s21, v34
	v_cndmask_b32_e64 v30, 0, 1, s0
	s_and_b32 s0, s4, s1
	v_lshlrev_b16 v28, 8, v28
	v_cndmask_b32_e64 v33, 0, 1, s0
	s_and_b32 s0, s6, s5
	v_lshlrev_b16 v30, 8, v30
	v_cndmask_b32_e64 v34, 0, 1, s0
	v_or_b32_e32 v29, v32, v29
	v_lshlrev_b16 v33, 8, v33
	v_or_b32_e32 v27, v27, v28
	s_waitcnt lgkmcnt(0)
	v_or_b32_e32 v28, v34, v30
	v_and_b32_e32 v29, 0xffff, v29
	v_or_b32_e32 v30, 1, v33
	v_lshlrev_b32_e32 v27, 16, v27
	s_barrier
	v_lshlrev_b32_e32 v32, 16, v28
	buffer_gl0_inv
	v_and_b32_e32 v30, 0xffff, v30
	v_or_b32_e32 v28, v29, v27
                                        ; implicit-def: $sgpr0
	s_delay_alu instid0(VALU_DEP_2)
	v_or_b32_e32 v27, v30, v32
	s_and_saveexec_b32 s1, s3
	s_cbranch_execz .LBB787_62
; %bb.61:
	v_add_nc_u32_e32 v29, -8, v31
	v_cmp_gt_u32_e64 s0, s21, v31
	s_or_b32 s22, s22, exec_lo
	ds_load_b64 v[29:30], v29
	s_waitcnt lgkmcnt(0)
	v_cmp_ne_u64_e32 vcc_lo, v[29:30], v[13:14]
	s_and_b32 s0, s0, vcc_lo
	s_delay_alu instid0(SALU_CYCLE_1)
	s_and_b32 s0, s0, exec_lo
.LBB787_62:
	s_or_b32 exec_lo, exec_lo, s1
.LBB787_63:
	s_and_saveexec_b32 s1, s22
	s_cbranch_execz .LBB787_65
; %bb.64:
	s_waitcnt vmcnt(0) lgkmcnt(1)
	v_and_b32_e32 v29, 0xffffff00, v27
	v_cndmask_b32_e64 v30, 0, 1, s0
	s_delay_alu instid0(VALU_DEP_1) | instskip(NEXT) | instid1(VALU_DEP_1)
	v_or_b32_e32 v29, v30, v29
	v_and_b32_e32 v29, 0xffff, v29
	s_delay_alu instid0(VALU_DEP_1)
	v_and_or_b32 v27, 0xffff0000, v27, v29
.LBB787_65:
	s_or_b32 exec_lo, exec_lo, s1
	s_delay_alu instid0(SALU_CYCLE_1)
	s_and_not1_b32 vcc_lo, exec_lo, s18
	s_cbranch_vccnz .LBB787_67
; %bb.66:
	v_cmp_gt_u32_e32 vcc_lo, s21, v31
	s_waitcnt vmcnt(0) lgkmcnt(1)
	v_or_b32_e32 v30, 1, v31
	v_or_b32_e32 v33, 2, v31
	v_dual_cndmask_b32 v29, 0, v27 :: v_dual_and_b32 v32, 0xffffff00, v28
	s_delay_alu instid0(VALU_DEP_3) | instskip(SKIP_1) | instid1(VALU_DEP_4)
	v_cmp_gt_u32_e32 vcc_lo, s21, v30
	v_or_b32_e32 v30, 4, v31
	v_cmp_gt_u32_e64 s0, s21, v33
	v_or_b32_e32 v33, 3, v31
	v_and_b32_e32 v29, 0xff, v29
	s_delay_alu instid0(VALU_DEP_2) | instskip(NEXT) | instid1(VALU_DEP_2)
	v_cmp_gt_u32_e64 s1, s21, v33
	v_cndmask_b32_e32 v29, v29, v27, vcc_lo
	v_cmp_gt_u32_e32 vcc_lo, s21, v30
	v_cndmask_b32_e32 v30, v32, v28, vcc_lo
	v_or_b32_e32 v32, 5, v31
	s_delay_alu instid0(VALU_DEP_2) | instskip(SKIP_1) | instid1(VALU_DEP_1)
	v_and_b32_e32 v30, 0xffff00ff, v30
	v_and_b32_e32 v29, 0xffff, v29
	v_cndmask_b32_e64 v29, v29, v27, s0
	s_delay_alu instid0(VALU_DEP_4) | instskip(SKIP_2) | instid1(VALU_DEP_4)
	v_cmp_gt_u32_e64 s0, s21, v32
	v_or_b32_e32 v32, 6, v31
	v_or_b32_e32 v31, 7, v31
	v_and_b32_e32 v29, 0xffffff, v29
	s_delay_alu instid0(VALU_DEP_4) | instskip(NEXT) | instid1(VALU_DEP_2)
	v_cndmask_b32_e64 v30, v30, v28, s0
	v_cndmask_b32_e64 v29, v29, v27, s1
	s_delay_alu instid0(VALU_DEP_1) | instskip(SKIP_1) | instid1(VALU_DEP_2)
	v_dual_cndmask_b32 v29, v29, v27 :: v_dual_and_b32 v30, 0xff00ffff, v30
	v_cmp_gt_u32_e32 vcc_lo, s21, v32
	v_cndmask_b32_e64 v29, v29, v27, s0
	s_delay_alu instid0(VALU_DEP_1) | instskip(NEXT) | instid1(VALU_DEP_1)
	v_dual_cndmask_b32 v30, v30, v28 :: v_dual_cndmask_b32 v29, v29, v27
	v_and_b32_e32 v30, 0xffffff, v30
	v_cmp_gt_u32_e32 vcc_lo, s21, v31
	s_delay_alu instid0(VALU_DEP_2)
	v_dual_cndmask_b32 v28, v30, v28 :: v_dual_cndmask_b32 v27, v29, v27
.LBB787_67:
	s_delay_alu instid0(VALU_DEP_1) | instskip(SKIP_1) | instid1(VALU_DEP_2)
	v_and_b32_e32 v38, 0xff, v27
	s_waitcnt vmcnt(0) lgkmcnt(1)
	v_alignbit_b32 v29, v28, v27, 24
	v_bfe_u32 v40, v27, 8, 8
	v_bfe_u32 v42, v27, 16, 8
	v_and_b32_e32 v46, 0xff, v28
	v_bfe_u32 v48, v28, 8, 8
	v_and_b32_e32 v44, 0xff, v29
	v_add_nc_u32_e32 v29, v40, v38
	v_mbcnt_lo_u32_b32 v51, -1, 0
	v_bfe_u32 v50, v28, 16, 8
	v_lshrrev_b32_e32 v49, 24, v28
	v_lshrrev_b32_e32 v52, 5, v0
	v_add3_u32 v29, v29, v42, v44
	v_and_b32_e32 v30, 15, v51
	v_and_b32_e32 v31, 16, v51
	s_and_b32 vcc_lo, exec_lo, s9
	s_mov_b32 s7, -1
	v_add3_u32 v29, v29, v46, v48
	v_cmp_eq_u32_e64 s3, 0, v30
	v_cmp_lt_u32_e64 s0, 1, v30
	v_cmp_lt_u32_e64 s4, 3, v30
	;; [unrolled: 1-line block ×3, first 2 shown]
	v_add3_u32 v53, v29, v50, v49
	v_or_b32_e32 v29, 31, v0
	v_cmp_eq_u32_e64 s6, 0, v31
	s_waitcnt lgkmcnt(0)
	s_barrier
	buffer_gl0_inv
	v_cmp_eq_u32_e64 s5, v29, v0
	s_cbranch_vccz .LBB787_93
; %bb.68:
	v_mov_b32_dpp v29, v53 row_shr:1 row_mask:0xf bank_mask:0xf
	s_delay_alu instid0(VALU_DEP_1) | instskip(NEXT) | instid1(VALU_DEP_1)
	v_cndmask_b32_e64 v29, v29, 0, s3
	v_add_nc_u32_e32 v29, v29, v53
	s_delay_alu instid0(VALU_DEP_1) | instskip(NEXT) | instid1(VALU_DEP_1)
	v_mov_b32_dpp v30, v29 row_shr:2 row_mask:0xf bank_mask:0xf
	v_cndmask_b32_e64 v30, 0, v30, s0
	s_delay_alu instid0(VALU_DEP_1) | instskip(NEXT) | instid1(VALU_DEP_1)
	v_add_nc_u32_e32 v29, v29, v30
	v_mov_b32_dpp v30, v29 row_shr:4 row_mask:0xf bank_mask:0xf
	s_delay_alu instid0(VALU_DEP_1) | instskip(NEXT) | instid1(VALU_DEP_1)
	v_cndmask_b32_e64 v30, 0, v30, s4
	v_add_nc_u32_e32 v29, v29, v30
	s_delay_alu instid0(VALU_DEP_1) | instskip(NEXT) | instid1(VALU_DEP_1)
	v_mov_b32_dpp v30, v29 row_shr:8 row_mask:0xf bank_mask:0xf
	v_cndmask_b32_e64 v30, 0, v30, s1
	s_delay_alu instid0(VALU_DEP_1) | instskip(SKIP_3) | instid1(VALU_DEP_1)
	v_add_nc_u32_e32 v29, v29, v30
	ds_swizzle_b32 v30, v29 offset:swizzle(BROADCAST,32,15)
	s_waitcnt lgkmcnt(0)
	v_cndmask_b32_e64 v30, v30, 0, s6
	v_add_nc_u32_e32 v29, v29, v30
	s_and_saveexec_b32 s7, s5
	s_cbranch_execz .LBB787_70
; %bb.69:
	v_lshlrev_b32_e32 v30, 2, v52
	ds_store_b32 v30, v29
.LBB787_70:
	s_or_b32 exec_lo, exec_lo, s7
	s_delay_alu instid0(SALU_CYCLE_1)
	s_mov_b32 s7, exec_lo
	s_waitcnt lgkmcnt(0)
	s_barrier
	buffer_gl0_inv
	v_cmpx_gt_u32_e32 16, v0
	s_cbranch_execz .LBB787_72
; %bb.71:
	v_lshlrev_b32_e32 v30, 2, v0
	ds_load_b32 v31, v30
	s_waitcnt lgkmcnt(0)
	v_mov_b32_dpp v32, v31 row_shr:1 row_mask:0xf bank_mask:0xf
	s_delay_alu instid0(VALU_DEP_1) | instskip(NEXT) | instid1(VALU_DEP_1)
	v_cndmask_b32_e64 v32, v32, 0, s3
	v_add_nc_u32_e32 v31, v32, v31
	s_delay_alu instid0(VALU_DEP_1) | instskip(NEXT) | instid1(VALU_DEP_1)
	v_mov_b32_dpp v32, v31 row_shr:2 row_mask:0xf bank_mask:0xf
	v_cndmask_b32_e64 v32, 0, v32, s0
	s_delay_alu instid0(VALU_DEP_1) | instskip(NEXT) | instid1(VALU_DEP_1)
	v_add_nc_u32_e32 v31, v31, v32
	v_mov_b32_dpp v32, v31 row_shr:4 row_mask:0xf bank_mask:0xf
	s_delay_alu instid0(VALU_DEP_1) | instskip(NEXT) | instid1(VALU_DEP_1)
	v_cndmask_b32_e64 v32, 0, v32, s4
	v_add_nc_u32_e32 v31, v31, v32
	s_delay_alu instid0(VALU_DEP_1) | instskip(NEXT) | instid1(VALU_DEP_1)
	v_mov_b32_dpp v32, v31 row_shr:8 row_mask:0xf bank_mask:0xf
	v_cndmask_b32_e64 v32, 0, v32, s1
	s_delay_alu instid0(VALU_DEP_1)
	v_add_nc_u32_e32 v31, v31, v32
	ds_store_b32 v30, v31
.LBB787_72:
	s_or_b32 exec_lo, exec_lo, s7
	v_cmp_gt_u32_e32 vcc_lo, 32, v0
	s_mov_b32 s8, exec_lo
	s_waitcnt lgkmcnt(0)
	s_barrier
	buffer_gl0_inv
                                        ; implicit-def: $vgpr37
	v_cmpx_lt_u32_e32 31, v0
	s_cbranch_execz .LBB787_74
; %bb.73:
	v_lshl_add_u32 v30, v52, 2, -4
	ds_load_b32 v37, v30
	s_waitcnt lgkmcnt(0)
	v_add_nc_u32_e32 v29, v37, v29
.LBB787_74:
	s_or_b32 exec_lo, exec_lo, s8
	v_add_nc_u32_e32 v30, -1, v51
	s_delay_alu instid0(VALU_DEP_1) | instskip(NEXT) | instid1(VALU_DEP_1)
	v_cmp_gt_i32_e64 s7, 0, v30
	v_cndmask_b32_e64 v30, v30, v51, s7
	v_cmp_eq_u32_e64 s7, 0, v51
	s_delay_alu instid0(VALU_DEP_2)
	v_lshlrev_b32_e32 v30, 2, v30
	ds_bpermute_b32 v39, v30, v29
	s_and_saveexec_b32 s8, vcc_lo
	s_cbranch_execz .LBB787_92
; %bb.75:
	v_mov_b32_e32 v33, 0
	ds_load_b32 v29, v33 offset:60
	s_and_saveexec_b32 s9, s7
	s_cbranch_execz .LBB787_77
; %bb.76:
	s_add_i32 s18, s20, 32
	s_mov_b32 s19, 0
	v_mov_b32_e32 v30, 1
	s_lshl_b64 s[18:19], s[18:19], 3
	s_delay_alu instid0(SALU_CYCLE_1)
	s_add_u32 s18, s16, s18
	s_addc_u32 s19, s17, s19
	s_waitcnt lgkmcnt(0)
	global_store_b64 v33, v[29:30], s[18:19]
.LBB787_77:
	s_or_b32 exec_lo, exec_lo, s9
	v_xad_u32 v31, v51, -1, s20
	s_mov_b32 s18, 0
	s_mov_b32 s9, exec_lo
	s_delay_alu instid0(VALU_DEP_1) | instskip(NEXT) | instid1(VALU_DEP_1)
	v_add_nc_u32_e32 v32, 32, v31
	v_lshlrev_b64 v[32:33], 3, v[32:33]
	s_delay_alu instid0(VALU_DEP_1) | instskip(NEXT) | instid1(VALU_DEP_2)
	v_add_co_u32 v35, vcc_lo, s16, v32
	v_add_co_ci_u32_e32 v36, vcc_lo, s17, v33, vcc_lo
	global_load_b64 v[33:34], v[35:36], off glc
	s_waitcnt vmcnt(0)
	v_and_b32_e32 v30, 0xff, v34
	s_delay_alu instid0(VALU_DEP_1)
	v_cmpx_eq_u16_e32 0, v30
	s_cbranch_execz .LBB787_80
.LBB787_78:                             ; =>This Inner Loop Header: Depth=1
	global_load_b64 v[33:34], v[35:36], off glc
	s_waitcnt vmcnt(0)
	v_and_b32_e32 v30, 0xff, v34
	s_delay_alu instid0(VALU_DEP_1) | instskip(SKIP_1) | instid1(SALU_CYCLE_1)
	v_cmp_ne_u16_e32 vcc_lo, 0, v30
	s_or_b32 s18, vcc_lo, s18
	s_and_not1_b32 exec_lo, exec_lo, s18
	s_cbranch_execnz .LBB787_78
; %bb.79:
	s_or_b32 exec_lo, exec_lo, s18
.LBB787_80:
	s_delay_alu instid0(SALU_CYCLE_1)
	s_or_b32 exec_lo, exec_lo, s9
	v_cmp_ne_u32_e32 vcc_lo, 31, v51
	v_lshlrev_b32_e64 v43, v51, -1
	v_add_nc_u32_e32 v47, 2, v51
	v_add_nc_u32_e32 v55, 4, v51
	;; [unrolled: 1-line block ×3, first 2 shown]
	v_add_co_ci_u32_e32 v30, vcc_lo, 0, v51, vcc_lo
	v_add_nc_u32_e32 v59, 16, v51
	s_delay_alu instid0(VALU_DEP_2)
	v_lshlrev_b32_e32 v41, 2, v30
	v_and_b32_e32 v30, 0xff, v34
	ds_bpermute_b32 v32, v41, v33
	v_cmp_eq_u16_e32 vcc_lo, 2, v30
	v_and_or_b32 v30, vcc_lo, v43, 0x80000000
	v_cmp_gt_u32_e32 vcc_lo, 30, v51
	s_delay_alu instid0(VALU_DEP_2) | instskip(SKIP_1) | instid1(VALU_DEP_2)
	v_ctz_i32_b32_e32 v30, v30
	v_cndmask_b32_e64 v35, 0, 1, vcc_lo
	v_cmp_lt_u32_e32 vcc_lo, v51, v30
	s_waitcnt lgkmcnt(0)
	s_delay_alu instid0(VALU_DEP_2) | instskip(NEXT) | instid1(VALU_DEP_1)
	v_dual_cndmask_b32 v32, 0, v32 :: v_dual_lshlrev_b32 v35, 1, v35
	v_add_lshl_u32 v45, v35, v51, 2
	v_cmp_gt_u32_e32 vcc_lo, 28, v51
	s_delay_alu instid0(VALU_DEP_3) | instskip(SKIP_4) | instid1(VALU_DEP_1)
	v_add_nc_u32_e32 v32, v32, v33
	v_cndmask_b32_e64 v35, 0, 1, vcc_lo
	v_cmp_le_u32_e32 vcc_lo, v47, v30
	ds_bpermute_b32 v33, v45, v32
	v_lshlrev_b32_e32 v35, 2, v35
	v_add_lshl_u32 v54, v35, v51, 2
	s_waitcnt lgkmcnt(0)
	v_cndmask_b32_e32 v33, 0, v33, vcc_lo
	v_cmp_gt_u32_e32 vcc_lo, 24, v51
	s_delay_alu instid0(VALU_DEP_2) | instskip(SKIP_4) | instid1(VALU_DEP_1)
	v_add_nc_u32_e32 v32, v32, v33
	v_cndmask_b32_e64 v35, 0, 1, vcc_lo
	v_cmp_le_u32_e32 vcc_lo, v55, v30
	ds_bpermute_b32 v33, v54, v32
	v_lshlrev_b32_e32 v35, 3, v35
	v_add_lshl_u32 v56, v35, v51, 2
	s_waitcnt lgkmcnt(0)
	v_cndmask_b32_e32 v33, 0, v33, vcc_lo
	v_cmp_gt_u32_e32 vcc_lo, 16, v51
	s_delay_alu instid0(VALU_DEP_2) | instskip(SKIP_4) | instid1(VALU_DEP_1)
	v_add_nc_u32_e32 v32, v32, v33
	v_cndmask_b32_e64 v35, 0, 1, vcc_lo
	v_cmp_le_u32_e32 vcc_lo, v57, v30
	ds_bpermute_b32 v33, v56, v32
	v_lshlrev_b32_e32 v35, 4, v35
	v_add_lshl_u32 v58, v35, v51, 2
	s_waitcnt lgkmcnt(0)
	v_cndmask_b32_e32 v33, 0, v33, vcc_lo
	v_cmp_le_u32_e32 vcc_lo, v59, v30
	s_delay_alu instid0(VALU_DEP_2) | instskip(SKIP_3) | instid1(VALU_DEP_1)
	v_add_nc_u32_e32 v32, v32, v33
	ds_bpermute_b32 v33, v58, v32
	s_waitcnt lgkmcnt(0)
	v_cndmask_b32_e32 v30, 0, v33, vcc_lo
	v_dual_mov_b32 v32, 0 :: v_dual_add_nc_u32 v33, v32, v30
	s_branch .LBB787_82
.LBB787_81:                             ;   in Loop: Header=BB787_82 Depth=1
	s_or_b32 exec_lo, exec_lo, s9
	ds_bpermute_b32 v36, v41, v33
	v_and_b32_e32 v35, 0xff, v34
	v_subrev_nc_u32_e32 v31, 32, v31
	s_delay_alu instid0(VALU_DEP_2) | instskip(SKIP_1) | instid1(VALU_DEP_1)
	v_cmp_eq_u16_e32 vcc_lo, 2, v35
	v_and_or_b32 v35, vcc_lo, v43, 0x80000000
	v_ctz_i32_b32_e32 v35, v35
	s_delay_alu instid0(VALU_DEP_1) | instskip(SKIP_3) | instid1(VALU_DEP_2)
	v_cmp_lt_u32_e32 vcc_lo, v51, v35
	s_waitcnt lgkmcnt(0)
	v_cndmask_b32_e32 v36, 0, v36, vcc_lo
	v_cmp_le_u32_e32 vcc_lo, v47, v35
	v_add_nc_u32_e32 v33, v36, v33
	ds_bpermute_b32 v36, v45, v33
	s_waitcnt lgkmcnt(0)
	v_cndmask_b32_e32 v36, 0, v36, vcc_lo
	v_cmp_le_u32_e32 vcc_lo, v55, v35
	s_delay_alu instid0(VALU_DEP_2) | instskip(SKIP_4) | instid1(VALU_DEP_2)
	v_add_nc_u32_e32 v33, v33, v36
	ds_bpermute_b32 v36, v54, v33
	s_waitcnt lgkmcnt(0)
	v_cndmask_b32_e32 v36, 0, v36, vcc_lo
	v_cmp_le_u32_e32 vcc_lo, v57, v35
	v_add_nc_u32_e32 v33, v33, v36
	ds_bpermute_b32 v36, v56, v33
	s_waitcnt lgkmcnt(0)
	v_cndmask_b32_e32 v36, 0, v36, vcc_lo
	v_cmp_le_u32_e32 vcc_lo, v59, v35
	s_delay_alu instid0(VALU_DEP_2) | instskip(SKIP_3) | instid1(VALU_DEP_1)
	v_add_nc_u32_e32 v33, v33, v36
	ds_bpermute_b32 v36, v58, v33
	s_waitcnt lgkmcnt(0)
	v_cndmask_b32_e32 v35, 0, v36, vcc_lo
	v_add3_u32 v33, v35, v30, v33
.LBB787_82:                             ; =>This Loop Header: Depth=1
                                        ;     Child Loop BB787_85 Depth 2
	v_and_b32_e32 v30, 0xff, v34
	s_delay_alu instid0(VALU_DEP_1) | instskip(SKIP_2) | instid1(VALU_DEP_1)
	v_cmp_ne_u16_e32 vcc_lo, 2, v30
	v_cndmask_b32_e64 v30, 0, 1, vcc_lo
	;;#ASMSTART
	;;#ASMEND
	v_cmp_ne_u32_e32 vcc_lo, 0, v30
	v_mov_b32_e32 v30, v33
	s_cmp_lg_u32 vcc_lo, exec_lo
	s_cbranch_scc1 .LBB787_87
; %bb.83:                               ;   in Loop: Header=BB787_82 Depth=1
	v_lshlrev_b64 v[33:34], 3, v[31:32]
	s_mov_b32 s9, exec_lo
	s_delay_alu instid0(VALU_DEP_1) | instskip(NEXT) | instid1(VALU_DEP_2)
	v_add_co_u32 v35, vcc_lo, s16, v33
	v_add_co_ci_u32_e32 v36, vcc_lo, s17, v34, vcc_lo
	global_load_b64 v[33:34], v[35:36], off glc
	s_waitcnt vmcnt(0)
	v_and_b32_e32 v60, 0xff, v34
	s_delay_alu instid0(VALU_DEP_1)
	v_cmpx_eq_u16_e32 0, v60
	s_cbranch_execz .LBB787_81
; %bb.84:                               ;   in Loop: Header=BB787_82 Depth=1
	s_mov_b32 s18, 0
.LBB787_85:                             ;   Parent Loop BB787_82 Depth=1
                                        ; =>  This Inner Loop Header: Depth=2
	global_load_b64 v[33:34], v[35:36], off glc
	s_waitcnt vmcnt(0)
	v_and_b32_e32 v60, 0xff, v34
	s_delay_alu instid0(VALU_DEP_1) | instskip(SKIP_1) | instid1(SALU_CYCLE_1)
	v_cmp_ne_u16_e32 vcc_lo, 0, v60
	s_or_b32 s18, vcc_lo, s18
	s_and_not1_b32 exec_lo, exec_lo, s18
	s_cbranch_execnz .LBB787_85
; %bb.86:                               ;   in Loop: Header=BB787_82 Depth=1
	s_or_b32 exec_lo, exec_lo, s18
	s_branch .LBB787_81
.LBB787_87:                             ;   in Loop: Header=BB787_82 Depth=1
                                        ; implicit-def: $vgpr33
                                        ; implicit-def: $vgpr34
	s_cbranch_execz .LBB787_82
; %bb.88:
	s_and_saveexec_b32 s9, s7
	s_cbranch_execz .LBB787_90
; %bb.89:
	s_add_i32 s18, s20, 32
	s_mov_b32 s19, 0
	v_dual_mov_b32 v32, 2 :: v_dual_add_nc_u32 v31, v30, v29
	s_lshl_b64 s[18:19], s[18:19], 3
	v_mov_b32_e32 v33, 0
	s_add_u32 s18, s16, s18
	s_addc_u32 s19, s17, s19
	global_store_b64 v33, v[31:32], s[18:19]
	ds_store_b64 v33, v[29:30] offset:33792
.LBB787_90:
	s_or_b32 exec_lo, exec_lo, s9
	s_delay_alu instid0(SALU_CYCLE_1)
	s_and_b32 exec_lo, exec_lo, s2
	s_cbranch_execz .LBB787_92
; %bb.91:
	v_mov_b32_e32 v29, 0
	ds_store_b32 v29, v30 offset:60
.LBB787_92:
	s_or_b32 exec_lo, exec_lo, s8
	v_mov_b32_e32 v29, 0
	s_waitcnt lgkmcnt(0)
	s_waitcnt_vscnt null, 0x0
	s_barrier
	buffer_gl0_inv
	v_cndmask_b32_e64 v31, v39, v37, s7
	ds_load_b32 v30, v29 offset:60
	s_waitcnt lgkmcnt(0)
	s_barrier
	buffer_gl0_inv
	v_cndmask_b32_e64 v31, v31, 0, s2
	s_delay_alu instid0(VALU_DEP_1) | instskip(SKIP_2) | instid1(VALU_DEP_1)
	v_add_nc_u32_e32 v47, v30, v31
	ds_load_b64 v[29:30], v29 offset:33792
	v_add_nc_u32_e32 v45, v47, v38
	v_add_nc_u32_e32 v43, v45, v40
	s_delay_alu instid0(VALU_DEP_1) | instskip(NEXT) | instid1(VALU_DEP_1)
	v_add_nc_u32_e32 v41, v43, v42
	v_add_nc_u32_e32 v39, v41, v44
	s_delay_alu instid0(VALU_DEP_1) | instskip(NEXT) | instid1(VALU_DEP_1)
	v_add_nc_u32_e32 v37, v39, v46
	v_add_nc_u32_e32 v35, v37, v48
	s_delay_alu instid0(VALU_DEP_1)
	v_add_nc_u32_e32 v33, v35, v50
	v_lshrrev_b64 v[31:32], 24, v[27:28]
	s_branch .LBB787_103
.LBB787_93:
                                        ; implicit-def: $vgpr33
                                        ; implicit-def: $vgpr35
                                        ; implicit-def: $vgpr37
                                        ; implicit-def: $vgpr39
                                        ; implicit-def: $vgpr41
                                        ; implicit-def: $vgpr43
                                        ; implicit-def: $vgpr45
                                        ; implicit-def: $vgpr47
                                        ; implicit-def: $vgpr30
	v_lshrrev_b64 v[31:32], 24, v[27:28]
	s_and_b32 vcc_lo, exec_lo, s7
	s_cbranch_vccz .LBB787_103
; %bb.94:
	s_waitcnt lgkmcnt(0)
	v_mov_b32_dpp v29, v53 row_shr:1 row_mask:0xf bank_mask:0xf
	s_delay_alu instid0(VALU_DEP_1) | instskip(NEXT) | instid1(VALU_DEP_1)
	v_cndmask_b32_e64 v29, v29, 0, s3
	v_add_nc_u32_e32 v29, v29, v53
	s_delay_alu instid0(VALU_DEP_1) | instskip(NEXT) | instid1(VALU_DEP_1)
	v_mov_b32_dpp v30, v29 row_shr:2 row_mask:0xf bank_mask:0xf
	v_cndmask_b32_e64 v30, 0, v30, s0
	s_delay_alu instid0(VALU_DEP_1) | instskip(NEXT) | instid1(VALU_DEP_1)
	v_add_nc_u32_e32 v29, v29, v30
	v_mov_b32_dpp v30, v29 row_shr:4 row_mask:0xf bank_mask:0xf
	s_delay_alu instid0(VALU_DEP_1) | instskip(NEXT) | instid1(VALU_DEP_1)
	v_cndmask_b32_e64 v30, 0, v30, s4
	v_add_nc_u32_e32 v29, v29, v30
	s_delay_alu instid0(VALU_DEP_1) | instskip(NEXT) | instid1(VALU_DEP_1)
	v_mov_b32_dpp v30, v29 row_shr:8 row_mask:0xf bank_mask:0xf
	v_cndmask_b32_e64 v30, 0, v30, s1
	s_delay_alu instid0(VALU_DEP_1) | instskip(SKIP_3) | instid1(VALU_DEP_1)
	v_add_nc_u32_e32 v29, v29, v30
	ds_swizzle_b32 v30, v29 offset:swizzle(BROADCAST,32,15)
	s_waitcnt lgkmcnt(0)
	v_cndmask_b32_e64 v30, v30, 0, s6
	v_add_nc_u32_e32 v29, v29, v30
	s_and_saveexec_b32 s6, s5
	s_cbranch_execz .LBB787_96
; %bb.95:
	v_lshlrev_b32_e32 v30, 2, v52
	ds_store_b32 v30, v29
.LBB787_96:
	s_or_b32 exec_lo, exec_lo, s6
	s_delay_alu instid0(SALU_CYCLE_1)
	s_mov_b32 s5, exec_lo
	s_waitcnt lgkmcnt(0)
	s_barrier
	buffer_gl0_inv
	v_cmpx_gt_u32_e32 16, v0
	s_cbranch_execz .LBB787_98
; %bb.97:
	v_lshlrev_b32_e32 v30, 2, v0
	ds_load_b32 v32, v30
	s_waitcnt lgkmcnt(0)
	v_mov_b32_dpp v33, v32 row_shr:1 row_mask:0xf bank_mask:0xf
	s_delay_alu instid0(VALU_DEP_1) | instskip(NEXT) | instid1(VALU_DEP_1)
	v_cndmask_b32_e64 v33, v33, 0, s3
	v_add_nc_u32_e32 v32, v33, v32
	s_delay_alu instid0(VALU_DEP_1) | instskip(NEXT) | instid1(VALU_DEP_1)
	v_mov_b32_dpp v33, v32 row_shr:2 row_mask:0xf bank_mask:0xf
	v_cndmask_b32_e64 v33, 0, v33, s0
	s_delay_alu instid0(VALU_DEP_1) | instskip(NEXT) | instid1(VALU_DEP_1)
	v_add_nc_u32_e32 v32, v32, v33
	v_mov_b32_dpp v33, v32 row_shr:4 row_mask:0xf bank_mask:0xf
	s_delay_alu instid0(VALU_DEP_1) | instskip(NEXT) | instid1(VALU_DEP_1)
	v_cndmask_b32_e64 v33, 0, v33, s4
	v_add_nc_u32_e32 v32, v32, v33
	s_delay_alu instid0(VALU_DEP_1) | instskip(NEXT) | instid1(VALU_DEP_1)
	v_mov_b32_dpp v33, v32 row_shr:8 row_mask:0xf bank_mask:0xf
	v_cndmask_b32_e64 v33, 0, v33, s1
	s_delay_alu instid0(VALU_DEP_1)
	v_add_nc_u32_e32 v32, v32, v33
	ds_store_b32 v30, v32
.LBB787_98:
	s_or_b32 exec_lo, exec_lo, s5
	v_mov_b32_e32 v30, 0
	v_mov_b32_e32 v32, 0
	s_mov_b32 s0, exec_lo
	s_waitcnt lgkmcnt(0)
	s_barrier
	buffer_gl0_inv
	v_cmpx_lt_u32_e32 31, v0
	s_cbranch_execz .LBB787_100
; %bb.99:
	v_lshl_add_u32 v32, v52, 2, -4
	ds_load_b32 v32, v32
.LBB787_100:
	s_or_b32 exec_lo, exec_lo, s0
	v_add_nc_u32_e32 v33, -1, v51
	s_waitcnt lgkmcnt(0)
	v_add_nc_u32_e32 v29, v32, v29
	s_delay_alu instid0(VALU_DEP_2) | instskip(SKIP_1) | instid1(VALU_DEP_1)
	v_cmp_gt_i32_e32 vcc_lo, 0, v33
	v_cndmask_b32_e32 v33, v33, v51, vcc_lo
	v_lshlrev_b32_e32 v33, 2, v33
	ds_bpermute_b32 v33, v33, v29
	ds_load_b32 v29, v30 offset:60
	s_and_saveexec_b32 s0, s2
	s_cbranch_execz .LBB787_102
; %bb.101:
	v_mov_b32_e32 v34, 0
	v_mov_b32_e32 v30, 2
	s_waitcnt lgkmcnt(0)
	global_store_b64 v34, v[29:30], s[16:17] offset:256
.LBB787_102:
	s_or_b32 exec_lo, exec_lo, s0
	v_cmp_eq_u32_e32 vcc_lo, 0, v51
	s_waitcnt lgkmcnt(0)
	s_waitcnt_vscnt null, 0x0
	s_barrier
	buffer_gl0_inv
	v_cndmask_b32_e32 v30, v33, v32, vcc_lo
	s_delay_alu instid0(VALU_DEP_1) | instskip(NEXT) | instid1(VALU_DEP_1)
	v_cndmask_b32_e64 v47, v30, 0, s2
	v_dual_mov_b32 v30, 0 :: v_dual_add_nc_u32 v45, v47, v38
	s_delay_alu instid0(VALU_DEP_1) | instskip(NEXT) | instid1(VALU_DEP_1)
	v_add_nc_u32_e32 v43, v45, v40
	v_add_nc_u32_e32 v41, v43, v42
	s_delay_alu instid0(VALU_DEP_1) | instskip(NEXT) | instid1(VALU_DEP_1)
	v_add_nc_u32_e32 v39, v41, v44
	v_add_nc_u32_e32 v37, v39, v46
	;; [unrolled: 3-line block ×3, first 2 shown]
.LBB787_103:
	v_lshrrev_b32_e32 v52, 8, v27
	v_lshrrev_b32_e32 v51, 16, v27
	v_and_b32_e32 v27, 1, v27
	s_waitcnt lgkmcnt(0)
	v_cmp_gt_u32_e64 s0, 0x201, v29
	v_lshrrev_b32_e32 v50, 8, v28
	v_lshrrev_b32_e32 v32, 16, v28
	v_cmp_eq_u32_e64 s1, 1, v27
	s_delay_alu instid0(VALU_DEP_4)
	s_and_b32 vcc_lo, exec_lo, s0
	s_cbranch_vccnz .LBB787_121
; %bb.104:
	s_delay_alu instid0(VALU_DEP_1)
	s_and_saveexec_b32 s3, s1
	s_cbranch_execz .LBB787_106
; %bb.105:
	v_sub_nc_u32_e32 v34, v47, v30
	s_delay_alu instid0(VALU_DEP_1)
	v_lshlrev_b32_e32 v34, 3, v34
	ds_store_b64 v34, v[13:14]
.LBB787_106:
	s_or_b32 exec_lo, exec_lo, s3
	v_and_b32_e32 v13, 1, v52
	s_mov_b32 s1, exec_lo
	s_delay_alu instid0(VALU_DEP_1)
	v_cmpx_eq_u32_e32 1, v13
	s_cbranch_execz .LBB787_108
; %bb.107:
	v_sub_nc_u32_e32 v13, v45, v30
	s_delay_alu instid0(VALU_DEP_1)
	v_lshlrev_b32_e32 v13, 3, v13
	ds_store_b64 v13, v[15:16]
.LBB787_108:
	s_or_b32 exec_lo, exec_lo, s1
	v_and_b32_e32 v13, 1, v51
	s_mov_b32 s1, exec_lo
	s_delay_alu instid0(VALU_DEP_1)
	v_cmpx_eq_u32_e32 1, v13
	;; [unrolled: 12-line block ×7, first 2 shown]
	s_cbranch_execz .LBB787_120
; %bb.119:
	v_sub_nc_u32_e32 v1, v33, v30
	s_delay_alu instid0(VALU_DEP_1)
	v_lshlrev_b32_e32 v1, 3, v1
	ds_store_b64 v1, v[3:4]
.LBB787_120:
	s_or_b32 exec_lo, exec_lo, s1
	s_waitcnt lgkmcnt(0)
	s_barrier
	buffer_gl0_inv
.LBB787_121:
	s_and_b32 vcc_lo, exec_lo, s0
	s_mov_b32 s0, -1
	s_barrier
	buffer_gl0_inv
	s_cbranch_vccz .LBB787_149
; %bb.122:
	v_lshlrev_b64 v[1:2], 2, v[17:18]
	v_add_nc_u32_e32 v3, v30, v29
	s_delay_alu instid0(VALU_DEP_1) | instskip(NEXT) | instid1(VALU_DEP_3)
	v_cmp_lt_u32_e32 vcc_lo, v47, v3
	v_add_co_u32 v1, s0, s10, v1
	s_delay_alu instid0(VALU_DEP_1) | instskip(SKIP_1) | instid1(SALU_CYCLE_1)
	v_add_co_ci_u32_e64 v2, s0, s11, v2, s0
	s_or_b32 s1, s15, vcc_lo
	s_and_saveexec_b32 s0, s1
	s_cbranch_execz .LBB787_125
; %bb.123:
	v_cmp_eq_u32_e32 vcc_lo, 1, v27
	s_and_b32 exec_lo, exec_lo, vcc_lo
	s_cbranch_execz .LBB787_125
; %bb.124:
	v_mov_b32_e32 v48, 0
	s_delay_alu instid0(VALU_DEP_1) | instskip(NEXT) | instid1(VALU_DEP_1)
	v_lshlrev_b64 v[4:5], 2, v[47:48]
	v_add_co_u32 v4, vcc_lo, v1, v4
	s_delay_alu instid0(VALU_DEP_2)
	v_add_co_ci_u32_e32 v5, vcc_lo, v2, v5, vcc_lo
	global_store_b32 v[4:5], v25, off
.LBB787_125:
	s_or_b32 exec_lo, exec_lo, s0
	v_cmp_lt_u32_e32 vcc_lo, v45, v3
	s_or_b32 s1, s15, vcc_lo
	s_delay_alu instid0(SALU_CYCLE_1)
	s_and_saveexec_b32 s0, s1
	s_cbranch_execz .LBB787_128
; %bb.126:
	v_and_b32_e32 v4, 1, v52
	s_delay_alu instid0(VALU_DEP_1)
	v_cmp_eq_u32_e32 vcc_lo, 1, v4
	s_and_b32 exec_lo, exec_lo, vcc_lo
	s_cbranch_execz .LBB787_128
; %bb.127:
	v_mov_b32_e32 v46, 0
	s_delay_alu instid0(VALU_DEP_1) | instskip(NEXT) | instid1(VALU_DEP_1)
	v_lshlrev_b64 v[4:5], 2, v[45:46]
	v_add_co_u32 v4, vcc_lo, v1, v4
	s_delay_alu instid0(VALU_DEP_2)
	v_add_co_ci_u32_e32 v5, vcc_lo, v2, v5, vcc_lo
	global_store_b32 v[4:5], v26, off
.LBB787_128:
	s_or_b32 exec_lo, exec_lo, s0
	v_cmp_lt_u32_e32 vcc_lo, v43, v3
	s_or_b32 s1, s15, vcc_lo
	s_delay_alu instid0(SALU_CYCLE_1)
	s_and_saveexec_b32 s0, s1
	s_cbranch_execz .LBB787_131
; %bb.129:
	v_and_b32_e32 v4, 1, v51
	s_delay_alu instid0(VALU_DEP_1)
	v_cmp_eq_u32_e32 vcc_lo, 1, v4
	s_and_b32 exec_lo, exec_lo, vcc_lo
	s_cbranch_execz .LBB787_131
; %bb.130:
	v_mov_b32_e32 v44, 0
	s_delay_alu instid0(VALU_DEP_1) | instskip(NEXT) | instid1(VALU_DEP_1)
	v_lshlrev_b64 v[4:5], 2, v[43:44]
	v_add_co_u32 v4, vcc_lo, v1, v4
	s_delay_alu instid0(VALU_DEP_2)
	v_add_co_ci_u32_e32 v5, vcc_lo, v2, v5, vcc_lo
	global_store_b32 v[4:5], v23, off
.LBB787_131:
	;; [unrolled: 21-line block ×7, first 2 shown]
	s_or_b32 exec_lo, exec_lo, s0
.LBB787_147:
	s_and_b32 s0, s2, s14
	s_delay_alu instid0(SALU_CYCLE_1)
	s_and_saveexec_b32 s1, s0
	s_cbranch_execz .LBB787_170
.LBB787_148:
	v_add_co_u32 v0, vcc_lo, v17, v29
	v_add_co_ci_u32_e32 v1, vcc_lo, 0, v18, vcc_lo
	v_mov_b32_e32 v2, 0
	s_delay_alu instid0(VALU_DEP_3) | instskip(NEXT) | instid1(VALU_DEP_3)
	v_add_co_u32 v0, vcc_lo, v0, v30
	v_add_co_ci_u32_e32 v1, vcc_lo, 0, v1, vcc_lo
	global_store_b64 v2, v[0:1], s[12:13]
	s_nop 0
	s_sendmsg sendmsg(MSG_DEALLOC_VGPRS)
	s_endpgm
.LBB787_149:
	s_and_b32 vcc_lo, exec_lo, s0
	s_cbranch_vccz .LBB787_147
; %bb.150:
	s_mov_b32 s0, exec_lo
	v_cmpx_eq_u32_e32 1, v27
	s_cbranch_execz .LBB787_152
; %bb.151:
	v_sub_nc_u32_e32 v1, v47, v30
	s_delay_alu instid0(VALU_DEP_1)
	v_lshlrev_b32_e32 v1, 2, v1
	ds_store_b32 v1, v25
.LBB787_152:
	s_or_b32 exec_lo, exec_lo, s0
	v_and_b32_e32 v1, 1, v52
	s_mov_b32 s0, exec_lo
	s_delay_alu instid0(VALU_DEP_1)
	v_cmpx_eq_u32_e32 1, v1
	s_cbranch_execz .LBB787_154
; %bb.153:
	v_sub_nc_u32_e32 v1, v45, v30
	s_delay_alu instid0(VALU_DEP_1)
	v_lshlrev_b32_e32 v1, 2, v1
	ds_store_b32 v1, v26
.LBB787_154:
	s_or_b32 exec_lo, exec_lo, s0
	v_and_b32_e32 v1, 1, v51
	s_mov_b32 s0, exec_lo
	s_delay_alu instid0(VALU_DEP_1)
	;; [unrolled: 12-line block ×7, first 2 shown]
	v_cmpx_eq_u32_e32 1, v1
	s_cbranch_execz .LBB787_166
; %bb.165:
	v_sub_nc_u32_e32 v1, v33, v30
	s_delay_alu instid0(VALU_DEP_1)
	v_lshlrev_b32_e32 v1, 2, v1
	ds_store_b32 v1, v20
.LBB787_166:
	s_or_b32 exec_lo, exec_lo, s0
	s_delay_alu instid0(SALU_CYCLE_1)
	s_mov_b32 s1, exec_lo
	s_waitcnt lgkmcnt(0)
	s_waitcnt_vscnt null, 0x0
	s_barrier
	buffer_gl0_inv
	v_cmpx_lt_u32_e64 v0, v29
	s_cbranch_execz .LBB787_169
; %bb.167:
	v_dual_mov_b32 v2, 0 :: v_dual_mov_b32 v1, v30
	v_lshlrev_b64 v[3:4], 2, v[17:18]
	s_mov_b32 s3, 0
	s_delay_alu instid0(VALU_DEP_2) | instskip(NEXT) | instid1(VALU_DEP_1)
	v_lshlrev_b64 v[1:2], 2, v[1:2]
	v_add_co_u32 v1, vcc_lo, v3, v1
	s_delay_alu instid0(VALU_DEP_2) | instskip(SKIP_1) | instid1(VALU_DEP_3)
	v_add_co_ci_u32_e32 v2, vcc_lo, v4, v2, vcc_lo
	v_lshlrev_b32_e32 v3, 2, v0
	v_add_co_u32 v1, vcc_lo, s10, v1
	s_delay_alu instid0(VALU_DEP_3) | instskip(NEXT) | instid1(VALU_DEP_2)
	v_add_co_ci_u32_e32 v2, vcc_lo, s11, v2, vcc_lo
	v_add_co_u32 v1, vcc_lo, v1, v3
	s_delay_alu instid0(VALU_DEP_2)
	v_add_co_ci_u32_e32 v2, vcc_lo, 0, v2, vcc_lo
	.p2align	6
.LBB787_168:                            ; =>This Inner Loop Header: Depth=1
	ds_load_b32 v4, v3
	v_add_nc_u32_e32 v0, 0x200, v0
	v_add_nc_u32_e32 v3, 0x800, v3
	s_delay_alu instid0(VALU_DEP_2) | instskip(SKIP_4) | instid1(VALU_DEP_1)
	v_cmp_ge_u32_e32 vcc_lo, v0, v29
	s_or_b32 s3, vcc_lo, s3
	s_waitcnt lgkmcnt(0)
	global_store_b32 v[1:2], v4, off
	v_add_co_u32 v1, s0, 0x800, v1
	v_add_co_ci_u32_e64 v2, s0, 0, v2, s0
	s_and_not1_b32 exec_lo, exec_lo, s3
	s_cbranch_execnz .LBB787_168
.LBB787_169:
	s_or_b32 exec_lo, exec_lo, s1
	s_and_b32 s0, s2, s14
	s_delay_alu instid0(SALU_CYCLE_1)
	s_and_saveexec_b32 s1, s0
	s_cbranch_execnz .LBB787_148
.LBB787_170:
	s_nop 0
	s_sendmsg sendmsg(MSG_DEALLOC_VGPRS)
	s_endpgm
	.section	.rodata,"a",@progbits
	.p2align	6, 0x0
	.amdhsa_kernel _ZN7rocprim17ROCPRIM_400000_NS6detail17trampoline_kernelINS0_14default_configENS1_25partition_config_selectorILNS1_17partition_subalgoE9EyjbEEZZNS1_14partition_implILS5_9ELb0ES3_jN6thrust23THRUST_200600_302600_NS6detail15normal_iteratorINS9_10device_ptrIyEEEENSB_INSC_IjEEEEPNS0_10empty_typeENS0_5tupleIJNS9_16discard_iteratorINS9_11use_defaultEEESH_EEENSJ_IJSG_SI_EEENS0_18inequality_wrapperINS9_8equal_toIyEEEEPmJSH_EEE10hipError_tPvRmT3_T4_T5_T6_T7_T9_mT8_P12ihipStream_tbDpT10_ENKUlT_T0_E_clISt17integral_constantIbLb0EES1C_IbLb1EEEEDaS18_S19_EUlS18_E_NS1_11comp_targetILNS1_3genE9ELNS1_11target_archE1100ELNS1_3gpuE3ELNS1_3repE0EEENS1_30default_config_static_selectorELNS0_4arch9wavefront6targetE0EEEvT1_
		.amdhsa_group_segment_fixed_size 33800
		.amdhsa_private_segment_fixed_size 0
		.amdhsa_kernarg_size 136
		.amdhsa_user_sgpr_count 15
		.amdhsa_user_sgpr_dispatch_ptr 0
		.amdhsa_user_sgpr_queue_ptr 0
		.amdhsa_user_sgpr_kernarg_segment_ptr 1
		.amdhsa_user_sgpr_dispatch_id 0
		.amdhsa_user_sgpr_private_segment_size 0
		.amdhsa_wavefront_size32 1
		.amdhsa_uses_dynamic_stack 0
		.amdhsa_enable_private_segment 0
		.amdhsa_system_sgpr_workgroup_id_x 1
		.amdhsa_system_sgpr_workgroup_id_y 0
		.amdhsa_system_sgpr_workgroup_id_z 0
		.amdhsa_system_sgpr_workgroup_info 0
		.amdhsa_system_vgpr_workitem_id 0
		.amdhsa_next_free_vgpr 61
		.amdhsa_next_free_sgpr 26
		.amdhsa_reserve_vcc 1
		.amdhsa_float_round_mode_32 0
		.amdhsa_float_round_mode_16_64 0
		.amdhsa_float_denorm_mode_32 3
		.amdhsa_float_denorm_mode_16_64 3
		.amdhsa_dx10_clamp 1
		.amdhsa_ieee_mode 1
		.amdhsa_fp16_overflow 0
		.amdhsa_workgroup_processor_mode 1
		.amdhsa_memory_ordered 1
		.amdhsa_forward_progress 0
		.amdhsa_shared_vgpr_count 0
		.amdhsa_exception_fp_ieee_invalid_op 0
		.amdhsa_exception_fp_denorm_src 0
		.amdhsa_exception_fp_ieee_div_zero 0
		.amdhsa_exception_fp_ieee_overflow 0
		.amdhsa_exception_fp_ieee_underflow 0
		.amdhsa_exception_fp_ieee_inexact 0
		.amdhsa_exception_int_div_zero 0
	.end_amdhsa_kernel
	.section	.text._ZN7rocprim17ROCPRIM_400000_NS6detail17trampoline_kernelINS0_14default_configENS1_25partition_config_selectorILNS1_17partition_subalgoE9EyjbEEZZNS1_14partition_implILS5_9ELb0ES3_jN6thrust23THRUST_200600_302600_NS6detail15normal_iteratorINS9_10device_ptrIyEEEENSB_INSC_IjEEEEPNS0_10empty_typeENS0_5tupleIJNS9_16discard_iteratorINS9_11use_defaultEEESH_EEENSJ_IJSG_SI_EEENS0_18inequality_wrapperINS9_8equal_toIyEEEEPmJSH_EEE10hipError_tPvRmT3_T4_T5_T6_T7_T9_mT8_P12ihipStream_tbDpT10_ENKUlT_T0_E_clISt17integral_constantIbLb0EES1C_IbLb1EEEEDaS18_S19_EUlS18_E_NS1_11comp_targetILNS1_3genE9ELNS1_11target_archE1100ELNS1_3gpuE3ELNS1_3repE0EEENS1_30default_config_static_selectorELNS0_4arch9wavefront6targetE0EEEvT1_,"axG",@progbits,_ZN7rocprim17ROCPRIM_400000_NS6detail17trampoline_kernelINS0_14default_configENS1_25partition_config_selectorILNS1_17partition_subalgoE9EyjbEEZZNS1_14partition_implILS5_9ELb0ES3_jN6thrust23THRUST_200600_302600_NS6detail15normal_iteratorINS9_10device_ptrIyEEEENSB_INSC_IjEEEEPNS0_10empty_typeENS0_5tupleIJNS9_16discard_iteratorINS9_11use_defaultEEESH_EEENSJ_IJSG_SI_EEENS0_18inequality_wrapperINS9_8equal_toIyEEEEPmJSH_EEE10hipError_tPvRmT3_T4_T5_T6_T7_T9_mT8_P12ihipStream_tbDpT10_ENKUlT_T0_E_clISt17integral_constantIbLb0EES1C_IbLb1EEEEDaS18_S19_EUlS18_E_NS1_11comp_targetILNS1_3genE9ELNS1_11target_archE1100ELNS1_3gpuE3ELNS1_3repE0EEENS1_30default_config_static_selectorELNS0_4arch9wavefront6targetE0EEEvT1_,comdat
.Lfunc_end787:
	.size	_ZN7rocprim17ROCPRIM_400000_NS6detail17trampoline_kernelINS0_14default_configENS1_25partition_config_selectorILNS1_17partition_subalgoE9EyjbEEZZNS1_14partition_implILS5_9ELb0ES3_jN6thrust23THRUST_200600_302600_NS6detail15normal_iteratorINS9_10device_ptrIyEEEENSB_INSC_IjEEEEPNS0_10empty_typeENS0_5tupleIJNS9_16discard_iteratorINS9_11use_defaultEEESH_EEENSJ_IJSG_SI_EEENS0_18inequality_wrapperINS9_8equal_toIyEEEEPmJSH_EEE10hipError_tPvRmT3_T4_T5_T6_T7_T9_mT8_P12ihipStream_tbDpT10_ENKUlT_T0_E_clISt17integral_constantIbLb0EES1C_IbLb1EEEEDaS18_S19_EUlS18_E_NS1_11comp_targetILNS1_3genE9ELNS1_11target_archE1100ELNS1_3gpuE3ELNS1_3repE0EEENS1_30default_config_static_selectorELNS0_4arch9wavefront6targetE0EEEvT1_, .Lfunc_end787-_ZN7rocprim17ROCPRIM_400000_NS6detail17trampoline_kernelINS0_14default_configENS1_25partition_config_selectorILNS1_17partition_subalgoE9EyjbEEZZNS1_14partition_implILS5_9ELb0ES3_jN6thrust23THRUST_200600_302600_NS6detail15normal_iteratorINS9_10device_ptrIyEEEENSB_INSC_IjEEEEPNS0_10empty_typeENS0_5tupleIJNS9_16discard_iteratorINS9_11use_defaultEEESH_EEENSJ_IJSG_SI_EEENS0_18inequality_wrapperINS9_8equal_toIyEEEEPmJSH_EEE10hipError_tPvRmT3_T4_T5_T6_T7_T9_mT8_P12ihipStream_tbDpT10_ENKUlT_T0_E_clISt17integral_constantIbLb0EES1C_IbLb1EEEEDaS18_S19_EUlS18_E_NS1_11comp_targetILNS1_3genE9ELNS1_11target_archE1100ELNS1_3gpuE3ELNS1_3repE0EEENS1_30default_config_static_selectorELNS0_4arch9wavefront6targetE0EEEvT1_
                                        ; -- End function
	.section	.AMDGPU.csdata,"",@progbits
; Kernel info:
; codeLenInByte = 8576
; NumSgprs: 28
; NumVgprs: 61
; ScratchSize: 0
; MemoryBound: 0
; FloatMode: 240
; IeeeMode: 1
; LDSByteSize: 33800 bytes/workgroup (compile time only)
; SGPRBlocks: 3
; VGPRBlocks: 7
; NumSGPRsForWavesPerEU: 28
; NumVGPRsForWavesPerEU: 61
; Occupancy: 12
; WaveLimiterHint : 1
; COMPUTE_PGM_RSRC2:SCRATCH_EN: 0
; COMPUTE_PGM_RSRC2:USER_SGPR: 15
; COMPUTE_PGM_RSRC2:TRAP_HANDLER: 0
; COMPUTE_PGM_RSRC2:TGID_X_EN: 1
; COMPUTE_PGM_RSRC2:TGID_Y_EN: 0
; COMPUTE_PGM_RSRC2:TGID_Z_EN: 0
; COMPUTE_PGM_RSRC2:TIDIG_COMP_CNT: 0
	.section	.text._ZN7rocprim17ROCPRIM_400000_NS6detail17trampoline_kernelINS0_14default_configENS1_25partition_config_selectorILNS1_17partition_subalgoE9EyjbEEZZNS1_14partition_implILS5_9ELb0ES3_jN6thrust23THRUST_200600_302600_NS6detail15normal_iteratorINS9_10device_ptrIyEEEENSB_INSC_IjEEEEPNS0_10empty_typeENS0_5tupleIJNS9_16discard_iteratorINS9_11use_defaultEEESH_EEENSJ_IJSG_SI_EEENS0_18inequality_wrapperINS9_8equal_toIyEEEEPmJSH_EEE10hipError_tPvRmT3_T4_T5_T6_T7_T9_mT8_P12ihipStream_tbDpT10_ENKUlT_T0_E_clISt17integral_constantIbLb0EES1C_IbLb1EEEEDaS18_S19_EUlS18_E_NS1_11comp_targetILNS1_3genE8ELNS1_11target_archE1030ELNS1_3gpuE2ELNS1_3repE0EEENS1_30default_config_static_selectorELNS0_4arch9wavefront6targetE0EEEvT1_,"axG",@progbits,_ZN7rocprim17ROCPRIM_400000_NS6detail17trampoline_kernelINS0_14default_configENS1_25partition_config_selectorILNS1_17partition_subalgoE9EyjbEEZZNS1_14partition_implILS5_9ELb0ES3_jN6thrust23THRUST_200600_302600_NS6detail15normal_iteratorINS9_10device_ptrIyEEEENSB_INSC_IjEEEEPNS0_10empty_typeENS0_5tupleIJNS9_16discard_iteratorINS9_11use_defaultEEESH_EEENSJ_IJSG_SI_EEENS0_18inequality_wrapperINS9_8equal_toIyEEEEPmJSH_EEE10hipError_tPvRmT3_T4_T5_T6_T7_T9_mT8_P12ihipStream_tbDpT10_ENKUlT_T0_E_clISt17integral_constantIbLb0EES1C_IbLb1EEEEDaS18_S19_EUlS18_E_NS1_11comp_targetILNS1_3genE8ELNS1_11target_archE1030ELNS1_3gpuE2ELNS1_3repE0EEENS1_30default_config_static_selectorELNS0_4arch9wavefront6targetE0EEEvT1_,comdat
	.protected	_ZN7rocprim17ROCPRIM_400000_NS6detail17trampoline_kernelINS0_14default_configENS1_25partition_config_selectorILNS1_17partition_subalgoE9EyjbEEZZNS1_14partition_implILS5_9ELb0ES3_jN6thrust23THRUST_200600_302600_NS6detail15normal_iteratorINS9_10device_ptrIyEEEENSB_INSC_IjEEEEPNS0_10empty_typeENS0_5tupleIJNS9_16discard_iteratorINS9_11use_defaultEEESH_EEENSJ_IJSG_SI_EEENS0_18inequality_wrapperINS9_8equal_toIyEEEEPmJSH_EEE10hipError_tPvRmT3_T4_T5_T6_T7_T9_mT8_P12ihipStream_tbDpT10_ENKUlT_T0_E_clISt17integral_constantIbLb0EES1C_IbLb1EEEEDaS18_S19_EUlS18_E_NS1_11comp_targetILNS1_3genE8ELNS1_11target_archE1030ELNS1_3gpuE2ELNS1_3repE0EEENS1_30default_config_static_selectorELNS0_4arch9wavefront6targetE0EEEvT1_ ; -- Begin function _ZN7rocprim17ROCPRIM_400000_NS6detail17trampoline_kernelINS0_14default_configENS1_25partition_config_selectorILNS1_17partition_subalgoE9EyjbEEZZNS1_14partition_implILS5_9ELb0ES3_jN6thrust23THRUST_200600_302600_NS6detail15normal_iteratorINS9_10device_ptrIyEEEENSB_INSC_IjEEEEPNS0_10empty_typeENS0_5tupleIJNS9_16discard_iteratorINS9_11use_defaultEEESH_EEENSJ_IJSG_SI_EEENS0_18inequality_wrapperINS9_8equal_toIyEEEEPmJSH_EEE10hipError_tPvRmT3_T4_T5_T6_T7_T9_mT8_P12ihipStream_tbDpT10_ENKUlT_T0_E_clISt17integral_constantIbLb0EES1C_IbLb1EEEEDaS18_S19_EUlS18_E_NS1_11comp_targetILNS1_3genE8ELNS1_11target_archE1030ELNS1_3gpuE2ELNS1_3repE0EEENS1_30default_config_static_selectorELNS0_4arch9wavefront6targetE0EEEvT1_
	.globl	_ZN7rocprim17ROCPRIM_400000_NS6detail17trampoline_kernelINS0_14default_configENS1_25partition_config_selectorILNS1_17partition_subalgoE9EyjbEEZZNS1_14partition_implILS5_9ELb0ES3_jN6thrust23THRUST_200600_302600_NS6detail15normal_iteratorINS9_10device_ptrIyEEEENSB_INSC_IjEEEEPNS0_10empty_typeENS0_5tupleIJNS9_16discard_iteratorINS9_11use_defaultEEESH_EEENSJ_IJSG_SI_EEENS0_18inequality_wrapperINS9_8equal_toIyEEEEPmJSH_EEE10hipError_tPvRmT3_T4_T5_T6_T7_T9_mT8_P12ihipStream_tbDpT10_ENKUlT_T0_E_clISt17integral_constantIbLb0EES1C_IbLb1EEEEDaS18_S19_EUlS18_E_NS1_11comp_targetILNS1_3genE8ELNS1_11target_archE1030ELNS1_3gpuE2ELNS1_3repE0EEENS1_30default_config_static_selectorELNS0_4arch9wavefront6targetE0EEEvT1_
	.p2align	8
	.type	_ZN7rocprim17ROCPRIM_400000_NS6detail17trampoline_kernelINS0_14default_configENS1_25partition_config_selectorILNS1_17partition_subalgoE9EyjbEEZZNS1_14partition_implILS5_9ELb0ES3_jN6thrust23THRUST_200600_302600_NS6detail15normal_iteratorINS9_10device_ptrIyEEEENSB_INSC_IjEEEEPNS0_10empty_typeENS0_5tupleIJNS9_16discard_iteratorINS9_11use_defaultEEESH_EEENSJ_IJSG_SI_EEENS0_18inequality_wrapperINS9_8equal_toIyEEEEPmJSH_EEE10hipError_tPvRmT3_T4_T5_T6_T7_T9_mT8_P12ihipStream_tbDpT10_ENKUlT_T0_E_clISt17integral_constantIbLb0EES1C_IbLb1EEEEDaS18_S19_EUlS18_E_NS1_11comp_targetILNS1_3genE8ELNS1_11target_archE1030ELNS1_3gpuE2ELNS1_3repE0EEENS1_30default_config_static_selectorELNS0_4arch9wavefront6targetE0EEEvT1_,@function
_ZN7rocprim17ROCPRIM_400000_NS6detail17trampoline_kernelINS0_14default_configENS1_25partition_config_selectorILNS1_17partition_subalgoE9EyjbEEZZNS1_14partition_implILS5_9ELb0ES3_jN6thrust23THRUST_200600_302600_NS6detail15normal_iteratorINS9_10device_ptrIyEEEENSB_INSC_IjEEEEPNS0_10empty_typeENS0_5tupleIJNS9_16discard_iteratorINS9_11use_defaultEEESH_EEENSJ_IJSG_SI_EEENS0_18inequality_wrapperINS9_8equal_toIyEEEEPmJSH_EEE10hipError_tPvRmT3_T4_T5_T6_T7_T9_mT8_P12ihipStream_tbDpT10_ENKUlT_T0_E_clISt17integral_constantIbLb0EES1C_IbLb1EEEEDaS18_S19_EUlS18_E_NS1_11comp_targetILNS1_3genE8ELNS1_11target_archE1030ELNS1_3gpuE2ELNS1_3repE0EEENS1_30default_config_static_selectorELNS0_4arch9wavefront6targetE0EEEvT1_: ; @_ZN7rocprim17ROCPRIM_400000_NS6detail17trampoline_kernelINS0_14default_configENS1_25partition_config_selectorILNS1_17partition_subalgoE9EyjbEEZZNS1_14partition_implILS5_9ELb0ES3_jN6thrust23THRUST_200600_302600_NS6detail15normal_iteratorINS9_10device_ptrIyEEEENSB_INSC_IjEEEEPNS0_10empty_typeENS0_5tupleIJNS9_16discard_iteratorINS9_11use_defaultEEESH_EEENSJ_IJSG_SI_EEENS0_18inequality_wrapperINS9_8equal_toIyEEEEPmJSH_EEE10hipError_tPvRmT3_T4_T5_T6_T7_T9_mT8_P12ihipStream_tbDpT10_ENKUlT_T0_E_clISt17integral_constantIbLb0EES1C_IbLb1EEEEDaS18_S19_EUlS18_E_NS1_11comp_targetILNS1_3genE8ELNS1_11target_archE1030ELNS1_3gpuE2ELNS1_3repE0EEENS1_30default_config_static_selectorELNS0_4arch9wavefront6targetE0EEEvT1_
; %bb.0:
	.section	.rodata,"a",@progbits
	.p2align	6, 0x0
	.amdhsa_kernel _ZN7rocprim17ROCPRIM_400000_NS6detail17trampoline_kernelINS0_14default_configENS1_25partition_config_selectorILNS1_17partition_subalgoE9EyjbEEZZNS1_14partition_implILS5_9ELb0ES3_jN6thrust23THRUST_200600_302600_NS6detail15normal_iteratorINS9_10device_ptrIyEEEENSB_INSC_IjEEEEPNS0_10empty_typeENS0_5tupleIJNS9_16discard_iteratorINS9_11use_defaultEEESH_EEENSJ_IJSG_SI_EEENS0_18inequality_wrapperINS9_8equal_toIyEEEEPmJSH_EEE10hipError_tPvRmT3_T4_T5_T6_T7_T9_mT8_P12ihipStream_tbDpT10_ENKUlT_T0_E_clISt17integral_constantIbLb0EES1C_IbLb1EEEEDaS18_S19_EUlS18_E_NS1_11comp_targetILNS1_3genE8ELNS1_11target_archE1030ELNS1_3gpuE2ELNS1_3repE0EEENS1_30default_config_static_selectorELNS0_4arch9wavefront6targetE0EEEvT1_
		.amdhsa_group_segment_fixed_size 0
		.amdhsa_private_segment_fixed_size 0
		.amdhsa_kernarg_size 136
		.amdhsa_user_sgpr_count 15
		.amdhsa_user_sgpr_dispatch_ptr 0
		.amdhsa_user_sgpr_queue_ptr 0
		.amdhsa_user_sgpr_kernarg_segment_ptr 1
		.amdhsa_user_sgpr_dispatch_id 0
		.amdhsa_user_sgpr_private_segment_size 0
		.amdhsa_wavefront_size32 1
		.amdhsa_uses_dynamic_stack 0
		.amdhsa_enable_private_segment 0
		.amdhsa_system_sgpr_workgroup_id_x 1
		.amdhsa_system_sgpr_workgroup_id_y 0
		.amdhsa_system_sgpr_workgroup_id_z 0
		.amdhsa_system_sgpr_workgroup_info 0
		.amdhsa_system_vgpr_workitem_id 0
		.amdhsa_next_free_vgpr 1
		.amdhsa_next_free_sgpr 1
		.amdhsa_reserve_vcc 0
		.amdhsa_float_round_mode_32 0
		.amdhsa_float_round_mode_16_64 0
		.amdhsa_float_denorm_mode_32 3
		.amdhsa_float_denorm_mode_16_64 3
		.amdhsa_dx10_clamp 1
		.amdhsa_ieee_mode 1
		.amdhsa_fp16_overflow 0
		.amdhsa_workgroup_processor_mode 1
		.amdhsa_memory_ordered 1
		.amdhsa_forward_progress 0
		.amdhsa_shared_vgpr_count 0
		.amdhsa_exception_fp_ieee_invalid_op 0
		.amdhsa_exception_fp_denorm_src 0
		.amdhsa_exception_fp_ieee_div_zero 0
		.amdhsa_exception_fp_ieee_overflow 0
		.amdhsa_exception_fp_ieee_underflow 0
		.amdhsa_exception_fp_ieee_inexact 0
		.amdhsa_exception_int_div_zero 0
	.end_amdhsa_kernel
	.section	.text._ZN7rocprim17ROCPRIM_400000_NS6detail17trampoline_kernelINS0_14default_configENS1_25partition_config_selectorILNS1_17partition_subalgoE9EyjbEEZZNS1_14partition_implILS5_9ELb0ES3_jN6thrust23THRUST_200600_302600_NS6detail15normal_iteratorINS9_10device_ptrIyEEEENSB_INSC_IjEEEEPNS0_10empty_typeENS0_5tupleIJNS9_16discard_iteratorINS9_11use_defaultEEESH_EEENSJ_IJSG_SI_EEENS0_18inequality_wrapperINS9_8equal_toIyEEEEPmJSH_EEE10hipError_tPvRmT3_T4_T5_T6_T7_T9_mT8_P12ihipStream_tbDpT10_ENKUlT_T0_E_clISt17integral_constantIbLb0EES1C_IbLb1EEEEDaS18_S19_EUlS18_E_NS1_11comp_targetILNS1_3genE8ELNS1_11target_archE1030ELNS1_3gpuE2ELNS1_3repE0EEENS1_30default_config_static_selectorELNS0_4arch9wavefront6targetE0EEEvT1_,"axG",@progbits,_ZN7rocprim17ROCPRIM_400000_NS6detail17trampoline_kernelINS0_14default_configENS1_25partition_config_selectorILNS1_17partition_subalgoE9EyjbEEZZNS1_14partition_implILS5_9ELb0ES3_jN6thrust23THRUST_200600_302600_NS6detail15normal_iteratorINS9_10device_ptrIyEEEENSB_INSC_IjEEEEPNS0_10empty_typeENS0_5tupleIJNS9_16discard_iteratorINS9_11use_defaultEEESH_EEENSJ_IJSG_SI_EEENS0_18inequality_wrapperINS9_8equal_toIyEEEEPmJSH_EEE10hipError_tPvRmT3_T4_T5_T6_T7_T9_mT8_P12ihipStream_tbDpT10_ENKUlT_T0_E_clISt17integral_constantIbLb0EES1C_IbLb1EEEEDaS18_S19_EUlS18_E_NS1_11comp_targetILNS1_3genE8ELNS1_11target_archE1030ELNS1_3gpuE2ELNS1_3repE0EEENS1_30default_config_static_selectorELNS0_4arch9wavefront6targetE0EEEvT1_,comdat
.Lfunc_end788:
	.size	_ZN7rocprim17ROCPRIM_400000_NS6detail17trampoline_kernelINS0_14default_configENS1_25partition_config_selectorILNS1_17partition_subalgoE9EyjbEEZZNS1_14partition_implILS5_9ELb0ES3_jN6thrust23THRUST_200600_302600_NS6detail15normal_iteratorINS9_10device_ptrIyEEEENSB_INSC_IjEEEEPNS0_10empty_typeENS0_5tupleIJNS9_16discard_iteratorINS9_11use_defaultEEESH_EEENSJ_IJSG_SI_EEENS0_18inequality_wrapperINS9_8equal_toIyEEEEPmJSH_EEE10hipError_tPvRmT3_T4_T5_T6_T7_T9_mT8_P12ihipStream_tbDpT10_ENKUlT_T0_E_clISt17integral_constantIbLb0EES1C_IbLb1EEEEDaS18_S19_EUlS18_E_NS1_11comp_targetILNS1_3genE8ELNS1_11target_archE1030ELNS1_3gpuE2ELNS1_3repE0EEENS1_30default_config_static_selectorELNS0_4arch9wavefront6targetE0EEEvT1_, .Lfunc_end788-_ZN7rocprim17ROCPRIM_400000_NS6detail17trampoline_kernelINS0_14default_configENS1_25partition_config_selectorILNS1_17partition_subalgoE9EyjbEEZZNS1_14partition_implILS5_9ELb0ES3_jN6thrust23THRUST_200600_302600_NS6detail15normal_iteratorINS9_10device_ptrIyEEEENSB_INSC_IjEEEEPNS0_10empty_typeENS0_5tupleIJNS9_16discard_iteratorINS9_11use_defaultEEESH_EEENSJ_IJSG_SI_EEENS0_18inequality_wrapperINS9_8equal_toIyEEEEPmJSH_EEE10hipError_tPvRmT3_T4_T5_T6_T7_T9_mT8_P12ihipStream_tbDpT10_ENKUlT_T0_E_clISt17integral_constantIbLb0EES1C_IbLb1EEEEDaS18_S19_EUlS18_E_NS1_11comp_targetILNS1_3genE8ELNS1_11target_archE1030ELNS1_3gpuE2ELNS1_3repE0EEENS1_30default_config_static_selectorELNS0_4arch9wavefront6targetE0EEEvT1_
                                        ; -- End function
	.section	.AMDGPU.csdata,"",@progbits
; Kernel info:
; codeLenInByte = 0
; NumSgprs: 0
; NumVgprs: 0
; ScratchSize: 0
; MemoryBound: 0
; FloatMode: 240
; IeeeMode: 1
; LDSByteSize: 0 bytes/workgroup (compile time only)
; SGPRBlocks: 0
; VGPRBlocks: 0
; NumSGPRsForWavesPerEU: 1
; NumVGPRsForWavesPerEU: 1
; Occupancy: 16
; WaveLimiterHint : 0
; COMPUTE_PGM_RSRC2:SCRATCH_EN: 0
; COMPUTE_PGM_RSRC2:USER_SGPR: 15
; COMPUTE_PGM_RSRC2:TRAP_HANDLER: 0
; COMPUTE_PGM_RSRC2:TGID_X_EN: 1
; COMPUTE_PGM_RSRC2:TGID_Y_EN: 0
; COMPUTE_PGM_RSRC2:TGID_Z_EN: 0
; COMPUTE_PGM_RSRC2:TIDIG_COMP_CNT: 0
	.section	.text._ZN7rocprim17ROCPRIM_400000_NS6detail17trampoline_kernelINS0_14default_configENS1_25partition_config_selectorILNS1_17partition_subalgoE9EjjbEEZZNS1_14partition_implILS5_9ELb0ES3_jN6thrust23THRUST_200600_302600_NS6detail15normal_iteratorINS9_10device_ptrIjEEEESE_PNS0_10empty_typeENS0_5tupleIJNS9_16discard_iteratorINS9_11use_defaultEEESF_EEENSH_IJSK_SG_EEENS0_18inequality_wrapperINS9_8equal_toIjEEEEPmJSF_EEE10hipError_tPvRmT3_T4_T5_T6_T7_T9_mT8_P12ihipStream_tbDpT10_ENKUlT_T0_E_clISt17integral_constantIbLb0EES1B_EEDaS16_S17_EUlS16_E_NS1_11comp_targetILNS1_3genE0ELNS1_11target_archE4294967295ELNS1_3gpuE0ELNS1_3repE0EEENS1_30default_config_static_selectorELNS0_4arch9wavefront6targetE0EEEvT1_,"axG",@progbits,_ZN7rocprim17ROCPRIM_400000_NS6detail17trampoline_kernelINS0_14default_configENS1_25partition_config_selectorILNS1_17partition_subalgoE9EjjbEEZZNS1_14partition_implILS5_9ELb0ES3_jN6thrust23THRUST_200600_302600_NS6detail15normal_iteratorINS9_10device_ptrIjEEEESE_PNS0_10empty_typeENS0_5tupleIJNS9_16discard_iteratorINS9_11use_defaultEEESF_EEENSH_IJSK_SG_EEENS0_18inequality_wrapperINS9_8equal_toIjEEEEPmJSF_EEE10hipError_tPvRmT3_T4_T5_T6_T7_T9_mT8_P12ihipStream_tbDpT10_ENKUlT_T0_E_clISt17integral_constantIbLb0EES1B_EEDaS16_S17_EUlS16_E_NS1_11comp_targetILNS1_3genE0ELNS1_11target_archE4294967295ELNS1_3gpuE0ELNS1_3repE0EEENS1_30default_config_static_selectorELNS0_4arch9wavefront6targetE0EEEvT1_,comdat
	.protected	_ZN7rocprim17ROCPRIM_400000_NS6detail17trampoline_kernelINS0_14default_configENS1_25partition_config_selectorILNS1_17partition_subalgoE9EjjbEEZZNS1_14partition_implILS5_9ELb0ES3_jN6thrust23THRUST_200600_302600_NS6detail15normal_iteratorINS9_10device_ptrIjEEEESE_PNS0_10empty_typeENS0_5tupleIJNS9_16discard_iteratorINS9_11use_defaultEEESF_EEENSH_IJSK_SG_EEENS0_18inequality_wrapperINS9_8equal_toIjEEEEPmJSF_EEE10hipError_tPvRmT3_T4_T5_T6_T7_T9_mT8_P12ihipStream_tbDpT10_ENKUlT_T0_E_clISt17integral_constantIbLb0EES1B_EEDaS16_S17_EUlS16_E_NS1_11comp_targetILNS1_3genE0ELNS1_11target_archE4294967295ELNS1_3gpuE0ELNS1_3repE0EEENS1_30default_config_static_selectorELNS0_4arch9wavefront6targetE0EEEvT1_ ; -- Begin function _ZN7rocprim17ROCPRIM_400000_NS6detail17trampoline_kernelINS0_14default_configENS1_25partition_config_selectorILNS1_17partition_subalgoE9EjjbEEZZNS1_14partition_implILS5_9ELb0ES3_jN6thrust23THRUST_200600_302600_NS6detail15normal_iteratorINS9_10device_ptrIjEEEESE_PNS0_10empty_typeENS0_5tupleIJNS9_16discard_iteratorINS9_11use_defaultEEESF_EEENSH_IJSK_SG_EEENS0_18inequality_wrapperINS9_8equal_toIjEEEEPmJSF_EEE10hipError_tPvRmT3_T4_T5_T6_T7_T9_mT8_P12ihipStream_tbDpT10_ENKUlT_T0_E_clISt17integral_constantIbLb0EES1B_EEDaS16_S17_EUlS16_E_NS1_11comp_targetILNS1_3genE0ELNS1_11target_archE4294967295ELNS1_3gpuE0ELNS1_3repE0EEENS1_30default_config_static_selectorELNS0_4arch9wavefront6targetE0EEEvT1_
	.globl	_ZN7rocprim17ROCPRIM_400000_NS6detail17trampoline_kernelINS0_14default_configENS1_25partition_config_selectorILNS1_17partition_subalgoE9EjjbEEZZNS1_14partition_implILS5_9ELb0ES3_jN6thrust23THRUST_200600_302600_NS6detail15normal_iteratorINS9_10device_ptrIjEEEESE_PNS0_10empty_typeENS0_5tupleIJNS9_16discard_iteratorINS9_11use_defaultEEESF_EEENSH_IJSK_SG_EEENS0_18inequality_wrapperINS9_8equal_toIjEEEEPmJSF_EEE10hipError_tPvRmT3_T4_T5_T6_T7_T9_mT8_P12ihipStream_tbDpT10_ENKUlT_T0_E_clISt17integral_constantIbLb0EES1B_EEDaS16_S17_EUlS16_E_NS1_11comp_targetILNS1_3genE0ELNS1_11target_archE4294967295ELNS1_3gpuE0ELNS1_3repE0EEENS1_30default_config_static_selectorELNS0_4arch9wavefront6targetE0EEEvT1_
	.p2align	8
	.type	_ZN7rocprim17ROCPRIM_400000_NS6detail17trampoline_kernelINS0_14default_configENS1_25partition_config_selectorILNS1_17partition_subalgoE9EjjbEEZZNS1_14partition_implILS5_9ELb0ES3_jN6thrust23THRUST_200600_302600_NS6detail15normal_iteratorINS9_10device_ptrIjEEEESE_PNS0_10empty_typeENS0_5tupleIJNS9_16discard_iteratorINS9_11use_defaultEEESF_EEENSH_IJSK_SG_EEENS0_18inequality_wrapperINS9_8equal_toIjEEEEPmJSF_EEE10hipError_tPvRmT3_T4_T5_T6_T7_T9_mT8_P12ihipStream_tbDpT10_ENKUlT_T0_E_clISt17integral_constantIbLb0EES1B_EEDaS16_S17_EUlS16_E_NS1_11comp_targetILNS1_3genE0ELNS1_11target_archE4294967295ELNS1_3gpuE0ELNS1_3repE0EEENS1_30default_config_static_selectorELNS0_4arch9wavefront6targetE0EEEvT1_,@function
_ZN7rocprim17ROCPRIM_400000_NS6detail17trampoline_kernelINS0_14default_configENS1_25partition_config_selectorILNS1_17partition_subalgoE9EjjbEEZZNS1_14partition_implILS5_9ELb0ES3_jN6thrust23THRUST_200600_302600_NS6detail15normal_iteratorINS9_10device_ptrIjEEEESE_PNS0_10empty_typeENS0_5tupleIJNS9_16discard_iteratorINS9_11use_defaultEEESF_EEENSH_IJSK_SG_EEENS0_18inequality_wrapperINS9_8equal_toIjEEEEPmJSF_EEE10hipError_tPvRmT3_T4_T5_T6_T7_T9_mT8_P12ihipStream_tbDpT10_ENKUlT_T0_E_clISt17integral_constantIbLb0EES1B_EEDaS16_S17_EUlS16_E_NS1_11comp_targetILNS1_3genE0ELNS1_11target_archE4294967295ELNS1_3gpuE0ELNS1_3repE0EEENS1_30default_config_static_selectorELNS0_4arch9wavefront6targetE0EEEvT1_: ; @_ZN7rocprim17ROCPRIM_400000_NS6detail17trampoline_kernelINS0_14default_configENS1_25partition_config_selectorILNS1_17partition_subalgoE9EjjbEEZZNS1_14partition_implILS5_9ELb0ES3_jN6thrust23THRUST_200600_302600_NS6detail15normal_iteratorINS9_10device_ptrIjEEEESE_PNS0_10empty_typeENS0_5tupleIJNS9_16discard_iteratorINS9_11use_defaultEEESF_EEENSH_IJSK_SG_EEENS0_18inequality_wrapperINS9_8equal_toIjEEEEPmJSF_EEE10hipError_tPvRmT3_T4_T5_T6_T7_T9_mT8_P12ihipStream_tbDpT10_ENKUlT_T0_E_clISt17integral_constantIbLb0EES1B_EEDaS16_S17_EUlS16_E_NS1_11comp_targetILNS1_3genE0ELNS1_11target_archE4294967295ELNS1_3gpuE0ELNS1_3repE0EEENS1_30default_config_static_selectorELNS0_4arch9wavefront6targetE0EEEvT1_
; %bb.0:
	.section	.rodata,"a",@progbits
	.p2align	6, 0x0
	.amdhsa_kernel _ZN7rocprim17ROCPRIM_400000_NS6detail17trampoline_kernelINS0_14default_configENS1_25partition_config_selectorILNS1_17partition_subalgoE9EjjbEEZZNS1_14partition_implILS5_9ELb0ES3_jN6thrust23THRUST_200600_302600_NS6detail15normal_iteratorINS9_10device_ptrIjEEEESE_PNS0_10empty_typeENS0_5tupleIJNS9_16discard_iteratorINS9_11use_defaultEEESF_EEENSH_IJSK_SG_EEENS0_18inequality_wrapperINS9_8equal_toIjEEEEPmJSF_EEE10hipError_tPvRmT3_T4_T5_T6_T7_T9_mT8_P12ihipStream_tbDpT10_ENKUlT_T0_E_clISt17integral_constantIbLb0EES1B_EEDaS16_S17_EUlS16_E_NS1_11comp_targetILNS1_3genE0ELNS1_11target_archE4294967295ELNS1_3gpuE0ELNS1_3repE0EEENS1_30default_config_static_selectorELNS0_4arch9wavefront6targetE0EEEvT1_
		.amdhsa_group_segment_fixed_size 0
		.amdhsa_private_segment_fixed_size 0
		.amdhsa_kernarg_size 128
		.amdhsa_user_sgpr_count 15
		.amdhsa_user_sgpr_dispatch_ptr 0
		.amdhsa_user_sgpr_queue_ptr 0
		.amdhsa_user_sgpr_kernarg_segment_ptr 1
		.amdhsa_user_sgpr_dispatch_id 0
		.amdhsa_user_sgpr_private_segment_size 0
		.amdhsa_wavefront_size32 1
		.amdhsa_uses_dynamic_stack 0
		.amdhsa_enable_private_segment 0
		.amdhsa_system_sgpr_workgroup_id_x 1
		.amdhsa_system_sgpr_workgroup_id_y 0
		.amdhsa_system_sgpr_workgroup_id_z 0
		.amdhsa_system_sgpr_workgroup_info 0
		.amdhsa_system_vgpr_workitem_id 0
		.amdhsa_next_free_vgpr 1
		.amdhsa_next_free_sgpr 1
		.amdhsa_reserve_vcc 0
		.amdhsa_float_round_mode_32 0
		.amdhsa_float_round_mode_16_64 0
		.amdhsa_float_denorm_mode_32 3
		.amdhsa_float_denorm_mode_16_64 3
		.amdhsa_dx10_clamp 1
		.amdhsa_ieee_mode 1
		.amdhsa_fp16_overflow 0
		.amdhsa_workgroup_processor_mode 1
		.amdhsa_memory_ordered 1
		.amdhsa_forward_progress 0
		.amdhsa_shared_vgpr_count 0
		.amdhsa_exception_fp_ieee_invalid_op 0
		.amdhsa_exception_fp_denorm_src 0
		.amdhsa_exception_fp_ieee_div_zero 0
		.amdhsa_exception_fp_ieee_overflow 0
		.amdhsa_exception_fp_ieee_underflow 0
		.amdhsa_exception_fp_ieee_inexact 0
		.amdhsa_exception_int_div_zero 0
	.end_amdhsa_kernel
	.section	.text._ZN7rocprim17ROCPRIM_400000_NS6detail17trampoline_kernelINS0_14default_configENS1_25partition_config_selectorILNS1_17partition_subalgoE9EjjbEEZZNS1_14partition_implILS5_9ELb0ES3_jN6thrust23THRUST_200600_302600_NS6detail15normal_iteratorINS9_10device_ptrIjEEEESE_PNS0_10empty_typeENS0_5tupleIJNS9_16discard_iteratorINS9_11use_defaultEEESF_EEENSH_IJSK_SG_EEENS0_18inequality_wrapperINS9_8equal_toIjEEEEPmJSF_EEE10hipError_tPvRmT3_T4_T5_T6_T7_T9_mT8_P12ihipStream_tbDpT10_ENKUlT_T0_E_clISt17integral_constantIbLb0EES1B_EEDaS16_S17_EUlS16_E_NS1_11comp_targetILNS1_3genE0ELNS1_11target_archE4294967295ELNS1_3gpuE0ELNS1_3repE0EEENS1_30default_config_static_selectorELNS0_4arch9wavefront6targetE0EEEvT1_,"axG",@progbits,_ZN7rocprim17ROCPRIM_400000_NS6detail17trampoline_kernelINS0_14default_configENS1_25partition_config_selectorILNS1_17partition_subalgoE9EjjbEEZZNS1_14partition_implILS5_9ELb0ES3_jN6thrust23THRUST_200600_302600_NS6detail15normal_iteratorINS9_10device_ptrIjEEEESE_PNS0_10empty_typeENS0_5tupleIJNS9_16discard_iteratorINS9_11use_defaultEEESF_EEENSH_IJSK_SG_EEENS0_18inequality_wrapperINS9_8equal_toIjEEEEPmJSF_EEE10hipError_tPvRmT3_T4_T5_T6_T7_T9_mT8_P12ihipStream_tbDpT10_ENKUlT_T0_E_clISt17integral_constantIbLb0EES1B_EEDaS16_S17_EUlS16_E_NS1_11comp_targetILNS1_3genE0ELNS1_11target_archE4294967295ELNS1_3gpuE0ELNS1_3repE0EEENS1_30default_config_static_selectorELNS0_4arch9wavefront6targetE0EEEvT1_,comdat
.Lfunc_end789:
	.size	_ZN7rocprim17ROCPRIM_400000_NS6detail17trampoline_kernelINS0_14default_configENS1_25partition_config_selectorILNS1_17partition_subalgoE9EjjbEEZZNS1_14partition_implILS5_9ELb0ES3_jN6thrust23THRUST_200600_302600_NS6detail15normal_iteratorINS9_10device_ptrIjEEEESE_PNS0_10empty_typeENS0_5tupleIJNS9_16discard_iteratorINS9_11use_defaultEEESF_EEENSH_IJSK_SG_EEENS0_18inequality_wrapperINS9_8equal_toIjEEEEPmJSF_EEE10hipError_tPvRmT3_T4_T5_T6_T7_T9_mT8_P12ihipStream_tbDpT10_ENKUlT_T0_E_clISt17integral_constantIbLb0EES1B_EEDaS16_S17_EUlS16_E_NS1_11comp_targetILNS1_3genE0ELNS1_11target_archE4294967295ELNS1_3gpuE0ELNS1_3repE0EEENS1_30default_config_static_selectorELNS0_4arch9wavefront6targetE0EEEvT1_, .Lfunc_end789-_ZN7rocprim17ROCPRIM_400000_NS6detail17trampoline_kernelINS0_14default_configENS1_25partition_config_selectorILNS1_17partition_subalgoE9EjjbEEZZNS1_14partition_implILS5_9ELb0ES3_jN6thrust23THRUST_200600_302600_NS6detail15normal_iteratorINS9_10device_ptrIjEEEESE_PNS0_10empty_typeENS0_5tupleIJNS9_16discard_iteratorINS9_11use_defaultEEESF_EEENSH_IJSK_SG_EEENS0_18inequality_wrapperINS9_8equal_toIjEEEEPmJSF_EEE10hipError_tPvRmT3_T4_T5_T6_T7_T9_mT8_P12ihipStream_tbDpT10_ENKUlT_T0_E_clISt17integral_constantIbLb0EES1B_EEDaS16_S17_EUlS16_E_NS1_11comp_targetILNS1_3genE0ELNS1_11target_archE4294967295ELNS1_3gpuE0ELNS1_3repE0EEENS1_30default_config_static_selectorELNS0_4arch9wavefront6targetE0EEEvT1_
                                        ; -- End function
	.section	.AMDGPU.csdata,"",@progbits
; Kernel info:
; codeLenInByte = 0
; NumSgprs: 0
; NumVgprs: 0
; ScratchSize: 0
; MemoryBound: 0
; FloatMode: 240
; IeeeMode: 1
; LDSByteSize: 0 bytes/workgroup (compile time only)
; SGPRBlocks: 0
; VGPRBlocks: 0
; NumSGPRsForWavesPerEU: 1
; NumVGPRsForWavesPerEU: 1
; Occupancy: 16
; WaveLimiterHint : 0
; COMPUTE_PGM_RSRC2:SCRATCH_EN: 0
; COMPUTE_PGM_RSRC2:USER_SGPR: 15
; COMPUTE_PGM_RSRC2:TRAP_HANDLER: 0
; COMPUTE_PGM_RSRC2:TGID_X_EN: 1
; COMPUTE_PGM_RSRC2:TGID_Y_EN: 0
; COMPUTE_PGM_RSRC2:TGID_Z_EN: 0
; COMPUTE_PGM_RSRC2:TIDIG_COMP_CNT: 0
	.section	.text._ZN7rocprim17ROCPRIM_400000_NS6detail17trampoline_kernelINS0_14default_configENS1_25partition_config_selectorILNS1_17partition_subalgoE9EjjbEEZZNS1_14partition_implILS5_9ELb0ES3_jN6thrust23THRUST_200600_302600_NS6detail15normal_iteratorINS9_10device_ptrIjEEEESE_PNS0_10empty_typeENS0_5tupleIJNS9_16discard_iteratorINS9_11use_defaultEEESF_EEENSH_IJSK_SG_EEENS0_18inequality_wrapperINS9_8equal_toIjEEEEPmJSF_EEE10hipError_tPvRmT3_T4_T5_T6_T7_T9_mT8_P12ihipStream_tbDpT10_ENKUlT_T0_E_clISt17integral_constantIbLb0EES1B_EEDaS16_S17_EUlS16_E_NS1_11comp_targetILNS1_3genE5ELNS1_11target_archE942ELNS1_3gpuE9ELNS1_3repE0EEENS1_30default_config_static_selectorELNS0_4arch9wavefront6targetE0EEEvT1_,"axG",@progbits,_ZN7rocprim17ROCPRIM_400000_NS6detail17trampoline_kernelINS0_14default_configENS1_25partition_config_selectorILNS1_17partition_subalgoE9EjjbEEZZNS1_14partition_implILS5_9ELb0ES3_jN6thrust23THRUST_200600_302600_NS6detail15normal_iteratorINS9_10device_ptrIjEEEESE_PNS0_10empty_typeENS0_5tupleIJNS9_16discard_iteratorINS9_11use_defaultEEESF_EEENSH_IJSK_SG_EEENS0_18inequality_wrapperINS9_8equal_toIjEEEEPmJSF_EEE10hipError_tPvRmT3_T4_T5_T6_T7_T9_mT8_P12ihipStream_tbDpT10_ENKUlT_T0_E_clISt17integral_constantIbLb0EES1B_EEDaS16_S17_EUlS16_E_NS1_11comp_targetILNS1_3genE5ELNS1_11target_archE942ELNS1_3gpuE9ELNS1_3repE0EEENS1_30default_config_static_selectorELNS0_4arch9wavefront6targetE0EEEvT1_,comdat
	.protected	_ZN7rocprim17ROCPRIM_400000_NS6detail17trampoline_kernelINS0_14default_configENS1_25partition_config_selectorILNS1_17partition_subalgoE9EjjbEEZZNS1_14partition_implILS5_9ELb0ES3_jN6thrust23THRUST_200600_302600_NS6detail15normal_iteratorINS9_10device_ptrIjEEEESE_PNS0_10empty_typeENS0_5tupleIJNS9_16discard_iteratorINS9_11use_defaultEEESF_EEENSH_IJSK_SG_EEENS0_18inequality_wrapperINS9_8equal_toIjEEEEPmJSF_EEE10hipError_tPvRmT3_T4_T5_T6_T7_T9_mT8_P12ihipStream_tbDpT10_ENKUlT_T0_E_clISt17integral_constantIbLb0EES1B_EEDaS16_S17_EUlS16_E_NS1_11comp_targetILNS1_3genE5ELNS1_11target_archE942ELNS1_3gpuE9ELNS1_3repE0EEENS1_30default_config_static_selectorELNS0_4arch9wavefront6targetE0EEEvT1_ ; -- Begin function _ZN7rocprim17ROCPRIM_400000_NS6detail17trampoline_kernelINS0_14default_configENS1_25partition_config_selectorILNS1_17partition_subalgoE9EjjbEEZZNS1_14partition_implILS5_9ELb0ES3_jN6thrust23THRUST_200600_302600_NS6detail15normal_iteratorINS9_10device_ptrIjEEEESE_PNS0_10empty_typeENS0_5tupleIJNS9_16discard_iteratorINS9_11use_defaultEEESF_EEENSH_IJSK_SG_EEENS0_18inequality_wrapperINS9_8equal_toIjEEEEPmJSF_EEE10hipError_tPvRmT3_T4_T5_T6_T7_T9_mT8_P12ihipStream_tbDpT10_ENKUlT_T0_E_clISt17integral_constantIbLb0EES1B_EEDaS16_S17_EUlS16_E_NS1_11comp_targetILNS1_3genE5ELNS1_11target_archE942ELNS1_3gpuE9ELNS1_3repE0EEENS1_30default_config_static_selectorELNS0_4arch9wavefront6targetE0EEEvT1_
	.globl	_ZN7rocprim17ROCPRIM_400000_NS6detail17trampoline_kernelINS0_14default_configENS1_25partition_config_selectorILNS1_17partition_subalgoE9EjjbEEZZNS1_14partition_implILS5_9ELb0ES3_jN6thrust23THRUST_200600_302600_NS6detail15normal_iteratorINS9_10device_ptrIjEEEESE_PNS0_10empty_typeENS0_5tupleIJNS9_16discard_iteratorINS9_11use_defaultEEESF_EEENSH_IJSK_SG_EEENS0_18inequality_wrapperINS9_8equal_toIjEEEEPmJSF_EEE10hipError_tPvRmT3_T4_T5_T6_T7_T9_mT8_P12ihipStream_tbDpT10_ENKUlT_T0_E_clISt17integral_constantIbLb0EES1B_EEDaS16_S17_EUlS16_E_NS1_11comp_targetILNS1_3genE5ELNS1_11target_archE942ELNS1_3gpuE9ELNS1_3repE0EEENS1_30default_config_static_selectorELNS0_4arch9wavefront6targetE0EEEvT1_
	.p2align	8
	.type	_ZN7rocprim17ROCPRIM_400000_NS6detail17trampoline_kernelINS0_14default_configENS1_25partition_config_selectorILNS1_17partition_subalgoE9EjjbEEZZNS1_14partition_implILS5_9ELb0ES3_jN6thrust23THRUST_200600_302600_NS6detail15normal_iteratorINS9_10device_ptrIjEEEESE_PNS0_10empty_typeENS0_5tupleIJNS9_16discard_iteratorINS9_11use_defaultEEESF_EEENSH_IJSK_SG_EEENS0_18inequality_wrapperINS9_8equal_toIjEEEEPmJSF_EEE10hipError_tPvRmT3_T4_T5_T6_T7_T9_mT8_P12ihipStream_tbDpT10_ENKUlT_T0_E_clISt17integral_constantIbLb0EES1B_EEDaS16_S17_EUlS16_E_NS1_11comp_targetILNS1_3genE5ELNS1_11target_archE942ELNS1_3gpuE9ELNS1_3repE0EEENS1_30default_config_static_selectorELNS0_4arch9wavefront6targetE0EEEvT1_,@function
_ZN7rocprim17ROCPRIM_400000_NS6detail17trampoline_kernelINS0_14default_configENS1_25partition_config_selectorILNS1_17partition_subalgoE9EjjbEEZZNS1_14partition_implILS5_9ELb0ES3_jN6thrust23THRUST_200600_302600_NS6detail15normal_iteratorINS9_10device_ptrIjEEEESE_PNS0_10empty_typeENS0_5tupleIJNS9_16discard_iteratorINS9_11use_defaultEEESF_EEENSH_IJSK_SG_EEENS0_18inequality_wrapperINS9_8equal_toIjEEEEPmJSF_EEE10hipError_tPvRmT3_T4_T5_T6_T7_T9_mT8_P12ihipStream_tbDpT10_ENKUlT_T0_E_clISt17integral_constantIbLb0EES1B_EEDaS16_S17_EUlS16_E_NS1_11comp_targetILNS1_3genE5ELNS1_11target_archE942ELNS1_3gpuE9ELNS1_3repE0EEENS1_30default_config_static_selectorELNS0_4arch9wavefront6targetE0EEEvT1_: ; @_ZN7rocprim17ROCPRIM_400000_NS6detail17trampoline_kernelINS0_14default_configENS1_25partition_config_selectorILNS1_17partition_subalgoE9EjjbEEZZNS1_14partition_implILS5_9ELb0ES3_jN6thrust23THRUST_200600_302600_NS6detail15normal_iteratorINS9_10device_ptrIjEEEESE_PNS0_10empty_typeENS0_5tupleIJNS9_16discard_iteratorINS9_11use_defaultEEESF_EEENSH_IJSK_SG_EEENS0_18inequality_wrapperINS9_8equal_toIjEEEEPmJSF_EEE10hipError_tPvRmT3_T4_T5_T6_T7_T9_mT8_P12ihipStream_tbDpT10_ENKUlT_T0_E_clISt17integral_constantIbLb0EES1B_EEDaS16_S17_EUlS16_E_NS1_11comp_targetILNS1_3genE5ELNS1_11target_archE942ELNS1_3gpuE9ELNS1_3repE0EEENS1_30default_config_static_selectorELNS0_4arch9wavefront6targetE0EEEvT1_
; %bb.0:
	.section	.rodata,"a",@progbits
	.p2align	6, 0x0
	.amdhsa_kernel _ZN7rocprim17ROCPRIM_400000_NS6detail17trampoline_kernelINS0_14default_configENS1_25partition_config_selectorILNS1_17partition_subalgoE9EjjbEEZZNS1_14partition_implILS5_9ELb0ES3_jN6thrust23THRUST_200600_302600_NS6detail15normal_iteratorINS9_10device_ptrIjEEEESE_PNS0_10empty_typeENS0_5tupleIJNS9_16discard_iteratorINS9_11use_defaultEEESF_EEENSH_IJSK_SG_EEENS0_18inequality_wrapperINS9_8equal_toIjEEEEPmJSF_EEE10hipError_tPvRmT3_T4_T5_T6_T7_T9_mT8_P12ihipStream_tbDpT10_ENKUlT_T0_E_clISt17integral_constantIbLb0EES1B_EEDaS16_S17_EUlS16_E_NS1_11comp_targetILNS1_3genE5ELNS1_11target_archE942ELNS1_3gpuE9ELNS1_3repE0EEENS1_30default_config_static_selectorELNS0_4arch9wavefront6targetE0EEEvT1_
		.amdhsa_group_segment_fixed_size 0
		.amdhsa_private_segment_fixed_size 0
		.amdhsa_kernarg_size 128
		.amdhsa_user_sgpr_count 15
		.amdhsa_user_sgpr_dispatch_ptr 0
		.amdhsa_user_sgpr_queue_ptr 0
		.amdhsa_user_sgpr_kernarg_segment_ptr 1
		.amdhsa_user_sgpr_dispatch_id 0
		.amdhsa_user_sgpr_private_segment_size 0
		.amdhsa_wavefront_size32 1
		.amdhsa_uses_dynamic_stack 0
		.amdhsa_enable_private_segment 0
		.amdhsa_system_sgpr_workgroup_id_x 1
		.amdhsa_system_sgpr_workgroup_id_y 0
		.amdhsa_system_sgpr_workgroup_id_z 0
		.amdhsa_system_sgpr_workgroup_info 0
		.amdhsa_system_vgpr_workitem_id 0
		.amdhsa_next_free_vgpr 1
		.amdhsa_next_free_sgpr 1
		.amdhsa_reserve_vcc 0
		.amdhsa_float_round_mode_32 0
		.amdhsa_float_round_mode_16_64 0
		.amdhsa_float_denorm_mode_32 3
		.amdhsa_float_denorm_mode_16_64 3
		.amdhsa_dx10_clamp 1
		.amdhsa_ieee_mode 1
		.amdhsa_fp16_overflow 0
		.amdhsa_workgroup_processor_mode 1
		.amdhsa_memory_ordered 1
		.amdhsa_forward_progress 0
		.amdhsa_shared_vgpr_count 0
		.amdhsa_exception_fp_ieee_invalid_op 0
		.amdhsa_exception_fp_denorm_src 0
		.amdhsa_exception_fp_ieee_div_zero 0
		.amdhsa_exception_fp_ieee_overflow 0
		.amdhsa_exception_fp_ieee_underflow 0
		.amdhsa_exception_fp_ieee_inexact 0
		.amdhsa_exception_int_div_zero 0
	.end_amdhsa_kernel
	.section	.text._ZN7rocprim17ROCPRIM_400000_NS6detail17trampoline_kernelINS0_14default_configENS1_25partition_config_selectorILNS1_17partition_subalgoE9EjjbEEZZNS1_14partition_implILS5_9ELb0ES3_jN6thrust23THRUST_200600_302600_NS6detail15normal_iteratorINS9_10device_ptrIjEEEESE_PNS0_10empty_typeENS0_5tupleIJNS9_16discard_iteratorINS9_11use_defaultEEESF_EEENSH_IJSK_SG_EEENS0_18inequality_wrapperINS9_8equal_toIjEEEEPmJSF_EEE10hipError_tPvRmT3_T4_T5_T6_T7_T9_mT8_P12ihipStream_tbDpT10_ENKUlT_T0_E_clISt17integral_constantIbLb0EES1B_EEDaS16_S17_EUlS16_E_NS1_11comp_targetILNS1_3genE5ELNS1_11target_archE942ELNS1_3gpuE9ELNS1_3repE0EEENS1_30default_config_static_selectorELNS0_4arch9wavefront6targetE0EEEvT1_,"axG",@progbits,_ZN7rocprim17ROCPRIM_400000_NS6detail17trampoline_kernelINS0_14default_configENS1_25partition_config_selectorILNS1_17partition_subalgoE9EjjbEEZZNS1_14partition_implILS5_9ELb0ES3_jN6thrust23THRUST_200600_302600_NS6detail15normal_iteratorINS9_10device_ptrIjEEEESE_PNS0_10empty_typeENS0_5tupleIJNS9_16discard_iteratorINS9_11use_defaultEEESF_EEENSH_IJSK_SG_EEENS0_18inequality_wrapperINS9_8equal_toIjEEEEPmJSF_EEE10hipError_tPvRmT3_T4_T5_T6_T7_T9_mT8_P12ihipStream_tbDpT10_ENKUlT_T0_E_clISt17integral_constantIbLb0EES1B_EEDaS16_S17_EUlS16_E_NS1_11comp_targetILNS1_3genE5ELNS1_11target_archE942ELNS1_3gpuE9ELNS1_3repE0EEENS1_30default_config_static_selectorELNS0_4arch9wavefront6targetE0EEEvT1_,comdat
.Lfunc_end790:
	.size	_ZN7rocprim17ROCPRIM_400000_NS6detail17trampoline_kernelINS0_14default_configENS1_25partition_config_selectorILNS1_17partition_subalgoE9EjjbEEZZNS1_14partition_implILS5_9ELb0ES3_jN6thrust23THRUST_200600_302600_NS6detail15normal_iteratorINS9_10device_ptrIjEEEESE_PNS0_10empty_typeENS0_5tupleIJNS9_16discard_iteratorINS9_11use_defaultEEESF_EEENSH_IJSK_SG_EEENS0_18inequality_wrapperINS9_8equal_toIjEEEEPmJSF_EEE10hipError_tPvRmT3_T4_T5_T6_T7_T9_mT8_P12ihipStream_tbDpT10_ENKUlT_T0_E_clISt17integral_constantIbLb0EES1B_EEDaS16_S17_EUlS16_E_NS1_11comp_targetILNS1_3genE5ELNS1_11target_archE942ELNS1_3gpuE9ELNS1_3repE0EEENS1_30default_config_static_selectorELNS0_4arch9wavefront6targetE0EEEvT1_, .Lfunc_end790-_ZN7rocprim17ROCPRIM_400000_NS6detail17trampoline_kernelINS0_14default_configENS1_25partition_config_selectorILNS1_17partition_subalgoE9EjjbEEZZNS1_14partition_implILS5_9ELb0ES3_jN6thrust23THRUST_200600_302600_NS6detail15normal_iteratorINS9_10device_ptrIjEEEESE_PNS0_10empty_typeENS0_5tupleIJNS9_16discard_iteratorINS9_11use_defaultEEESF_EEENSH_IJSK_SG_EEENS0_18inequality_wrapperINS9_8equal_toIjEEEEPmJSF_EEE10hipError_tPvRmT3_T4_T5_T6_T7_T9_mT8_P12ihipStream_tbDpT10_ENKUlT_T0_E_clISt17integral_constantIbLb0EES1B_EEDaS16_S17_EUlS16_E_NS1_11comp_targetILNS1_3genE5ELNS1_11target_archE942ELNS1_3gpuE9ELNS1_3repE0EEENS1_30default_config_static_selectorELNS0_4arch9wavefront6targetE0EEEvT1_
                                        ; -- End function
	.section	.AMDGPU.csdata,"",@progbits
; Kernel info:
; codeLenInByte = 0
; NumSgprs: 0
; NumVgprs: 0
; ScratchSize: 0
; MemoryBound: 0
; FloatMode: 240
; IeeeMode: 1
; LDSByteSize: 0 bytes/workgroup (compile time only)
; SGPRBlocks: 0
; VGPRBlocks: 0
; NumSGPRsForWavesPerEU: 1
; NumVGPRsForWavesPerEU: 1
; Occupancy: 16
; WaveLimiterHint : 0
; COMPUTE_PGM_RSRC2:SCRATCH_EN: 0
; COMPUTE_PGM_RSRC2:USER_SGPR: 15
; COMPUTE_PGM_RSRC2:TRAP_HANDLER: 0
; COMPUTE_PGM_RSRC2:TGID_X_EN: 1
; COMPUTE_PGM_RSRC2:TGID_Y_EN: 0
; COMPUTE_PGM_RSRC2:TGID_Z_EN: 0
; COMPUTE_PGM_RSRC2:TIDIG_COMP_CNT: 0
	.section	.text._ZN7rocprim17ROCPRIM_400000_NS6detail17trampoline_kernelINS0_14default_configENS1_25partition_config_selectorILNS1_17partition_subalgoE9EjjbEEZZNS1_14partition_implILS5_9ELb0ES3_jN6thrust23THRUST_200600_302600_NS6detail15normal_iteratorINS9_10device_ptrIjEEEESE_PNS0_10empty_typeENS0_5tupleIJNS9_16discard_iteratorINS9_11use_defaultEEESF_EEENSH_IJSK_SG_EEENS0_18inequality_wrapperINS9_8equal_toIjEEEEPmJSF_EEE10hipError_tPvRmT3_T4_T5_T6_T7_T9_mT8_P12ihipStream_tbDpT10_ENKUlT_T0_E_clISt17integral_constantIbLb0EES1B_EEDaS16_S17_EUlS16_E_NS1_11comp_targetILNS1_3genE4ELNS1_11target_archE910ELNS1_3gpuE8ELNS1_3repE0EEENS1_30default_config_static_selectorELNS0_4arch9wavefront6targetE0EEEvT1_,"axG",@progbits,_ZN7rocprim17ROCPRIM_400000_NS6detail17trampoline_kernelINS0_14default_configENS1_25partition_config_selectorILNS1_17partition_subalgoE9EjjbEEZZNS1_14partition_implILS5_9ELb0ES3_jN6thrust23THRUST_200600_302600_NS6detail15normal_iteratorINS9_10device_ptrIjEEEESE_PNS0_10empty_typeENS0_5tupleIJNS9_16discard_iteratorINS9_11use_defaultEEESF_EEENSH_IJSK_SG_EEENS0_18inequality_wrapperINS9_8equal_toIjEEEEPmJSF_EEE10hipError_tPvRmT3_T4_T5_T6_T7_T9_mT8_P12ihipStream_tbDpT10_ENKUlT_T0_E_clISt17integral_constantIbLb0EES1B_EEDaS16_S17_EUlS16_E_NS1_11comp_targetILNS1_3genE4ELNS1_11target_archE910ELNS1_3gpuE8ELNS1_3repE0EEENS1_30default_config_static_selectorELNS0_4arch9wavefront6targetE0EEEvT1_,comdat
	.protected	_ZN7rocprim17ROCPRIM_400000_NS6detail17trampoline_kernelINS0_14default_configENS1_25partition_config_selectorILNS1_17partition_subalgoE9EjjbEEZZNS1_14partition_implILS5_9ELb0ES3_jN6thrust23THRUST_200600_302600_NS6detail15normal_iteratorINS9_10device_ptrIjEEEESE_PNS0_10empty_typeENS0_5tupleIJNS9_16discard_iteratorINS9_11use_defaultEEESF_EEENSH_IJSK_SG_EEENS0_18inequality_wrapperINS9_8equal_toIjEEEEPmJSF_EEE10hipError_tPvRmT3_T4_T5_T6_T7_T9_mT8_P12ihipStream_tbDpT10_ENKUlT_T0_E_clISt17integral_constantIbLb0EES1B_EEDaS16_S17_EUlS16_E_NS1_11comp_targetILNS1_3genE4ELNS1_11target_archE910ELNS1_3gpuE8ELNS1_3repE0EEENS1_30default_config_static_selectorELNS0_4arch9wavefront6targetE0EEEvT1_ ; -- Begin function _ZN7rocprim17ROCPRIM_400000_NS6detail17trampoline_kernelINS0_14default_configENS1_25partition_config_selectorILNS1_17partition_subalgoE9EjjbEEZZNS1_14partition_implILS5_9ELb0ES3_jN6thrust23THRUST_200600_302600_NS6detail15normal_iteratorINS9_10device_ptrIjEEEESE_PNS0_10empty_typeENS0_5tupleIJNS9_16discard_iteratorINS9_11use_defaultEEESF_EEENSH_IJSK_SG_EEENS0_18inequality_wrapperINS9_8equal_toIjEEEEPmJSF_EEE10hipError_tPvRmT3_T4_T5_T6_T7_T9_mT8_P12ihipStream_tbDpT10_ENKUlT_T0_E_clISt17integral_constantIbLb0EES1B_EEDaS16_S17_EUlS16_E_NS1_11comp_targetILNS1_3genE4ELNS1_11target_archE910ELNS1_3gpuE8ELNS1_3repE0EEENS1_30default_config_static_selectorELNS0_4arch9wavefront6targetE0EEEvT1_
	.globl	_ZN7rocprim17ROCPRIM_400000_NS6detail17trampoline_kernelINS0_14default_configENS1_25partition_config_selectorILNS1_17partition_subalgoE9EjjbEEZZNS1_14partition_implILS5_9ELb0ES3_jN6thrust23THRUST_200600_302600_NS6detail15normal_iteratorINS9_10device_ptrIjEEEESE_PNS0_10empty_typeENS0_5tupleIJNS9_16discard_iteratorINS9_11use_defaultEEESF_EEENSH_IJSK_SG_EEENS0_18inequality_wrapperINS9_8equal_toIjEEEEPmJSF_EEE10hipError_tPvRmT3_T4_T5_T6_T7_T9_mT8_P12ihipStream_tbDpT10_ENKUlT_T0_E_clISt17integral_constantIbLb0EES1B_EEDaS16_S17_EUlS16_E_NS1_11comp_targetILNS1_3genE4ELNS1_11target_archE910ELNS1_3gpuE8ELNS1_3repE0EEENS1_30default_config_static_selectorELNS0_4arch9wavefront6targetE0EEEvT1_
	.p2align	8
	.type	_ZN7rocprim17ROCPRIM_400000_NS6detail17trampoline_kernelINS0_14default_configENS1_25partition_config_selectorILNS1_17partition_subalgoE9EjjbEEZZNS1_14partition_implILS5_9ELb0ES3_jN6thrust23THRUST_200600_302600_NS6detail15normal_iteratorINS9_10device_ptrIjEEEESE_PNS0_10empty_typeENS0_5tupleIJNS9_16discard_iteratorINS9_11use_defaultEEESF_EEENSH_IJSK_SG_EEENS0_18inequality_wrapperINS9_8equal_toIjEEEEPmJSF_EEE10hipError_tPvRmT3_T4_T5_T6_T7_T9_mT8_P12ihipStream_tbDpT10_ENKUlT_T0_E_clISt17integral_constantIbLb0EES1B_EEDaS16_S17_EUlS16_E_NS1_11comp_targetILNS1_3genE4ELNS1_11target_archE910ELNS1_3gpuE8ELNS1_3repE0EEENS1_30default_config_static_selectorELNS0_4arch9wavefront6targetE0EEEvT1_,@function
_ZN7rocprim17ROCPRIM_400000_NS6detail17trampoline_kernelINS0_14default_configENS1_25partition_config_selectorILNS1_17partition_subalgoE9EjjbEEZZNS1_14partition_implILS5_9ELb0ES3_jN6thrust23THRUST_200600_302600_NS6detail15normal_iteratorINS9_10device_ptrIjEEEESE_PNS0_10empty_typeENS0_5tupleIJNS9_16discard_iteratorINS9_11use_defaultEEESF_EEENSH_IJSK_SG_EEENS0_18inequality_wrapperINS9_8equal_toIjEEEEPmJSF_EEE10hipError_tPvRmT3_T4_T5_T6_T7_T9_mT8_P12ihipStream_tbDpT10_ENKUlT_T0_E_clISt17integral_constantIbLb0EES1B_EEDaS16_S17_EUlS16_E_NS1_11comp_targetILNS1_3genE4ELNS1_11target_archE910ELNS1_3gpuE8ELNS1_3repE0EEENS1_30default_config_static_selectorELNS0_4arch9wavefront6targetE0EEEvT1_: ; @_ZN7rocprim17ROCPRIM_400000_NS6detail17trampoline_kernelINS0_14default_configENS1_25partition_config_selectorILNS1_17partition_subalgoE9EjjbEEZZNS1_14partition_implILS5_9ELb0ES3_jN6thrust23THRUST_200600_302600_NS6detail15normal_iteratorINS9_10device_ptrIjEEEESE_PNS0_10empty_typeENS0_5tupleIJNS9_16discard_iteratorINS9_11use_defaultEEESF_EEENSH_IJSK_SG_EEENS0_18inequality_wrapperINS9_8equal_toIjEEEEPmJSF_EEE10hipError_tPvRmT3_T4_T5_T6_T7_T9_mT8_P12ihipStream_tbDpT10_ENKUlT_T0_E_clISt17integral_constantIbLb0EES1B_EEDaS16_S17_EUlS16_E_NS1_11comp_targetILNS1_3genE4ELNS1_11target_archE910ELNS1_3gpuE8ELNS1_3repE0EEENS1_30default_config_static_selectorELNS0_4arch9wavefront6targetE0EEEvT1_
; %bb.0:
	.section	.rodata,"a",@progbits
	.p2align	6, 0x0
	.amdhsa_kernel _ZN7rocprim17ROCPRIM_400000_NS6detail17trampoline_kernelINS0_14default_configENS1_25partition_config_selectorILNS1_17partition_subalgoE9EjjbEEZZNS1_14partition_implILS5_9ELb0ES3_jN6thrust23THRUST_200600_302600_NS6detail15normal_iteratorINS9_10device_ptrIjEEEESE_PNS0_10empty_typeENS0_5tupleIJNS9_16discard_iteratorINS9_11use_defaultEEESF_EEENSH_IJSK_SG_EEENS0_18inequality_wrapperINS9_8equal_toIjEEEEPmJSF_EEE10hipError_tPvRmT3_T4_T5_T6_T7_T9_mT8_P12ihipStream_tbDpT10_ENKUlT_T0_E_clISt17integral_constantIbLb0EES1B_EEDaS16_S17_EUlS16_E_NS1_11comp_targetILNS1_3genE4ELNS1_11target_archE910ELNS1_3gpuE8ELNS1_3repE0EEENS1_30default_config_static_selectorELNS0_4arch9wavefront6targetE0EEEvT1_
		.amdhsa_group_segment_fixed_size 0
		.amdhsa_private_segment_fixed_size 0
		.amdhsa_kernarg_size 128
		.amdhsa_user_sgpr_count 15
		.amdhsa_user_sgpr_dispatch_ptr 0
		.amdhsa_user_sgpr_queue_ptr 0
		.amdhsa_user_sgpr_kernarg_segment_ptr 1
		.amdhsa_user_sgpr_dispatch_id 0
		.amdhsa_user_sgpr_private_segment_size 0
		.amdhsa_wavefront_size32 1
		.amdhsa_uses_dynamic_stack 0
		.amdhsa_enable_private_segment 0
		.amdhsa_system_sgpr_workgroup_id_x 1
		.amdhsa_system_sgpr_workgroup_id_y 0
		.amdhsa_system_sgpr_workgroup_id_z 0
		.amdhsa_system_sgpr_workgroup_info 0
		.amdhsa_system_vgpr_workitem_id 0
		.amdhsa_next_free_vgpr 1
		.amdhsa_next_free_sgpr 1
		.amdhsa_reserve_vcc 0
		.amdhsa_float_round_mode_32 0
		.amdhsa_float_round_mode_16_64 0
		.amdhsa_float_denorm_mode_32 3
		.amdhsa_float_denorm_mode_16_64 3
		.amdhsa_dx10_clamp 1
		.amdhsa_ieee_mode 1
		.amdhsa_fp16_overflow 0
		.amdhsa_workgroup_processor_mode 1
		.amdhsa_memory_ordered 1
		.amdhsa_forward_progress 0
		.amdhsa_shared_vgpr_count 0
		.amdhsa_exception_fp_ieee_invalid_op 0
		.amdhsa_exception_fp_denorm_src 0
		.amdhsa_exception_fp_ieee_div_zero 0
		.amdhsa_exception_fp_ieee_overflow 0
		.amdhsa_exception_fp_ieee_underflow 0
		.amdhsa_exception_fp_ieee_inexact 0
		.amdhsa_exception_int_div_zero 0
	.end_amdhsa_kernel
	.section	.text._ZN7rocprim17ROCPRIM_400000_NS6detail17trampoline_kernelINS0_14default_configENS1_25partition_config_selectorILNS1_17partition_subalgoE9EjjbEEZZNS1_14partition_implILS5_9ELb0ES3_jN6thrust23THRUST_200600_302600_NS6detail15normal_iteratorINS9_10device_ptrIjEEEESE_PNS0_10empty_typeENS0_5tupleIJNS9_16discard_iteratorINS9_11use_defaultEEESF_EEENSH_IJSK_SG_EEENS0_18inequality_wrapperINS9_8equal_toIjEEEEPmJSF_EEE10hipError_tPvRmT3_T4_T5_T6_T7_T9_mT8_P12ihipStream_tbDpT10_ENKUlT_T0_E_clISt17integral_constantIbLb0EES1B_EEDaS16_S17_EUlS16_E_NS1_11comp_targetILNS1_3genE4ELNS1_11target_archE910ELNS1_3gpuE8ELNS1_3repE0EEENS1_30default_config_static_selectorELNS0_4arch9wavefront6targetE0EEEvT1_,"axG",@progbits,_ZN7rocprim17ROCPRIM_400000_NS6detail17trampoline_kernelINS0_14default_configENS1_25partition_config_selectorILNS1_17partition_subalgoE9EjjbEEZZNS1_14partition_implILS5_9ELb0ES3_jN6thrust23THRUST_200600_302600_NS6detail15normal_iteratorINS9_10device_ptrIjEEEESE_PNS0_10empty_typeENS0_5tupleIJNS9_16discard_iteratorINS9_11use_defaultEEESF_EEENSH_IJSK_SG_EEENS0_18inequality_wrapperINS9_8equal_toIjEEEEPmJSF_EEE10hipError_tPvRmT3_T4_T5_T6_T7_T9_mT8_P12ihipStream_tbDpT10_ENKUlT_T0_E_clISt17integral_constantIbLb0EES1B_EEDaS16_S17_EUlS16_E_NS1_11comp_targetILNS1_3genE4ELNS1_11target_archE910ELNS1_3gpuE8ELNS1_3repE0EEENS1_30default_config_static_selectorELNS0_4arch9wavefront6targetE0EEEvT1_,comdat
.Lfunc_end791:
	.size	_ZN7rocprim17ROCPRIM_400000_NS6detail17trampoline_kernelINS0_14default_configENS1_25partition_config_selectorILNS1_17partition_subalgoE9EjjbEEZZNS1_14partition_implILS5_9ELb0ES3_jN6thrust23THRUST_200600_302600_NS6detail15normal_iteratorINS9_10device_ptrIjEEEESE_PNS0_10empty_typeENS0_5tupleIJNS9_16discard_iteratorINS9_11use_defaultEEESF_EEENSH_IJSK_SG_EEENS0_18inequality_wrapperINS9_8equal_toIjEEEEPmJSF_EEE10hipError_tPvRmT3_T4_T5_T6_T7_T9_mT8_P12ihipStream_tbDpT10_ENKUlT_T0_E_clISt17integral_constantIbLb0EES1B_EEDaS16_S17_EUlS16_E_NS1_11comp_targetILNS1_3genE4ELNS1_11target_archE910ELNS1_3gpuE8ELNS1_3repE0EEENS1_30default_config_static_selectorELNS0_4arch9wavefront6targetE0EEEvT1_, .Lfunc_end791-_ZN7rocprim17ROCPRIM_400000_NS6detail17trampoline_kernelINS0_14default_configENS1_25partition_config_selectorILNS1_17partition_subalgoE9EjjbEEZZNS1_14partition_implILS5_9ELb0ES3_jN6thrust23THRUST_200600_302600_NS6detail15normal_iteratorINS9_10device_ptrIjEEEESE_PNS0_10empty_typeENS0_5tupleIJNS9_16discard_iteratorINS9_11use_defaultEEESF_EEENSH_IJSK_SG_EEENS0_18inequality_wrapperINS9_8equal_toIjEEEEPmJSF_EEE10hipError_tPvRmT3_T4_T5_T6_T7_T9_mT8_P12ihipStream_tbDpT10_ENKUlT_T0_E_clISt17integral_constantIbLb0EES1B_EEDaS16_S17_EUlS16_E_NS1_11comp_targetILNS1_3genE4ELNS1_11target_archE910ELNS1_3gpuE8ELNS1_3repE0EEENS1_30default_config_static_selectorELNS0_4arch9wavefront6targetE0EEEvT1_
                                        ; -- End function
	.section	.AMDGPU.csdata,"",@progbits
; Kernel info:
; codeLenInByte = 0
; NumSgprs: 0
; NumVgprs: 0
; ScratchSize: 0
; MemoryBound: 0
; FloatMode: 240
; IeeeMode: 1
; LDSByteSize: 0 bytes/workgroup (compile time only)
; SGPRBlocks: 0
; VGPRBlocks: 0
; NumSGPRsForWavesPerEU: 1
; NumVGPRsForWavesPerEU: 1
; Occupancy: 15
; WaveLimiterHint : 0
; COMPUTE_PGM_RSRC2:SCRATCH_EN: 0
; COMPUTE_PGM_RSRC2:USER_SGPR: 15
; COMPUTE_PGM_RSRC2:TRAP_HANDLER: 0
; COMPUTE_PGM_RSRC2:TGID_X_EN: 1
; COMPUTE_PGM_RSRC2:TGID_Y_EN: 0
; COMPUTE_PGM_RSRC2:TGID_Z_EN: 0
; COMPUTE_PGM_RSRC2:TIDIG_COMP_CNT: 0
	.section	.text._ZN7rocprim17ROCPRIM_400000_NS6detail17trampoline_kernelINS0_14default_configENS1_25partition_config_selectorILNS1_17partition_subalgoE9EjjbEEZZNS1_14partition_implILS5_9ELb0ES3_jN6thrust23THRUST_200600_302600_NS6detail15normal_iteratorINS9_10device_ptrIjEEEESE_PNS0_10empty_typeENS0_5tupleIJNS9_16discard_iteratorINS9_11use_defaultEEESF_EEENSH_IJSK_SG_EEENS0_18inequality_wrapperINS9_8equal_toIjEEEEPmJSF_EEE10hipError_tPvRmT3_T4_T5_T6_T7_T9_mT8_P12ihipStream_tbDpT10_ENKUlT_T0_E_clISt17integral_constantIbLb0EES1B_EEDaS16_S17_EUlS16_E_NS1_11comp_targetILNS1_3genE3ELNS1_11target_archE908ELNS1_3gpuE7ELNS1_3repE0EEENS1_30default_config_static_selectorELNS0_4arch9wavefront6targetE0EEEvT1_,"axG",@progbits,_ZN7rocprim17ROCPRIM_400000_NS6detail17trampoline_kernelINS0_14default_configENS1_25partition_config_selectorILNS1_17partition_subalgoE9EjjbEEZZNS1_14partition_implILS5_9ELb0ES3_jN6thrust23THRUST_200600_302600_NS6detail15normal_iteratorINS9_10device_ptrIjEEEESE_PNS0_10empty_typeENS0_5tupleIJNS9_16discard_iteratorINS9_11use_defaultEEESF_EEENSH_IJSK_SG_EEENS0_18inequality_wrapperINS9_8equal_toIjEEEEPmJSF_EEE10hipError_tPvRmT3_T4_T5_T6_T7_T9_mT8_P12ihipStream_tbDpT10_ENKUlT_T0_E_clISt17integral_constantIbLb0EES1B_EEDaS16_S17_EUlS16_E_NS1_11comp_targetILNS1_3genE3ELNS1_11target_archE908ELNS1_3gpuE7ELNS1_3repE0EEENS1_30default_config_static_selectorELNS0_4arch9wavefront6targetE0EEEvT1_,comdat
	.protected	_ZN7rocprim17ROCPRIM_400000_NS6detail17trampoline_kernelINS0_14default_configENS1_25partition_config_selectorILNS1_17partition_subalgoE9EjjbEEZZNS1_14partition_implILS5_9ELb0ES3_jN6thrust23THRUST_200600_302600_NS6detail15normal_iteratorINS9_10device_ptrIjEEEESE_PNS0_10empty_typeENS0_5tupleIJNS9_16discard_iteratorINS9_11use_defaultEEESF_EEENSH_IJSK_SG_EEENS0_18inequality_wrapperINS9_8equal_toIjEEEEPmJSF_EEE10hipError_tPvRmT3_T4_T5_T6_T7_T9_mT8_P12ihipStream_tbDpT10_ENKUlT_T0_E_clISt17integral_constantIbLb0EES1B_EEDaS16_S17_EUlS16_E_NS1_11comp_targetILNS1_3genE3ELNS1_11target_archE908ELNS1_3gpuE7ELNS1_3repE0EEENS1_30default_config_static_selectorELNS0_4arch9wavefront6targetE0EEEvT1_ ; -- Begin function _ZN7rocprim17ROCPRIM_400000_NS6detail17trampoline_kernelINS0_14default_configENS1_25partition_config_selectorILNS1_17partition_subalgoE9EjjbEEZZNS1_14partition_implILS5_9ELb0ES3_jN6thrust23THRUST_200600_302600_NS6detail15normal_iteratorINS9_10device_ptrIjEEEESE_PNS0_10empty_typeENS0_5tupleIJNS9_16discard_iteratorINS9_11use_defaultEEESF_EEENSH_IJSK_SG_EEENS0_18inequality_wrapperINS9_8equal_toIjEEEEPmJSF_EEE10hipError_tPvRmT3_T4_T5_T6_T7_T9_mT8_P12ihipStream_tbDpT10_ENKUlT_T0_E_clISt17integral_constantIbLb0EES1B_EEDaS16_S17_EUlS16_E_NS1_11comp_targetILNS1_3genE3ELNS1_11target_archE908ELNS1_3gpuE7ELNS1_3repE0EEENS1_30default_config_static_selectorELNS0_4arch9wavefront6targetE0EEEvT1_
	.globl	_ZN7rocprim17ROCPRIM_400000_NS6detail17trampoline_kernelINS0_14default_configENS1_25partition_config_selectorILNS1_17partition_subalgoE9EjjbEEZZNS1_14partition_implILS5_9ELb0ES3_jN6thrust23THRUST_200600_302600_NS6detail15normal_iteratorINS9_10device_ptrIjEEEESE_PNS0_10empty_typeENS0_5tupleIJNS9_16discard_iteratorINS9_11use_defaultEEESF_EEENSH_IJSK_SG_EEENS0_18inequality_wrapperINS9_8equal_toIjEEEEPmJSF_EEE10hipError_tPvRmT3_T4_T5_T6_T7_T9_mT8_P12ihipStream_tbDpT10_ENKUlT_T0_E_clISt17integral_constantIbLb0EES1B_EEDaS16_S17_EUlS16_E_NS1_11comp_targetILNS1_3genE3ELNS1_11target_archE908ELNS1_3gpuE7ELNS1_3repE0EEENS1_30default_config_static_selectorELNS0_4arch9wavefront6targetE0EEEvT1_
	.p2align	8
	.type	_ZN7rocprim17ROCPRIM_400000_NS6detail17trampoline_kernelINS0_14default_configENS1_25partition_config_selectorILNS1_17partition_subalgoE9EjjbEEZZNS1_14partition_implILS5_9ELb0ES3_jN6thrust23THRUST_200600_302600_NS6detail15normal_iteratorINS9_10device_ptrIjEEEESE_PNS0_10empty_typeENS0_5tupleIJNS9_16discard_iteratorINS9_11use_defaultEEESF_EEENSH_IJSK_SG_EEENS0_18inequality_wrapperINS9_8equal_toIjEEEEPmJSF_EEE10hipError_tPvRmT3_T4_T5_T6_T7_T9_mT8_P12ihipStream_tbDpT10_ENKUlT_T0_E_clISt17integral_constantIbLb0EES1B_EEDaS16_S17_EUlS16_E_NS1_11comp_targetILNS1_3genE3ELNS1_11target_archE908ELNS1_3gpuE7ELNS1_3repE0EEENS1_30default_config_static_selectorELNS0_4arch9wavefront6targetE0EEEvT1_,@function
_ZN7rocprim17ROCPRIM_400000_NS6detail17trampoline_kernelINS0_14default_configENS1_25partition_config_selectorILNS1_17partition_subalgoE9EjjbEEZZNS1_14partition_implILS5_9ELb0ES3_jN6thrust23THRUST_200600_302600_NS6detail15normal_iteratorINS9_10device_ptrIjEEEESE_PNS0_10empty_typeENS0_5tupleIJNS9_16discard_iteratorINS9_11use_defaultEEESF_EEENSH_IJSK_SG_EEENS0_18inequality_wrapperINS9_8equal_toIjEEEEPmJSF_EEE10hipError_tPvRmT3_T4_T5_T6_T7_T9_mT8_P12ihipStream_tbDpT10_ENKUlT_T0_E_clISt17integral_constantIbLb0EES1B_EEDaS16_S17_EUlS16_E_NS1_11comp_targetILNS1_3genE3ELNS1_11target_archE908ELNS1_3gpuE7ELNS1_3repE0EEENS1_30default_config_static_selectorELNS0_4arch9wavefront6targetE0EEEvT1_: ; @_ZN7rocprim17ROCPRIM_400000_NS6detail17trampoline_kernelINS0_14default_configENS1_25partition_config_selectorILNS1_17partition_subalgoE9EjjbEEZZNS1_14partition_implILS5_9ELb0ES3_jN6thrust23THRUST_200600_302600_NS6detail15normal_iteratorINS9_10device_ptrIjEEEESE_PNS0_10empty_typeENS0_5tupleIJNS9_16discard_iteratorINS9_11use_defaultEEESF_EEENSH_IJSK_SG_EEENS0_18inequality_wrapperINS9_8equal_toIjEEEEPmJSF_EEE10hipError_tPvRmT3_T4_T5_T6_T7_T9_mT8_P12ihipStream_tbDpT10_ENKUlT_T0_E_clISt17integral_constantIbLb0EES1B_EEDaS16_S17_EUlS16_E_NS1_11comp_targetILNS1_3genE3ELNS1_11target_archE908ELNS1_3gpuE7ELNS1_3repE0EEENS1_30default_config_static_selectorELNS0_4arch9wavefront6targetE0EEEvT1_
; %bb.0:
	.section	.rodata,"a",@progbits
	.p2align	6, 0x0
	.amdhsa_kernel _ZN7rocprim17ROCPRIM_400000_NS6detail17trampoline_kernelINS0_14default_configENS1_25partition_config_selectorILNS1_17partition_subalgoE9EjjbEEZZNS1_14partition_implILS5_9ELb0ES3_jN6thrust23THRUST_200600_302600_NS6detail15normal_iteratorINS9_10device_ptrIjEEEESE_PNS0_10empty_typeENS0_5tupleIJNS9_16discard_iteratorINS9_11use_defaultEEESF_EEENSH_IJSK_SG_EEENS0_18inequality_wrapperINS9_8equal_toIjEEEEPmJSF_EEE10hipError_tPvRmT3_T4_T5_T6_T7_T9_mT8_P12ihipStream_tbDpT10_ENKUlT_T0_E_clISt17integral_constantIbLb0EES1B_EEDaS16_S17_EUlS16_E_NS1_11comp_targetILNS1_3genE3ELNS1_11target_archE908ELNS1_3gpuE7ELNS1_3repE0EEENS1_30default_config_static_selectorELNS0_4arch9wavefront6targetE0EEEvT1_
		.amdhsa_group_segment_fixed_size 0
		.amdhsa_private_segment_fixed_size 0
		.amdhsa_kernarg_size 128
		.amdhsa_user_sgpr_count 15
		.amdhsa_user_sgpr_dispatch_ptr 0
		.amdhsa_user_sgpr_queue_ptr 0
		.amdhsa_user_sgpr_kernarg_segment_ptr 1
		.amdhsa_user_sgpr_dispatch_id 0
		.amdhsa_user_sgpr_private_segment_size 0
		.amdhsa_wavefront_size32 1
		.amdhsa_uses_dynamic_stack 0
		.amdhsa_enable_private_segment 0
		.amdhsa_system_sgpr_workgroup_id_x 1
		.amdhsa_system_sgpr_workgroup_id_y 0
		.amdhsa_system_sgpr_workgroup_id_z 0
		.amdhsa_system_sgpr_workgroup_info 0
		.amdhsa_system_vgpr_workitem_id 0
		.amdhsa_next_free_vgpr 1
		.amdhsa_next_free_sgpr 1
		.amdhsa_reserve_vcc 0
		.amdhsa_float_round_mode_32 0
		.amdhsa_float_round_mode_16_64 0
		.amdhsa_float_denorm_mode_32 3
		.amdhsa_float_denorm_mode_16_64 3
		.amdhsa_dx10_clamp 1
		.amdhsa_ieee_mode 1
		.amdhsa_fp16_overflow 0
		.amdhsa_workgroup_processor_mode 1
		.amdhsa_memory_ordered 1
		.amdhsa_forward_progress 0
		.amdhsa_shared_vgpr_count 0
		.amdhsa_exception_fp_ieee_invalid_op 0
		.amdhsa_exception_fp_denorm_src 0
		.amdhsa_exception_fp_ieee_div_zero 0
		.amdhsa_exception_fp_ieee_overflow 0
		.amdhsa_exception_fp_ieee_underflow 0
		.amdhsa_exception_fp_ieee_inexact 0
		.amdhsa_exception_int_div_zero 0
	.end_amdhsa_kernel
	.section	.text._ZN7rocprim17ROCPRIM_400000_NS6detail17trampoline_kernelINS0_14default_configENS1_25partition_config_selectorILNS1_17partition_subalgoE9EjjbEEZZNS1_14partition_implILS5_9ELb0ES3_jN6thrust23THRUST_200600_302600_NS6detail15normal_iteratorINS9_10device_ptrIjEEEESE_PNS0_10empty_typeENS0_5tupleIJNS9_16discard_iteratorINS9_11use_defaultEEESF_EEENSH_IJSK_SG_EEENS0_18inequality_wrapperINS9_8equal_toIjEEEEPmJSF_EEE10hipError_tPvRmT3_T4_T5_T6_T7_T9_mT8_P12ihipStream_tbDpT10_ENKUlT_T0_E_clISt17integral_constantIbLb0EES1B_EEDaS16_S17_EUlS16_E_NS1_11comp_targetILNS1_3genE3ELNS1_11target_archE908ELNS1_3gpuE7ELNS1_3repE0EEENS1_30default_config_static_selectorELNS0_4arch9wavefront6targetE0EEEvT1_,"axG",@progbits,_ZN7rocprim17ROCPRIM_400000_NS6detail17trampoline_kernelINS0_14default_configENS1_25partition_config_selectorILNS1_17partition_subalgoE9EjjbEEZZNS1_14partition_implILS5_9ELb0ES3_jN6thrust23THRUST_200600_302600_NS6detail15normal_iteratorINS9_10device_ptrIjEEEESE_PNS0_10empty_typeENS0_5tupleIJNS9_16discard_iteratorINS9_11use_defaultEEESF_EEENSH_IJSK_SG_EEENS0_18inequality_wrapperINS9_8equal_toIjEEEEPmJSF_EEE10hipError_tPvRmT3_T4_T5_T6_T7_T9_mT8_P12ihipStream_tbDpT10_ENKUlT_T0_E_clISt17integral_constantIbLb0EES1B_EEDaS16_S17_EUlS16_E_NS1_11comp_targetILNS1_3genE3ELNS1_11target_archE908ELNS1_3gpuE7ELNS1_3repE0EEENS1_30default_config_static_selectorELNS0_4arch9wavefront6targetE0EEEvT1_,comdat
.Lfunc_end792:
	.size	_ZN7rocprim17ROCPRIM_400000_NS6detail17trampoline_kernelINS0_14default_configENS1_25partition_config_selectorILNS1_17partition_subalgoE9EjjbEEZZNS1_14partition_implILS5_9ELb0ES3_jN6thrust23THRUST_200600_302600_NS6detail15normal_iteratorINS9_10device_ptrIjEEEESE_PNS0_10empty_typeENS0_5tupleIJNS9_16discard_iteratorINS9_11use_defaultEEESF_EEENSH_IJSK_SG_EEENS0_18inequality_wrapperINS9_8equal_toIjEEEEPmJSF_EEE10hipError_tPvRmT3_T4_T5_T6_T7_T9_mT8_P12ihipStream_tbDpT10_ENKUlT_T0_E_clISt17integral_constantIbLb0EES1B_EEDaS16_S17_EUlS16_E_NS1_11comp_targetILNS1_3genE3ELNS1_11target_archE908ELNS1_3gpuE7ELNS1_3repE0EEENS1_30default_config_static_selectorELNS0_4arch9wavefront6targetE0EEEvT1_, .Lfunc_end792-_ZN7rocprim17ROCPRIM_400000_NS6detail17trampoline_kernelINS0_14default_configENS1_25partition_config_selectorILNS1_17partition_subalgoE9EjjbEEZZNS1_14partition_implILS5_9ELb0ES3_jN6thrust23THRUST_200600_302600_NS6detail15normal_iteratorINS9_10device_ptrIjEEEESE_PNS0_10empty_typeENS0_5tupleIJNS9_16discard_iteratorINS9_11use_defaultEEESF_EEENSH_IJSK_SG_EEENS0_18inequality_wrapperINS9_8equal_toIjEEEEPmJSF_EEE10hipError_tPvRmT3_T4_T5_T6_T7_T9_mT8_P12ihipStream_tbDpT10_ENKUlT_T0_E_clISt17integral_constantIbLb0EES1B_EEDaS16_S17_EUlS16_E_NS1_11comp_targetILNS1_3genE3ELNS1_11target_archE908ELNS1_3gpuE7ELNS1_3repE0EEENS1_30default_config_static_selectorELNS0_4arch9wavefront6targetE0EEEvT1_
                                        ; -- End function
	.section	.AMDGPU.csdata,"",@progbits
; Kernel info:
; codeLenInByte = 0
; NumSgprs: 0
; NumVgprs: 0
; ScratchSize: 0
; MemoryBound: 0
; FloatMode: 240
; IeeeMode: 1
; LDSByteSize: 0 bytes/workgroup (compile time only)
; SGPRBlocks: 0
; VGPRBlocks: 0
; NumSGPRsForWavesPerEU: 1
; NumVGPRsForWavesPerEU: 1
; Occupancy: 16
; WaveLimiterHint : 0
; COMPUTE_PGM_RSRC2:SCRATCH_EN: 0
; COMPUTE_PGM_RSRC2:USER_SGPR: 15
; COMPUTE_PGM_RSRC2:TRAP_HANDLER: 0
; COMPUTE_PGM_RSRC2:TGID_X_EN: 1
; COMPUTE_PGM_RSRC2:TGID_Y_EN: 0
; COMPUTE_PGM_RSRC2:TGID_Z_EN: 0
; COMPUTE_PGM_RSRC2:TIDIG_COMP_CNT: 0
	.section	.text._ZN7rocprim17ROCPRIM_400000_NS6detail17trampoline_kernelINS0_14default_configENS1_25partition_config_selectorILNS1_17partition_subalgoE9EjjbEEZZNS1_14partition_implILS5_9ELb0ES3_jN6thrust23THRUST_200600_302600_NS6detail15normal_iteratorINS9_10device_ptrIjEEEESE_PNS0_10empty_typeENS0_5tupleIJNS9_16discard_iteratorINS9_11use_defaultEEESF_EEENSH_IJSK_SG_EEENS0_18inequality_wrapperINS9_8equal_toIjEEEEPmJSF_EEE10hipError_tPvRmT3_T4_T5_T6_T7_T9_mT8_P12ihipStream_tbDpT10_ENKUlT_T0_E_clISt17integral_constantIbLb0EES1B_EEDaS16_S17_EUlS16_E_NS1_11comp_targetILNS1_3genE2ELNS1_11target_archE906ELNS1_3gpuE6ELNS1_3repE0EEENS1_30default_config_static_selectorELNS0_4arch9wavefront6targetE0EEEvT1_,"axG",@progbits,_ZN7rocprim17ROCPRIM_400000_NS6detail17trampoline_kernelINS0_14default_configENS1_25partition_config_selectorILNS1_17partition_subalgoE9EjjbEEZZNS1_14partition_implILS5_9ELb0ES3_jN6thrust23THRUST_200600_302600_NS6detail15normal_iteratorINS9_10device_ptrIjEEEESE_PNS0_10empty_typeENS0_5tupleIJNS9_16discard_iteratorINS9_11use_defaultEEESF_EEENSH_IJSK_SG_EEENS0_18inequality_wrapperINS9_8equal_toIjEEEEPmJSF_EEE10hipError_tPvRmT3_T4_T5_T6_T7_T9_mT8_P12ihipStream_tbDpT10_ENKUlT_T0_E_clISt17integral_constantIbLb0EES1B_EEDaS16_S17_EUlS16_E_NS1_11comp_targetILNS1_3genE2ELNS1_11target_archE906ELNS1_3gpuE6ELNS1_3repE0EEENS1_30default_config_static_selectorELNS0_4arch9wavefront6targetE0EEEvT1_,comdat
	.protected	_ZN7rocprim17ROCPRIM_400000_NS6detail17trampoline_kernelINS0_14default_configENS1_25partition_config_selectorILNS1_17partition_subalgoE9EjjbEEZZNS1_14partition_implILS5_9ELb0ES3_jN6thrust23THRUST_200600_302600_NS6detail15normal_iteratorINS9_10device_ptrIjEEEESE_PNS0_10empty_typeENS0_5tupleIJNS9_16discard_iteratorINS9_11use_defaultEEESF_EEENSH_IJSK_SG_EEENS0_18inequality_wrapperINS9_8equal_toIjEEEEPmJSF_EEE10hipError_tPvRmT3_T4_T5_T6_T7_T9_mT8_P12ihipStream_tbDpT10_ENKUlT_T0_E_clISt17integral_constantIbLb0EES1B_EEDaS16_S17_EUlS16_E_NS1_11comp_targetILNS1_3genE2ELNS1_11target_archE906ELNS1_3gpuE6ELNS1_3repE0EEENS1_30default_config_static_selectorELNS0_4arch9wavefront6targetE0EEEvT1_ ; -- Begin function _ZN7rocprim17ROCPRIM_400000_NS6detail17trampoline_kernelINS0_14default_configENS1_25partition_config_selectorILNS1_17partition_subalgoE9EjjbEEZZNS1_14partition_implILS5_9ELb0ES3_jN6thrust23THRUST_200600_302600_NS6detail15normal_iteratorINS9_10device_ptrIjEEEESE_PNS0_10empty_typeENS0_5tupleIJNS9_16discard_iteratorINS9_11use_defaultEEESF_EEENSH_IJSK_SG_EEENS0_18inequality_wrapperINS9_8equal_toIjEEEEPmJSF_EEE10hipError_tPvRmT3_T4_T5_T6_T7_T9_mT8_P12ihipStream_tbDpT10_ENKUlT_T0_E_clISt17integral_constantIbLb0EES1B_EEDaS16_S17_EUlS16_E_NS1_11comp_targetILNS1_3genE2ELNS1_11target_archE906ELNS1_3gpuE6ELNS1_3repE0EEENS1_30default_config_static_selectorELNS0_4arch9wavefront6targetE0EEEvT1_
	.globl	_ZN7rocprim17ROCPRIM_400000_NS6detail17trampoline_kernelINS0_14default_configENS1_25partition_config_selectorILNS1_17partition_subalgoE9EjjbEEZZNS1_14partition_implILS5_9ELb0ES3_jN6thrust23THRUST_200600_302600_NS6detail15normal_iteratorINS9_10device_ptrIjEEEESE_PNS0_10empty_typeENS0_5tupleIJNS9_16discard_iteratorINS9_11use_defaultEEESF_EEENSH_IJSK_SG_EEENS0_18inequality_wrapperINS9_8equal_toIjEEEEPmJSF_EEE10hipError_tPvRmT3_T4_T5_T6_T7_T9_mT8_P12ihipStream_tbDpT10_ENKUlT_T0_E_clISt17integral_constantIbLb0EES1B_EEDaS16_S17_EUlS16_E_NS1_11comp_targetILNS1_3genE2ELNS1_11target_archE906ELNS1_3gpuE6ELNS1_3repE0EEENS1_30default_config_static_selectorELNS0_4arch9wavefront6targetE0EEEvT1_
	.p2align	8
	.type	_ZN7rocprim17ROCPRIM_400000_NS6detail17trampoline_kernelINS0_14default_configENS1_25partition_config_selectorILNS1_17partition_subalgoE9EjjbEEZZNS1_14partition_implILS5_9ELb0ES3_jN6thrust23THRUST_200600_302600_NS6detail15normal_iteratorINS9_10device_ptrIjEEEESE_PNS0_10empty_typeENS0_5tupleIJNS9_16discard_iteratorINS9_11use_defaultEEESF_EEENSH_IJSK_SG_EEENS0_18inequality_wrapperINS9_8equal_toIjEEEEPmJSF_EEE10hipError_tPvRmT3_T4_T5_T6_T7_T9_mT8_P12ihipStream_tbDpT10_ENKUlT_T0_E_clISt17integral_constantIbLb0EES1B_EEDaS16_S17_EUlS16_E_NS1_11comp_targetILNS1_3genE2ELNS1_11target_archE906ELNS1_3gpuE6ELNS1_3repE0EEENS1_30default_config_static_selectorELNS0_4arch9wavefront6targetE0EEEvT1_,@function
_ZN7rocprim17ROCPRIM_400000_NS6detail17trampoline_kernelINS0_14default_configENS1_25partition_config_selectorILNS1_17partition_subalgoE9EjjbEEZZNS1_14partition_implILS5_9ELb0ES3_jN6thrust23THRUST_200600_302600_NS6detail15normal_iteratorINS9_10device_ptrIjEEEESE_PNS0_10empty_typeENS0_5tupleIJNS9_16discard_iteratorINS9_11use_defaultEEESF_EEENSH_IJSK_SG_EEENS0_18inequality_wrapperINS9_8equal_toIjEEEEPmJSF_EEE10hipError_tPvRmT3_T4_T5_T6_T7_T9_mT8_P12ihipStream_tbDpT10_ENKUlT_T0_E_clISt17integral_constantIbLb0EES1B_EEDaS16_S17_EUlS16_E_NS1_11comp_targetILNS1_3genE2ELNS1_11target_archE906ELNS1_3gpuE6ELNS1_3repE0EEENS1_30default_config_static_selectorELNS0_4arch9wavefront6targetE0EEEvT1_: ; @_ZN7rocprim17ROCPRIM_400000_NS6detail17trampoline_kernelINS0_14default_configENS1_25partition_config_selectorILNS1_17partition_subalgoE9EjjbEEZZNS1_14partition_implILS5_9ELb0ES3_jN6thrust23THRUST_200600_302600_NS6detail15normal_iteratorINS9_10device_ptrIjEEEESE_PNS0_10empty_typeENS0_5tupleIJNS9_16discard_iteratorINS9_11use_defaultEEESF_EEENSH_IJSK_SG_EEENS0_18inequality_wrapperINS9_8equal_toIjEEEEPmJSF_EEE10hipError_tPvRmT3_T4_T5_T6_T7_T9_mT8_P12ihipStream_tbDpT10_ENKUlT_T0_E_clISt17integral_constantIbLb0EES1B_EEDaS16_S17_EUlS16_E_NS1_11comp_targetILNS1_3genE2ELNS1_11target_archE906ELNS1_3gpuE6ELNS1_3repE0EEENS1_30default_config_static_selectorELNS0_4arch9wavefront6targetE0EEEvT1_
; %bb.0:
	.section	.rodata,"a",@progbits
	.p2align	6, 0x0
	.amdhsa_kernel _ZN7rocprim17ROCPRIM_400000_NS6detail17trampoline_kernelINS0_14default_configENS1_25partition_config_selectorILNS1_17partition_subalgoE9EjjbEEZZNS1_14partition_implILS5_9ELb0ES3_jN6thrust23THRUST_200600_302600_NS6detail15normal_iteratorINS9_10device_ptrIjEEEESE_PNS0_10empty_typeENS0_5tupleIJNS9_16discard_iteratorINS9_11use_defaultEEESF_EEENSH_IJSK_SG_EEENS0_18inequality_wrapperINS9_8equal_toIjEEEEPmJSF_EEE10hipError_tPvRmT3_T4_T5_T6_T7_T9_mT8_P12ihipStream_tbDpT10_ENKUlT_T0_E_clISt17integral_constantIbLb0EES1B_EEDaS16_S17_EUlS16_E_NS1_11comp_targetILNS1_3genE2ELNS1_11target_archE906ELNS1_3gpuE6ELNS1_3repE0EEENS1_30default_config_static_selectorELNS0_4arch9wavefront6targetE0EEEvT1_
		.amdhsa_group_segment_fixed_size 0
		.amdhsa_private_segment_fixed_size 0
		.amdhsa_kernarg_size 128
		.amdhsa_user_sgpr_count 15
		.amdhsa_user_sgpr_dispatch_ptr 0
		.amdhsa_user_sgpr_queue_ptr 0
		.amdhsa_user_sgpr_kernarg_segment_ptr 1
		.amdhsa_user_sgpr_dispatch_id 0
		.amdhsa_user_sgpr_private_segment_size 0
		.amdhsa_wavefront_size32 1
		.amdhsa_uses_dynamic_stack 0
		.amdhsa_enable_private_segment 0
		.amdhsa_system_sgpr_workgroup_id_x 1
		.amdhsa_system_sgpr_workgroup_id_y 0
		.amdhsa_system_sgpr_workgroup_id_z 0
		.amdhsa_system_sgpr_workgroup_info 0
		.amdhsa_system_vgpr_workitem_id 0
		.amdhsa_next_free_vgpr 1
		.amdhsa_next_free_sgpr 1
		.amdhsa_reserve_vcc 0
		.amdhsa_float_round_mode_32 0
		.amdhsa_float_round_mode_16_64 0
		.amdhsa_float_denorm_mode_32 3
		.amdhsa_float_denorm_mode_16_64 3
		.amdhsa_dx10_clamp 1
		.amdhsa_ieee_mode 1
		.amdhsa_fp16_overflow 0
		.amdhsa_workgroup_processor_mode 1
		.amdhsa_memory_ordered 1
		.amdhsa_forward_progress 0
		.amdhsa_shared_vgpr_count 0
		.amdhsa_exception_fp_ieee_invalid_op 0
		.amdhsa_exception_fp_denorm_src 0
		.amdhsa_exception_fp_ieee_div_zero 0
		.amdhsa_exception_fp_ieee_overflow 0
		.amdhsa_exception_fp_ieee_underflow 0
		.amdhsa_exception_fp_ieee_inexact 0
		.amdhsa_exception_int_div_zero 0
	.end_amdhsa_kernel
	.section	.text._ZN7rocprim17ROCPRIM_400000_NS6detail17trampoline_kernelINS0_14default_configENS1_25partition_config_selectorILNS1_17partition_subalgoE9EjjbEEZZNS1_14partition_implILS5_9ELb0ES3_jN6thrust23THRUST_200600_302600_NS6detail15normal_iteratorINS9_10device_ptrIjEEEESE_PNS0_10empty_typeENS0_5tupleIJNS9_16discard_iteratorINS9_11use_defaultEEESF_EEENSH_IJSK_SG_EEENS0_18inequality_wrapperINS9_8equal_toIjEEEEPmJSF_EEE10hipError_tPvRmT3_T4_T5_T6_T7_T9_mT8_P12ihipStream_tbDpT10_ENKUlT_T0_E_clISt17integral_constantIbLb0EES1B_EEDaS16_S17_EUlS16_E_NS1_11comp_targetILNS1_3genE2ELNS1_11target_archE906ELNS1_3gpuE6ELNS1_3repE0EEENS1_30default_config_static_selectorELNS0_4arch9wavefront6targetE0EEEvT1_,"axG",@progbits,_ZN7rocprim17ROCPRIM_400000_NS6detail17trampoline_kernelINS0_14default_configENS1_25partition_config_selectorILNS1_17partition_subalgoE9EjjbEEZZNS1_14partition_implILS5_9ELb0ES3_jN6thrust23THRUST_200600_302600_NS6detail15normal_iteratorINS9_10device_ptrIjEEEESE_PNS0_10empty_typeENS0_5tupleIJNS9_16discard_iteratorINS9_11use_defaultEEESF_EEENSH_IJSK_SG_EEENS0_18inequality_wrapperINS9_8equal_toIjEEEEPmJSF_EEE10hipError_tPvRmT3_T4_T5_T6_T7_T9_mT8_P12ihipStream_tbDpT10_ENKUlT_T0_E_clISt17integral_constantIbLb0EES1B_EEDaS16_S17_EUlS16_E_NS1_11comp_targetILNS1_3genE2ELNS1_11target_archE906ELNS1_3gpuE6ELNS1_3repE0EEENS1_30default_config_static_selectorELNS0_4arch9wavefront6targetE0EEEvT1_,comdat
.Lfunc_end793:
	.size	_ZN7rocprim17ROCPRIM_400000_NS6detail17trampoline_kernelINS0_14default_configENS1_25partition_config_selectorILNS1_17partition_subalgoE9EjjbEEZZNS1_14partition_implILS5_9ELb0ES3_jN6thrust23THRUST_200600_302600_NS6detail15normal_iteratorINS9_10device_ptrIjEEEESE_PNS0_10empty_typeENS0_5tupleIJNS9_16discard_iteratorINS9_11use_defaultEEESF_EEENSH_IJSK_SG_EEENS0_18inequality_wrapperINS9_8equal_toIjEEEEPmJSF_EEE10hipError_tPvRmT3_T4_T5_T6_T7_T9_mT8_P12ihipStream_tbDpT10_ENKUlT_T0_E_clISt17integral_constantIbLb0EES1B_EEDaS16_S17_EUlS16_E_NS1_11comp_targetILNS1_3genE2ELNS1_11target_archE906ELNS1_3gpuE6ELNS1_3repE0EEENS1_30default_config_static_selectorELNS0_4arch9wavefront6targetE0EEEvT1_, .Lfunc_end793-_ZN7rocprim17ROCPRIM_400000_NS6detail17trampoline_kernelINS0_14default_configENS1_25partition_config_selectorILNS1_17partition_subalgoE9EjjbEEZZNS1_14partition_implILS5_9ELb0ES3_jN6thrust23THRUST_200600_302600_NS6detail15normal_iteratorINS9_10device_ptrIjEEEESE_PNS0_10empty_typeENS0_5tupleIJNS9_16discard_iteratorINS9_11use_defaultEEESF_EEENSH_IJSK_SG_EEENS0_18inequality_wrapperINS9_8equal_toIjEEEEPmJSF_EEE10hipError_tPvRmT3_T4_T5_T6_T7_T9_mT8_P12ihipStream_tbDpT10_ENKUlT_T0_E_clISt17integral_constantIbLb0EES1B_EEDaS16_S17_EUlS16_E_NS1_11comp_targetILNS1_3genE2ELNS1_11target_archE906ELNS1_3gpuE6ELNS1_3repE0EEENS1_30default_config_static_selectorELNS0_4arch9wavefront6targetE0EEEvT1_
                                        ; -- End function
	.section	.AMDGPU.csdata,"",@progbits
; Kernel info:
; codeLenInByte = 0
; NumSgprs: 0
; NumVgprs: 0
; ScratchSize: 0
; MemoryBound: 0
; FloatMode: 240
; IeeeMode: 1
; LDSByteSize: 0 bytes/workgroup (compile time only)
; SGPRBlocks: 0
; VGPRBlocks: 0
; NumSGPRsForWavesPerEU: 1
; NumVGPRsForWavesPerEU: 1
; Occupancy: 16
; WaveLimiterHint : 0
; COMPUTE_PGM_RSRC2:SCRATCH_EN: 0
; COMPUTE_PGM_RSRC2:USER_SGPR: 15
; COMPUTE_PGM_RSRC2:TRAP_HANDLER: 0
; COMPUTE_PGM_RSRC2:TGID_X_EN: 1
; COMPUTE_PGM_RSRC2:TGID_Y_EN: 0
; COMPUTE_PGM_RSRC2:TGID_Z_EN: 0
; COMPUTE_PGM_RSRC2:TIDIG_COMP_CNT: 0
	.section	.text._ZN7rocprim17ROCPRIM_400000_NS6detail17trampoline_kernelINS0_14default_configENS1_25partition_config_selectorILNS1_17partition_subalgoE9EjjbEEZZNS1_14partition_implILS5_9ELb0ES3_jN6thrust23THRUST_200600_302600_NS6detail15normal_iteratorINS9_10device_ptrIjEEEESE_PNS0_10empty_typeENS0_5tupleIJNS9_16discard_iteratorINS9_11use_defaultEEESF_EEENSH_IJSK_SG_EEENS0_18inequality_wrapperINS9_8equal_toIjEEEEPmJSF_EEE10hipError_tPvRmT3_T4_T5_T6_T7_T9_mT8_P12ihipStream_tbDpT10_ENKUlT_T0_E_clISt17integral_constantIbLb0EES1B_EEDaS16_S17_EUlS16_E_NS1_11comp_targetILNS1_3genE10ELNS1_11target_archE1200ELNS1_3gpuE4ELNS1_3repE0EEENS1_30default_config_static_selectorELNS0_4arch9wavefront6targetE0EEEvT1_,"axG",@progbits,_ZN7rocprim17ROCPRIM_400000_NS6detail17trampoline_kernelINS0_14default_configENS1_25partition_config_selectorILNS1_17partition_subalgoE9EjjbEEZZNS1_14partition_implILS5_9ELb0ES3_jN6thrust23THRUST_200600_302600_NS6detail15normal_iteratorINS9_10device_ptrIjEEEESE_PNS0_10empty_typeENS0_5tupleIJNS9_16discard_iteratorINS9_11use_defaultEEESF_EEENSH_IJSK_SG_EEENS0_18inequality_wrapperINS9_8equal_toIjEEEEPmJSF_EEE10hipError_tPvRmT3_T4_T5_T6_T7_T9_mT8_P12ihipStream_tbDpT10_ENKUlT_T0_E_clISt17integral_constantIbLb0EES1B_EEDaS16_S17_EUlS16_E_NS1_11comp_targetILNS1_3genE10ELNS1_11target_archE1200ELNS1_3gpuE4ELNS1_3repE0EEENS1_30default_config_static_selectorELNS0_4arch9wavefront6targetE0EEEvT1_,comdat
	.protected	_ZN7rocprim17ROCPRIM_400000_NS6detail17trampoline_kernelINS0_14default_configENS1_25partition_config_selectorILNS1_17partition_subalgoE9EjjbEEZZNS1_14partition_implILS5_9ELb0ES3_jN6thrust23THRUST_200600_302600_NS6detail15normal_iteratorINS9_10device_ptrIjEEEESE_PNS0_10empty_typeENS0_5tupleIJNS9_16discard_iteratorINS9_11use_defaultEEESF_EEENSH_IJSK_SG_EEENS0_18inequality_wrapperINS9_8equal_toIjEEEEPmJSF_EEE10hipError_tPvRmT3_T4_T5_T6_T7_T9_mT8_P12ihipStream_tbDpT10_ENKUlT_T0_E_clISt17integral_constantIbLb0EES1B_EEDaS16_S17_EUlS16_E_NS1_11comp_targetILNS1_3genE10ELNS1_11target_archE1200ELNS1_3gpuE4ELNS1_3repE0EEENS1_30default_config_static_selectorELNS0_4arch9wavefront6targetE0EEEvT1_ ; -- Begin function _ZN7rocprim17ROCPRIM_400000_NS6detail17trampoline_kernelINS0_14default_configENS1_25partition_config_selectorILNS1_17partition_subalgoE9EjjbEEZZNS1_14partition_implILS5_9ELb0ES3_jN6thrust23THRUST_200600_302600_NS6detail15normal_iteratorINS9_10device_ptrIjEEEESE_PNS0_10empty_typeENS0_5tupleIJNS9_16discard_iteratorINS9_11use_defaultEEESF_EEENSH_IJSK_SG_EEENS0_18inequality_wrapperINS9_8equal_toIjEEEEPmJSF_EEE10hipError_tPvRmT3_T4_T5_T6_T7_T9_mT8_P12ihipStream_tbDpT10_ENKUlT_T0_E_clISt17integral_constantIbLb0EES1B_EEDaS16_S17_EUlS16_E_NS1_11comp_targetILNS1_3genE10ELNS1_11target_archE1200ELNS1_3gpuE4ELNS1_3repE0EEENS1_30default_config_static_selectorELNS0_4arch9wavefront6targetE0EEEvT1_
	.globl	_ZN7rocprim17ROCPRIM_400000_NS6detail17trampoline_kernelINS0_14default_configENS1_25partition_config_selectorILNS1_17partition_subalgoE9EjjbEEZZNS1_14partition_implILS5_9ELb0ES3_jN6thrust23THRUST_200600_302600_NS6detail15normal_iteratorINS9_10device_ptrIjEEEESE_PNS0_10empty_typeENS0_5tupleIJNS9_16discard_iteratorINS9_11use_defaultEEESF_EEENSH_IJSK_SG_EEENS0_18inequality_wrapperINS9_8equal_toIjEEEEPmJSF_EEE10hipError_tPvRmT3_T4_T5_T6_T7_T9_mT8_P12ihipStream_tbDpT10_ENKUlT_T0_E_clISt17integral_constantIbLb0EES1B_EEDaS16_S17_EUlS16_E_NS1_11comp_targetILNS1_3genE10ELNS1_11target_archE1200ELNS1_3gpuE4ELNS1_3repE0EEENS1_30default_config_static_selectorELNS0_4arch9wavefront6targetE0EEEvT1_
	.p2align	8
	.type	_ZN7rocprim17ROCPRIM_400000_NS6detail17trampoline_kernelINS0_14default_configENS1_25partition_config_selectorILNS1_17partition_subalgoE9EjjbEEZZNS1_14partition_implILS5_9ELb0ES3_jN6thrust23THRUST_200600_302600_NS6detail15normal_iteratorINS9_10device_ptrIjEEEESE_PNS0_10empty_typeENS0_5tupleIJNS9_16discard_iteratorINS9_11use_defaultEEESF_EEENSH_IJSK_SG_EEENS0_18inequality_wrapperINS9_8equal_toIjEEEEPmJSF_EEE10hipError_tPvRmT3_T4_T5_T6_T7_T9_mT8_P12ihipStream_tbDpT10_ENKUlT_T0_E_clISt17integral_constantIbLb0EES1B_EEDaS16_S17_EUlS16_E_NS1_11comp_targetILNS1_3genE10ELNS1_11target_archE1200ELNS1_3gpuE4ELNS1_3repE0EEENS1_30default_config_static_selectorELNS0_4arch9wavefront6targetE0EEEvT1_,@function
_ZN7rocprim17ROCPRIM_400000_NS6detail17trampoline_kernelINS0_14default_configENS1_25partition_config_selectorILNS1_17partition_subalgoE9EjjbEEZZNS1_14partition_implILS5_9ELb0ES3_jN6thrust23THRUST_200600_302600_NS6detail15normal_iteratorINS9_10device_ptrIjEEEESE_PNS0_10empty_typeENS0_5tupleIJNS9_16discard_iteratorINS9_11use_defaultEEESF_EEENSH_IJSK_SG_EEENS0_18inequality_wrapperINS9_8equal_toIjEEEEPmJSF_EEE10hipError_tPvRmT3_T4_T5_T6_T7_T9_mT8_P12ihipStream_tbDpT10_ENKUlT_T0_E_clISt17integral_constantIbLb0EES1B_EEDaS16_S17_EUlS16_E_NS1_11comp_targetILNS1_3genE10ELNS1_11target_archE1200ELNS1_3gpuE4ELNS1_3repE0EEENS1_30default_config_static_selectorELNS0_4arch9wavefront6targetE0EEEvT1_: ; @_ZN7rocprim17ROCPRIM_400000_NS6detail17trampoline_kernelINS0_14default_configENS1_25partition_config_selectorILNS1_17partition_subalgoE9EjjbEEZZNS1_14partition_implILS5_9ELb0ES3_jN6thrust23THRUST_200600_302600_NS6detail15normal_iteratorINS9_10device_ptrIjEEEESE_PNS0_10empty_typeENS0_5tupleIJNS9_16discard_iteratorINS9_11use_defaultEEESF_EEENSH_IJSK_SG_EEENS0_18inequality_wrapperINS9_8equal_toIjEEEEPmJSF_EEE10hipError_tPvRmT3_T4_T5_T6_T7_T9_mT8_P12ihipStream_tbDpT10_ENKUlT_T0_E_clISt17integral_constantIbLb0EES1B_EEDaS16_S17_EUlS16_E_NS1_11comp_targetILNS1_3genE10ELNS1_11target_archE1200ELNS1_3gpuE4ELNS1_3repE0EEENS1_30default_config_static_selectorELNS0_4arch9wavefront6targetE0EEEvT1_
; %bb.0:
	.section	.rodata,"a",@progbits
	.p2align	6, 0x0
	.amdhsa_kernel _ZN7rocprim17ROCPRIM_400000_NS6detail17trampoline_kernelINS0_14default_configENS1_25partition_config_selectorILNS1_17partition_subalgoE9EjjbEEZZNS1_14partition_implILS5_9ELb0ES3_jN6thrust23THRUST_200600_302600_NS6detail15normal_iteratorINS9_10device_ptrIjEEEESE_PNS0_10empty_typeENS0_5tupleIJNS9_16discard_iteratorINS9_11use_defaultEEESF_EEENSH_IJSK_SG_EEENS0_18inequality_wrapperINS9_8equal_toIjEEEEPmJSF_EEE10hipError_tPvRmT3_T4_T5_T6_T7_T9_mT8_P12ihipStream_tbDpT10_ENKUlT_T0_E_clISt17integral_constantIbLb0EES1B_EEDaS16_S17_EUlS16_E_NS1_11comp_targetILNS1_3genE10ELNS1_11target_archE1200ELNS1_3gpuE4ELNS1_3repE0EEENS1_30default_config_static_selectorELNS0_4arch9wavefront6targetE0EEEvT1_
		.amdhsa_group_segment_fixed_size 0
		.amdhsa_private_segment_fixed_size 0
		.amdhsa_kernarg_size 128
		.amdhsa_user_sgpr_count 15
		.amdhsa_user_sgpr_dispatch_ptr 0
		.amdhsa_user_sgpr_queue_ptr 0
		.amdhsa_user_sgpr_kernarg_segment_ptr 1
		.amdhsa_user_sgpr_dispatch_id 0
		.amdhsa_user_sgpr_private_segment_size 0
		.amdhsa_wavefront_size32 1
		.amdhsa_uses_dynamic_stack 0
		.amdhsa_enable_private_segment 0
		.amdhsa_system_sgpr_workgroup_id_x 1
		.amdhsa_system_sgpr_workgroup_id_y 0
		.amdhsa_system_sgpr_workgroup_id_z 0
		.amdhsa_system_sgpr_workgroup_info 0
		.amdhsa_system_vgpr_workitem_id 0
		.amdhsa_next_free_vgpr 1
		.amdhsa_next_free_sgpr 1
		.amdhsa_reserve_vcc 0
		.amdhsa_float_round_mode_32 0
		.amdhsa_float_round_mode_16_64 0
		.amdhsa_float_denorm_mode_32 3
		.amdhsa_float_denorm_mode_16_64 3
		.amdhsa_dx10_clamp 1
		.amdhsa_ieee_mode 1
		.amdhsa_fp16_overflow 0
		.amdhsa_workgroup_processor_mode 1
		.amdhsa_memory_ordered 1
		.amdhsa_forward_progress 0
		.amdhsa_shared_vgpr_count 0
		.amdhsa_exception_fp_ieee_invalid_op 0
		.amdhsa_exception_fp_denorm_src 0
		.amdhsa_exception_fp_ieee_div_zero 0
		.amdhsa_exception_fp_ieee_overflow 0
		.amdhsa_exception_fp_ieee_underflow 0
		.amdhsa_exception_fp_ieee_inexact 0
		.amdhsa_exception_int_div_zero 0
	.end_amdhsa_kernel
	.section	.text._ZN7rocprim17ROCPRIM_400000_NS6detail17trampoline_kernelINS0_14default_configENS1_25partition_config_selectorILNS1_17partition_subalgoE9EjjbEEZZNS1_14partition_implILS5_9ELb0ES3_jN6thrust23THRUST_200600_302600_NS6detail15normal_iteratorINS9_10device_ptrIjEEEESE_PNS0_10empty_typeENS0_5tupleIJNS9_16discard_iteratorINS9_11use_defaultEEESF_EEENSH_IJSK_SG_EEENS0_18inequality_wrapperINS9_8equal_toIjEEEEPmJSF_EEE10hipError_tPvRmT3_T4_T5_T6_T7_T9_mT8_P12ihipStream_tbDpT10_ENKUlT_T0_E_clISt17integral_constantIbLb0EES1B_EEDaS16_S17_EUlS16_E_NS1_11comp_targetILNS1_3genE10ELNS1_11target_archE1200ELNS1_3gpuE4ELNS1_3repE0EEENS1_30default_config_static_selectorELNS0_4arch9wavefront6targetE0EEEvT1_,"axG",@progbits,_ZN7rocprim17ROCPRIM_400000_NS6detail17trampoline_kernelINS0_14default_configENS1_25partition_config_selectorILNS1_17partition_subalgoE9EjjbEEZZNS1_14partition_implILS5_9ELb0ES3_jN6thrust23THRUST_200600_302600_NS6detail15normal_iteratorINS9_10device_ptrIjEEEESE_PNS0_10empty_typeENS0_5tupleIJNS9_16discard_iteratorINS9_11use_defaultEEESF_EEENSH_IJSK_SG_EEENS0_18inequality_wrapperINS9_8equal_toIjEEEEPmJSF_EEE10hipError_tPvRmT3_T4_T5_T6_T7_T9_mT8_P12ihipStream_tbDpT10_ENKUlT_T0_E_clISt17integral_constantIbLb0EES1B_EEDaS16_S17_EUlS16_E_NS1_11comp_targetILNS1_3genE10ELNS1_11target_archE1200ELNS1_3gpuE4ELNS1_3repE0EEENS1_30default_config_static_selectorELNS0_4arch9wavefront6targetE0EEEvT1_,comdat
.Lfunc_end794:
	.size	_ZN7rocprim17ROCPRIM_400000_NS6detail17trampoline_kernelINS0_14default_configENS1_25partition_config_selectorILNS1_17partition_subalgoE9EjjbEEZZNS1_14partition_implILS5_9ELb0ES3_jN6thrust23THRUST_200600_302600_NS6detail15normal_iteratorINS9_10device_ptrIjEEEESE_PNS0_10empty_typeENS0_5tupleIJNS9_16discard_iteratorINS9_11use_defaultEEESF_EEENSH_IJSK_SG_EEENS0_18inequality_wrapperINS9_8equal_toIjEEEEPmJSF_EEE10hipError_tPvRmT3_T4_T5_T6_T7_T9_mT8_P12ihipStream_tbDpT10_ENKUlT_T0_E_clISt17integral_constantIbLb0EES1B_EEDaS16_S17_EUlS16_E_NS1_11comp_targetILNS1_3genE10ELNS1_11target_archE1200ELNS1_3gpuE4ELNS1_3repE0EEENS1_30default_config_static_selectorELNS0_4arch9wavefront6targetE0EEEvT1_, .Lfunc_end794-_ZN7rocprim17ROCPRIM_400000_NS6detail17trampoline_kernelINS0_14default_configENS1_25partition_config_selectorILNS1_17partition_subalgoE9EjjbEEZZNS1_14partition_implILS5_9ELb0ES3_jN6thrust23THRUST_200600_302600_NS6detail15normal_iteratorINS9_10device_ptrIjEEEESE_PNS0_10empty_typeENS0_5tupleIJNS9_16discard_iteratorINS9_11use_defaultEEESF_EEENSH_IJSK_SG_EEENS0_18inequality_wrapperINS9_8equal_toIjEEEEPmJSF_EEE10hipError_tPvRmT3_T4_T5_T6_T7_T9_mT8_P12ihipStream_tbDpT10_ENKUlT_T0_E_clISt17integral_constantIbLb0EES1B_EEDaS16_S17_EUlS16_E_NS1_11comp_targetILNS1_3genE10ELNS1_11target_archE1200ELNS1_3gpuE4ELNS1_3repE0EEENS1_30default_config_static_selectorELNS0_4arch9wavefront6targetE0EEEvT1_
                                        ; -- End function
	.section	.AMDGPU.csdata,"",@progbits
; Kernel info:
; codeLenInByte = 0
; NumSgprs: 0
; NumVgprs: 0
; ScratchSize: 0
; MemoryBound: 0
; FloatMode: 240
; IeeeMode: 1
; LDSByteSize: 0 bytes/workgroup (compile time only)
; SGPRBlocks: 0
; VGPRBlocks: 0
; NumSGPRsForWavesPerEU: 1
; NumVGPRsForWavesPerEU: 1
; Occupancy: 15
; WaveLimiterHint : 0
; COMPUTE_PGM_RSRC2:SCRATCH_EN: 0
; COMPUTE_PGM_RSRC2:USER_SGPR: 15
; COMPUTE_PGM_RSRC2:TRAP_HANDLER: 0
; COMPUTE_PGM_RSRC2:TGID_X_EN: 1
; COMPUTE_PGM_RSRC2:TGID_Y_EN: 0
; COMPUTE_PGM_RSRC2:TGID_Z_EN: 0
; COMPUTE_PGM_RSRC2:TIDIG_COMP_CNT: 0
	.section	.text._ZN7rocprim17ROCPRIM_400000_NS6detail17trampoline_kernelINS0_14default_configENS1_25partition_config_selectorILNS1_17partition_subalgoE9EjjbEEZZNS1_14partition_implILS5_9ELb0ES3_jN6thrust23THRUST_200600_302600_NS6detail15normal_iteratorINS9_10device_ptrIjEEEESE_PNS0_10empty_typeENS0_5tupleIJNS9_16discard_iteratorINS9_11use_defaultEEESF_EEENSH_IJSK_SG_EEENS0_18inequality_wrapperINS9_8equal_toIjEEEEPmJSF_EEE10hipError_tPvRmT3_T4_T5_T6_T7_T9_mT8_P12ihipStream_tbDpT10_ENKUlT_T0_E_clISt17integral_constantIbLb0EES1B_EEDaS16_S17_EUlS16_E_NS1_11comp_targetILNS1_3genE9ELNS1_11target_archE1100ELNS1_3gpuE3ELNS1_3repE0EEENS1_30default_config_static_selectorELNS0_4arch9wavefront6targetE0EEEvT1_,"axG",@progbits,_ZN7rocprim17ROCPRIM_400000_NS6detail17trampoline_kernelINS0_14default_configENS1_25partition_config_selectorILNS1_17partition_subalgoE9EjjbEEZZNS1_14partition_implILS5_9ELb0ES3_jN6thrust23THRUST_200600_302600_NS6detail15normal_iteratorINS9_10device_ptrIjEEEESE_PNS0_10empty_typeENS0_5tupleIJNS9_16discard_iteratorINS9_11use_defaultEEESF_EEENSH_IJSK_SG_EEENS0_18inequality_wrapperINS9_8equal_toIjEEEEPmJSF_EEE10hipError_tPvRmT3_T4_T5_T6_T7_T9_mT8_P12ihipStream_tbDpT10_ENKUlT_T0_E_clISt17integral_constantIbLb0EES1B_EEDaS16_S17_EUlS16_E_NS1_11comp_targetILNS1_3genE9ELNS1_11target_archE1100ELNS1_3gpuE3ELNS1_3repE0EEENS1_30default_config_static_selectorELNS0_4arch9wavefront6targetE0EEEvT1_,comdat
	.protected	_ZN7rocprim17ROCPRIM_400000_NS6detail17trampoline_kernelINS0_14default_configENS1_25partition_config_selectorILNS1_17partition_subalgoE9EjjbEEZZNS1_14partition_implILS5_9ELb0ES3_jN6thrust23THRUST_200600_302600_NS6detail15normal_iteratorINS9_10device_ptrIjEEEESE_PNS0_10empty_typeENS0_5tupleIJNS9_16discard_iteratorINS9_11use_defaultEEESF_EEENSH_IJSK_SG_EEENS0_18inequality_wrapperINS9_8equal_toIjEEEEPmJSF_EEE10hipError_tPvRmT3_T4_T5_T6_T7_T9_mT8_P12ihipStream_tbDpT10_ENKUlT_T0_E_clISt17integral_constantIbLb0EES1B_EEDaS16_S17_EUlS16_E_NS1_11comp_targetILNS1_3genE9ELNS1_11target_archE1100ELNS1_3gpuE3ELNS1_3repE0EEENS1_30default_config_static_selectorELNS0_4arch9wavefront6targetE0EEEvT1_ ; -- Begin function _ZN7rocprim17ROCPRIM_400000_NS6detail17trampoline_kernelINS0_14default_configENS1_25partition_config_selectorILNS1_17partition_subalgoE9EjjbEEZZNS1_14partition_implILS5_9ELb0ES3_jN6thrust23THRUST_200600_302600_NS6detail15normal_iteratorINS9_10device_ptrIjEEEESE_PNS0_10empty_typeENS0_5tupleIJNS9_16discard_iteratorINS9_11use_defaultEEESF_EEENSH_IJSK_SG_EEENS0_18inequality_wrapperINS9_8equal_toIjEEEEPmJSF_EEE10hipError_tPvRmT3_T4_T5_T6_T7_T9_mT8_P12ihipStream_tbDpT10_ENKUlT_T0_E_clISt17integral_constantIbLb0EES1B_EEDaS16_S17_EUlS16_E_NS1_11comp_targetILNS1_3genE9ELNS1_11target_archE1100ELNS1_3gpuE3ELNS1_3repE0EEENS1_30default_config_static_selectorELNS0_4arch9wavefront6targetE0EEEvT1_
	.globl	_ZN7rocprim17ROCPRIM_400000_NS6detail17trampoline_kernelINS0_14default_configENS1_25partition_config_selectorILNS1_17partition_subalgoE9EjjbEEZZNS1_14partition_implILS5_9ELb0ES3_jN6thrust23THRUST_200600_302600_NS6detail15normal_iteratorINS9_10device_ptrIjEEEESE_PNS0_10empty_typeENS0_5tupleIJNS9_16discard_iteratorINS9_11use_defaultEEESF_EEENSH_IJSK_SG_EEENS0_18inequality_wrapperINS9_8equal_toIjEEEEPmJSF_EEE10hipError_tPvRmT3_T4_T5_T6_T7_T9_mT8_P12ihipStream_tbDpT10_ENKUlT_T0_E_clISt17integral_constantIbLb0EES1B_EEDaS16_S17_EUlS16_E_NS1_11comp_targetILNS1_3genE9ELNS1_11target_archE1100ELNS1_3gpuE3ELNS1_3repE0EEENS1_30default_config_static_selectorELNS0_4arch9wavefront6targetE0EEEvT1_
	.p2align	8
	.type	_ZN7rocprim17ROCPRIM_400000_NS6detail17trampoline_kernelINS0_14default_configENS1_25partition_config_selectorILNS1_17partition_subalgoE9EjjbEEZZNS1_14partition_implILS5_9ELb0ES3_jN6thrust23THRUST_200600_302600_NS6detail15normal_iteratorINS9_10device_ptrIjEEEESE_PNS0_10empty_typeENS0_5tupleIJNS9_16discard_iteratorINS9_11use_defaultEEESF_EEENSH_IJSK_SG_EEENS0_18inequality_wrapperINS9_8equal_toIjEEEEPmJSF_EEE10hipError_tPvRmT3_T4_T5_T6_T7_T9_mT8_P12ihipStream_tbDpT10_ENKUlT_T0_E_clISt17integral_constantIbLb0EES1B_EEDaS16_S17_EUlS16_E_NS1_11comp_targetILNS1_3genE9ELNS1_11target_archE1100ELNS1_3gpuE3ELNS1_3repE0EEENS1_30default_config_static_selectorELNS0_4arch9wavefront6targetE0EEEvT1_,@function
_ZN7rocprim17ROCPRIM_400000_NS6detail17trampoline_kernelINS0_14default_configENS1_25partition_config_selectorILNS1_17partition_subalgoE9EjjbEEZZNS1_14partition_implILS5_9ELb0ES3_jN6thrust23THRUST_200600_302600_NS6detail15normal_iteratorINS9_10device_ptrIjEEEESE_PNS0_10empty_typeENS0_5tupleIJNS9_16discard_iteratorINS9_11use_defaultEEESF_EEENSH_IJSK_SG_EEENS0_18inequality_wrapperINS9_8equal_toIjEEEEPmJSF_EEE10hipError_tPvRmT3_T4_T5_T6_T7_T9_mT8_P12ihipStream_tbDpT10_ENKUlT_T0_E_clISt17integral_constantIbLb0EES1B_EEDaS16_S17_EUlS16_E_NS1_11comp_targetILNS1_3genE9ELNS1_11target_archE1100ELNS1_3gpuE3ELNS1_3repE0EEENS1_30default_config_static_selectorELNS0_4arch9wavefront6targetE0EEEvT1_: ; @_ZN7rocprim17ROCPRIM_400000_NS6detail17trampoline_kernelINS0_14default_configENS1_25partition_config_selectorILNS1_17partition_subalgoE9EjjbEEZZNS1_14partition_implILS5_9ELb0ES3_jN6thrust23THRUST_200600_302600_NS6detail15normal_iteratorINS9_10device_ptrIjEEEESE_PNS0_10empty_typeENS0_5tupleIJNS9_16discard_iteratorINS9_11use_defaultEEESF_EEENSH_IJSK_SG_EEENS0_18inequality_wrapperINS9_8equal_toIjEEEEPmJSF_EEE10hipError_tPvRmT3_T4_T5_T6_T7_T9_mT8_P12ihipStream_tbDpT10_ENKUlT_T0_E_clISt17integral_constantIbLb0EES1B_EEDaS16_S17_EUlS16_E_NS1_11comp_targetILNS1_3genE9ELNS1_11target_archE1100ELNS1_3gpuE3ELNS1_3repE0EEENS1_30default_config_static_selectorELNS0_4arch9wavefront6targetE0EEEvT1_
; %bb.0:
	s_clause 0x4
	s_load_b128 s[4:7], s[0:1], 0x8
	s_load_b32 s14, s[0:1], 0x78
	s_load_b128 s[16:19], s[0:1], 0x50
	s_load_b64 s[2:3], s[0:1], 0x60
	s_load_b64 s[8:9], s[0:1], 0x18
	s_mov_b32 s21, 0
	s_mul_i32 s20, s15, 0xc00
	v_lshrrev_b32_e32 v10, 3, v0
	v_add_nc_u32_e32 v14, 0x180, v0
	v_add_nc_u32_e32 v13, 0x300, v0
	;; [unrolled: 1-line block ×3, first 2 shown]
	v_or_b32_e32 v15, 0x600, v0
	v_add_nc_u32_e32 v11, 0x780, v0
	v_add_nc_u32_e32 v9, 0x900, v0
	;; [unrolled: 1-line block ×3, first 2 shown]
	s_waitcnt lgkmcnt(0)
	s_lshl_b64 s[12:13], s[6:7], 2
	s_mul_i32 s22, s14, 0xc00
	s_add_u32 s23, s4, s12
	s_addc_u32 s24, s5, s13
	s_add_i32 s4, s22, s6
	s_load_b64 s[10:11], s[18:19], 0x0
	s_sub_i32 s18, s2, s4
	s_add_i32 s14, s14, -1
	s_addk_i32 s18, 0xc00
	s_add_u32 s4, s6, s22
	s_addc_u32 s5, s7, 0
	s_cmp_eq_u32 s15, s14
	v_cmp_ge_u64_e64 s2, s[4:5], s[2:3]
	s_cselect_b32 s14, -1, 0
	s_lshl_b64 s[4:5], s[20:21], 2
	s_mov_b32 s22, -1
	s_delay_alu instid0(VALU_DEP_1) | instskip(NEXT) | instid1(SALU_CYCLE_1)
	s_and_b32 s19, s14, s2
	s_xor_b32 s20, s19, -1
	s_add_u32 s21, s23, s4
	s_addc_u32 s3, s24, s5
	s_and_b32 vcc_lo, exec_lo, s20
	s_cbranch_vccz .LBB795_2
; %bb.1:
	v_lshlrev_b32_e32 v7, 2, v0
	v_lshrrev_b32_e32 v19, 3, v14
	v_lshrrev_b32_e32 v20, 3, v13
	;; [unrolled: 1-line block ×4, first 2 shown]
	v_add_co_u32 v1, s2, s21, v7
	s_delay_alu instid0(VALU_DEP_1) | instskip(SKIP_1) | instid1(VALU_DEP_3)
	v_add_co_ci_u32_e64 v2, null, s3, 0, s2
	v_lshrrev_b32_e32 v23, 3, v11
	v_add_co_u32 v3, vcc_lo, 0x1000, v1
	s_delay_alu instid0(VALU_DEP_3)
	v_add_co_ci_u32_e32 v4, vcc_lo, 0, v2, vcc_lo
	v_add_co_u32 v5, vcc_lo, 0x2000, v1
	v_add_co_ci_u32_e32 v6, vcc_lo, 0, v2, vcc_lo
	s_clause 0x7
	flat_load_b32 v8, v[1:2]
	flat_load_b32 v17, v[1:2] offset:1536
	flat_load_b32 v1, v[1:2] offset:3072
	;; [unrolled: 1-line block ×7, first 2 shown]
	v_and_b32_e32 v6, 60, v10
	v_lshrrev_b32_e32 v24, 3, v9
	v_lshrrev_b32_e32 v25, 3, v12
	v_and_b32_e32 v19, 0x7c, v19
	v_and_b32_e32 v20, 0xfc, v20
	;; [unrolled: 1-line block ×4, first 2 shown]
	v_add_nc_u32_e32 v6, v6, v7
	v_and_b32_e32 v23, 0x1fc, v23
	v_and_b32_e32 v24, 0x17c, v24
	;; [unrolled: 1-line block ×3, first 2 shown]
	v_add_nc_u32_e32 v19, v19, v7
	v_add_nc_u32_e32 v20, v20, v7
	;; [unrolled: 1-line block ×4, first 2 shown]
	s_mov_b32 s22, 0
	v_add_nc_u32_e32 v23, v23, v7
	v_add_nc_u32_e32 v24, v24, v7
	;; [unrolled: 1-line block ×3, first 2 shown]
	s_waitcnt vmcnt(7) lgkmcnt(0)
	ds_store_b32 v6, v8
	s_waitcnt vmcnt(6)
	ds_store_b32 v19, v17 offset:1536
	s_waitcnt vmcnt(5)
	ds_store_b32 v20, v1 offset:3072
	;; [unrolled: 2-line block ×7, first 2 shown]
	s_waitcnt lgkmcnt(0)
	s_barrier
.LBB795_2:
	v_cmp_gt_u32_e64 s2, s18, v0
	s_and_not1_b32 vcc_lo, exec_lo, s22
	s_cbranch_vccnz .LBB795_20
; %bb.3:
                                        ; implicit-def: $vgpr1_vgpr2_vgpr3_vgpr4_vgpr5_vgpr6_vgpr7_vgpr8
	s_delay_alu instid0(VALU_DEP_1)
	s_and_saveexec_b32 s22, s2
	s_cbranch_execz .LBB795_11
; %bb.4:
	v_lshlrev_b32_e32 v1, 2, v0
	s_delay_alu instid0(VALU_DEP_1) | instskip(NEXT) | instid1(VALU_DEP_1)
	v_add_co_u32 v1, s2, s21, v1
	v_add_co_ci_u32_e64 v2, null, s3, 0, s2
	flat_load_b32 v1, v[1:2]
	s_or_b32 exec_lo, exec_lo, s22
	s_delay_alu instid0(SALU_CYCLE_1)
	s_mov_b32 s2, exec_lo
	v_cmpx_gt_u32_e64 s18, v14
	s_cbranch_execnz .LBB795_12
.LBB795_5:
	s_or_b32 exec_lo, exec_lo, s2
	s_delay_alu instid0(SALU_CYCLE_1)
	s_mov_b32 s2, exec_lo
	v_cmpx_gt_u32_e64 s18, v13
	s_cbranch_execz .LBB795_13
.LBB795_6:
	v_lshlrev_b32_e32 v3, 2, v0
	s_delay_alu instid0(VALU_DEP_1) | instskip(NEXT) | instid1(VALU_DEP_1)
	v_add_co_u32 v17, s22, s21, v3
	v_add_co_ci_u32_e64 v18, null, s3, 0, s22
	flat_load_b32 v3, v[17:18] offset:3072
	s_or_b32 exec_lo, exec_lo, s2
	s_delay_alu instid0(SALU_CYCLE_1)
	s_mov_b32 s2, exec_lo
	v_cmpx_gt_u32_e64 s18, v16
	s_cbranch_execnz .LBB795_14
.LBB795_7:
	s_or_b32 exec_lo, exec_lo, s2
	s_delay_alu instid0(SALU_CYCLE_1)
	s_mov_b32 s2, exec_lo
	v_cmpx_gt_u32_e64 s18, v15
	s_cbranch_execz .LBB795_15
.LBB795_8:
	v_lshlrev_b32_e32 v5, 2, v15
	s_delay_alu instid0(VALU_DEP_1) | instskip(NEXT) | instid1(VALU_DEP_1)
	v_add_co_u32 v17, s22, s21, v5
	v_add_co_ci_u32_e64 v18, null, s3, 0, s22
	flat_load_b32 v5, v[17:18]
	s_or_b32 exec_lo, exec_lo, s2
	s_delay_alu instid0(SALU_CYCLE_1)
	s_mov_b32 s2, exec_lo
	v_cmpx_gt_u32_e64 s18, v11
	s_cbranch_execnz .LBB795_16
.LBB795_9:
	s_or_b32 exec_lo, exec_lo, s2
	s_delay_alu instid0(SALU_CYCLE_1)
	s_mov_b32 s2, exec_lo
	v_cmpx_gt_u32_e64 s18, v9
	s_cbranch_execz .LBB795_17
.LBB795_10:
	v_lshlrev_b32_e32 v7, 2, v9
	s_delay_alu instid0(VALU_DEP_1) | instskip(NEXT) | instid1(VALU_DEP_1)
	v_add_co_u32 v17, s22, s21, v7
	v_add_co_ci_u32_e64 v18, null, s3, 0, s22
	flat_load_b32 v7, v[17:18]
	s_or_b32 exec_lo, exec_lo, s2
	s_delay_alu instid0(SALU_CYCLE_1)
	s_mov_b32 s2, exec_lo
	v_cmpx_gt_u32_e64 s18, v12
	s_cbranch_execnz .LBB795_18
	s_branch .LBB795_19
.LBB795_11:
	s_or_b32 exec_lo, exec_lo, s22
	s_delay_alu instid0(SALU_CYCLE_1)
	s_mov_b32 s2, exec_lo
	v_cmpx_gt_u32_e64 s18, v14
	s_cbranch_execz .LBB795_5
.LBB795_12:
	v_lshlrev_b32_e32 v2, 2, v0
	s_delay_alu instid0(VALU_DEP_1) | instskip(NEXT) | instid1(VALU_DEP_1)
	v_add_co_u32 v17, s22, s21, v2
	v_add_co_ci_u32_e64 v18, null, s3, 0, s22
	flat_load_b32 v2, v[17:18] offset:1536
	s_or_b32 exec_lo, exec_lo, s2
	s_delay_alu instid0(SALU_CYCLE_1)
	s_mov_b32 s2, exec_lo
	v_cmpx_gt_u32_e64 s18, v13
	s_cbranch_execnz .LBB795_6
.LBB795_13:
	s_or_b32 exec_lo, exec_lo, s2
	s_delay_alu instid0(SALU_CYCLE_1)
	s_mov_b32 s2, exec_lo
	v_cmpx_gt_u32_e64 s18, v16
	s_cbranch_execz .LBB795_7
.LBB795_14:
	v_lshlrev_b32_e32 v4, 2, v16
	s_delay_alu instid0(VALU_DEP_1) | instskip(NEXT) | instid1(VALU_DEP_1)
	v_add_co_u32 v17, s22, s21, v4
	v_add_co_ci_u32_e64 v18, null, s3, 0, s22
	flat_load_b32 v4, v[17:18]
	s_or_b32 exec_lo, exec_lo, s2
	s_delay_alu instid0(SALU_CYCLE_1)
	s_mov_b32 s2, exec_lo
	v_cmpx_gt_u32_e64 s18, v15
	s_cbranch_execnz .LBB795_8
.LBB795_15:
	s_or_b32 exec_lo, exec_lo, s2
	s_delay_alu instid0(SALU_CYCLE_1)
	s_mov_b32 s2, exec_lo
	v_cmpx_gt_u32_e64 s18, v11
	s_cbranch_execz .LBB795_9
.LBB795_16:
	v_lshlrev_b32_e32 v6, 2, v11
	s_delay_alu instid0(VALU_DEP_1) | instskip(NEXT) | instid1(VALU_DEP_1)
	v_add_co_u32 v17, s22, s21, v6
	v_add_co_ci_u32_e64 v18, null, s3, 0, s22
	flat_load_b32 v6, v[17:18]
	s_or_b32 exec_lo, exec_lo, s2
	s_delay_alu instid0(SALU_CYCLE_1)
	s_mov_b32 s2, exec_lo
	v_cmpx_gt_u32_e64 s18, v9
	s_cbranch_execnz .LBB795_10
.LBB795_17:
	s_or_b32 exec_lo, exec_lo, s2
	s_delay_alu instid0(SALU_CYCLE_1)
	s_mov_b32 s2, exec_lo
	v_cmpx_gt_u32_e64 s18, v12
	s_cbranch_execz .LBB795_19
.LBB795_18:
	v_lshlrev_b32_e32 v8, 2, v12
	s_delay_alu instid0(VALU_DEP_1) | instskip(NEXT) | instid1(VALU_DEP_1)
	v_add_co_u32 v17, s22, s21, v8
	v_add_co_ci_u32_e64 v18, null, s3, 0, s22
	flat_load_b32 v8, v[17:18]
.LBB795_19:
	s_or_b32 exec_lo, exec_lo, s2
	v_lshrrev_b32_e32 v17, 3, v14
	v_lshrrev_b32_e32 v18, 3, v13
	;; [unrolled: 1-line block ×4, first 2 shown]
	v_and_b32_e32 v19, 60, v10
	v_lshlrev_b32_e32 v20, 2, v0
	v_lshrrev_b32_e32 v23, 3, v11
	v_lshrrev_b32_e32 v24, 3, v9
	;; [unrolled: 1-line block ×3, first 2 shown]
	v_and_b32_e32 v17, 0x7c, v17
	v_and_b32_e32 v18, 0xfc, v18
	;; [unrolled: 1-line block ×4, first 2 shown]
	v_add_nc_u32_e32 v19, v19, v20
	v_and_b32_e32 v23, 0x1fc, v23
	v_and_b32_e32 v24, 0x1fc, v24
	;; [unrolled: 1-line block ×3, first 2 shown]
	v_add_nc_u32_e32 v17, v17, v20
	v_add_nc_u32_e32 v18, v18, v20
	;; [unrolled: 1-line block ×7, first 2 shown]
	s_waitcnt vmcnt(0) lgkmcnt(0)
	ds_store_b32 v19, v1
	ds_store_b32 v17, v2 offset:1536
	ds_store_b32 v18, v3 offset:3072
	;; [unrolled: 1-line block ×7, first 2 shown]
	s_waitcnt lgkmcnt(0)
	s_barrier
.LBB795_20:
	v_lshlrev_b32_e32 v19, 3, v0
	v_lshrrev_b32_e32 v1, 2, v0
	s_waitcnt lgkmcnt(0)
	buffer_gl0_inv
	s_add_u32 s2, s8, s12
	s_addc_u32 s8, s9, s13
	s_add_u32 s2, s2, s4
	v_add_lshl_u32 v17, v1, v19, 2
	s_addc_u32 s4, s8, s5
	s_and_b32 vcc_lo, exec_lo, s20
	s_mov_b32 s5, -1
	ds_load_2addr_b32 v[7:8], v17 offset1:1
	ds_load_2addr_b32 v[5:6], v17 offset0:2 offset1:3
	ds_load_2addr_b32 v[3:4], v17 offset0:4 offset1:5
	;; [unrolled: 1-line block ×3, first 2 shown]
	s_waitcnt lgkmcnt(0)
	s_barrier
	buffer_gl0_inv
	s_cbranch_vccz .LBB795_22
; %bb.21:
	v_lshlrev_b32_e32 v18, 2, v0
	v_lshrrev_b32_e32 v29, 3, v14
	v_lshrrev_b32_e32 v30, 3, v13
	;; [unrolled: 1-line block ×4, first 2 shown]
	v_add_co_u32 v20, s5, s2, v18
	s_delay_alu instid0(VALU_DEP_1) | instskip(SKIP_1) | instid1(VALU_DEP_3)
	v_add_co_ci_u32_e64 v21, null, s4, 0, s5
	v_lshrrev_b32_e32 v33, 3, v11
	v_add_co_u32 v22, vcc_lo, 0x1000, v20
	s_delay_alu instid0(VALU_DEP_3)
	v_add_co_ci_u32_e32 v23, vcc_lo, 0, v21, vcc_lo
	v_add_co_u32 v24, vcc_lo, 0x2000, v20
	v_add_co_ci_u32_e32 v25, vcc_lo, 0, v21, vcc_lo
	s_clause 0x7
	flat_load_b32 v26, v[20:21]
	flat_load_b32 v27, v[20:21] offset:1536
	flat_load_b32 v20, v[20:21] offset:3072
	;; [unrolled: 1-line block ×7, first 2 shown]
	v_and_b32_e32 v25, 60, v10
	v_lshrrev_b32_e32 v34, 3, v9
	v_lshrrev_b32_e32 v35, 3, v12
	v_and_b32_e32 v29, 0x7c, v29
	v_and_b32_e32 v30, 0xfc, v30
	;; [unrolled: 1-line block ×4, first 2 shown]
	v_add_nc_u32_e32 v25, v25, v18
	v_and_b32_e32 v33, 0x1fc, v33
	v_and_b32_e32 v34, 0x17c, v34
	;; [unrolled: 1-line block ×3, first 2 shown]
	v_add_nc_u32_e32 v29, v29, v18
	v_add_nc_u32_e32 v30, v30, v18
	;; [unrolled: 1-line block ×4, first 2 shown]
	s_mov_b32 s5, 0
	v_add_nc_u32_e32 v33, v33, v18
	v_add_nc_u32_e32 v34, v34, v18
	;; [unrolled: 1-line block ×3, first 2 shown]
	s_waitcnt vmcnt(7) lgkmcnt(7)
	ds_store_b32 v25, v26
	s_waitcnt vmcnt(6) lgkmcnt(7)
	ds_store_b32 v29, v27 offset:1536
	s_waitcnt vmcnt(5) lgkmcnt(7)
	ds_store_b32 v30, v20 offset:3072
	s_waitcnt vmcnt(4) lgkmcnt(7)
	ds_store_b32 v31, v21 offset:4608
	s_waitcnt vmcnt(3) lgkmcnt(7)
	ds_store_b32 v32, v28 offset:6144
	s_waitcnt vmcnt(2) lgkmcnt(7)
	ds_store_b32 v33, v22 offset:7680
	s_waitcnt vmcnt(1) lgkmcnt(7)
	ds_store_b32 v34, v23 offset:9216
	s_waitcnt vmcnt(0) lgkmcnt(7)
	ds_store_b32 v18, v24 offset:10752
	s_waitcnt lgkmcnt(0)
	s_barrier
.LBB795_22:
	s_and_not1_b32 vcc_lo, exec_lo, s5
	s_cbranch_vccnz .LBB795_40
; %bb.23:
	s_mov_b32 s5, exec_lo
                                        ; implicit-def: $vgpr18
	v_cmpx_gt_u32_e64 s18, v0
	s_cbranch_execz .LBB795_25
; %bb.24:
	v_lshlrev_b32_e32 v18, 2, v0
	s_delay_alu instid0(VALU_DEP_1) | instskip(NEXT) | instid1(VALU_DEP_1)
	v_add_co_u32 v20, s8, s2, v18
	v_add_co_ci_u32_e64 v21, null, s4, 0, s8
	flat_load_b32 v18, v[20:21]
.LBB795_25:
	s_or_b32 exec_lo, exec_lo, s5
	s_delay_alu instid0(SALU_CYCLE_1)
	s_mov_b32 s5, exec_lo
                                        ; implicit-def: $vgpr20
	v_cmpx_gt_u32_e64 s18, v14
	s_cbranch_execz .LBB795_27
; %bb.26:
	v_lshlrev_b32_e32 v20, 2, v0
	s_delay_alu instid0(VALU_DEP_1) | instskip(NEXT) | instid1(VALU_DEP_1)
	v_add_co_u32 v20, s8, s2, v20
	v_add_co_ci_u32_e64 v21, null, s4, 0, s8
	flat_load_b32 v20, v[20:21] offset:1536
.LBB795_27:
	s_or_b32 exec_lo, exec_lo, s5
	s_delay_alu instid0(SALU_CYCLE_1)
	s_mov_b32 s5, exec_lo
                                        ; implicit-def: $vgpr21
	v_cmpx_gt_u32_e64 s18, v13
	s_cbranch_execz .LBB795_29
; %bb.28:
	v_lshlrev_b32_e32 v21, 2, v0
	s_delay_alu instid0(VALU_DEP_1) | instskip(NEXT) | instid1(VALU_DEP_1)
	v_add_co_u32 v21, s8, s2, v21
	v_add_co_ci_u32_e64 v22, null, s4, 0, s8
	flat_load_b32 v21, v[21:22] offset:3072
.LBB795_29:
	s_or_b32 exec_lo, exec_lo, s5
	s_delay_alu instid0(SALU_CYCLE_1)
	s_mov_b32 s5, exec_lo
                                        ; implicit-def: $vgpr22
	v_cmpx_gt_u32_e64 s18, v16
	s_cbranch_execz .LBB795_31
; %bb.30:
	v_lshlrev_b32_e32 v22, 2, v16
	s_delay_alu instid0(VALU_DEP_1) | instskip(NEXT) | instid1(VALU_DEP_1)
	v_add_co_u32 v22, s8, s2, v22
	v_add_co_ci_u32_e64 v23, null, s4, 0, s8
	flat_load_b32 v22, v[22:23]
.LBB795_31:
	s_or_b32 exec_lo, exec_lo, s5
	s_delay_alu instid0(SALU_CYCLE_1)
	s_mov_b32 s5, exec_lo
                                        ; implicit-def: $vgpr23
	v_cmpx_gt_u32_e64 s18, v15
	s_cbranch_execz .LBB795_33
; %bb.32:
	v_lshlrev_b32_e32 v23, 2, v15
	s_delay_alu instid0(VALU_DEP_1) | instskip(NEXT) | instid1(VALU_DEP_1)
	v_add_co_u32 v23, s8, s2, v23
	v_add_co_ci_u32_e64 v24, null, s4, 0, s8
	flat_load_b32 v23, v[23:24]
.LBB795_33:
	s_or_b32 exec_lo, exec_lo, s5
	s_delay_alu instid0(SALU_CYCLE_1)
	s_mov_b32 s5, exec_lo
                                        ; implicit-def: $vgpr24
	v_cmpx_gt_u32_e64 s18, v11
	s_cbranch_execz .LBB795_35
; %bb.34:
	v_lshlrev_b32_e32 v24, 2, v11
	s_delay_alu instid0(VALU_DEP_1) | instskip(NEXT) | instid1(VALU_DEP_1)
	v_add_co_u32 v24, s8, s2, v24
	v_add_co_ci_u32_e64 v25, null, s4, 0, s8
	flat_load_b32 v24, v[24:25]
.LBB795_35:
	s_or_b32 exec_lo, exec_lo, s5
	s_delay_alu instid0(SALU_CYCLE_1)
	s_mov_b32 s5, exec_lo
                                        ; implicit-def: $vgpr25
	v_cmpx_gt_u32_e64 s18, v9
	s_cbranch_execz .LBB795_37
; %bb.36:
	v_lshlrev_b32_e32 v25, 2, v9
	s_delay_alu instid0(VALU_DEP_1) | instskip(NEXT) | instid1(VALU_DEP_1)
	v_add_co_u32 v25, s8, s2, v25
	v_add_co_ci_u32_e64 v26, null, s4, 0, s8
	flat_load_b32 v25, v[25:26]
.LBB795_37:
	s_or_b32 exec_lo, exec_lo, s5
	s_delay_alu instid0(SALU_CYCLE_1)
	s_mov_b32 s5, exec_lo
                                        ; implicit-def: $vgpr26
	v_cmpx_gt_u32_e64 s18, v12
	s_cbranch_execz .LBB795_39
; %bb.38:
	v_lshlrev_b32_e32 v26, 2, v12
	s_delay_alu instid0(VALU_DEP_1) | instskip(NEXT) | instid1(VALU_DEP_1)
	v_add_co_u32 v26, s2, s2, v26
	v_add_co_ci_u32_e64 v27, null, s4, 0, s2
	flat_load_b32 v26, v[26:27]
.LBB795_39:
	s_or_b32 exec_lo, exec_lo, s5
	v_lshrrev_b32_e32 v14, 3, v14
	v_lshrrev_b32_e32 v13, 3, v13
	;; [unrolled: 1-line block ×4, first 2 shown]
	v_and_b32_e32 v10, 60, v10
	v_lshlrev_b32_e32 v27, 2, v0
	v_lshrrev_b32_e32 v11, 3, v11
	v_lshrrev_b32_e32 v9, 3, v9
	;; [unrolled: 1-line block ×3, first 2 shown]
	v_and_b32_e32 v14, 0x7c, v14
	v_and_b32_e32 v13, 0xfc, v13
	;; [unrolled: 1-line block ×4, first 2 shown]
	v_add_nc_u32_e32 v10, v10, v27
	v_and_b32_e32 v11, 0x1fc, v11
	v_and_b32_e32 v9, 0x1fc, v9
	v_and_b32_e32 v12, 0x1fc, v12
	v_add_nc_u32_e32 v14, v14, v27
	v_add_nc_u32_e32 v13, v13, v27
	;; [unrolled: 1-line block ×7, first 2 shown]
	s_waitcnt vmcnt(0) lgkmcnt(0)
	ds_store_b32 v10, v18
	ds_store_b32 v14, v20 offset:1536
	ds_store_b32 v13, v21 offset:3072
	;; [unrolled: 1-line block ×7, first 2 shown]
	s_waitcnt lgkmcnt(0)
	s_barrier
.LBB795_40:
	buffer_gl0_inv
	ds_load_2addr_b32 v[15:16], v17 offset1:1
	ds_load_2addr_b32 v[13:14], v17 offset0:2 offset1:3
	ds_load_2addr_b32 v[11:12], v17 offset0:4 offset1:5
	;; [unrolled: 1-line block ×3, first 2 shown]
	s_cmp_lg_u32 s15, 0
	s_mov_b32 s9, 0
	s_cselect_b32 s12, -1, 0
	s_cmp_lg_u64 s[6:7], 0
	s_waitcnt lgkmcnt(0)
	s_cselect_b32 s2, -1, 0
	s_barrier
	s_or_b32 s2, s12, s2
	buffer_gl0_inv
	s_and_b32 vcc_lo, exec_lo, s2
	s_cbranch_vccz .LBB795_45
; %bb.41:
	v_add_co_u32 v17, s2, -4, s21
	s_delay_alu instid0(VALU_DEP_1)
	v_add_co_ci_u32_e64 v18, null, -1, s3, s2
	v_lshlrev_b32_e32 v21, 2, v0
	s_mov_b32 s3, -1
	s_and_b32 vcc_lo, exec_lo, s20
	flat_load_b32 v20, v[17:18]
	ds_store_b32 v21, v2
	s_cbranch_vccz .LBB795_46
; %bb.42:
	s_waitcnt vmcnt(0) lgkmcnt(1)
	v_mov_b32_e32 v17, v20
	s_mov_b32 s3, 0
	s_mov_b32 s2, exec_lo
	s_waitcnt lgkmcnt(0)
	s_barrier
	buffer_gl0_inv
	v_cmpx_ne_u32_e32 0, v0
	s_cbranch_execz .LBB795_44
; %bb.43:
	v_add_nc_u32_e32 v17, -4, v21
	ds_load_b32 v17, v17
.LBB795_44:
	s_or_b32 exec_lo, exec_lo, s2
	v_cmp_ne_u32_e32 vcc_lo, v1, v2
	s_waitcnt lgkmcnt(0)
	v_cmp_ne_u32_e64 s2, v17, v7
	v_cndmask_b32_e64 v18, 0, 1, vcc_lo
	v_cmp_ne_u32_e32 vcc_lo, v4, v1
	s_delay_alu instid0(VALU_DEP_2) | instskip(SKIP_2) | instid1(VALU_DEP_2)
	v_lshlrev_b16 v18, 8, v18
	v_cndmask_b32_e64 v22, 0, 1, vcc_lo
	v_cmp_ne_u32_e32 vcc_lo, v3, v4
	v_or_b32_e32 v18, v22, v18
	v_cndmask_b32_e64 v23, 0, 1, vcc_lo
	v_cmp_ne_u32_e32 vcc_lo, v5, v6
	s_delay_alu instid0(VALU_DEP_3) | instskip(NEXT) | instid1(VALU_DEP_3)
	v_lshlrev_b32_e32 v18, 16, v18
	v_lshlrev_b16 v23, 8, v23
	v_cndmask_b32_e64 v24, 0, 1, vcc_lo
	v_cmp_ne_u32_e32 vcc_lo, v6, v3
	s_delay_alu instid0(VALU_DEP_2) | instskip(SKIP_2) | instid1(VALU_DEP_2)
	v_lshlrev_b16 v24, 8, v24
	v_cndmask_b32_e64 v25, 0, 1, vcc_lo
	v_cmp_ne_u32_e32 vcc_lo, v8, v5
	v_or_b32_e32 v23, v25, v23
	v_cndmask_b32_e64 v26, 0, 1, vcc_lo
	v_cmp_ne_u32_e32 vcc_lo, v7, v8
	s_delay_alu instid0(VALU_DEP_3) | instskip(NEXT) | instid1(VALU_DEP_3)
	v_and_b32_e32 v23, 0xffff, v23
	v_or_b32_e32 v24, v26, v24
	v_cndmask_b32_e64 v27, 0, 1, vcc_lo
	s_delay_alu instid0(VALU_DEP_3) | instskip(NEXT) | instid1(VALU_DEP_3)
	v_or_b32_e32 v18, v23, v18
	v_lshlrev_b32_e32 v22, 16, v24
	s_delay_alu instid0(VALU_DEP_3) | instskip(NEXT) | instid1(VALU_DEP_1)
	v_lshlrev_b16 v26, 8, v27
	v_and_b32_e32 v24, 0xffff, v26
	s_delay_alu instid0(VALU_DEP_1)
	v_or_b32_e32 v17, v24, v22
	s_and_b32 vcc_lo, exec_lo, s3
	s_cbranch_vccnz .LBB795_47
	s_branch .LBB795_50
.LBB795_45:
                                        ; implicit-def: $sgpr2
                                        ; implicit-def: $vgpr18
	s_branch .LBB795_51
.LBB795_46:
                                        ; implicit-def: $sgpr2
                                        ; implicit-def: $vgpr18
	s_and_b32 vcc_lo, exec_lo, s3
	s_cbranch_vccz .LBB795_50
.LBB795_47:
	s_mov_b32 s2, exec_lo
	s_waitcnt vmcnt(0) lgkmcnt(0)
	s_barrier
	buffer_gl0_inv
	v_cmpx_ne_u32_e32 0, v0
	s_cbranch_execz .LBB795_49
; %bb.48:
	v_add_nc_u32_e32 v17, -4, v21
	ds_load_b32 v20, v17
.LBB795_49:
	s_or_b32 exec_lo, exec_lo, s2
	v_or_b32_e32 v17, 7, v19
	v_or_b32_e32 v18, 6, v19
	;; [unrolled: 1-line block ×3, first 2 shown]
	v_cmp_ne_u32_e32 vcc_lo, v1, v2
	v_cmp_ne_u32_e64 s3, v4, v1
	v_cmp_gt_u32_e64 s2, s18, v17
	v_cmp_gt_u32_e64 s5, s18, v18
	v_cmp_ne_u32_e64 s4, v3, v4
	v_cmp_gt_u32_e64 s6, s18, v21
	v_or_b32_e32 v18, 3, v19
	s_and_b32 s2, s2, vcc_lo
	v_or_b32_e32 v22, 4, v19
	v_cndmask_b32_e64 v17, 0, 1, s2
	s_and_b32 s2, s5, s3
	v_cmp_gt_u32_e32 vcc_lo, s18, v18
	v_cndmask_b32_e64 v21, 0, 1, s2
	s_and_b32 s2, s6, s4
	v_or_b32_e32 v18, 2, v19
	v_cndmask_b32_e64 v23, 0, 1, s2
	v_cmp_ne_u32_e64 s2, v5, v6
	v_cmp_gt_u32_e64 s3, s18, v22
	v_or_b32_e32 v22, 1, v19
	v_cmp_ne_u32_e64 s4, v6, v3
	v_cmp_ne_u32_e64 s6, v7, v8
	s_and_b32 s2, vcc_lo, s2
	v_cmp_gt_u32_e32 vcc_lo, s18, v18
	v_cndmask_b32_e64 v24, 0, 1, s2
	v_cmp_ne_u32_e64 s2, v8, v5
	v_cmp_gt_u32_e64 s5, s18, v22
	s_and_b32 s3, s3, s4
	v_lshlrev_b16 v23, 8, v23
	v_cndmask_b32_e64 v18, 0, 1, s3
	s_and_b32 s2, vcc_lo, s2
	v_lshlrev_b16 v24, 8, v24
	v_cndmask_b32_e64 v22, 0, 1, s2
	s_and_b32 s2, s5, s6
	v_lshlrev_b16 v17, 8, v17
	v_cndmask_b32_e64 v25, 0, 1, s2
	v_or_b32_e32 v18, v18, v23
	v_or_b32_e32 v22, v22, v24
	v_cmp_gt_u32_e32 vcc_lo, s18, v19
	v_or_b32_e32 v17, v21, v17
	v_lshlrev_b16 v24, 8, v25
	v_and_b32_e32 v18, 0xffff, v18
	v_lshlrev_b32_e32 v21, 16, v22
	s_waitcnt lgkmcnt(0)
	v_cmp_ne_u32_e64 s2, v20, v7
	v_lshlrev_b32_e32 v23, 16, v17
	v_and_b32_e32 v22, 0xffff, v24
	s_delay_alu instid0(VALU_DEP_3) | instskip(NEXT) | instid1(VALU_DEP_2)
	s_and_b32 s2, vcc_lo, s2
	v_or_b32_e32 v18, v18, v23
	s_delay_alu instid0(VALU_DEP_2)
	v_or_b32_e32 v17, v22, v21
.LBB795_50:
	s_mov_b32 s9, -1
	s_cbranch_execnz .LBB795_59
.LBB795_51:
	s_waitcnt vmcnt(0) lgkmcnt(1)
	v_lshlrev_b32_e32 v20, 2, v0
	v_cmp_ne_u32_e64 s3, v1, v2
	v_cmp_ne_u32_e64 s4, v4, v1
	;; [unrolled: 1-line block ×7, first 2 shown]
	s_and_b32 vcc_lo, exec_lo, s20
	ds_store_b32 v20, v2
	s_cbranch_vccz .LBB795_55
; %bb.52:
	v_cndmask_b32_e64 v17, 0, 1, s3
	v_cndmask_b32_e64 v21, 0, 1, s5
	;; [unrolled: 1-line block ×7, first 2 shown]
	v_lshlrev_b16 v21, 8, v21
	v_lshlrev_b16 v17, 8, v17
	v_lshlrev_b16 v23, 8, v23
	v_lshlrev_b16 v24, 8, v24
	s_mov_b32 s3, 0
	v_or_b32_e32 v21, v22, v21
	v_or_b32_e32 v17, v18, v17
	v_or_b32_e32 v18, v25, v23
	v_or_b32_e32 v22, 1, v24
	s_mov_b32 s4, exec_lo
	v_and_b32_e32 v21, 0xffff, v21
	v_lshlrev_b32_e32 v17, 16, v17
	v_lshlrev_b32_e32 v23, 16, v18
	v_and_b32_e32 v22, 0xffff, v22
	s_waitcnt lgkmcnt(0)
	s_barrier
	v_or_b32_e32 v18, v21, v17
	buffer_gl0_inv
	v_or_b32_e32 v17, v22, v23
                                        ; implicit-def: $sgpr2
	v_cmpx_ne_u32_e32 0, v0
	s_xor_b32 s4, exec_lo, s4
	s_cbranch_execz .LBB795_54
; %bb.53:
	v_add_nc_u32_e32 v21, -4, v20
	s_or_b32 s9, s9, exec_lo
	ds_load_b32 v21, v21
	s_waitcnt lgkmcnt(0)
	v_cmp_ne_u32_e32 vcc_lo, v21, v7
	s_and_b32 s2, vcc_lo, exec_lo
.LBB795_54:
	s_or_b32 exec_lo, exec_lo, s4
	s_delay_alu instid0(SALU_CYCLE_1)
	s_and_b32 vcc_lo, exec_lo, s3
	s_cbranch_vccnz .LBB795_56
	s_branch .LBB795_59
.LBB795_55:
                                        ; implicit-def: $sgpr2
                                        ; implicit-def: $vgpr18
	s_cbranch_execz .LBB795_59
.LBB795_56:
	v_or_b32_e32 v17, 7, v19
	v_or_b32_e32 v18, 6, v19
	v_cmp_ne_u32_e32 vcc_lo, v1, v2
	v_cmp_ne_u32_e64 s3, v4, v1
	v_or_b32_e32 v21, 5, v19
	v_cmp_gt_u32_e64 s2, s18, v17
	v_cmp_gt_u32_e64 s4, s18, v18
	v_or_b32_e32 v17, 4, v19
	v_or_b32_e32 v22, 3, v19
	v_cmp_gt_u32_e64 s5, s18, v21
	s_and_b32 s2, s2, vcc_lo
	v_cmp_ne_u32_e32 vcc_lo, v3, v4
	v_cndmask_b32_e64 v18, 0, 1, s2
	s_and_b32 s2, s4, s3
	v_cmp_ne_u32_e64 s3, v6, v3
	v_cndmask_b32_e64 v21, 0, 1, s2
	v_cmp_gt_u32_e64 s2, s18, v17
	v_or_b32_e32 v23, 1, v19
	s_and_b32 s4, s5, vcc_lo
	v_cmp_gt_u32_e32 vcc_lo, s18, v22
	v_cndmask_b32_e64 v17, 0, 1, s4
	s_and_b32 s2, s2, s3
	v_or_b32_e32 v25, 2, v19
	v_cndmask_b32_e64 v24, 0, 1, s2
	v_cmp_ne_u32_e64 s2, v5, v6
	v_cmp_gt_u32_e64 s3, s18, v23
	v_cmp_ne_u32_e64 s4, v7, v8
	v_cmp_gt_u32_e64 s5, s18, v25
	v_cmp_ne_u32_e64 s6, v8, v5
	s_and_b32 s2, vcc_lo, s2
	v_lshlrev_b16 v17, 8, v17
	v_cndmask_b32_e64 v22, 0, 1, s2
	s_and_b32 s2, s3, s4
	v_lshlrev_b16 v18, 8, v18
	v_cndmask_b32_e64 v23, 0, 1, s2
	s_and_b32 s2, s5, s6
	v_lshlrev_b16 v22, 8, v22
	v_cndmask_b32_e64 v25, 0, 1, s2
	v_or_b32_e32 v17, v24, v17
	v_lshlrev_b16 v23, 8, v23
	v_or_b32_e32 v18, v21, v18
	s_mov_b32 s3, exec_lo
	v_or_b32_e32 v21, v25, v22
	v_and_b32_e32 v17, 0xffff, v17
	v_or_b32_e32 v22, 1, v23
	v_lshlrev_b32_e32 v18, 16, v18
	s_waitcnt lgkmcnt(0)
	v_lshlrev_b32_e32 v21, 16, v21
	s_barrier
	v_and_b32_e32 v22, 0xffff, v22
	v_or_b32_e32 v18, v17, v18
	buffer_gl0_inv
                                        ; implicit-def: $sgpr2
	v_or_b32_e32 v17, v22, v21
	v_cmpx_ne_u32_e32 0, v0
	s_cbranch_execz .LBB795_58
; %bb.57:
	v_add_nc_u32_e32 v20, -4, v20
	v_cmp_gt_u32_e32 vcc_lo, s18, v19
	s_or_b32 s9, s9, exec_lo
	ds_load_b32 v20, v20
	s_waitcnt lgkmcnt(0)
	v_cmp_ne_u32_e64 s2, v20, v7
	s_delay_alu instid0(VALU_DEP_1) | instskip(NEXT) | instid1(SALU_CYCLE_1)
	s_and_b32 s2, vcc_lo, s2
	s_and_b32 s2, s2, exec_lo
.LBB795_58:
	s_or_b32 exec_lo, exec_lo, s3
.LBB795_59:
	s_and_saveexec_b32 s3, s9
	s_cbranch_execz .LBB795_61
; %bb.60:
	s_waitcnt vmcnt(0) lgkmcnt(1)
	v_and_b32_e32 v20, 0xffffff00, v17
	v_cndmask_b32_e64 v21, 0, 1, s2
	s_delay_alu instid0(VALU_DEP_1) | instskip(NEXT) | instid1(VALU_DEP_1)
	v_or_b32_e32 v20, v21, v20
	v_and_b32_e32 v20, 0xffff, v20
	s_delay_alu instid0(VALU_DEP_1)
	v_and_or_b32 v17, 0xffff0000, v17, v20
.LBB795_61:
	s_or_b32 exec_lo, exec_lo, s3
	s_load_b64 s[8:9], s[0:1], 0x70
	s_and_not1_b32 vcc_lo, exec_lo, s19
	s_cbranch_vccnz .LBB795_63
; %bb.62:
	v_cmp_gt_u32_e32 vcc_lo, s18, v19
	v_or_b32_e32 v21, 1, v19
	v_and_b32_e32 v22, 0xffffff00, v18
	v_or_b32_e32 v23, 2, v19
	s_waitcnt vmcnt(0) lgkmcnt(0)
	v_cndmask_b32_e32 v20, 0, v17, vcc_lo
	v_cmp_gt_u32_e32 vcc_lo, s18, v21
	v_or_b32_e32 v21, 4, v19
	v_cmp_gt_u32_e64 s0, s18, v23
	v_or_b32_e32 v23, 3, v19
	v_and_b32_e32 v20, 0xff, v20
	s_delay_alu instid0(VALU_DEP_2) | instskip(NEXT) | instid1(VALU_DEP_2)
	v_cmp_gt_u32_e64 s1, s18, v23
	v_cndmask_b32_e32 v20, v20, v17, vcc_lo
	v_cmp_gt_u32_e32 vcc_lo, s18, v21
	s_delay_alu instid0(VALU_DEP_2) | instskip(SKIP_1) | instid1(VALU_DEP_2)
	v_dual_cndmask_b32 v21, v22, v18 :: v_dual_and_b32 v20, 0xffff, v20
	v_or_b32_e32 v22, 5, v19
	v_cndmask_b32_e64 v20, v20, v17, s0
	s_delay_alu instid0(VALU_DEP_3) | instskip(NEXT) | instid1(VALU_DEP_3)
	v_and_b32_e32 v21, 0xffff00ff, v21
	v_cmp_gt_u32_e64 s0, s18, v22
	v_or_b32_e32 v22, 6, v19
	v_or_b32_e32 v19, 7, v19
	v_and_b32_e32 v20, 0xffffff, v20
	s_delay_alu instid0(VALU_DEP_4) | instskip(NEXT) | instid1(VALU_DEP_2)
	v_cndmask_b32_e64 v21, v21, v18, s0
	v_cndmask_b32_e64 v20, v20, v17, s1
	s_delay_alu instid0(VALU_DEP_2) | instskip(NEXT) | instid1(VALU_DEP_2)
	v_and_b32_e32 v21, 0xff00ffff, v21
	v_cndmask_b32_e32 v20, v20, v17, vcc_lo
	v_cmp_gt_u32_e32 vcc_lo, s18, v22
	s_delay_alu instid0(VALU_DEP_2) | instskip(NEXT) | instid1(VALU_DEP_1)
	v_cndmask_b32_e64 v20, v20, v17, s0
	v_dual_cndmask_b32 v21, v21, v18 :: v_dual_cndmask_b32 v20, v20, v17
	s_delay_alu instid0(VALU_DEP_1) | instskip(SKIP_1) | instid1(VALU_DEP_2)
	v_and_b32_e32 v21, 0xffffff, v21
	v_cmp_gt_u32_e32 vcc_lo, s18, v19
	v_dual_cndmask_b32 v18, v21, v18 :: v_dual_cndmask_b32 v17, v20, v17
.LBB795_63:
	s_delay_alu instid0(VALU_DEP_1) | instskip(NEXT) | instid1(VALU_DEP_2)
	v_and_b32_e32 v28, 0xff, v17
	v_alignbit_b32 v19, v18, v17, 24
	v_bfe_u32 v29, v17, 8, 8
	v_bfe_u32 v30, v17, 16, 8
	v_and_b32_e32 v32, 0xff, v18
	v_bfe_u32 v33, v18, 8, 8
	v_and_b32_e32 v31, 0xff, v19
	v_add_nc_u32_e32 v19, v29, v28
	s_waitcnt vmcnt(0) lgkmcnt(0)
	v_and_b32_e32 v20, 0x1e0, v0
	v_mbcnt_lo_u32_b32 v35, -1, 0
	v_bfe_u32 v34, v18, 16, 8
	v_lshrrev_b32_e32 v27, 24, v18
	v_add3_u32 v19, v19, v30, v31
	v_min_u32_e32 v20, 0x160, v20
	v_and_b32_e32 v21, 15, v35
	v_lshrrev_b32_e32 v36, 5, v0
	s_and_b32 vcc_lo, exec_lo, s12
	v_add3_u32 v19, v19, v32, v33
	v_or_b32_e32 v20, 31, v20
	v_cmp_eq_u32_e64 s2, 0, v21
	v_cmp_lt_u32_e64 s3, 1, v21
	v_cmp_lt_u32_e64 s1, 3, v21
	v_add3_u32 v37, v19, v34, v27
	v_and_b32_e32 v19, 16, v35
	v_cmp_lt_u32_e64 s0, 7, v21
	v_cmp_eq_u32_e64 s4, v20, v0
	s_mov_b32 s6, -1
	s_delay_alu instid0(VALU_DEP_3)
	v_cmp_eq_u32_e64 s5, 0, v19
	s_barrier
	buffer_gl0_inv
	s_cbranch_vccz .LBB795_89
; %bb.64:
	v_mov_b32_dpp v19, v37 row_shr:1 row_mask:0xf bank_mask:0xf
	s_delay_alu instid0(VALU_DEP_1) | instskip(NEXT) | instid1(VALU_DEP_1)
	v_cndmask_b32_e64 v19, v19, 0, s2
	v_add_nc_u32_e32 v19, v19, v37
	s_delay_alu instid0(VALU_DEP_1) | instskip(NEXT) | instid1(VALU_DEP_1)
	v_mov_b32_dpp v20, v19 row_shr:2 row_mask:0xf bank_mask:0xf
	v_cndmask_b32_e64 v20, 0, v20, s3
	s_delay_alu instid0(VALU_DEP_1) | instskip(NEXT) | instid1(VALU_DEP_1)
	v_add_nc_u32_e32 v19, v19, v20
	v_mov_b32_dpp v20, v19 row_shr:4 row_mask:0xf bank_mask:0xf
	s_delay_alu instid0(VALU_DEP_1) | instskip(NEXT) | instid1(VALU_DEP_1)
	v_cndmask_b32_e64 v20, 0, v20, s1
	v_add_nc_u32_e32 v19, v19, v20
	s_delay_alu instid0(VALU_DEP_1) | instskip(NEXT) | instid1(VALU_DEP_1)
	v_mov_b32_dpp v20, v19 row_shr:8 row_mask:0xf bank_mask:0xf
	v_cndmask_b32_e64 v20, 0, v20, s0
	s_delay_alu instid0(VALU_DEP_1) | instskip(SKIP_3) | instid1(VALU_DEP_1)
	v_add_nc_u32_e32 v19, v19, v20
	ds_swizzle_b32 v20, v19 offset:swizzle(BROADCAST,32,15)
	s_waitcnt lgkmcnt(0)
	v_cndmask_b32_e64 v20, v20, 0, s5
	v_add_nc_u32_e32 v19, v19, v20
	s_and_saveexec_b32 s6, s4
	s_cbranch_execz .LBB795_66
; %bb.65:
	v_lshlrev_b32_e32 v20, 2, v36
	ds_store_b32 v20, v19
.LBB795_66:
	s_or_b32 exec_lo, exec_lo, s6
	s_delay_alu instid0(SALU_CYCLE_1)
	s_mov_b32 s6, exec_lo
	s_waitcnt lgkmcnt(0)
	s_barrier
	buffer_gl0_inv
	v_cmpx_gt_u32_e32 12, v0
	s_cbranch_execz .LBB795_68
; %bb.67:
	v_lshlrev_b32_e32 v20, 2, v0
	ds_load_b32 v21, v20
	s_waitcnt lgkmcnt(0)
	v_mov_b32_dpp v22, v21 row_shr:1 row_mask:0xf bank_mask:0xf
	s_delay_alu instid0(VALU_DEP_1) | instskip(NEXT) | instid1(VALU_DEP_1)
	v_cndmask_b32_e64 v22, v22, 0, s2
	v_add_nc_u32_e32 v21, v22, v21
	s_delay_alu instid0(VALU_DEP_1) | instskip(NEXT) | instid1(VALU_DEP_1)
	v_mov_b32_dpp v22, v21 row_shr:2 row_mask:0xf bank_mask:0xf
	v_cndmask_b32_e64 v22, 0, v22, s3
	s_delay_alu instid0(VALU_DEP_1) | instskip(NEXT) | instid1(VALU_DEP_1)
	v_add_nc_u32_e32 v21, v21, v22
	v_mov_b32_dpp v22, v21 row_shr:4 row_mask:0xf bank_mask:0xf
	s_delay_alu instid0(VALU_DEP_1) | instskip(NEXT) | instid1(VALU_DEP_1)
	v_cndmask_b32_e64 v22, 0, v22, s1
	v_add_nc_u32_e32 v21, v21, v22
	s_delay_alu instid0(VALU_DEP_1) | instskip(NEXT) | instid1(VALU_DEP_1)
	v_mov_b32_dpp v22, v21 row_shr:8 row_mask:0xf bank_mask:0xf
	v_cndmask_b32_e64 v22, 0, v22, s0
	s_delay_alu instid0(VALU_DEP_1)
	v_add_nc_u32_e32 v21, v21, v22
	ds_store_b32 v20, v21
.LBB795_68:
	s_or_b32 exec_lo, exec_lo, s6
	v_cmp_gt_u32_e32 vcc_lo, 32, v0
	s_mov_b32 s7, exec_lo
	s_waitcnt lgkmcnt(0)
	s_barrier
	buffer_gl0_inv
                                        ; implicit-def: $vgpr38
	v_cmpx_lt_u32_e32 31, v0
	s_cbranch_execz .LBB795_70
; %bb.69:
	v_lshl_add_u32 v20, v36, 2, -4
	ds_load_b32 v38, v20
	s_waitcnt lgkmcnt(0)
	v_add_nc_u32_e32 v19, v38, v19
.LBB795_70:
	s_or_b32 exec_lo, exec_lo, s7
	v_add_nc_u32_e32 v20, -1, v35
	s_delay_alu instid0(VALU_DEP_1) | instskip(NEXT) | instid1(VALU_DEP_1)
	v_cmp_gt_i32_e64 s6, 0, v20
	v_cndmask_b32_e64 v20, v20, v35, s6
	v_cmp_eq_u32_e64 s6, 0, v35
	s_delay_alu instid0(VALU_DEP_2)
	v_lshlrev_b32_e32 v20, 2, v20
	ds_bpermute_b32 v39, v20, v19
	s_and_saveexec_b32 s7, vcc_lo
	s_cbranch_execz .LBB795_88
; %bb.71:
	v_mov_b32_e32 v23, 0
	ds_load_b32 v19, v23 offset:44
	s_and_saveexec_b32 s12, s6
	s_cbranch_execz .LBB795_73
; %bb.72:
	s_add_i32 s18, s15, 32
	s_mov_b32 s19, 0
	v_mov_b32_e32 v20, 1
	s_lshl_b64 s[18:19], s[18:19], 3
	s_delay_alu instid0(SALU_CYCLE_1)
	s_add_u32 s18, s8, s18
	s_addc_u32 s19, s9, s19
	s_waitcnt lgkmcnt(0)
	global_store_b64 v23, v[19:20], s[18:19]
.LBB795_73:
	s_or_b32 exec_lo, exec_lo, s12
	v_xad_u32 v21, v35, -1, s15
	s_mov_b32 s13, 0
	s_mov_b32 s12, exec_lo
	s_delay_alu instid0(VALU_DEP_1) | instskip(NEXT) | instid1(VALU_DEP_1)
	v_add_nc_u32_e32 v22, 32, v21
	v_lshlrev_b64 v[22:23], 3, v[22:23]
	s_delay_alu instid0(VALU_DEP_1) | instskip(NEXT) | instid1(VALU_DEP_2)
	v_add_co_u32 v25, vcc_lo, s8, v22
	v_add_co_ci_u32_e32 v26, vcc_lo, s9, v23, vcc_lo
	global_load_b64 v[23:24], v[25:26], off glc
	s_waitcnt vmcnt(0)
	v_and_b32_e32 v20, 0xff, v24
	s_delay_alu instid0(VALU_DEP_1)
	v_cmpx_eq_u16_e32 0, v20
	s_cbranch_execz .LBB795_76
.LBB795_74:                             ; =>This Inner Loop Header: Depth=1
	global_load_b64 v[23:24], v[25:26], off glc
	s_waitcnt vmcnt(0)
	v_and_b32_e32 v20, 0xff, v24
	s_delay_alu instid0(VALU_DEP_1) | instskip(SKIP_1) | instid1(SALU_CYCLE_1)
	v_cmp_ne_u16_e32 vcc_lo, 0, v20
	s_or_b32 s13, vcc_lo, s13
	s_and_not1_b32 exec_lo, exec_lo, s13
	s_cbranch_execnz .LBB795_74
; %bb.75:
	s_or_b32 exec_lo, exec_lo, s13
.LBB795_76:
	s_delay_alu instid0(SALU_CYCLE_1)
	s_or_b32 exec_lo, exec_lo, s12
	v_cmp_ne_u32_e32 vcc_lo, 31, v35
	v_lshlrev_b32_e64 v41, v35, -1
	v_add_nc_u32_e32 v43, 2, v35
	v_add_nc_u32_e32 v45, 4, v35
	;; [unrolled: 1-line block ×3, first 2 shown]
	v_add_co_ci_u32_e32 v20, vcc_lo, 0, v35, vcc_lo
	v_add_nc_u32_e32 v49, 16, v35
	s_delay_alu instid0(VALU_DEP_2)
	v_lshlrev_b32_e32 v40, 2, v20
	v_and_b32_e32 v20, 0xff, v24
	ds_bpermute_b32 v22, v40, v23
	v_cmp_eq_u16_e32 vcc_lo, 2, v20
	v_and_or_b32 v20, vcc_lo, v41, 0x80000000
	v_cmp_gt_u32_e32 vcc_lo, 30, v35
	s_delay_alu instid0(VALU_DEP_2) | instskip(SKIP_1) | instid1(VALU_DEP_2)
	v_ctz_i32_b32_e32 v20, v20
	v_cndmask_b32_e64 v25, 0, 1, vcc_lo
	v_cmp_lt_u32_e32 vcc_lo, v35, v20
	s_waitcnt lgkmcnt(0)
	s_delay_alu instid0(VALU_DEP_2) | instskip(NEXT) | instid1(VALU_DEP_1)
	v_dual_cndmask_b32 v22, 0, v22 :: v_dual_lshlrev_b32 v25, 1, v25
	v_add_lshl_u32 v42, v25, v35, 2
	v_cmp_gt_u32_e32 vcc_lo, 28, v35
	s_delay_alu instid0(VALU_DEP_3) | instskip(SKIP_4) | instid1(VALU_DEP_1)
	v_add_nc_u32_e32 v22, v22, v23
	v_cndmask_b32_e64 v25, 0, 1, vcc_lo
	v_cmp_le_u32_e32 vcc_lo, v43, v20
	ds_bpermute_b32 v23, v42, v22
	v_lshlrev_b32_e32 v25, 2, v25
	v_add_lshl_u32 v44, v25, v35, 2
	s_waitcnt lgkmcnt(0)
	v_cndmask_b32_e32 v23, 0, v23, vcc_lo
	v_cmp_gt_u32_e32 vcc_lo, 24, v35
	s_delay_alu instid0(VALU_DEP_2) | instskip(SKIP_4) | instid1(VALU_DEP_1)
	v_add_nc_u32_e32 v22, v22, v23
	v_cndmask_b32_e64 v25, 0, 1, vcc_lo
	v_cmp_le_u32_e32 vcc_lo, v45, v20
	ds_bpermute_b32 v23, v44, v22
	v_lshlrev_b32_e32 v25, 3, v25
	v_add_lshl_u32 v46, v25, v35, 2
	s_waitcnt lgkmcnt(0)
	v_cndmask_b32_e32 v23, 0, v23, vcc_lo
	v_cmp_gt_u32_e32 vcc_lo, 16, v35
	s_delay_alu instid0(VALU_DEP_2) | instskip(SKIP_4) | instid1(VALU_DEP_1)
	v_add_nc_u32_e32 v22, v22, v23
	v_cndmask_b32_e64 v25, 0, 1, vcc_lo
	v_cmp_le_u32_e32 vcc_lo, v47, v20
	ds_bpermute_b32 v23, v46, v22
	v_lshlrev_b32_e32 v25, 4, v25
	v_add_lshl_u32 v48, v25, v35, 2
	s_waitcnt lgkmcnt(0)
	v_cndmask_b32_e32 v23, 0, v23, vcc_lo
	v_cmp_le_u32_e32 vcc_lo, v49, v20
	s_delay_alu instid0(VALU_DEP_2) | instskip(SKIP_3) | instid1(VALU_DEP_1)
	v_add_nc_u32_e32 v22, v22, v23
	ds_bpermute_b32 v23, v48, v22
	s_waitcnt lgkmcnt(0)
	v_cndmask_b32_e32 v20, 0, v23, vcc_lo
	v_dual_mov_b32 v22, 0 :: v_dual_add_nc_u32 v23, v22, v20
	s_branch .LBB795_78
.LBB795_77:                             ;   in Loop: Header=BB795_78 Depth=1
	s_or_b32 exec_lo, exec_lo, s12
	ds_bpermute_b32 v26, v40, v23
	v_and_b32_e32 v25, 0xff, v24
	v_subrev_nc_u32_e32 v21, 32, v21
	s_delay_alu instid0(VALU_DEP_2) | instskip(SKIP_1) | instid1(VALU_DEP_1)
	v_cmp_eq_u16_e32 vcc_lo, 2, v25
	v_and_or_b32 v25, vcc_lo, v41, 0x80000000
	v_ctz_i32_b32_e32 v25, v25
	s_delay_alu instid0(VALU_DEP_1) | instskip(SKIP_3) | instid1(VALU_DEP_2)
	v_cmp_lt_u32_e32 vcc_lo, v35, v25
	s_waitcnt lgkmcnt(0)
	v_cndmask_b32_e32 v26, 0, v26, vcc_lo
	v_cmp_le_u32_e32 vcc_lo, v43, v25
	v_add_nc_u32_e32 v23, v26, v23
	ds_bpermute_b32 v26, v42, v23
	s_waitcnt lgkmcnt(0)
	v_cndmask_b32_e32 v26, 0, v26, vcc_lo
	v_cmp_le_u32_e32 vcc_lo, v45, v25
	s_delay_alu instid0(VALU_DEP_2) | instskip(SKIP_4) | instid1(VALU_DEP_2)
	v_add_nc_u32_e32 v23, v23, v26
	ds_bpermute_b32 v26, v44, v23
	s_waitcnt lgkmcnt(0)
	v_cndmask_b32_e32 v26, 0, v26, vcc_lo
	v_cmp_le_u32_e32 vcc_lo, v47, v25
	v_add_nc_u32_e32 v23, v23, v26
	ds_bpermute_b32 v26, v46, v23
	s_waitcnt lgkmcnt(0)
	v_cndmask_b32_e32 v26, 0, v26, vcc_lo
	v_cmp_le_u32_e32 vcc_lo, v49, v25
	s_delay_alu instid0(VALU_DEP_2) | instskip(SKIP_3) | instid1(VALU_DEP_1)
	v_add_nc_u32_e32 v23, v23, v26
	ds_bpermute_b32 v26, v48, v23
	s_waitcnt lgkmcnt(0)
	v_cndmask_b32_e32 v25, 0, v26, vcc_lo
	v_add3_u32 v23, v25, v20, v23
.LBB795_78:                             ; =>This Loop Header: Depth=1
                                        ;     Child Loop BB795_81 Depth 2
	v_and_b32_e32 v20, 0xff, v24
	s_delay_alu instid0(VALU_DEP_1) | instskip(SKIP_2) | instid1(VALU_DEP_1)
	v_cmp_ne_u16_e32 vcc_lo, 2, v20
	v_cndmask_b32_e64 v20, 0, 1, vcc_lo
	;;#ASMSTART
	;;#ASMEND
	v_cmp_ne_u32_e32 vcc_lo, 0, v20
	v_mov_b32_e32 v20, v23
	s_cmp_lg_u32 vcc_lo, exec_lo
	s_cbranch_scc1 .LBB795_83
; %bb.79:                               ;   in Loop: Header=BB795_78 Depth=1
	v_lshlrev_b64 v[23:24], 3, v[21:22]
	s_mov_b32 s12, exec_lo
	s_delay_alu instid0(VALU_DEP_1) | instskip(NEXT) | instid1(VALU_DEP_2)
	v_add_co_u32 v25, vcc_lo, s8, v23
	v_add_co_ci_u32_e32 v26, vcc_lo, s9, v24, vcc_lo
	global_load_b64 v[23:24], v[25:26], off glc
	s_waitcnt vmcnt(0)
	v_and_b32_e32 v50, 0xff, v24
	s_delay_alu instid0(VALU_DEP_1)
	v_cmpx_eq_u16_e32 0, v50
	s_cbranch_execz .LBB795_77
; %bb.80:                               ;   in Loop: Header=BB795_78 Depth=1
	s_mov_b32 s13, 0
.LBB795_81:                             ;   Parent Loop BB795_78 Depth=1
                                        ; =>  This Inner Loop Header: Depth=2
	global_load_b64 v[23:24], v[25:26], off glc
	s_waitcnt vmcnt(0)
	v_and_b32_e32 v50, 0xff, v24
	s_delay_alu instid0(VALU_DEP_1) | instskip(SKIP_1) | instid1(SALU_CYCLE_1)
	v_cmp_ne_u16_e32 vcc_lo, 0, v50
	s_or_b32 s13, vcc_lo, s13
	s_and_not1_b32 exec_lo, exec_lo, s13
	s_cbranch_execnz .LBB795_81
; %bb.82:                               ;   in Loop: Header=BB795_78 Depth=1
	s_or_b32 exec_lo, exec_lo, s13
	s_branch .LBB795_77
.LBB795_83:                             ;   in Loop: Header=BB795_78 Depth=1
                                        ; implicit-def: $vgpr23
                                        ; implicit-def: $vgpr24
	s_cbranch_execz .LBB795_78
; %bb.84:
	s_and_saveexec_b32 s12, s6
	s_cbranch_execz .LBB795_86
; %bb.85:
	s_add_i32 s18, s15, 32
	s_mov_b32 s19, 0
	v_dual_mov_b32 v22, 2 :: v_dual_add_nc_u32 v21, v20, v19
	s_lshl_b64 s[18:19], s[18:19], 3
	v_mov_b32_e32 v23, 0
	s_add_u32 s18, s8, s18
	s_addc_u32 s19, s9, s19
	global_store_b64 v23, v[21:22], s[18:19]
	ds_store_b64 v23, v[19:20] offset:12672
.LBB795_86:
	s_or_b32 exec_lo, exec_lo, s12
	v_cmp_eq_u32_e32 vcc_lo, 0, v0
	s_and_b32 exec_lo, exec_lo, vcc_lo
	s_cbranch_execz .LBB795_88
; %bb.87:
	v_mov_b32_e32 v19, 0
	ds_store_b32 v19, v20 offset:44
.LBB795_88:
	s_or_b32 exec_lo, exec_lo, s7
	v_mov_b32_e32 v19, 0
	s_waitcnt lgkmcnt(0)
	s_waitcnt_vscnt null, 0x0
	s_barrier
	buffer_gl0_inv
	v_cndmask_b32_e64 v21, v39, v38, s6
	ds_load_b32 v20, v19 offset:44
	v_cmp_ne_u32_e32 vcc_lo, 0, v0
	s_waitcnt lgkmcnt(0)
	s_barrier
	buffer_gl0_inv
	v_cndmask_b32_e32 v21, 0, v21, vcc_lo
	s_delay_alu instid0(VALU_DEP_1) | instskip(NEXT) | instid1(VALU_DEP_1)
	v_add_nc_u32_e32 v41, v20, v21
	v_add_nc_u32_e32 v40, v41, v28
	ds_load_b64 v[19:20], v19 offset:12672
	v_add_nc_u32_e32 v39, v40, v29
	s_delay_alu instid0(VALU_DEP_1) | instskip(NEXT) | instid1(VALU_DEP_1)
	v_add_nc_u32_e32 v38, v39, v30
	v_add_nc_u32_e32 v26, v38, v31
	s_delay_alu instid0(VALU_DEP_1) | instskip(NEXT) | instid1(VALU_DEP_1)
	v_add_nc_u32_e32 v25, v26, v32
	v_add_nc_u32_e32 v24, v25, v33
	s_delay_alu instid0(VALU_DEP_1)
	v_add_nc_u32_e32 v23, v24, v34
	v_lshrrev_b64 v[21:22], 24, v[17:18]
	s_branch .LBB795_99
.LBB795_89:
                                        ; implicit-def: $vgpr23
                                        ; implicit-def: $vgpr24
                                        ; implicit-def: $vgpr25
                                        ; implicit-def: $vgpr26
                                        ; implicit-def: $vgpr38
                                        ; implicit-def: $vgpr39
                                        ; implicit-def: $vgpr40
                                        ; implicit-def: $vgpr41
                                        ; implicit-def: $vgpr20
	v_lshrrev_b64 v[21:22], 24, v[17:18]
	s_and_b32 vcc_lo, exec_lo, s6
	s_cbranch_vccz .LBB795_99
; %bb.90:
	s_waitcnt lgkmcnt(0)
	v_mov_b32_dpp v19, v37 row_shr:1 row_mask:0xf bank_mask:0xf
	s_delay_alu instid0(VALU_DEP_1) | instskip(NEXT) | instid1(VALU_DEP_1)
	v_cndmask_b32_e64 v19, v19, 0, s2
	v_add_nc_u32_e32 v19, v19, v37
	s_delay_alu instid0(VALU_DEP_1) | instskip(NEXT) | instid1(VALU_DEP_1)
	v_mov_b32_dpp v20, v19 row_shr:2 row_mask:0xf bank_mask:0xf
	v_cndmask_b32_e64 v20, 0, v20, s3
	s_delay_alu instid0(VALU_DEP_1) | instskip(NEXT) | instid1(VALU_DEP_1)
	v_add_nc_u32_e32 v19, v19, v20
	v_mov_b32_dpp v20, v19 row_shr:4 row_mask:0xf bank_mask:0xf
	s_delay_alu instid0(VALU_DEP_1) | instskip(NEXT) | instid1(VALU_DEP_1)
	v_cndmask_b32_e64 v20, 0, v20, s1
	v_add_nc_u32_e32 v19, v19, v20
	s_delay_alu instid0(VALU_DEP_1) | instskip(NEXT) | instid1(VALU_DEP_1)
	v_mov_b32_dpp v20, v19 row_shr:8 row_mask:0xf bank_mask:0xf
	v_cndmask_b32_e64 v20, 0, v20, s0
	s_delay_alu instid0(VALU_DEP_1) | instskip(SKIP_3) | instid1(VALU_DEP_1)
	v_add_nc_u32_e32 v19, v19, v20
	ds_swizzle_b32 v20, v19 offset:swizzle(BROADCAST,32,15)
	s_waitcnt lgkmcnt(0)
	v_cndmask_b32_e64 v20, v20, 0, s5
	v_add_nc_u32_e32 v19, v19, v20
	s_and_saveexec_b32 s5, s4
	s_cbranch_execz .LBB795_92
; %bb.91:
	v_lshlrev_b32_e32 v20, 2, v36
	ds_store_b32 v20, v19
.LBB795_92:
	s_or_b32 exec_lo, exec_lo, s5
	s_delay_alu instid0(SALU_CYCLE_1)
	s_mov_b32 s4, exec_lo
	s_waitcnt lgkmcnt(0)
	s_barrier
	buffer_gl0_inv
	v_cmpx_gt_u32_e32 12, v0
	s_cbranch_execz .LBB795_94
; %bb.93:
	v_lshlrev_b32_e32 v20, 2, v0
	ds_load_b32 v22, v20
	s_waitcnt lgkmcnt(0)
	v_mov_b32_dpp v23, v22 row_shr:1 row_mask:0xf bank_mask:0xf
	s_delay_alu instid0(VALU_DEP_1) | instskip(NEXT) | instid1(VALU_DEP_1)
	v_cndmask_b32_e64 v23, v23, 0, s2
	v_add_nc_u32_e32 v22, v23, v22
	s_delay_alu instid0(VALU_DEP_1) | instskip(NEXT) | instid1(VALU_DEP_1)
	v_mov_b32_dpp v23, v22 row_shr:2 row_mask:0xf bank_mask:0xf
	v_cndmask_b32_e64 v23, 0, v23, s3
	s_delay_alu instid0(VALU_DEP_1) | instskip(NEXT) | instid1(VALU_DEP_1)
	v_add_nc_u32_e32 v22, v22, v23
	v_mov_b32_dpp v23, v22 row_shr:4 row_mask:0xf bank_mask:0xf
	s_delay_alu instid0(VALU_DEP_1) | instskip(NEXT) | instid1(VALU_DEP_1)
	v_cndmask_b32_e64 v23, 0, v23, s1
	v_add_nc_u32_e32 v22, v22, v23
	s_delay_alu instid0(VALU_DEP_1) | instskip(NEXT) | instid1(VALU_DEP_1)
	v_mov_b32_dpp v23, v22 row_shr:8 row_mask:0xf bank_mask:0xf
	v_cndmask_b32_e64 v23, 0, v23, s0
	s_delay_alu instid0(VALU_DEP_1)
	v_add_nc_u32_e32 v22, v22, v23
	ds_store_b32 v20, v22
.LBB795_94:
	s_or_b32 exec_lo, exec_lo, s4
	v_mov_b32_e32 v20, 0
	v_mov_b32_e32 v22, 0
	s_mov_b32 s0, exec_lo
	s_waitcnt lgkmcnt(0)
	s_barrier
	buffer_gl0_inv
	v_cmpx_lt_u32_e32 31, v0
	s_cbranch_execz .LBB795_96
; %bb.95:
	v_lshl_add_u32 v22, v36, 2, -4
	ds_load_b32 v22, v22
.LBB795_96:
	s_or_b32 exec_lo, exec_lo, s0
	v_add_nc_u32_e32 v23, -1, v35
	s_waitcnt lgkmcnt(0)
	v_add_nc_u32_e32 v19, v22, v19
	s_delay_alu instid0(VALU_DEP_2) | instskip(SKIP_2) | instid1(VALU_DEP_2)
	v_cmp_gt_i32_e32 vcc_lo, 0, v23
	v_cndmask_b32_e32 v23, v23, v35, vcc_lo
	v_cmp_eq_u32_e32 vcc_lo, 0, v0
	v_lshlrev_b32_e32 v23, 2, v23
	ds_bpermute_b32 v23, v23, v19
	ds_load_b32 v19, v20 offset:44
	s_and_saveexec_b32 s0, vcc_lo
	s_cbranch_execz .LBB795_98
; %bb.97:
	v_mov_b32_e32 v24, 0
	v_mov_b32_e32 v20, 2
	s_waitcnt lgkmcnt(0)
	global_store_b64 v24, v[19:20], s[8:9] offset:256
.LBB795_98:
	s_or_b32 exec_lo, exec_lo, s0
	v_cmp_eq_u32_e64 s0, 0, v35
	s_waitcnt lgkmcnt(0)
	s_waitcnt_vscnt null, 0x0
	s_barrier
	buffer_gl0_inv
	v_cndmask_b32_e64 v20, v23, v22, s0
	s_delay_alu instid0(VALU_DEP_1) | instskip(SKIP_1) | instid1(VALU_DEP_2)
	v_cndmask_b32_e64 v41, v20, 0, vcc_lo
	v_mov_b32_e32 v20, 0
	v_add_nc_u32_e32 v40, v41, v28
	s_delay_alu instid0(VALU_DEP_1) | instskip(NEXT) | instid1(VALU_DEP_1)
	v_add_nc_u32_e32 v39, v40, v29
	v_add_nc_u32_e32 v38, v39, v30
	s_delay_alu instid0(VALU_DEP_1) | instskip(NEXT) | instid1(VALU_DEP_1)
	v_add_nc_u32_e32 v26, v38, v31
	;; [unrolled: 3-line block ×3, first 2 shown]
	v_add_nc_u32_e32 v23, v24, v34
.LBB795_99:
	v_lshrrev_b32_e32 v30, 8, v17
	v_lshrrev_b32_e32 v29, 16, v17
	v_and_b32_e32 v17, 1, v17
	s_waitcnt lgkmcnt(0)
	v_cmp_gt_u32_e32 vcc_lo, 0x181, v19
	v_lshrrev_b32_e32 v28, 8, v18
	v_lshrrev_b32_e32 v22, 16, v18
	v_cmp_lt_u32_e64 s0, 0x180, v19
	v_cmp_eq_u32_e64 s1, 1, v17
	s_cbranch_vccnz .LBB795_117
; %bb.100:
	s_delay_alu instid0(VALU_DEP_1)
	s_and_saveexec_b32 s2, s1
	s_cbranch_execz .LBB795_102
; %bb.101:
	v_sub_nc_u32_e32 v31, v41, v20
	s_delay_alu instid0(VALU_DEP_1)
	v_lshlrev_b32_e32 v31, 2, v31
	ds_store_b32 v31, v7
.LBB795_102:
	s_or_b32 exec_lo, exec_lo, s2
	v_and_b32_e32 v7, 1, v30
	s_mov_b32 s1, exec_lo
	s_delay_alu instid0(VALU_DEP_1)
	v_cmpx_eq_u32_e32 1, v7
	s_cbranch_execz .LBB795_104
; %bb.103:
	v_sub_nc_u32_e32 v7, v40, v20
	s_delay_alu instid0(VALU_DEP_1)
	v_lshlrev_b32_e32 v7, 2, v7
	ds_store_b32 v7, v8
.LBB795_104:
	s_or_b32 exec_lo, exec_lo, s1
	v_and_b32_e32 v7, 1, v29
	s_mov_b32 s1, exec_lo
	s_delay_alu instid0(VALU_DEP_1)
	v_cmpx_eq_u32_e32 1, v7
	;; [unrolled: 12-line block ×7, first 2 shown]
	s_cbranch_execz .LBB795_116
; %bb.115:
	v_sub_nc_u32_e32 v1, v23, v20
	s_delay_alu instid0(VALU_DEP_1)
	v_lshlrev_b32_e32 v1, 2, v1
	ds_store_b32 v1, v2
.LBB795_116:
	s_or_b32 exec_lo, exec_lo, s1
	s_waitcnt lgkmcnt(0)
	s_barrier
	buffer_gl0_inv
.LBB795_117:
	s_delay_alu instid0(VALU_DEP_2)
	s_and_not1_b32 vcc_lo, exec_lo, s0
	s_barrier
	buffer_gl0_inv
	s_cbranch_vccnz .LBB795_136
; %bb.118:
	s_mov_b32 s0, exec_lo
	v_cmpx_eq_u32_e32 1, v17
	s_cbranch_execz .LBB795_120
; %bb.119:
	v_sub_nc_u32_e32 v1, v41, v20
	s_delay_alu instid0(VALU_DEP_1)
	v_lshlrev_b32_e32 v1, 2, v1
	ds_store_b32 v1, v15
.LBB795_120:
	s_or_b32 exec_lo, exec_lo, s0
	v_and_b32_e32 v1, 1, v30
	s_mov_b32 s0, exec_lo
	s_delay_alu instid0(VALU_DEP_1)
	v_cmpx_eq_u32_e32 1, v1
	s_cbranch_execz .LBB795_122
; %bb.121:
	v_sub_nc_u32_e32 v1, v40, v20
	s_delay_alu instid0(VALU_DEP_1)
	v_lshlrev_b32_e32 v1, 2, v1
	ds_store_b32 v1, v16
.LBB795_122:
	s_or_b32 exec_lo, exec_lo, s0
	v_and_b32_e32 v1, 1, v29
	s_mov_b32 s0, exec_lo
	s_delay_alu instid0(VALU_DEP_1)
	;; [unrolled: 12-line block ×7, first 2 shown]
	v_cmpx_eq_u32_e32 1, v1
	s_cbranch_execz .LBB795_134
; %bb.133:
	v_sub_nc_u32_e32 v1, v23, v20
	s_delay_alu instid0(VALU_DEP_1)
	v_lshlrev_b32_e32 v1, 2, v1
	ds_store_b32 v1, v10
.LBB795_134:
	s_or_b32 exec_lo, exec_lo, s0
	s_waitcnt lgkmcnt(0)
	s_barrier
	buffer_gl0_inv
	v_cmp_eq_u32_e32 vcc_lo, 0, v0
	s_and_b32 s0, vcc_lo, s14
	s_delay_alu instid0(SALU_CYCLE_1)
	s_and_saveexec_b32 s1, s0
	s_cbranch_execnz .LBB795_137
.LBB795_135:
	s_endpgm
.LBB795_136:
	v_cmp_eq_u32_e32 vcc_lo, 0, v0
	s_and_b32 s0, vcc_lo, s14
	s_delay_alu instid0(SALU_CYCLE_1)
	s_and_saveexec_b32 s1, s0
	s_cbranch_execz .LBB795_135
.LBB795_137:
	v_add_co_u32 v0, s0, s10, v19
	s_delay_alu instid0(VALU_DEP_1) | instskip(SKIP_1) | instid1(VALU_DEP_3)
	v_add_co_ci_u32_e64 v1, null, s11, 0, s0
	v_mov_b32_e32 v2, 0
	v_add_co_u32 v0, vcc_lo, v0, v20
	s_delay_alu instid0(VALU_DEP_3)
	v_add_co_ci_u32_e32 v1, vcc_lo, 0, v1, vcc_lo
	global_store_b64 v2, v[0:1], s[16:17]
	s_nop 0
	s_sendmsg sendmsg(MSG_DEALLOC_VGPRS)
	s_endpgm
	.section	.rodata,"a",@progbits
	.p2align	6, 0x0
	.amdhsa_kernel _ZN7rocprim17ROCPRIM_400000_NS6detail17trampoline_kernelINS0_14default_configENS1_25partition_config_selectorILNS1_17partition_subalgoE9EjjbEEZZNS1_14partition_implILS5_9ELb0ES3_jN6thrust23THRUST_200600_302600_NS6detail15normal_iteratorINS9_10device_ptrIjEEEESE_PNS0_10empty_typeENS0_5tupleIJNS9_16discard_iteratorINS9_11use_defaultEEESF_EEENSH_IJSK_SG_EEENS0_18inequality_wrapperINS9_8equal_toIjEEEEPmJSF_EEE10hipError_tPvRmT3_T4_T5_T6_T7_T9_mT8_P12ihipStream_tbDpT10_ENKUlT_T0_E_clISt17integral_constantIbLb0EES1B_EEDaS16_S17_EUlS16_E_NS1_11comp_targetILNS1_3genE9ELNS1_11target_archE1100ELNS1_3gpuE3ELNS1_3repE0EEENS1_30default_config_static_selectorELNS0_4arch9wavefront6targetE0EEEvT1_
		.amdhsa_group_segment_fixed_size 12680
		.amdhsa_private_segment_fixed_size 0
		.amdhsa_kernarg_size 128
		.amdhsa_user_sgpr_count 15
		.amdhsa_user_sgpr_dispatch_ptr 0
		.amdhsa_user_sgpr_queue_ptr 0
		.amdhsa_user_sgpr_kernarg_segment_ptr 1
		.amdhsa_user_sgpr_dispatch_id 0
		.amdhsa_user_sgpr_private_segment_size 0
		.amdhsa_wavefront_size32 1
		.amdhsa_uses_dynamic_stack 0
		.amdhsa_enable_private_segment 0
		.amdhsa_system_sgpr_workgroup_id_x 1
		.amdhsa_system_sgpr_workgroup_id_y 0
		.amdhsa_system_sgpr_workgroup_id_z 0
		.amdhsa_system_sgpr_workgroup_info 0
		.amdhsa_system_vgpr_workitem_id 0
		.amdhsa_next_free_vgpr 51
		.amdhsa_next_free_sgpr 25
		.amdhsa_reserve_vcc 1
		.amdhsa_float_round_mode_32 0
		.amdhsa_float_round_mode_16_64 0
		.amdhsa_float_denorm_mode_32 3
		.amdhsa_float_denorm_mode_16_64 3
		.amdhsa_dx10_clamp 1
		.amdhsa_ieee_mode 1
		.amdhsa_fp16_overflow 0
		.amdhsa_workgroup_processor_mode 1
		.amdhsa_memory_ordered 1
		.amdhsa_forward_progress 0
		.amdhsa_shared_vgpr_count 0
		.amdhsa_exception_fp_ieee_invalid_op 0
		.amdhsa_exception_fp_denorm_src 0
		.amdhsa_exception_fp_ieee_div_zero 0
		.amdhsa_exception_fp_ieee_overflow 0
		.amdhsa_exception_fp_ieee_underflow 0
		.amdhsa_exception_fp_ieee_inexact 0
		.amdhsa_exception_int_div_zero 0
	.end_amdhsa_kernel
	.section	.text._ZN7rocprim17ROCPRIM_400000_NS6detail17trampoline_kernelINS0_14default_configENS1_25partition_config_selectorILNS1_17partition_subalgoE9EjjbEEZZNS1_14partition_implILS5_9ELb0ES3_jN6thrust23THRUST_200600_302600_NS6detail15normal_iteratorINS9_10device_ptrIjEEEESE_PNS0_10empty_typeENS0_5tupleIJNS9_16discard_iteratorINS9_11use_defaultEEESF_EEENSH_IJSK_SG_EEENS0_18inequality_wrapperINS9_8equal_toIjEEEEPmJSF_EEE10hipError_tPvRmT3_T4_T5_T6_T7_T9_mT8_P12ihipStream_tbDpT10_ENKUlT_T0_E_clISt17integral_constantIbLb0EES1B_EEDaS16_S17_EUlS16_E_NS1_11comp_targetILNS1_3genE9ELNS1_11target_archE1100ELNS1_3gpuE3ELNS1_3repE0EEENS1_30default_config_static_selectorELNS0_4arch9wavefront6targetE0EEEvT1_,"axG",@progbits,_ZN7rocprim17ROCPRIM_400000_NS6detail17trampoline_kernelINS0_14default_configENS1_25partition_config_selectorILNS1_17partition_subalgoE9EjjbEEZZNS1_14partition_implILS5_9ELb0ES3_jN6thrust23THRUST_200600_302600_NS6detail15normal_iteratorINS9_10device_ptrIjEEEESE_PNS0_10empty_typeENS0_5tupleIJNS9_16discard_iteratorINS9_11use_defaultEEESF_EEENSH_IJSK_SG_EEENS0_18inequality_wrapperINS9_8equal_toIjEEEEPmJSF_EEE10hipError_tPvRmT3_T4_T5_T6_T7_T9_mT8_P12ihipStream_tbDpT10_ENKUlT_T0_E_clISt17integral_constantIbLb0EES1B_EEDaS16_S17_EUlS16_E_NS1_11comp_targetILNS1_3genE9ELNS1_11target_archE1100ELNS1_3gpuE3ELNS1_3repE0EEENS1_30default_config_static_selectorELNS0_4arch9wavefront6targetE0EEEvT1_,comdat
.Lfunc_end795:
	.size	_ZN7rocprim17ROCPRIM_400000_NS6detail17trampoline_kernelINS0_14default_configENS1_25partition_config_selectorILNS1_17partition_subalgoE9EjjbEEZZNS1_14partition_implILS5_9ELb0ES3_jN6thrust23THRUST_200600_302600_NS6detail15normal_iteratorINS9_10device_ptrIjEEEESE_PNS0_10empty_typeENS0_5tupleIJNS9_16discard_iteratorINS9_11use_defaultEEESF_EEENSH_IJSK_SG_EEENS0_18inequality_wrapperINS9_8equal_toIjEEEEPmJSF_EEE10hipError_tPvRmT3_T4_T5_T6_T7_T9_mT8_P12ihipStream_tbDpT10_ENKUlT_T0_E_clISt17integral_constantIbLb0EES1B_EEDaS16_S17_EUlS16_E_NS1_11comp_targetILNS1_3genE9ELNS1_11target_archE1100ELNS1_3gpuE3ELNS1_3repE0EEENS1_30default_config_static_selectorELNS0_4arch9wavefront6targetE0EEEvT1_, .Lfunc_end795-_ZN7rocprim17ROCPRIM_400000_NS6detail17trampoline_kernelINS0_14default_configENS1_25partition_config_selectorILNS1_17partition_subalgoE9EjjbEEZZNS1_14partition_implILS5_9ELb0ES3_jN6thrust23THRUST_200600_302600_NS6detail15normal_iteratorINS9_10device_ptrIjEEEESE_PNS0_10empty_typeENS0_5tupleIJNS9_16discard_iteratorINS9_11use_defaultEEESF_EEENSH_IJSK_SG_EEENS0_18inequality_wrapperINS9_8equal_toIjEEEEPmJSF_EEE10hipError_tPvRmT3_T4_T5_T6_T7_T9_mT8_P12ihipStream_tbDpT10_ENKUlT_T0_E_clISt17integral_constantIbLb0EES1B_EEDaS16_S17_EUlS16_E_NS1_11comp_targetILNS1_3genE9ELNS1_11target_archE1100ELNS1_3gpuE3ELNS1_3repE0EEENS1_30default_config_static_selectorELNS0_4arch9wavefront6targetE0EEEvT1_
                                        ; -- End function
	.section	.AMDGPU.csdata,"",@progbits
; Kernel info:
; codeLenInByte = 7468
; NumSgprs: 27
; NumVgprs: 51
; ScratchSize: 0
; MemoryBound: 0
; FloatMode: 240
; IeeeMode: 1
; LDSByteSize: 12680 bytes/workgroup (compile time only)
; SGPRBlocks: 3
; VGPRBlocks: 6
; NumSGPRsForWavesPerEU: 27
; NumVGPRsForWavesPerEU: 51
; Occupancy: 15
; WaveLimiterHint : 1
; COMPUTE_PGM_RSRC2:SCRATCH_EN: 0
; COMPUTE_PGM_RSRC2:USER_SGPR: 15
; COMPUTE_PGM_RSRC2:TRAP_HANDLER: 0
; COMPUTE_PGM_RSRC2:TGID_X_EN: 1
; COMPUTE_PGM_RSRC2:TGID_Y_EN: 0
; COMPUTE_PGM_RSRC2:TGID_Z_EN: 0
; COMPUTE_PGM_RSRC2:TIDIG_COMP_CNT: 0
	.section	.text._ZN7rocprim17ROCPRIM_400000_NS6detail17trampoline_kernelINS0_14default_configENS1_25partition_config_selectorILNS1_17partition_subalgoE9EjjbEEZZNS1_14partition_implILS5_9ELb0ES3_jN6thrust23THRUST_200600_302600_NS6detail15normal_iteratorINS9_10device_ptrIjEEEESE_PNS0_10empty_typeENS0_5tupleIJNS9_16discard_iteratorINS9_11use_defaultEEESF_EEENSH_IJSK_SG_EEENS0_18inequality_wrapperINS9_8equal_toIjEEEEPmJSF_EEE10hipError_tPvRmT3_T4_T5_T6_T7_T9_mT8_P12ihipStream_tbDpT10_ENKUlT_T0_E_clISt17integral_constantIbLb0EES1B_EEDaS16_S17_EUlS16_E_NS1_11comp_targetILNS1_3genE8ELNS1_11target_archE1030ELNS1_3gpuE2ELNS1_3repE0EEENS1_30default_config_static_selectorELNS0_4arch9wavefront6targetE0EEEvT1_,"axG",@progbits,_ZN7rocprim17ROCPRIM_400000_NS6detail17trampoline_kernelINS0_14default_configENS1_25partition_config_selectorILNS1_17partition_subalgoE9EjjbEEZZNS1_14partition_implILS5_9ELb0ES3_jN6thrust23THRUST_200600_302600_NS6detail15normal_iteratorINS9_10device_ptrIjEEEESE_PNS0_10empty_typeENS0_5tupleIJNS9_16discard_iteratorINS9_11use_defaultEEESF_EEENSH_IJSK_SG_EEENS0_18inequality_wrapperINS9_8equal_toIjEEEEPmJSF_EEE10hipError_tPvRmT3_T4_T5_T6_T7_T9_mT8_P12ihipStream_tbDpT10_ENKUlT_T0_E_clISt17integral_constantIbLb0EES1B_EEDaS16_S17_EUlS16_E_NS1_11comp_targetILNS1_3genE8ELNS1_11target_archE1030ELNS1_3gpuE2ELNS1_3repE0EEENS1_30default_config_static_selectorELNS0_4arch9wavefront6targetE0EEEvT1_,comdat
	.protected	_ZN7rocprim17ROCPRIM_400000_NS6detail17trampoline_kernelINS0_14default_configENS1_25partition_config_selectorILNS1_17partition_subalgoE9EjjbEEZZNS1_14partition_implILS5_9ELb0ES3_jN6thrust23THRUST_200600_302600_NS6detail15normal_iteratorINS9_10device_ptrIjEEEESE_PNS0_10empty_typeENS0_5tupleIJNS9_16discard_iteratorINS9_11use_defaultEEESF_EEENSH_IJSK_SG_EEENS0_18inequality_wrapperINS9_8equal_toIjEEEEPmJSF_EEE10hipError_tPvRmT3_T4_T5_T6_T7_T9_mT8_P12ihipStream_tbDpT10_ENKUlT_T0_E_clISt17integral_constantIbLb0EES1B_EEDaS16_S17_EUlS16_E_NS1_11comp_targetILNS1_3genE8ELNS1_11target_archE1030ELNS1_3gpuE2ELNS1_3repE0EEENS1_30default_config_static_selectorELNS0_4arch9wavefront6targetE0EEEvT1_ ; -- Begin function _ZN7rocprim17ROCPRIM_400000_NS6detail17trampoline_kernelINS0_14default_configENS1_25partition_config_selectorILNS1_17partition_subalgoE9EjjbEEZZNS1_14partition_implILS5_9ELb0ES3_jN6thrust23THRUST_200600_302600_NS6detail15normal_iteratorINS9_10device_ptrIjEEEESE_PNS0_10empty_typeENS0_5tupleIJNS9_16discard_iteratorINS9_11use_defaultEEESF_EEENSH_IJSK_SG_EEENS0_18inequality_wrapperINS9_8equal_toIjEEEEPmJSF_EEE10hipError_tPvRmT3_T4_T5_T6_T7_T9_mT8_P12ihipStream_tbDpT10_ENKUlT_T0_E_clISt17integral_constantIbLb0EES1B_EEDaS16_S17_EUlS16_E_NS1_11comp_targetILNS1_3genE8ELNS1_11target_archE1030ELNS1_3gpuE2ELNS1_3repE0EEENS1_30default_config_static_selectorELNS0_4arch9wavefront6targetE0EEEvT1_
	.globl	_ZN7rocprim17ROCPRIM_400000_NS6detail17trampoline_kernelINS0_14default_configENS1_25partition_config_selectorILNS1_17partition_subalgoE9EjjbEEZZNS1_14partition_implILS5_9ELb0ES3_jN6thrust23THRUST_200600_302600_NS6detail15normal_iteratorINS9_10device_ptrIjEEEESE_PNS0_10empty_typeENS0_5tupleIJNS9_16discard_iteratorINS9_11use_defaultEEESF_EEENSH_IJSK_SG_EEENS0_18inequality_wrapperINS9_8equal_toIjEEEEPmJSF_EEE10hipError_tPvRmT3_T4_T5_T6_T7_T9_mT8_P12ihipStream_tbDpT10_ENKUlT_T0_E_clISt17integral_constantIbLb0EES1B_EEDaS16_S17_EUlS16_E_NS1_11comp_targetILNS1_3genE8ELNS1_11target_archE1030ELNS1_3gpuE2ELNS1_3repE0EEENS1_30default_config_static_selectorELNS0_4arch9wavefront6targetE0EEEvT1_
	.p2align	8
	.type	_ZN7rocprim17ROCPRIM_400000_NS6detail17trampoline_kernelINS0_14default_configENS1_25partition_config_selectorILNS1_17partition_subalgoE9EjjbEEZZNS1_14partition_implILS5_9ELb0ES3_jN6thrust23THRUST_200600_302600_NS6detail15normal_iteratorINS9_10device_ptrIjEEEESE_PNS0_10empty_typeENS0_5tupleIJNS9_16discard_iteratorINS9_11use_defaultEEESF_EEENSH_IJSK_SG_EEENS0_18inequality_wrapperINS9_8equal_toIjEEEEPmJSF_EEE10hipError_tPvRmT3_T4_T5_T6_T7_T9_mT8_P12ihipStream_tbDpT10_ENKUlT_T0_E_clISt17integral_constantIbLb0EES1B_EEDaS16_S17_EUlS16_E_NS1_11comp_targetILNS1_3genE8ELNS1_11target_archE1030ELNS1_3gpuE2ELNS1_3repE0EEENS1_30default_config_static_selectorELNS0_4arch9wavefront6targetE0EEEvT1_,@function
_ZN7rocprim17ROCPRIM_400000_NS6detail17trampoline_kernelINS0_14default_configENS1_25partition_config_selectorILNS1_17partition_subalgoE9EjjbEEZZNS1_14partition_implILS5_9ELb0ES3_jN6thrust23THRUST_200600_302600_NS6detail15normal_iteratorINS9_10device_ptrIjEEEESE_PNS0_10empty_typeENS0_5tupleIJNS9_16discard_iteratorINS9_11use_defaultEEESF_EEENSH_IJSK_SG_EEENS0_18inequality_wrapperINS9_8equal_toIjEEEEPmJSF_EEE10hipError_tPvRmT3_T4_T5_T6_T7_T9_mT8_P12ihipStream_tbDpT10_ENKUlT_T0_E_clISt17integral_constantIbLb0EES1B_EEDaS16_S17_EUlS16_E_NS1_11comp_targetILNS1_3genE8ELNS1_11target_archE1030ELNS1_3gpuE2ELNS1_3repE0EEENS1_30default_config_static_selectorELNS0_4arch9wavefront6targetE0EEEvT1_: ; @_ZN7rocprim17ROCPRIM_400000_NS6detail17trampoline_kernelINS0_14default_configENS1_25partition_config_selectorILNS1_17partition_subalgoE9EjjbEEZZNS1_14partition_implILS5_9ELb0ES3_jN6thrust23THRUST_200600_302600_NS6detail15normal_iteratorINS9_10device_ptrIjEEEESE_PNS0_10empty_typeENS0_5tupleIJNS9_16discard_iteratorINS9_11use_defaultEEESF_EEENSH_IJSK_SG_EEENS0_18inequality_wrapperINS9_8equal_toIjEEEEPmJSF_EEE10hipError_tPvRmT3_T4_T5_T6_T7_T9_mT8_P12ihipStream_tbDpT10_ENKUlT_T0_E_clISt17integral_constantIbLb0EES1B_EEDaS16_S17_EUlS16_E_NS1_11comp_targetILNS1_3genE8ELNS1_11target_archE1030ELNS1_3gpuE2ELNS1_3repE0EEENS1_30default_config_static_selectorELNS0_4arch9wavefront6targetE0EEEvT1_
; %bb.0:
	.section	.rodata,"a",@progbits
	.p2align	6, 0x0
	.amdhsa_kernel _ZN7rocprim17ROCPRIM_400000_NS6detail17trampoline_kernelINS0_14default_configENS1_25partition_config_selectorILNS1_17partition_subalgoE9EjjbEEZZNS1_14partition_implILS5_9ELb0ES3_jN6thrust23THRUST_200600_302600_NS6detail15normal_iteratorINS9_10device_ptrIjEEEESE_PNS0_10empty_typeENS0_5tupleIJNS9_16discard_iteratorINS9_11use_defaultEEESF_EEENSH_IJSK_SG_EEENS0_18inequality_wrapperINS9_8equal_toIjEEEEPmJSF_EEE10hipError_tPvRmT3_T4_T5_T6_T7_T9_mT8_P12ihipStream_tbDpT10_ENKUlT_T0_E_clISt17integral_constantIbLb0EES1B_EEDaS16_S17_EUlS16_E_NS1_11comp_targetILNS1_3genE8ELNS1_11target_archE1030ELNS1_3gpuE2ELNS1_3repE0EEENS1_30default_config_static_selectorELNS0_4arch9wavefront6targetE0EEEvT1_
		.amdhsa_group_segment_fixed_size 0
		.amdhsa_private_segment_fixed_size 0
		.amdhsa_kernarg_size 128
		.amdhsa_user_sgpr_count 15
		.amdhsa_user_sgpr_dispatch_ptr 0
		.amdhsa_user_sgpr_queue_ptr 0
		.amdhsa_user_sgpr_kernarg_segment_ptr 1
		.amdhsa_user_sgpr_dispatch_id 0
		.amdhsa_user_sgpr_private_segment_size 0
		.amdhsa_wavefront_size32 1
		.amdhsa_uses_dynamic_stack 0
		.amdhsa_enable_private_segment 0
		.amdhsa_system_sgpr_workgroup_id_x 1
		.amdhsa_system_sgpr_workgroup_id_y 0
		.amdhsa_system_sgpr_workgroup_id_z 0
		.amdhsa_system_sgpr_workgroup_info 0
		.amdhsa_system_vgpr_workitem_id 0
		.amdhsa_next_free_vgpr 1
		.amdhsa_next_free_sgpr 1
		.amdhsa_reserve_vcc 0
		.amdhsa_float_round_mode_32 0
		.amdhsa_float_round_mode_16_64 0
		.amdhsa_float_denorm_mode_32 3
		.amdhsa_float_denorm_mode_16_64 3
		.amdhsa_dx10_clamp 1
		.amdhsa_ieee_mode 1
		.amdhsa_fp16_overflow 0
		.amdhsa_workgroup_processor_mode 1
		.amdhsa_memory_ordered 1
		.amdhsa_forward_progress 0
		.amdhsa_shared_vgpr_count 0
		.amdhsa_exception_fp_ieee_invalid_op 0
		.amdhsa_exception_fp_denorm_src 0
		.amdhsa_exception_fp_ieee_div_zero 0
		.amdhsa_exception_fp_ieee_overflow 0
		.amdhsa_exception_fp_ieee_underflow 0
		.amdhsa_exception_fp_ieee_inexact 0
		.amdhsa_exception_int_div_zero 0
	.end_amdhsa_kernel
	.section	.text._ZN7rocprim17ROCPRIM_400000_NS6detail17trampoline_kernelINS0_14default_configENS1_25partition_config_selectorILNS1_17partition_subalgoE9EjjbEEZZNS1_14partition_implILS5_9ELb0ES3_jN6thrust23THRUST_200600_302600_NS6detail15normal_iteratorINS9_10device_ptrIjEEEESE_PNS0_10empty_typeENS0_5tupleIJNS9_16discard_iteratorINS9_11use_defaultEEESF_EEENSH_IJSK_SG_EEENS0_18inequality_wrapperINS9_8equal_toIjEEEEPmJSF_EEE10hipError_tPvRmT3_T4_T5_T6_T7_T9_mT8_P12ihipStream_tbDpT10_ENKUlT_T0_E_clISt17integral_constantIbLb0EES1B_EEDaS16_S17_EUlS16_E_NS1_11comp_targetILNS1_3genE8ELNS1_11target_archE1030ELNS1_3gpuE2ELNS1_3repE0EEENS1_30default_config_static_selectorELNS0_4arch9wavefront6targetE0EEEvT1_,"axG",@progbits,_ZN7rocprim17ROCPRIM_400000_NS6detail17trampoline_kernelINS0_14default_configENS1_25partition_config_selectorILNS1_17partition_subalgoE9EjjbEEZZNS1_14partition_implILS5_9ELb0ES3_jN6thrust23THRUST_200600_302600_NS6detail15normal_iteratorINS9_10device_ptrIjEEEESE_PNS0_10empty_typeENS0_5tupleIJNS9_16discard_iteratorINS9_11use_defaultEEESF_EEENSH_IJSK_SG_EEENS0_18inequality_wrapperINS9_8equal_toIjEEEEPmJSF_EEE10hipError_tPvRmT3_T4_T5_T6_T7_T9_mT8_P12ihipStream_tbDpT10_ENKUlT_T0_E_clISt17integral_constantIbLb0EES1B_EEDaS16_S17_EUlS16_E_NS1_11comp_targetILNS1_3genE8ELNS1_11target_archE1030ELNS1_3gpuE2ELNS1_3repE0EEENS1_30default_config_static_selectorELNS0_4arch9wavefront6targetE0EEEvT1_,comdat
.Lfunc_end796:
	.size	_ZN7rocprim17ROCPRIM_400000_NS6detail17trampoline_kernelINS0_14default_configENS1_25partition_config_selectorILNS1_17partition_subalgoE9EjjbEEZZNS1_14partition_implILS5_9ELb0ES3_jN6thrust23THRUST_200600_302600_NS6detail15normal_iteratorINS9_10device_ptrIjEEEESE_PNS0_10empty_typeENS0_5tupleIJNS9_16discard_iteratorINS9_11use_defaultEEESF_EEENSH_IJSK_SG_EEENS0_18inequality_wrapperINS9_8equal_toIjEEEEPmJSF_EEE10hipError_tPvRmT3_T4_T5_T6_T7_T9_mT8_P12ihipStream_tbDpT10_ENKUlT_T0_E_clISt17integral_constantIbLb0EES1B_EEDaS16_S17_EUlS16_E_NS1_11comp_targetILNS1_3genE8ELNS1_11target_archE1030ELNS1_3gpuE2ELNS1_3repE0EEENS1_30default_config_static_selectorELNS0_4arch9wavefront6targetE0EEEvT1_, .Lfunc_end796-_ZN7rocprim17ROCPRIM_400000_NS6detail17trampoline_kernelINS0_14default_configENS1_25partition_config_selectorILNS1_17partition_subalgoE9EjjbEEZZNS1_14partition_implILS5_9ELb0ES3_jN6thrust23THRUST_200600_302600_NS6detail15normal_iteratorINS9_10device_ptrIjEEEESE_PNS0_10empty_typeENS0_5tupleIJNS9_16discard_iteratorINS9_11use_defaultEEESF_EEENSH_IJSK_SG_EEENS0_18inequality_wrapperINS9_8equal_toIjEEEEPmJSF_EEE10hipError_tPvRmT3_T4_T5_T6_T7_T9_mT8_P12ihipStream_tbDpT10_ENKUlT_T0_E_clISt17integral_constantIbLb0EES1B_EEDaS16_S17_EUlS16_E_NS1_11comp_targetILNS1_3genE8ELNS1_11target_archE1030ELNS1_3gpuE2ELNS1_3repE0EEENS1_30default_config_static_selectorELNS0_4arch9wavefront6targetE0EEEvT1_
                                        ; -- End function
	.section	.AMDGPU.csdata,"",@progbits
; Kernel info:
; codeLenInByte = 0
; NumSgprs: 0
; NumVgprs: 0
; ScratchSize: 0
; MemoryBound: 0
; FloatMode: 240
; IeeeMode: 1
; LDSByteSize: 0 bytes/workgroup (compile time only)
; SGPRBlocks: 0
; VGPRBlocks: 0
; NumSGPRsForWavesPerEU: 1
; NumVGPRsForWavesPerEU: 1
; Occupancy: 16
; WaveLimiterHint : 0
; COMPUTE_PGM_RSRC2:SCRATCH_EN: 0
; COMPUTE_PGM_RSRC2:USER_SGPR: 15
; COMPUTE_PGM_RSRC2:TRAP_HANDLER: 0
; COMPUTE_PGM_RSRC2:TGID_X_EN: 1
; COMPUTE_PGM_RSRC2:TGID_Y_EN: 0
; COMPUTE_PGM_RSRC2:TGID_Z_EN: 0
; COMPUTE_PGM_RSRC2:TIDIG_COMP_CNT: 0
	.section	.text._ZN7rocprim17ROCPRIM_400000_NS6detail17trampoline_kernelINS0_14default_configENS1_25partition_config_selectorILNS1_17partition_subalgoE9EjjbEEZZNS1_14partition_implILS5_9ELb0ES3_jN6thrust23THRUST_200600_302600_NS6detail15normal_iteratorINS9_10device_ptrIjEEEESE_PNS0_10empty_typeENS0_5tupleIJNS9_16discard_iteratorINS9_11use_defaultEEESF_EEENSH_IJSK_SG_EEENS0_18inequality_wrapperINS9_8equal_toIjEEEEPmJSF_EEE10hipError_tPvRmT3_T4_T5_T6_T7_T9_mT8_P12ihipStream_tbDpT10_ENKUlT_T0_E_clISt17integral_constantIbLb1EES1B_EEDaS16_S17_EUlS16_E_NS1_11comp_targetILNS1_3genE0ELNS1_11target_archE4294967295ELNS1_3gpuE0ELNS1_3repE0EEENS1_30default_config_static_selectorELNS0_4arch9wavefront6targetE0EEEvT1_,"axG",@progbits,_ZN7rocprim17ROCPRIM_400000_NS6detail17trampoline_kernelINS0_14default_configENS1_25partition_config_selectorILNS1_17partition_subalgoE9EjjbEEZZNS1_14partition_implILS5_9ELb0ES3_jN6thrust23THRUST_200600_302600_NS6detail15normal_iteratorINS9_10device_ptrIjEEEESE_PNS0_10empty_typeENS0_5tupleIJNS9_16discard_iteratorINS9_11use_defaultEEESF_EEENSH_IJSK_SG_EEENS0_18inequality_wrapperINS9_8equal_toIjEEEEPmJSF_EEE10hipError_tPvRmT3_T4_T5_T6_T7_T9_mT8_P12ihipStream_tbDpT10_ENKUlT_T0_E_clISt17integral_constantIbLb1EES1B_EEDaS16_S17_EUlS16_E_NS1_11comp_targetILNS1_3genE0ELNS1_11target_archE4294967295ELNS1_3gpuE0ELNS1_3repE0EEENS1_30default_config_static_selectorELNS0_4arch9wavefront6targetE0EEEvT1_,comdat
	.protected	_ZN7rocprim17ROCPRIM_400000_NS6detail17trampoline_kernelINS0_14default_configENS1_25partition_config_selectorILNS1_17partition_subalgoE9EjjbEEZZNS1_14partition_implILS5_9ELb0ES3_jN6thrust23THRUST_200600_302600_NS6detail15normal_iteratorINS9_10device_ptrIjEEEESE_PNS0_10empty_typeENS0_5tupleIJNS9_16discard_iteratorINS9_11use_defaultEEESF_EEENSH_IJSK_SG_EEENS0_18inequality_wrapperINS9_8equal_toIjEEEEPmJSF_EEE10hipError_tPvRmT3_T4_T5_T6_T7_T9_mT8_P12ihipStream_tbDpT10_ENKUlT_T0_E_clISt17integral_constantIbLb1EES1B_EEDaS16_S17_EUlS16_E_NS1_11comp_targetILNS1_3genE0ELNS1_11target_archE4294967295ELNS1_3gpuE0ELNS1_3repE0EEENS1_30default_config_static_selectorELNS0_4arch9wavefront6targetE0EEEvT1_ ; -- Begin function _ZN7rocprim17ROCPRIM_400000_NS6detail17trampoline_kernelINS0_14default_configENS1_25partition_config_selectorILNS1_17partition_subalgoE9EjjbEEZZNS1_14partition_implILS5_9ELb0ES3_jN6thrust23THRUST_200600_302600_NS6detail15normal_iteratorINS9_10device_ptrIjEEEESE_PNS0_10empty_typeENS0_5tupleIJNS9_16discard_iteratorINS9_11use_defaultEEESF_EEENSH_IJSK_SG_EEENS0_18inequality_wrapperINS9_8equal_toIjEEEEPmJSF_EEE10hipError_tPvRmT3_T4_T5_T6_T7_T9_mT8_P12ihipStream_tbDpT10_ENKUlT_T0_E_clISt17integral_constantIbLb1EES1B_EEDaS16_S17_EUlS16_E_NS1_11comp_targetILNS1_3genE0ELNS1_11target_archE4294967295ELNS1_3gpuE0ELNS1_3repE0EEENS1_30default_config_static_selectorELNS0_4arch9wavefront6targetE0EEEvT1_
	.globl	_ZN7rocprim17ROCPRIM_400000_NS6detail17trampoline_kernelINS0_14default_configENS1_25partition_config_selectorILNS1_17partition_subalgoE9EjjbEEZZNS1_14partition_implILS5_9ELb0ES3_jN6thrust23THRUST_200600_302600_NS6detail15normal_iteratorINS9_10device_ptrIjEEEESE_PNS0_10empty_typeENS0_5tupleIJNS9_16discard_iteratorINS9_11use_defaultEEESF_EEENSH_IJSK_SG_EEENS0_18inequality_wrapperINS9_8equal_toIjEEEEPmJSF_EEE10hipError_tPvRmT3_T4_T5_T6_T7_T9_mT8_P12ihipStream_tbDpT10_ENKUlT_T0_E_clISt17integral_constantIbLb1EES1B_EEDaS16_S17_EUlS16_E_NS1_11comp_targetILNS1_3genE0ELNS1_11target_archE4294967295ELNS1_3gpuE0ELNS1_3repE0EEENS1_30default_config_static_selectorELNS0_4arch9wavefront6targetE0EEEvT1_
	.p2align	8
	.type	_ZN7rocprim17ROCPRIM_400000_NS6detail17trampoline_kernelINS0_14default_configENS1_25partition_config_selectorILNS1_17partition_subalgoE9EjjbEEZZNS1_14partition_implILS5_9ELb0ES3_jN6thrust23THRUST_200600_302600_NS6detail15normal_iteratorINS9_10device_ptrIjEEEESE_PNS0_10empty_typeENS0_5tupleIJNS9_16discard_iteratorINS9_11use_defaultEEESF_EEENSH_IJSK_SG_EEENS0_18inequality_wrapperINS9_8equal_toIjEEEEPmJSF_EEE10hipError_tPvRmT3_T4_T5_T6_T7_T9_mT8_P12ihipStream_tbDpT10_ENKUlT_T0_E_clISt17integral_constantIbLb1EES1B_EEDaS16_S17_EUlS16_E_NS1_11comp_targetILNS1_3genE0ELNS1_11target_archE4294967295ELNS1_3gpuE0ELNS1_3repE0EEENS1_30default_config_static_selectorELNS0_4arch9wavefront6targetE0EEEvT1_,@function
_ZN7rocprim17ROCPRIM_400000_NS6detail17trampoline_kernelINS0_14default_configENS1_25partition_config_selectorILNS1_17partition_subalgoE9EjjbEEZZNS1_14partition_implILS5_9ELb0ES3_jN6thrust23THRUST_200600_302600_NS6detail15normal_iteratorINS9_10device_ptrIjEEEESE_PNS0_10empty_typeENS0_5tupleIJNS9_16discard_iteratorINS9_11use_defaultEEESF_EEENSH_IJSK_SG_EEENS0_18inequality_wrapperINS9_8equal_toIjEEEEPmJSF_EEE10hipError_tPvRmT3_T4_T5_T6_T7_T9_mT8_P12ihipStream_tbDpT10_ENKUlT_T0_E_clISt17integral_constantIbLb1EES1B_EEDaS16_S17_EUlS16_E_NS1_11comp_targetILNS1_3genE0ELNS1_11target_archE4294967295ELNS1_3gpuE0ELNS1_3repE0EEENS1_30default_config_static_selectorELNS0_4arch9wavefront6targetE0EEEvT1_: ; @_ZN7rocprim17ROCPRIM_400000_NS6detail17trampoline_kernelINS0_14default_configENS1_25partition_config_selectorILNS1_17partition_subalgoE9EjjbEEZZNS1_14partition_implILS5_9ELb0ES3_jN6thrust23THRUST_200600_302600_NS6detail15normal_iteratorINS9_10device_ptrIjEEEESE_PNS0_10empty_typeENS0_5tupleIJNS9_16discard_iteratorINS9_11use_defaultEEESF_EEENSH_IJSK_SG_EEENS0_18inequality_wrapperINS9_8equal_toIjEEEEPmJSF_EEE10hipError_tPvRmT3_T4_T5_T6_T7_T9_mT8_P12ihipStream_tbDpT10_ENKUlT_T0_E_clISt17integral_constantIbLb1EES1B_EEDaS16_S17_EUlS16_E_NS1_11comp_targetILNS1_3genE0ELNS1_11target_archE4294967295ELNS1_3gpuE0ELNS1_3repE0EEENS1_30default_config_static_selectorELNS0_4arch9wavefront6targetE0EEEvT1_
; %bb.0:
	.section	.rodata,"a",@progbits
	.p2align	6, 0x0
	.amdhsa_kernel _ZN7rocprim17ROCPRIM_400000_NS6detail17trampoline_kernelINS0_14default_configENS1_25partition_config_selectorILNS1_17partition_subalgoE9EjjbEEZZNS1_14partition_implILS5_9ELb0ES3_jN6thrust23THRUST_200600_302600_NS6detail15normal_iteratorINS9_10device_ptrIjEEEESE_PNS0_10empty_typeENS0_5tupleIJNS9_16discard_iteratorINS9_11use_defaultEEESF_EEENSH_IJSK_SG_EEENS0_18inequality_wrapperINS9_8equal_toIjEEEEPmJSF_EEE10hipError_tPvRmT3_T4_T5_T6_T7_T9_mT8_P12ihipStream_tbDpT10_ENKUlT_T0_E_clISt17integral_constantIbLb1EES1B_EEDaS16_S17_EUlS16_E_NS1_11comp_targetILNS1_3genE0ELNS1_11target_archE4294967295ELNS1_3gpuE0ELNS1_3repE0EEENS1_30default_config_static_selectorELNS0_4arch9wavefront6targetE0EEEvT1_
		.amdhsa_group_segment_fixed_size 0
		.amdhsa_private_segment_fixed_size 0
		.amdhsa_kernarg_size 144
		.amdhsa_user_sgpr_count 15
		.amdhsa_user_sgpr_dispatch_ptr 0
		.amdhsa_user_sgpr_queue_ptr 0
		.amdhsa_user_sgpr_kernarg_segment_ptr 1
		.amdhsa_user_sgpr_dispatch_id 0
		.amdhsa_user_sgpr_private_segment_size 0
		.amdhsa_wavefront_size32 1
		.amdhsa_uses_dynamic_stack 0
		.amdhsa_enable_private_segment 0
		.amdhsa_system_sgpr_workgroup_id_x 1
		.amdhsa_system_sgpr_workgroup_id_y 0
		.amdhsa_system_sgpr_workgroup_id_z 0
		.amdhsa_system_sgpr_workgroup_info 0
		.amdhsa_system_vgpr_workitem_id 0
		.amdhsa_next_free_vgpr 1
		.amdhsa_next_free_sgpr 1
		.amdhsa_reserve_vcc 0
		.amdhsa_float_round_mode_32 0
		.amdhsa_float_round_mode_16_64 0
		.amdhsa_float_denorm_mode_32 3
		.amdhsa_float_denorm_mode_16_64 3
		.amdhsa_dx10_clamp 1
		.amdhsa_ieee_mode 1
		.amdhsa_fp16_overflow 0
		.amdhsa_workgroup_processor_mode 1
		.amdhsa_memory_ordered 1
		.amdhsa_forward_progress 0
		.amdhsa_shared_vgpr_count 0
		.amdhsa_exception_fp_ieee_invalid_op 0
		.amdhsa_exception_fp_denorm_src 0
		.amdhsa_exception_fp_ieee_div_zero 0
		.amdhsa_exception_fp_ieee_overflow 0
		.amdhsa_exception_fp_ieee_underflow 0
		.amdhsa_exception_fp_ieee_inexact 0
		.amdhsa_exception_int_div_zero 0
	.end_amdhsa_kernel
	.section	.text._ZN7rocprim17ROCPRIM_400000_NS6detail17trampoline_kernelINS0_14default_configENS1_25partition_config_selectorILNS1_17partition_subalgoE9EjjbEEZZNS1_14partition_implILS5_9ELb0ES3_jN6thrust23THRUST_200600_302600_NS6detail15normal_iteratorINS9_10device_ptrIjEEEESE_PNS0_10empty_typeENS0_5tupleIJNS9_16discard_iteratorINS9_11use_defaultEEESF_EEENSH_IJSK_SG_EEENS0_18inequality_wrapperINS9_8equal_toIjEEEEPmJSF_EEE10hipError_tPvRmT3_T4_T5_T6_T7_T9_mT8_P12ihipStream_tbDpT10_ENKUlT_T0_E_clISt17integral_constantIbLb1EES1B_EEDaS16_S17_EUlS16_E_NS1_11comp_targetILNS1_3genE0ELNS1_11target_archE4294967295ELNS1_3gpuE0ELNS1_3repE0EEENS1_30default_config_static_selectorELNS0_4arch9wavefront6targetE0EEEvT1_,"axG",@progbits,_ZN7rocprim17ROCPRIM_400000_NS6detail17trampoline_kernelINS0_14default_configENS1_25partition_config_selectorILNS1_17partition_subalgoE9EjjbEEZZNS1_14partition_implILS5_9ELb0ES3_jN6thrust23THRUST_200600_302600_NS6detail15normal_iteratorINS9_10device_ptrIjEEEESE_PNS0_10empty_typeENS0_5tupleIJNS9_16discard_iteratorINS9_11use_defaultEEESF_EEENSH_IJSK_SG_EEENS0_18inequality_wrapperINS9_8equal_toIjEEEEPmJSF_EEE10hipError_tPvRmT3_T4_T5_T6_T7_T9_mT8_P12ihipStream_tbDpT10_ENKUlT_T0_E_clISt17integral_constantIbLb1EES1B_EEDaS16_S17_EUlS16_E_NS1_11comp_targetILNS1_3genE0ELNS1_11target_archE4294967295ELNS1_3gpuE0ELNS1_3repE0EEENS1_30default_config_static_selectorELNS0_4arch9wavefront6targetE0EEEvT1_,comdat
.Lfunc_end797:
	.size	_ZN7rocprim17ROCPRIM_400000_NS6detail17trampoline_kernelINS0_14default_configENS1_25partition_config_selectorILNS1_17partition_subalgoE9EjjbEEZZNS1_14partition_implILS5_9ELb0ES3_jN6thrust23THRUST_200600_302600_NS6detail15normal_iteratorINS9_10device_ptrIjEEEESE_PNS0_10empty_typeENS0_5tupleIJNS9_16discard_iteratorINS9_11use_defaultEEESF_EEENSH_IJSK_SG_EEENS0_18inequality_wrapperINS9_8equal_toIjEEEEPmJSF_EEE10hipError_tPvRmT3_T4_T5_T6_T7_T9_mT8_P12ihipStream_tbDpT10_ENKUlT_T0_E_clISt17integral_constantIbLb1EES1B_EEDaS16_S17_EUlS16_E_NS1_11comp_targetILNS1_3genE0ELNS1_11target_archE4294967295ELNS1_3gpuE0ELNS1_3repE0EEENS1_30default_config_static_selectorELNS0_4arch9wavefront6targetE0EEEvT1_, .Lfunc_end797-_ZN7rocprim17ROCPRIM_400000_NS6detail17trampoline_kernelINS0_14default_configENS1_25partition_config_selectorILNS1_17partition_subalgoE9EjjbEEZZNS1_14partition_implILS5_9ELb0ES3_jN6thrust23THRUST_200600_302600_NS6detail15normal_iteratorINS9_10device_ptrIjEEEESE_PNS0_10empty_typeENS0_5tupleIJNS9_16discard_iteratorINS9_11use_defaultEEESF_EEENSH_IJSK_SG_EEENS0_18inequality_wrapperINS9_8equal_toIjEEEEPmJSF_EEE10hipError_tPvRmT3_T4_T5_T6_T7_T9_mT8_P12ihipStream_tbDpT10_ENKUlT_T0_E_clISt17integral_constantIbLb1EES1B_EEDaS16_S17_EUlS16_E_NS1_11comp_targetILNS1_3genE0ELNS1_11target_archE4294967295ELNS1_3gpuE0ELNS1_3repE0EEENS1_30default_config_static_selectorELNS0_4arch9wavefront6targetE0EEEvT1_
                                        ; -- End function
	.section	.AMDGPU.csdata,"",@progbits
; Kernel info:
; codeLenInByte = 0
; NumSgprs: 0
; NumVgprs: 0
; ScratchSize: 0
; MemoryBound: 0
; FloatMode: 240
; IeeeMode: 1
; LDSByteSize: 0 bytes/workgroup (compile time only)
; SGPRBlocks: 0
; VGPRBlocks: 0
; NumSGPRsForWavesPerEU: 1
; NumVGPRsForWavesPerEU: 1
; Occupancy: 16
; WaveLimiterHint : 0
; COMPUTE_PGM_RSRC2:SCRATCH_EN: 0
; COMPUTE_PGM_RSRC2:USER_SGPR: 15
; COMPUTE_PGM_RSRC2:TRAP_HANDLER: 0
; COMPUTE_PGM_RSRC2:TGID_X_EN: 1
; COMPUTE_PGM_RSRC2:TGID_Y_EN: 0
; COMPUTE_PGM_RSRC2:TGID_Z_EN: 0
; COMPUTE_PGM_RSRC2:TIDIG_COMP_CNT: 0
	.section	.text._ZN7rocprim17ROCPRIM_400000_NS6detail17trampoline_kernelINS0_14default_configENS1_25partition_config_selectorILNS1_17partition_subalgoE9EjjbEEZZNS1_14partition_implILS5_9ELb0ES3_jN6thrust23THRUST_200600_302600_NS6detail15normal_iteratorINS9_10device_ptrIjEEEESE_PNS0_10empty_typeENS0_5tupleIJNS9_16discard_iteratorINS9_11use_defaultEEESF_EEENSH_IJSK_SG_EEENS0_18inequality_wrapperINS9_8equal_toIjEEEEPmJSF_EEE10hipError_tPvRmT3_T4_T5_T6_T7_T9_mT8_P12ihipStream_tbDpT10_ENKUlT_T0_E_clISt17integral_constantIbLb1EES1B_EEDaS16_S17_EUlS16_E_NS1_11comp_targetILNS1_3genE5ELNS1_11target_archE942ELNS1_3gpuE9ELNS1_3repE0EEENS1_30default_config_static_selectorELNS0_4arch9wavefront6targetE0EEEvT1_,"axG",@progbits,_ZN7rocprim17ROCPRIM_400000_NS6detail17trampoline_kernelINS0_14default_configENS1_25partition_config_selectorILNS1_17partition_subalgoE9EjjbEEZZNS1_14partition_implILS5_9ELb0ES3_jN6thrust23THRUST_200600_302600_NS6detail15normal_iteratorINS9_10device_ptrIjEEEESE_PNS0_10empty_typeENS0_5tupleIJNS9_16discard_iteratorINS9_11use_defaultEEESF_EEENSH_IJSK_SG_EEENS0_18inequality_wrapperINS9_8equal_toIjEEEEPmJSF_EEE10hipError_tPvRmT3_T4_T5_T6_T7_T9_mT8_P12ihipStream_tbDpT10_ENKUlT_T0_E_clISt17integral_constantIbLb1EES1B_EEDaS16_S17_EUlS16_E_NS1_11comp_targetILNS1_3genE5ELNS1_11target_archE942ELNS1_3gpuE9ELNS1_3repE0EEENS1_30default_config_static_selectorELNS0_4arch9wavefront6targetE0EEEvT1_,comdat
	.protected	_ZN7rocprim17ROCPRIM_400000_NS6detail17trampoline_kernelINS0_14default_configENS1_25partition_config_selectorILNS1_17partition_subalgoE9EjjbEEZZNS1_14partition_implILS5_9ELb0ES3_jN6thrust23THRUST_200600_302600_NS6detail15normal_iteratorINS9_10device_ptrIjEEEESE_PNS0_10empty_typeENS0_5tupleIJNS9_16discard_iteratorINS9_11use_defaultEEESF_EEENSH_IJSK_SG_EEENS0_18inequality_wrapperINS9_8equal_toIjEEEEPmJSF_EEE10hipError_tPvRmT3_T4_T5_T6_T7_T9_mT8_P12ihipStream_tbDpT10_ENKUlT_T0_E_clISt17integral_constantIbLb1EES1B_EEDaS16_S17_EUlS16_E_NS1_11comp_targetILNS1_3genE5ELNS1_11target_archE942ELNS1_3gpuE9ELNS1_3repE0EEENS1_30default_config_static_selectorELNS0_4arch9wavefront6targetE0EEEvT1_ ; -- Begin function _ZN7rocprim17ROCPRIM_400000_NS6detail17trampoline_kernelINS0_14default_configENS1_25partition_config_selectorILNS1_17partition_subalgoE9EjjbEEZZNS1_14partition_implILS5_9ELb0ES3_jN6thrust23THRUST_200600_302600_NS6detail15normal_iteratorINS9_10device_ptrIjEEEESE_PNS0_10empty_typeENS0_5tupleIJNS9_16discard_iteratorINS9_11use_defaultEEESF_EEENSH_IJSK_SG_EEENS0_18inequality_wrapperINS9_8equal_toIjEEEEPmJSF_EEE10hipError_tPvRmT3_T4_T5_T6_T7_T9_mT8_P12ihipStream_tbDpT10_ENKUlT_T0_E_clISt17integral_constantIbLb1EES1B_EEDaS16_S17_EUlS16_E_NS1_11comp_targetILNS1_3genE5ELNS1_11target_archE942ELNS1_3gpuE9ELNS1_3repE0EEENS1_30default_config_static_selectorELNS0_4arch9wavefront6targetE0EEEvT1_
	.globl	_ZN7rocprim17ROCPRIM_400000_NS6detail17trampoline_kernelINS0_14default_configENS1_25partition_config_selectorILNS1_17partition_subalgoE9EjjbEEZZNS1_14partition_implILS5_9ELb0ES3_jN6thrust23THRUST_200600_302600_NS6detail15normal_iteratorINS9_10device_ptrIjEEEESE_PNS0_10empty_typeENS0_5tupleIJNS9_16discard_iteratorINS9_11use_defaultEEESF_EEENSH_IJSK_SG_EEENS0_18inequality_wrapperINS9_8equal_toIjEEEEPmJSF_EEE10hipError_tPvRmT3_T4_T5_T6_T7_T9_mT8_P12ihipStream_tbDpT10_ENKUlT_T0_E_clISt17integral_constantIbLb1EES1B_EEDaS16_S17_EUlS16_E_NS1_11comp_targetILNS1_3genE5ELNS1_11target_archE942ELNS1_3gpuE9ELNS1_3repE0EEENS1_30default_config_static_selectorELNS0_4arch9wavefront6targetE0EEEvT1_
	.p2align	8
	.type	_ZN7rocprim17ROCPRIM_400000_NS6detail17trampoline_kernelINS0_14default_configENS1_25partition_config_selectorILNS1_17partition_subalgoE9EjjbEEZZNS1_14partition_implILS5_9ELb0ES3_jN6thrust23THRUST_200600_302600_NS6detail15normal_iteratorINS9_10device_ptrIjEEEESE_PNS0_10empty_typeENS0_5tupleIJNS9_16discard_iteratorINS9_11use_defaultEEESF_EEENSH_IJSK_SG_EEENS0_18inequality_wrapperINS9_8equal_toIjEEEEPmJSF_EEE10hipError_tPvRmT3_T4_T5_T6_T7_T9_mT8_P12ihipStream_tbDpT10_ENKUlT_T0_E_clISt17integral_constantIbLb1EES1B_EEDaS16_S17_EUlS16_E_NS1_11comp_targetILNS1_3genE5ELNS1_11target_archE942ELNS1_3gpuE9ELNS1_3repE0EEENS1_30default_config_static_selectorELNS0_4arch9wavefront6targetE0EEEvT1_,@function
_ZN7rocprim17ROCPRIM_400000_NS6detail17trampoline_kernelINS0_14default_configENS1_25partition_config_selectorILNS1_17partition_subalgoE9EjjbEEZZNS1_14partition_implILS5_9ELb0ES3_jN6thrust23THRUST_200600_302600_NS6detail15normal_iteratorINS9_10device_ptrIjEEEESE_PNS0_10empty_typeENS0_5tupleIJNS9_16discard_iteratorINS9_11use_defaultEEESF_EEENSH_IJSK_SG_EEENS0_18inequality_wrapperINS9_8equal_toIjEEEEPmJSF_EEE10hipError_tPvRmT3_T4_T5_T6_T7_T9_mT8_P12ihipStream_tbDpT10_ENKUlT_T0_E_clISt17integral_constantIbLb1EES1B_EEDaS16_S17_EUlS16_E_NS1_11comp_targetILNS1_3genE5ELNS1_11target_archE942ELNS1_3gpuE9ELNS1_3repE0EEENS1_30default_config_static_selectorELNS0_4arch9wavefront6targetE0EEEvT1_: ; @_ZN7rocprim17ROCPRIM_400000_NS6detail17trampoline_kernelINS0_14default_configENS1_25partition_config_selectorILNS1_17partition_subalgoE9EjjbEEZZNS1_14partition_implILS5_9ELb0ES3_jN6thrust23THRUST_200600_302600_NS6detail15normal_iteratorINS9_10device_ptrIjEEEESE_PNS0_10empty_typeENS0_5tupleIJNS9_16discard_iteratorINS9_11use_defaultEEESF_EEENSH_IJSK_SG_EEENS0_18inequality_wrapperINS9_8equal_toIjEEEEPmJSF_EEE10hipError_tPvRmT3_T4_T5_T6_T7_T9_mT8_P12ihipStream_tbDpT10_ENKUlT_T0_E_clISt17integral_constantIbLb1EES1B_EEDaS16_S17_EUlS16_E_NS1_11comp_targetILNS1_3genE5ELNS1_11target_archE942ELNS1_3gpuE9ELNS1_3repE0EEENS1_30default_config_static_selectorELNS0_4arch9wavefront6targetE0EEEvT1_
; %bb.0:
	.section	.rodata,"a",@progbits
	.p2align	6, 0x0
	.amdhsa_kernel _ZN7rocprim17ROCPRIM_400000_NS6detail17trampoline_kernelINS0_14default_configENS1_25partition_config_selectorILNS1_17partition_subalgoE9EjjbEEZZNS1_14partition_implILS5_9ELb0ES3_jN6thrust23THRUST_200600_302600_NS6detail15normal_iteratorINS9_10device_ptrIjEEEESE_PNS0_10empty_typeENS0_5tupleIJNS9_16discard_iteratorINS9_11use_defaultEEESF_EEENSH_IJSK_SG_EEENS0_18inequality_wrapperINS9_8equal_toIjEEEEPmJSF_EEE10hipError_tPvRmT3_T4_T5_T6_T7_T9_mT8_P12ihipStream_tbDpT10_ENKUlT_T0_E_clISt17integral_constantIbLb1EES1B_EEDaS16_S17_EUlS16_E_NS1_11comp_targetILNS1_3genE5ELNS1_11target_archE942ELNS1_3gpuE9ELNS1_3repE0EEENS1_30default_config_static_selectorELNS0_4arch9wavefront6targetE0EEEvT1_
		.amdhsa_group_segment_fixed_size 0
		.amdhsa_private_segment_fixed_size 0
		.amdhsa_kernarg_size 144
		.amdhsa_user_sgpr_count 15
		.amdhsa_user_sgpr_dispatch_ptr 0
		.amdhsa_user_sgpr_queue_ptr 0
		.amdhsa_user_sgpr_kernarg_segment_ptr 1
		.amdhsa_user_sgpr_dispatch_id 0
		.amdhsa_user_sgpr_private_segment_size 0
		.amdhsa_wavefront_size32 1
		.amdhsa_uses_dynamic_stack 0
		.amdhsa_enable_private_segment 0
		.amdhsa_system_sgpr_workgroup_id_x 1
		.amdhsa_system_sgpr_workgroup_id_y 0
		.amdhsa_system_sgpr_workgroup_id_z 0
		.amdhsa_system_sgpr_workgroup_info 0
		.amdhsa_system_vgpr_workitem_id 0
		.amdhsa_next_free_vgpr 1
		.amdhsa_next_free_sgpr 1
		.amdhsa_reserve_vcc 0
		.amdhsa_float_round_mode_32 0
		.amdhsa_float_round_mode_16_64 0
		.amdhsa_float_denorm_mode_32 3
		.amdhsa_float_denorm_mode_16_64 3
		.amdhsa_dx10_clamp 1
		.amdhsa_ieee_mode 1
		.amdhsa_fp16_overflow 0
		.amdhsa_workgroup_processor_mode 1
		.amdhsa_memory_ordered 1
		.amdhsa_forward_progress 0
		.amdhsa_shared_vgpr_count 0
		.amdhsa_exception_fp_ieee_invalid_op 0
		.amdhsa_exception_fp_denorm_src 0
		.amdhsa_exception_fp_ieee_div_zero 0
		.amdhsa_exception_fp_ieee_overflow 0
		.amdhsa_exception_fp_ieee_underflow 0
		.amdhsa_exception_fp_ieee_inexact 0
		.amdhsa_exception_int_div_zero 0
	.end_amdhsa_kernel
	.section	.text._ZN7rocprim17ROCPRIM_400000_NS6detail17trampoline_kernelINS0_14default_configENS1_25partition_config_selectorILNS1_17partition_subalgoE9EjjbEEZZNS1_14partition_implILS5_9ELb0ES3_jN6thrust23THRUST_200600_302600_NS6detail15normal_iteratorINS9_10device_ptrIjEEEESE_PNS0_10empty_typeENS0_5tupleIJNS9_16discard_iteratorINS9_11use_defaultEEESF_EEENSH_IJSK_SG_EEENS0_18inequality_wrapperINS9_8equal_toIjEEEEPmJSF_EEE10hipError_tPvRmT3_T4_T5_T6_T7_T9_mT8_P12ihipStream_tbDpT10_ENKUlT_T0_E_clISt17integral_constantIbLb1EES1B_EEDaS16_S17_EUlS16_E_NS1_11comp_targetILNS1_3genE5ELNS1_11target_archE942ELNS1_3gpuE9ELNS1_3repE0EEENS1_30default_config_static_selectorELNS0_4arch9wavefront6targetE0EEEvT1_,"axG",@progbits,_ZN7rocprim17ROCPRIM_400000_NS6detail17trampoline_kernelINS0_14default_configENS1_25partition_config_selectorILNS1_17partition_subalgoE9EjjbEEZZNS1_14partition_implILS5_9ELb0ES3_jN6thrust23THRUST_200600_302600_NS6detail15normal_iteratorINS9_10device_ptrIjEEEESE_PNS0_10empty_typeENS0_5tupleIJNS9_16discard_iteratorINS9_11use_defaultEEESF_EEENSH_IJSK_SG_EEENS0_18inequality_wrapperINS9_8equal_toIjEEEEPmJSF_EEE10hipError_tPvRmT3_T4_T5_T6_T7_T9_mT8_P12ihipStream_tbDpT10_ENKUlT_T0_E_clISt17integral_constantIbLb1EES1B_EEDaS16_S17_EUlS16_E_NS1_11comp_targetILNS1_3genE5ELNS1_11target_archE942ELNS1_3gpuE9ELNS1_3repE0EEENS1_30default_config_static_selectorELNS0_4arch9wavefront6targetE0EEEvT1_,comdat
.Lfunc_end798:
	.size	_ZN7rocprim17ROCPRIM_400000_NS6detail17trampoline_kernelINS0_14default_configENS1_25partition_config_selectorILNS1_17partition_subalgoE9EjjbEEZZNS1_14partition_implILS5_9ELb0ES3_jN6thrust23THRUST_200600_302600_NS6detail15normal_iteratorINS9_10device_ptrIjEEEESE_PNS0_10empty_typeENS0_5tupleIJNS9_16discard_iteratorINS9_11use_defaultEEESF_EEENSH_IJSK_SG_EEENS0_18inequality_wrapperINS9_8equal_toIjEEEEPmJSF_EEE10hipError_tPvRmT3_T4_T5_T6_T7_T9_mT8_P12ihipStream_tbDpT10_ENKUlT_T0_E_clISt17integral_constantIbLb1EES1B_EEDaS16_S17_EUlS16_E_NS1_11comp_targetILNS1_3genE5ELNS1_11target_archE942ELNS1_3gpuE9ELNS1_3repE0EEENS1_30default_config_static_selectorELNS0_4arch9wavefront6targetE0EEEvT1_, .Lfunc_end798-_ZN7rocprim17ROCPRIM_400000_NS6detail17trampoline_kernelINS0_14default_configENS1_25partition_config_selectorILNS1_17partition_subalgoE9EjjbEEZZNS1_14partition_implILS5_9ELb0ES3_jN6thrust23THRUST_200600_302600_NS6detail15normal_iteratorINS9_10device_ptrIjEEEESE_PNS0_10empty_typeENS0_5tupleIJNS9_16discard_iteratorINS9_11use_defaultEEESF_EEENSH_IJSK_SG_EEENS0_18inequality_wrapperINS9_8equal_toIjEEEEPmJSF_EEE10hipError_tPvRmT3_T4_T5_T6_T7_T9_mT8_P12ihipStream_tbDpT10_ENKUlT_T0_E_clISt17integral_constantIbLb1EES1B_EEDaS16_S17_EUlS16_E_NS1_11comp_targetILNS1_3genE5ELNS1_11target_archE942ELNS1_3gpuE9ELNS1_3repE0EEENS1_30default_config_static_selectorELNS0_4arch9wavefront6targetE0EEEvT1_
                                        ; -- End function
	.section	.AMDGPU.csdata,"",@progbits
; Kernel info:
; codeLenInByte = 0
; NumSgprs: 0
; NumVgprs: 0
; ScratchSize: 0
; MemoryBound: 0
; FloatMode: 240
; IeeeMode: 1
; LDSByteSize: 0 bytes/workgroup (compile time only)
; SGPRBlocks: 0
; VGPRBlocks: 0
; NumSGPRsForWavesPerEU: 1
; NumVGPRsForWavesPerEU: 1
; Occupancy: 16
; WaveLimiterHint : 0
; COMPUTE_PGM_RSRC2:SCRATCH_EN: 0
; COMPUTE_PGM_RSRC2:USER_SGPR: 15
; COMPUTE_PGM_RSRC2:TRAP_HANDLER: 0
; COMPUTE_PGM_RSRC2:TGID_X_EN: 1
; COMPUTE_PGM_RSRC2:TGID_Y_EN: 0
; COMPUTE_PGM_RSRC2:TGID_Z_EN: 0
; COMPUTE_PGM_RSRC2:TIDIG_COMP_CNT: 0
	.section	.text._ZN7rocprim17ROCPRIM_400000_NS6detail17trampoline_kernelINS0_14default_configENS1_25partition_config_selectorILNS1_17partition_subalgoE9EjjbEEZZNS1_14partition_implILS5_9ELb0ES3_jN6thrust23THRUST_200600_302600_NS6detail15normal_iteratorINS9_10device_ptrIjEEEESE_PNS0_10empty_typeENS0_5tupleIJNS9_16discard_iteratorINS9_11use_defaultEEESF_EEENSH_IJSK_SG_EEENS0_18inequality_wrapperINS9_8equal_toIjEEEEPmJSF_EEE10hipError_tPvRmT3_T4_T5_T6_T7_T9_mT8_P12ihipStream_tbDpT10_ENKUlT_T0_E_clISt17integral_constantIbLb1EES1B_EEDaS16_S17_EUlS16_E_NS1_11comp_targetILNS1_3genE4ELNS1_11target_archE910ELNS1_3gpuE8ELNS1_3repE0EEENS1_30default_config_static_selectorELNS0_4arch9wavefront6targetE0EEEvT1_,"axG",@progbits,_ZN7rocprim17ROCPRIM_400000_NS6detail17trampoline_kernelINS0_14default_configENS1_25partition_config_selectorILNS1_17partition_subalgoE9EjjbEEZZNS1_14partition_implILS5_9ELb0ES3_jN6thrust23THRUST_200600_302600_NS6detail15normal_iteratorINS9_10device_ptrIjEEEESE_PNS0_10empty_typeENS0_5tupleIJNS9_16discard_iteratorINS9_11use_defaultEEESF_EEENSH_IJSK_SG_EEENS0_18inequality_wrapperINS9_8equal_toIjEEEEPmJSF_EEE10hipError_tPvRmT3_T4_T5_T6_T7_T9_mT8_P12ihipStream_tbDpT10_ENKUlT_T0_E_clISt17integral_constantIbLb1EES1B_EEDaS16_S17_EUlS16_E_NS1_11comp_targetILNS1_3genE4ELNS1_11target_archE910ELNS1_3gpuE8ELNS1_3repE0EEENS1_30default_config_static_selectorELNS0_4arch9wavefront6targetE0EEEvT1_,comdat
	.protected	_ZN7rocprim17ROCPRIM_400000_NS6detail17trampoline_kernelINS0_14default_configENS1_25partition_config_selectorILNS1_17partition_subalgoE9EjjbEEZZNS1_14partition_implILS5_9ELb0ES3_jN6thrust23THRUST_200600_302600_NS6detail15normal_iteratorINS9_10device_ptrIjEEEESE_PNS0_10empty_typeENS0_5tupleIJNS9_16discard_iteratorINS9_11use_defaultEEESF_EEENSH_IJSK_SG_EEENS0_18inequality_wrapperINS9_8equal_toIjEEEEPmJSF_EEE10hipError_tPvRmT3_T4_T5_T6_T7_T9_mT8_P12ihipStream_tbDpT10_ENKUlT_T0_E_clISt17integral_constantIbLb1EES1B_EEDaS16_S17_EUlS16_E_NS1_11comp_targetILNS1_3genE4ELNS1_11target_archE910ELNS1_3gpuE8ELNS1_3repE0EEENS1_30default_config_static_selectorELNS0_4arch9wavefront6targetE0EEEvT1_ ; -- Begin function _ZN7rocprim17ROCPRIM_400000_NS6detail17trampoline_kernelINS0_14default_configENS1_25partition_config_selectorILNS1_17partition_subalgoE9EjjbEEZZNS1_14partition_implILS5_9ELb0ES3_jN6thrust23THRUST_200600_302600_NS6detail15normal_iteratorINS9_10device_ptrIjEEEESE_PNS0_10empty_typeENS0_5tupleIJNS9_16discard_iteratorINS9_11use_defaultEEESF_EEENSH_IJSK_SG_EEENS0_18inequality_wrapperINS9_8equal_toIjEEEEPmJSF_EEE10hipError_tPvRmT3_T4_T5_T6_T7_T9_mT8_P12ihipStream_tbDpT10_ENKUlT_T0_E_clISt17integral_constantIbLb1EES1B_EEDaS16_S17_EUlS16_E_NS1_11comp_targetILNS1_3genE4ELNS1_11target_archE910ELNS1_3gpuE8ELNS1_3repE0EEENS1_30default_config_static_selectorELNS0_4arch9wavefront6targetE0EEEvT1_
	.globl	_ZN7rocprim17ROCPRIM_400000_NS6detail17trampoline_kernelINS0_14default_configENS1_25partition_config_selectorILNS1_17partition_subalgoE9EjjbEEZZNS1_14partition_implILS5_9ELb0ES3_jN6thrust23THRUST_200600_302600_NS6detail15normal_iteratorINS9_10device_ptrIjEEEESE_PNS0_10empty_typeENS0_5tupleIJNS9_16discard_iteratorINS9_11use_defaultEEESF_EEENSH_IJSK_SG_EEENS0_18inequality_wrapperINS9_8equal_toIjEEEEPmJSF_EEE10hipError_tPvRmT3_T4_T5_T6_T7_T9_mT8_P12ihipStream_tbDpT10_ENKUlT_T0_E_clISt17integral_constantIbLb1EES1B_EEDaS16_S17_EUlS16_E_NS1_11comp_targetILNS1_3genE4ELNS1_11target_archE910ELNS1_3gpuE8ELNS1_3repE0EEENS1_30default_config_static_selectorELNS0_4arch9wavefront6targetE0EEEvT1_
	.p2align	8
	.type	_ZN7rocprim17ROCPRIM_400000_NS6detail17trampoline_kernelINS0_14default_configENS1_25partition_config_selectorILNS1_17partition_subalgoE9EjjbEEZZNS1_14partition_implILS5_9ELb0ES3_jN6thrust23THRUST_200600_302600_NS6detail15normal_iteratorINS9_10device_ptrIjEEEESE_PNS0_10empty_typeENS0_5tupleIJNS9_16discard_iteratorINS9_11use_defaultEEESF_EEENSH_IJSK_SG_EEENS0_18inequality_wrapperINS9_8equal_toIjEEEEPmJSF_EEE10hipError_tPvRmT3_T4_T5_T6_T7_T9_mT8_P12ihipStream_tbDpT10_ENKUlT_T0_E_clISt17integral_constantIbLb1EES1B_EEDaS16_S17_EUlS16_E_NS1_11comp_targetILNS1_3genE4ELNS1_11target_archE910ELNS1_3gpuE8ELNS1_3repE0EEENS1_30default_config_static_selectorELNS0_4arch9wavefront6targetE0EEEvT1_,@function
_ZN7rocprim17ROCPRIM_400000_NS6detail17trampoline_kernelINS0_14default_configENS1_25partition_config_selectorILNS1_17partition_subalgoE9EjjbEEZZNS1_14partition_implILS5_9ELb0ES3_jN6thrust23THRUST_200600_302600_NS6detail15normal_iteratorINS9_10device_ptrIjEEEESE_PNS0_10empty_typeENS0_5tupleIJNS9_16discard_iteratorINS9_11use_defaultEEESF_EEENSH_IJSK_SG_EEENS0_18inequality_wrapperINS9_8equal_toIjEEEEPmJSF_EEE10hipError_tPvRmT3_T4_T5_T6_T7_T9_mT8_P12ihipStream_tbDpT10_ENKUlT_T0_E_clISt17integral_constantIbLb1EES1B_EEDaS16_S17_EUlS16_E_NS1_11comp_targetILNS1_3genE4ELNS1_11target_archE910ELNS1_3gpuE8ELNS1_3repE0EEENS1_30default_config_static_selectorELNS0_4arch9wavefront6targetE0EEEvT1_: ; @_ZN7rocprim17ROCPRIM_400000_NS6detail17trampoline_kernelINS0_14default_configENS1_25partition_config_selectorILNS1_17partition_subalgoE9EjjbEEZZNS1_14partition_implILS5_9ELb0ES3_jN6thrust23THRUST_200600_302600_NS6detail15normal_iteratorINS9_10device_ptrIjEEEESE_PNS0_10empty_typeENS0_5tupleIJNS9_16discard_iteratorINS9_11use_defaultEEESF_EEENSH_IJSK_SG_EEENS0_18inequality_wrapperINS9_8equal_toIjEEEEPmJSF_EEE10hipError_tPvRmT3_T4_T5_T6_T7_T9_mT8_P12ihipStream_tbDpT10_ENKUlT_T0_E_clISt17integral_constantIbLb1EES1B_EEDaS16_S17_EUlS16_E_NS1_11comp_targetILNS1_3genE4ELNS1_11target_archE910ELNS1_3gpuE8ELNS1_3repE0EEENS1_30default_config_static_selectorELNS0_4arch9wavefront6targetE0EEEvT1_
; %bb.0:
	.section	.rodata,"a",@progbits
	.p2align	6, 0x0
	.amdhsa_kernel _ZN7rocprim17ROCPRIM_400000_NS6detail17trampoline_kernelINS0_14default_configENS1_25partition_config_selectorILNS1_17partition_subalgoE9EjjbEEZZNS1_14partition_implILS5_9ELb0ES3_jN6thrust23THRUST_200600_302600_NS6detail15normal_iteratorINS9_10device_ptrIjEEEESE_PNS0_10empty_typeENS0_5tupleIJNS9_16discard_iteratorINS9_11use_defaultEEESF_EEENSH_IJSK_SG_EEENS0_18inequality_wrapperINS9_8equal_toIjEEEEPmJSF_EEE10hipError_tPvRmT3_T4_T5_T6_T7_T9_mT8_P12ihipStream_tbDpT10_ENKUlT_T0_E_clISt17integral_constantIbLb1EES1B_EEDaS16_S17_EUlS16_E_NS1_11comp_targetILNS1_3genE4ELNS1_11target_archE910ELNS1_3gpuE8ELNS1_3repE0EEENS1_30default_config_static_selectorELNS0_4arch9wavefront6targetE0EEEvT1_
		.amdhsa_group_segment_fixed_size 0
		.amdhsa_private_segment_fixed_size 0
		.amdhsa_kernarg_size 144
		.amdhsa_user_sgpr_count 15
		.amdhsa_user_sgpr_dispatch_ptr 0
		.amdhsa_user_sgpr_queue_ptr 0
		.amdhsa_user_sgpr_kernarg_segment_ptr 1
		.amdhsa_user_sgpr_dispatch_id 0
		.amdhsa_user_sgpr_private_segment_size 0
		.amdhsa_wavefront_size32 1
		.amdhsa_uses_dynamic_stack 0
		.amdhsa_enable_private_segment 0
		.amdhsa_system_sgpr_workgroup_id_x 1
		.amdhsa_system_sgpr_workgroup_id_y 0
		.amdhsa_system_sgpr_workgroup_id_z 0
		.amdhsa_system_sgpr_workgroup_info 0
		.amdhsa_system_vgpr_workitem_id 0
		.amdhsa_next_free_vgpr 1
		.amdhsa_next_free_sgpr 1
		.amdhsa_reserve_vcc 0
		.amdhsa_float_round_mode_32 0
		.amdhsa_float_round_mode_16_64 0
		.amdhsa_float_denorm_mode_32 3
		.amdhsa_float_denorm_mode_16_64 3
		.amdhsa_dx10_clamp 1
		.amdhsa_ieee_mode 1
		.amdhsa_fp16_overflow 0
		.amdhsa_workgroup_processor_mode 1
		.amdhsa_memory_ordered 1
		.amdhsa_forward_progress 0
		.amdhsa_shared_vgpr_count 0
		.amdhsa_exception_fp_ieee_invalid_op 0
		.amdhsa_exception_fp_denorm_src 0
		.amdhsa_exception_fp_ieee_div_zero 0
		.amdhsa_exception_fp_ieee_overflow 0
		.amdhsa_exception_fp_ieee_underflow 0
		.amdhsa_exception_fp_ieee_inexact 0
		.amdhsa_exception_int_div_zero 0
	.end_amdhsa_kernel
	.section	.text._ZN7rocprim17ROCPRIM_400000_NS6detail17trampoline_kernelINS0_14default_configENS1_25partition_config_selectorILNS1_17partition_subalgoE9EjjbEEZZNS1_14partition_implILS5_9ELb0ES3_jN6thrust23THRUST_200600_302600_NS6detail15normal_iteratorINS9_10device_ptrIjEEEESE_PNS0_10empty_typeENS0_5tupleIJNS9_16discard_iteratorINS9_11use_defaultEEESF_EEENSH_IJSK_SG_EEENS0_18inequality_wrapperINS9_8equal_toIjEEEEPmJSF_EEE10hipError_tPvRmT3_T4_T5_T6_T7_T9_mT8_P12ihipStream_tbDpT10_ENKUlT_T0_E_clISt17integral_constantIbLb1EES1B_EEDaS16_S17_EUlS16_E_NS1_11comp_targetILNS1_3genE4ELNS1_11target_archE910ELNS1_3gpuE8ELNS1_3repE0EEENS1_30default_config_static_selectorELNS0_4arch9wavefront6targetE0EEEvT1_,"axG",@progbits,_ZN7rocprim17ROCPRIM_400000_NS6detail17trampoline_kernelINS0_14default_configENS1_25partition_config_selectorILNS1_17partition_subalgoE9EjjbEEZZNS1_14partition_implILS5_9ELb0ES3_jN6thrust23THRUST_200600_302600_NS6detail15normal_iteratorINS9_10device_ptrIjEEEESE_PNS0_10empty_typeENS0_5tupleIJNS9_16discard_iteratorINS9_11use_defaultEEESF_EEENSH_IJSK_SG_EEENS0_18inequality_wrapperINS9_8equal_toIjEEEEPmJSF_EEE10hipError_tPvRmT3_T4_T5_T6_T7_T9_mT8_P12ihipStream_tbDpT10_ENKUlT_T0_E_clISt17integral_constantIbLb1EES1B_EEDaS16_S17_EUlS16_E_NS1_11comp_targetILNS1_3genE4ELNS1_11target_archE910ELNS1_3gpuE8ELNS1_3repE0EEENS1_30default_config_static_selectorELNS0_4arch9wavefront6targetE0EEEvT1_,comdat
.Lfunc_end799:
	.size	_ZN7rocprim17ROCPRIM_400000_NS6detail17trampoline_kernelINS0_14default_configENS1_25partition_config_selectorILNS1_17partition_subalgoE9EjjbEEZZNS1_14partition_implILS5_9ELb0ES3_jN6thrust23THRUST_200600_302600_NS6detail15normal_iteratorINS9_10device_ptrIjEEEESE_PNS0_10empty_typeENS0_5tupleIJNS9_16discard_iteratorINS9_11use_defaultEEESF_EEENSH_IJSK_SG_EEENS0_18inequality_wrapperINS9_8equal_toIjEEEEPmJSF_EEE10hipError_tPvRmT3_T4_T5_T6_T7_T9_mT8_P12ihipStream_tbDpT10_ENKUlT_T0_E_clISt17integral_constantIbLb1EES1B_EEDaS16_S17_EUlS16_E_NS1_11comp_targetILNS1_3genE4ELNS1_11target_archE910ELNS1_3gpuE8ELNS1_3repE0EEENS1_30default_config_static_selectorELNS0_4arch9wavefront6targetE0EEEvT1_, .Lfunc_end799-_ZN7rocprim17ROCPRIM_400000_NS6detail17trampoline_kernelINS0_14default_configENS1_25partition_config_selectorILNS1_17partition_subalgoE9EjjbEEZZNS1_14partition_implILS5_9ELb0ES3_jN6thrust23THRUST_200600_302600_NS6detail15normal_iteratorINS9_10device_ptrIjEEEESE_PNS0_10empty_typeENS0_5tupleIJNS9_16discard_iteratorINS9_11use_defaultEEESF_EEENSH_IJSK_SG_EEENS0_18inequality_wrapperINS9_8equal_toIjEEEEPmJSF_EEE10hipError_tPvRmT3_T4_T5_T6_T7_T9_mT8_P12ihipStream_tbDpT10_ENKUlT_T0_E_clISt17integral_constantIbLb1EES1B_EEDaS16_S17_EUlS16_E_NS1_11comp_targetILNS1_3genE4ELNS1_11target_archE910ELNS1_3gpuE8ELNS1_3repE0EEENS1_30default_config_static_selectorELNS0_4arch9wavefront6targetE0EEEvT1_
                                        ; -- End function
	.section	.AMDGPU.csdata,"",@progbits
; Kernel info:
; codeLenInByte = 0
; NumSgprs: 0
; NumVgprs: 0
; ScratchSize: 0
; MemoryBound: 0
; FloatMode: 240
; IeeeMode: 1
; LDSByteSize: 0 bytes/workgroup (compile time only)
; SGPRBlocks: 0
; VGPRBlocks: 0
; NumSGPRsForWavesPerEU: 1
; NumVGPRsForWavesPerEU: 1
; Occupancy: 15
; WaveLimiterHint : 0
; COMPUTE_PGM_RSRC2:SCRATCH_EN: 0
; COMPUTE_PGM_RSRC2:USER_SGPR: 15
; COMPUTE_PGM_RSRC2:TRAP_HANDLER: 0
; COMPUTE_PGM_RSRC2:TGID_X_EN: 1
; COMPUTE_PGM_RSRC2:TGID_Y_EN: 0
; COMPUTE_PGM_RSRC2:TGID_Z_EN: 0
; COMPUTE_PGM_RSRC2:TIDIG_COMP_CNT: 0
	.section	.text._ZN7rocprim17ROCPRIM_400000_NS6detail17trampoline_kernelINS0_14default_configENS1_25partition_config_selectorILNS1_17partition_subalgoE9EjjbEEZZNS1_14partition_implILS5_9ELb0ES3_jN6thrust23THRUST_200600_302600_NS6detail15normal_iteratorINS9_10device_ptrIjEEEESE_PNS0_10empty_typeENS0_5tupleIJNS9_16discard_iteratorINS9_11use_defaultEEESF_EEENSH_IJSK_SG_EEENS0_18inequality_wrapperINS9_8equal_toIjEEEEPmJSF_EEE10hipError_tPvRmT3_T4_T5_T6_T7_T9_mT8_P12ihipStream_tbDpT10_ENKUlT_T0_E_clISt17integral_constantIbLb1EES1B_EEDaS16_S17_EUlS16_E_NS1_11comp_targetILNS1_3genE3ELNS1_11target_archE908ELNS1_3gpuE7ELNS1_3repE0EEENS1_30default_config_static_selectorELNS0_4arch9wavefront6targetE0EEEvT1_,"axG",@progbits,_ZN7rocprim17ROCPRIM_400000_NS6detail17trampoline_kernelINS0_14default_configENS1_25partition_config_selectorILNS1_17partition_subalgoE9EjjbEEZZNS1_14partition_implILS5_9ELb0ES3_jN6thrust23THRUST_200600_302600_NS6detail15normal_iteratorINS9_10device_ptrIjEEEESE_PNS0_10empty_typeENS0_5tupleIJNS9_16discard_iteratorINS9_11use_defaultEEESF_EEENSH_IJSK_SG_EEENS0_18inequality_wrapperINS9_8equal_toIjEEEEPmJSF_EEE10hipError_tPvRmT3_T4_T5_T6_T7_T9_mT8_P12ihipStream_tbDpT10_ENKUlT_T0_E_clISt17integral_constantIbLb1EES1B_EEDaS16_S17_EUlS16_E_NS1_11comp_targetILNS1_3genE3ELNS1_11target_archE908ELNS1_3gpuE7ELNS1_3repE0EEENS1_30default_config_static_selectorELNS0_4arch9wavefront6targetE0EEEvT1_,comdat
	.protected	_ZN7rocprim17ROCPRIM_400000_NS6detail17trampoline_kernelINS0_14default_configENS1_25partition_config_selectorILNS1_17partition_subalgoE9EjjbEEZZNS1_14partition_implILS5_9ELb0ES3_jN6thrust23THRUST_200600_302600_NS6detail15normal_iteratorINS9_10device_ptrIjEEEESE_PNS0_10empty_typeENS0_5tupleIJNS9_16discard_iteratorINS9_11use_defaultEEESF_EEENSH_IJSK_SG_EEENS0_18inequality_wrapperINS9_8equal_toIjEEEEPmJSF_EEE10hipError_tPvRmT3_T4_T5_T6_T7_T9_mT8_P12ihipStream_tbDpT10_ENKUlT_T0_E_clISt17integral_constantIbLb1EES1B_EEDaS16_S17_EUlS16_E_NS1_11comp_targetILNS1_3genE3ELNS1_11target_archE908ELNS1_3gpuE7ELNS1_3repE0EEENS1_30default_config_static_selectorELNS0_4arch9wavefront6targetE0EEEvT1_ ; -- Begin function _ZN7rocprim17ROCPRIM_400000_NS6detail17trampoline_kernelINS0_14default_configENS1_25partition_config_selectorILNS1_17partition_subalgoE9EjjbEEZZNS1_14partition_implILS5_9ELb0ES3_jN6thrust23THRUST_200600_302600_NS6detail15normal_iteratorINS9_10device_ptrIjEEEESE_PNS0_10empty_typeENS0_5tupleIJNS9_16discard_iteratorINS9_11use_defaultEEESF_EEENSH_IJSK_SG_EEENS0_18inequality_wrapperINS9_8equal_toIjEEEEPmJSF_EEE10hipError_tPvRmT3_T4_T5_T6_T7_T9_mT8_P12ihipStream_tbDpT10_ENKUlT_T0_E_clISt17integral_constantIbLb1EES1B_EEDaS16_S17_EUlS16_E_NS1_11comp_targetILNS1_3genE3ELNS1_11target_archE908ELNS1_3gpuE7ELNS1_3repE0EEENS1_30default_config_static_selectorELNS0_4arch9wavefront6targetE0EEEvT1_
	.globl	_ZN7rocprim17ROCPRIM_400000_NS6detail17trampoline_kernelINS0_14default_configENS1_25partition_config_selectorILNS1_17partition_subalgoE9EjjbEEZZNS1_14partition_implILS5_9ELb0ES3_jN6thrust23THRUST_200600_302600_NS6detail15normal_iteratorINS9_10device_ptrIjEEEESE_PNS0_10empty_typeENS0_5tupleIJNS9_16discard_iteratorINS9_11use_defaultEEESF_EEENSH_IJSK_SG_EEENS0_18inequality_wrapperINS9_8equal_toIjEEEEPmJSF_EEE10hipError_tPvRmT3_T4_T5_T6_T7_T9_mT8_P12ihipStream_tbDpT10_ENKUlT_T0_E_clISt17integral_constantIbLb1EES1B_EEDaS16_S17_EUlS16_E_NS1_11comp_targetILNS1_3genE3ELNS1_11target_archE908ELNS1_3gpuE7ELNS1_3repE0EEENS1_30default_config_static_selectorELNS0_4arch9wavefront6targetE0EEEvT1_
	.p2align	8
	.type	_ZN7rocprim17ROCPRIM_400000_NS6detail17trampoline_kernelINS0_14default_configENS1_25partition_config_selectorILNS1_17partition_subalgoE9EjjbEEZZNS1_14partition_implILS5_9ELb0ES3_jN6thrust23THRUST_200600_302600_NS6detail15normal_iteratorINS9_10device_ptrIjEEEESE_PNS0_10empty_typeENS0_5tupleIJNS9_16discard_iteratorINS9_11use_defaultEEESF_EEENSH_IJSK_SG_EEENS0_18inequality_wrapperINS9_8equal_toIjEEEEPmJSF_EEE10hipError_tPvRmT3_T4_T5_T6_T7_T9_mT8_P12ihipStream_tbDpT10_ENKUlT_T0_E_clISt17integral_constantIbLb1EES1B_EEDaS16_S17_EUlS16_E_NS1_11comp_targetILNS1_3genE3ELNS1_11target_archE908ELNS1_3gpuE7ELNS1_3repE0EEENS1_30default_config_static_selectorELNS0_4arch9wavefront6targetE0EEEvT1_,@function
_ZN7rocprim17ROCPRIM_400000_NS6detail17trampoline_kernelINS0_14default_configENS1_25partition_config_selectorILNS1_17partition_subalgoE9EjjbEEZZNS1_14partition_implILS5_9ELb0ES3_jN6thrust23THRUST_200600_302600_NS6detail15normal_iteratorINS9_10device_ptrIjEEEESE_PNS0_10empty_typeENS0_5tupleIJNS9_16discard_iteratorINS9_11use_defaultEEESF_EEENSH_IJSK_SG_EEENS0_18inequality_wrapperINS9_8equal_toIjEEEEPmJSF_EEE10hipError_tPvRmT3_T4_T5_T6_T7_T9_mT8_P12ihipStream_tbDpT10_ENKUlT_T0_E_clISt17integral_constantIbLb1EES1B_EEDaS16_S17_EUlS16_E_NS1_11comp_targetILNS1_3genE3ELNS1_11target_archE908ELNS1_3gpuE7ELNS1_3repE0EEENS1_30default_config_static_selectorELNS0_4arch9wavefront6targetE0EEEvT1_: ; @_ZN7rocprim17ROCPRIM_400000_NS6detail17trampoline_kernelINS0_14default_configENS1_25partition_config_selectorILNS1_17partition_subalgoE9EjjbEEZZNS1_14partition_implILS5_9ELb0ES3_jN6thrust23THRUST_200600_302600_NS6detail15normal_iteratorINS9_10device_ptrIjEEEESE_PNS0_10empty_typeENS0_5tupleIJNS9_16discard_iteratorINS9_11use_defaultEEESF_EEENSH_IJSK_SG_EEENS0_18inequality_wrapperINS9_8equal_toIjEEEEPmJSF_EEE10hipError_tPvRmT3_T4_T5_T6_T7_T9_mT8_P12ihipStream_tbDpT10_ENKUlT_T0_E_clISt17integral_constantIbLb1EES1B_EEDaS16_S17_EUlS16_E_NS1_11comp_targetILNS1_3genE3ELNS1_11target_archE908ELNS1_3gpuE7ELNS1_3repE0EEENS1_30default_config_static_selectorELNS0_4arch9wavefront6targetE0EEEvT1_
; %bb.0:
	.section	.rodata,"a",@progbits
	.p2align	6, 0x0
	.amdhsa_kernel _ZN7rocprim17ROCPRIM_400000_NS6detail17trampoline_kernelINS0_14default_configENS1_25partition_config_selectorILNS1_17partition_subalgoE9EjjbEEZZNS1_14partition_implILS5_9ELb0ES3_jN6thrust23THRUST_200600_302600_NS6detail15normal_iteratorINS9_10device_ptrIjEEEESE_PNS0_10empty_typeENS0_5tupleIJNS9_16discard_iteratorINS9_11use_defaultEEESF_EEENSH_IJSK_SG_EEENS0_18inequality_wrapperINS9_8equal_toIjEEEEPmJSF_EEE10hipError_tPvRmT3_T4_T5_T6_T7_T9_mT8_P12ihipStream_tbDpT10_ENKUlT_T0_E_clISt17integral_constantIbLb1EES1B_EEDaS16_S17_EUlS16_E_NS1_11comp_targetILNS1_3genE3ELNS1_11target_archE908ELNS1_3gpuE7ELNS1_3repE0EEENS1_30default_config_static_selectorELNS0_4arch9wavefront6targetE0EEEvT1_
		.amdhsa_group_segment_fixed_size 0
		.amdhsa_private_segment_fixed_size 0
		.amdhsa_kernarg_size 144
		.amdhsa_user_sgpr_count 15
		.amdhsa_user_sgpr_dispatch_ptr 0
		.amdhsa_user_sgpr_queue_ptr 0
		.amdhsa_user_sgpr_kernarg_segment_ptr 1
		.amdhsa_user_sgpr_dispatch_id 0
		.amdhsa_user_sgpr_private_segment_size 0
		.amdhsa_wavefront_size32 1
		.amdhsa_uses_dynamic_stack 0
		.amdhsa_enable_private_segment 0
		.amdhsa_system_sgpr_workgroup_id_x 1
		.amdhsa_system_sgpr_workgroup_id_y 0
		.amdhsa_system_sgpr_workgroup_id_z 0
		.amdhsa_system_sgpr_workgroup_info 0
		.amdhsa_system_vgpr_workitem_id 0
		.amdhsa_next_free_vgpr 1
		.amdhsa_next_free_sgpr 1
		.amdhsa_reserve_vcc 0
		.amdhsa_float_round_mode_32 0
		.amdhsa_float_round_mode_16_64 0
		.amdhsa_float_denorm_mode_32 3
		.amdhsa_float_denorm_mode_16_64 3
		.amdhsa_dx10_clamp 1
		.amdhsa_ieee_mode 1
		.amdhsa_fp16_overflow 0
		.amdhsa_workgroup_processor_mode 1
		.amdhsa_memory_ordered 1
		.amdhsa_forward_progress 0
		.amdhsa_shared_vgpr_count 0
		.amdhsa_exception_fp_ieee_invalid_op 0
		.amdhsa_exception_fp_denorm_src 0
		.amdhsa_exception_fp_ieee_div_zero 0
		.amdhsa_exception_fp_ieee_overflow 0
		.amdhsa_exception_fp_ieee_underflow 0
		.amdhsa_exception_fp_ieee_inexact 0
		.amdhsa_exception_int_div_zero 0
	.end_amdhsa_kernel
	.section	.text._ZN7rocprim17ROCPRIM_400000_NS6detail17trampoline_kernelINS0_14default_configENS1_25partition_config_selectorILNS1_17partition_subalgoE9EjjbEEZZNS1_14partition_implILS5_9ELb0ES3_jN6thrust23THRUST_200600_302600_NS6detail15normal_iteratorINS9_10device_ptrIjEEEESE_PNS0_10empty_typeENS0_5tupleIJNS9_16discard_iteratorINS9_11use_defaultEEESF_EEENSH_IJSK_SG_EEENS0_18inequality_wrapperINS9_8equal_toIjEEEEPmJSF_EEE10hipError_tPvRmT3_T4_T5_T6_T7_T9_mT8_P12ihipStream_tbDpT10_ENKUlT_T0_E_clISt17integral_constantIbLb1EES1B_EEDaS16_S17_EUlS16_E_NS1_11comp_targetILNS1_3genE3ELNS1_11target_archE908ELNS1_3gpuE7ELNS1_3repE0EEENS1_30default_config_static_selectorELNS0_4arch9wavefront6targetE0EEEvT1_,"axG",@progbits,_ZN7rocprim17ROCPRIM_400000_NS6detail17trampoline_kernelINS0_14default_configENS1_25partition_config_selectorILNS1_17partition_subalgoE9EjjbEEZZNS1_14partition_implILS5_9ELb0ES3_jN6thrust23THRUST_200600_302600_NS6detail15normal_iteratorINS9_10device_ptrIjEEEESE_PNS0_10empty_typeENS0_5tupleIJNS9_16discard_iteratorINS9_11use_defaultEEESF_EEENSH_IJSK_SG_EEENS0_18inequality_wrapperINS9_8equal_toIjEEEEPmJSF_EEE10hipError_tPvRmT3_T4_T5_T6_T7_T9_mT8_P12ihipStream_tbDpT10_ENKUlT_T0_E_clISt17integral_constantIbLb1EES1B_EEDaS16_S17_EUlS16_E_NS1_11comp_targetILNS1_3genE3ELNS1_11target_archE908ELNS1_3gpuE7ELNS1_3repE0EEENS1_30default_config_static_selectorELNS0_4arch9wavefront6targetE0EEEvT1_,comdat
.Lfunc_end800:
	.size	_ZN7rocprim17ROCPRIM_400000_NS6detail17trampoline_kernelINS0_14default_configENS1_25partition_config_selectorILNS1_17partition_subalgoE9EjjbEEZZNS1_14partition_implILS5_9ELb0ES3_jN6thrust23THRUST_200600_302600_NS6detail15normal_iteratorINS9_10device_ptrIjEEEESE_PNS0_10empty_typeENS0_5tupleIJNS9_16discard_iteratorINS9_11use_defaultEEESF_EEENSH_IJSK_SG_EEENS0_18inequality_wrapperINS9_8equal_toIjEEEEPmJSF_EEE10hipError_tPvRmT3_T4_T5_T6_T7_T9_mT8_P12ihipStream_tbDpT10_ENKUlT_T0_E_clISt17integral_constantIbLb1EES1B_EEDaS16_S17_EUlS16_E_NS1_11comp_targetILNS1_3genE3ELNS1_11target_archE908ELNS1_3gpuE7ELNS1_3repE0EEENS1_30default_config_static_selectorELNS0_4arch9wavefront6targetE0EEEvT1_, .Lfunc_end800-_ZN7rocprim17ROCPRIM_400000_NS6detail17trampoline_kernelINS0_14default_configENS1_25partition_config_selectorILNS1_17partition_subalgoE9EjjbEEZZNS1_14partition_implILS5_9ELb0ES3_jN6thrust23THRUST_200600_302600_NS6detail15normal_iteratorINS9_10device_ptrIjEEEESE_PNS0_10empty_typeENS0_5tupleIJNS9_16discard_iteratorINS9_11use_defaultEEESF_EEENSH_IJSK_SG_EEENS0_18inequality_wrapperINS9_8equal_toIjEEEEPmJSF_EEE10hipError_tPvRmT3_T4_T5_T6_T7_T9_mT8_P12ihipStream_tbDpT10_ENKUlT_T0_E_clISt17integral_constantIbLb1EES1B_EEDaS16_S17_EUlS16_E_NS1_11comp_targetILNS1_3genE3ELNS1_11target_archE908ELNS1_3gpuE7ELNS1_3repE0EEENS1_30default_config_static_selectorELNS0_4arch9wavefront6targetE0EEEvT1_
                                        ; -- End function
	.section	.AMDGPU.csdata,"",@progbits
; Kernel info:
; codeLenInByte = 0
; NumSgprs: 0
; NumVgprs: 0
; ScratchSize: 0
; MemoryBound: 0
; FloatMode: 240
; IeeeMode: 1
; LDSByteSize: 0 bytes/workgroup (compile time only)
; SGPRBlocks: 0
; VGPRBlocks: 0
; NumSGPRsForWavesPerEU: 1
; NumVGPRsForWavesPerEU: 1
; Occupancy: 16
; WaveLimiterHint : 0
; COMPUTE_PGM_RSRC2:SCRATCH_EN: 0
; COMPUTE_PGM_RSRC2:USER_SGPR: 15
; COMPUTE_PGM_RSRC2:TRAP_HANDLER: 0
; COMPUTE_PGM_RSRC2:TGID_X_EN: 1
; COMPUTE_PGM_RSRC2:TGID_Y_EN: 0
; COMPUTE_PGM_RSRC2:TGID_Z_EN: 0
; COMPUTE_PGM_RSRC2:TIDIG_COMP_CNT: 0
	.section	.text._ZN7rocprim17ROCPRIM_400000_NS6detail17trampoline_kernelINS0_14default_configENS1_25partition_config_selectorILNS1_17partition_subalgoE9EjjbEEZZNS1_14partition_implILS5_9ELb0ES3_jN6thrust23THRUST_200600_302600_NS6detail15normal_iteratorINS9_10device_ptrIjEEEESE_PNS0_10empty_typeENS0_5tupleIJNS9_16discard_iteratorINS9_11use_defaultEEESF_EEENSH_IJSK_SG_EEENS0_18inequality_wrapperINS9_8equal_toIjEEEEPmJSF_EEE10hipError_tPvRmT3_T4_T5_T6_T7_T9_mT8_P12ihipStream_tbDpT10_ENKUlT_T0_E_clISt17integral_constantIbLb1EES1B_EEDaS16_S17_EUlS16_E_NS1_11comp_targetILNS1_3genE2ELNS1_11target_archE906ELNS1_3gpuE6ELNS1_3repE0EEENS1_30default_config_static_selectorELNS0_4arch9wavefront6targetE0EEEvT1_,"axG",@progbits,_ZN7rocprim17ROCPRIM_400000_NS6detail17trampoline_kernelINS0_14default_configENS1_25partition_config_selectorILNS1_17partition_subalgoE9EjjbEEZZNS1_14partition_implILS5_9ELb0ES3_jN6thrust23THRUST_200600_302600_NS6detail15normal_iteratorINS9_10device_ptrIjEEEESE_PNS0_10empty_typeENS0_5tupleIJNS9_16discard_iteratorINS9_11use_defaultEEESF_EEENSH_IJSK_SG_EEENS0_18inequality_wrapperINS9_8equal_toIjEEEEPmJSF_EEE10hipError_tPvRmT3_T4_T5_T6_T7_T9_mT8_P12ihipStream_tbDpT10_ENKUlT_T0_E_clISt17integral_constantIbLb1EES1B_EEDaS16_S17_EUlS16_E_NS1_11comp_targetILNS1_3genE2ELNS1_11target_archE906ELNS1_3gpuE6ELNS1_3repE0EEENS1_30default_config_static_selectorELNS0_4arch9wavefront6targetE0EEEvT1_,comdat
	.protected	_ZN7rocprim17ROCPRIM_400000_NS6detail17trampoline_kernelINS0_14default_configENS1_25partition_config_selectorILNS1_17partition_subalgoE9EjjbEEZZNS1_14partition_implILS5_9ELb0ES3_jN6thrust23THRUST_200600_302600_NS6detail15normal_iteratorINS9_10device_ptrIjEEEESE_PNS0_10empty_typeENS0_5tupleIJNS9_16discard_iteratorINS9_11use_defaultEEESF_EEENSH_IJSK_SG_EEENS0_18inequality_wrapperINS9_8equal_toIjEEEEPmJSF_EEE10hipError_tPvRmT3_T4_T5_T6_T7_T9_mT8_P12ihipStream_tbDpT10_ENKUlT_T0_E_clISt17integral_constantIbLb1EES1B_EEDaS16_S17_EUlS16_E_NS1_11comp_targetILNS1_3genE2ELNS1_11target_archE906ELNS1_3gpuE6ELNS1_3repE0EEENS1_30default_config_static_selectorELNS0_4arch9wavefront6targetE0EEEvT1_ ; -- Begin function _ZN7rocprim17ROCPRIM_400000_NS6detail17trampoline_kernelINS0_14default_configENS1_25partition_config_selectorILNS1_17partition_subalgoE9EjjbEEZZNS1_14partition_implILS5_9ELb0ES3_jN6thrust23THRUST_200600_302600_NS6detail15normal_iteratorINS9_10device_ptrIjEEEESE_PNS0_10empty_typeENS0_5tupleIJNS9_16discard_iteratorINS9_11use_defaultEEESF_EEENSH_IJSK_SG_EEENS0_18inequality_wrapperINS9_8equal_toIjEEEEPmJSF_EEE10hipError_tPvRmT3_T4_T5_T6_T7_T9_mT8_P12ihipStream_tbDpT10_ENKUlT_T0_E_clISt17integral_constantIbLb1EES1B_EEDaS16_S17_EUlS16_E_NS1_11comp_targetILNS1_3genE2ELNS1_11target_archE906ELNS1_3gpuE6ELNS1_3repE0EEENS1_30default_config_static_selectorELNS0_4arch9wavefront6targetE0EEEvT1_
	.globl	_ZN7rocprim17ROCPRIM_400000_NS6detail17trampoline_kernelINS0_14default_configENS1_25partition_config_selectorILNS1_17partition_subalgoE9EjjbEEZZNS1_14partition_implILS5_9ELb0ES3_jN6thrust23THRUST_200600_302600_NS6detail15normal_iteratorINS9_10device_ptrIjEEEESE_PNS0_10empty_typeENS0_5tupleIJNS9_16discard_iteratorINS9_11use_defaultEEESF_EEENSH_IJSK_SG_EEENS0_18inequality_wrapperINS9_8equal_toIjEEEEPmJSF_EEE10hipError_tPvRmT3_T4_T5_T6_T7_T9_mT8_P12ihipStream_tbDpT10_ENKUlT_T0_E_clISt17integral_constantIbLb1EES1B_EEDaS16_S17_EUlS16_E_NS1_11comp_targetILNS1_3genE2ELNS1_11target_archE906ELNS1_3gpuE6ELNS1_3repE0EEENS1_30default_config_static_selectorELNS0_4arch9wavefront6targetE0EEEvT1_
	.p2align	8
	.type	_ZN7rocprim17ROCPRIM_400000_NS6detail17trampoline_kernelINS0_14default_configENS1_25partition_config_selectorILNS1_17partition_subalgoE9EjjbEEZZNS1_14partition_implILS5_9ELb0ES3_jN6thrust23THRUST_200600_302600_NS6detail15normal_iteratorINS9_10device_ptrIjEEEESE_PNS0_10empty_typeENS0_5tupleIJNS9_16discard_iteratorINS9_11use_defaultEEESF_EEENSH_IJSK_SG_EEENS0_18inequality_wrapperINS9_8equal_toIjEEEEPmJSF_EEE10hipError_tPvRmT3_T4_T5_T6_T7_T9_mT8_P12ihipStream_tbDpT10_ENKUlT_T0_E_clISt17integral_constantIbLb1EES1B_EEDaS16_S17_EUlS16_E_NS1_11comp_targetILNS1_3genE2ELNS1_11target_archE906ELNS1_3gpuE6ELNS1_3repE0EEENS1_30default_config_static_selectorELNS0_4arch9wavefront6targetE0EEEvT1_,@function
_ZN7rocprim17ROCPRIM_400000_NS6detail17trampoline_kernelINS0_14default_configENS1_25partition_config_selectorILNS1_17partition_subalgoE9EjjbEEZZNS1_14partition_implILS5_9ELb0ES3_jN6thrust23THRUST_200600_302600_NS6detail15normal_iteratorINS9_10device_ptrIjEEEESE_PNS0_10empty_typeENS0_5tupleIJNS9_16discard_iteratorINS9_11use_defaultEEESF_EEENSH_IJSK_SG_EEENS0_18inequality_wrapperINS9_8equal_toIjEEEEPmJSF_EEE10hipError_tPvRmT3_T4_T5_T6_T7_T9_mT8_P12ihipStream_tbDpT10_ENKUlT_T0_E_clISt17integral_constantIbLb1EES1B_EEDaS16_S17_EUlS16_E_NS1_11comp_targetILNS1_3genE2ELNS1_11target_archE906ELNS1_3gpuE6ELNS1_3repE0EEENS1_30default_config_static_selectorELNS0_4arch9wavefront6targetE0EEEvT1_: ; @_ZN7rocprim17ROCPRIM_400000_NS6detail17trampoline_kernelINS0_14default_configENS1_25partition_config_selectorILNS1_17partition_subalgoE9EjjbEEZZNS1_14partition_implILS5_9ELb0ES3_jN6thrust23THRUST_200600_302600_NS6detail15normal_iteratorINS9_10device_ptrIjEEEESE_PNS0_10empty_typeENS0_5tupleIJNS9_16discard_iteratorINS9_11use_defaultEEESF_EEENSH_IJSK_SG_EEENS0_18inequality_wrapperINS9_8equal_toIjEEEEPmJSF_EEE10hipError_tPvRmT3_T4_T5_T6_T7_T9_mT8_P12ihipStream_tbDpT10_ENKUlT_T0_E_clISt17integral_constantIbLb1EES1B_EEDaS16_S17_EUlS16_E_NS1_11comp_targetILNS1_3genE2ELNS1_11target_archE906ELNS1_3gpuE6ELNS1_3repE0EEENS1_30default_config_static_selectorELNS0_4arch9wavefront6targetE0EEEvT1_
; %bb.0:
	.section	.rodata,"a",@progbits
	.p2align	6, 0x0
	.amdhsa_kernel _ZN7rocprim17ROCPRIM_400000_NS6detail17trampoline_kernelINS0_14default_configENS1_25partition_config_selectorILNS1_17partition_subalgoE9EjjbEEZZNS1_14partition_implILS5_9ELb0ES3_jN6thrust23THRUST_200600_302600_NS6detail15normal_iteratorINS9_10device_ptrIjEEEESE_PNS0_10empty_typeENS0_5tupleIJNS9_16discard_iteratorINS9_11use_defaultEEESF_EEENSH_IJSK_SG_EEENS0_18inequality_wrapperINS9_8equal_toIjEEEEPmJSF_EEE10hipError_tPvRmT3_T4_T5_T6_T7_T9_mT8_P12ihipStream_tbDpT10_ENKUlT_T0_E_clISt17integral_constantIbLb1EES1B_EEDaS16_S17_EUlS16_E_NS1_11comp_targetILNS1_3genE2ELNS1_11target_archE906ELNS1_3gpuE6ELNS1_3repE0EEENS1_30default_config_static_selectorELNS0_4arch9wavefront6targetE0EEEvT1_
		.amdhsa_group_segment_fixed_size 0
		.amdhsa_private_segment_fixed_size 0
		.amdhsa_kernarg_size 144
		.amdhsa_user_sgpr_count 15
		.amdhsa_user_sgpr_dispatch_ptr 0
		.amdhsa_user_sgpr_queue_ptr 0
		.amdhsa_user_sgpr_kernarg_segment_ptr 1
		.amdhsa_user_sgpr_dispatch_id 0
		.amdhsa_user_sgpr_private_segment_size 0
		.amdhsa_wavefront_size32 1
		.amdhsa_uses_dynamic_stack 0
		.amdhsa_enable_private_segment 0
		.amdhsa_system_sgpr_workgroup_id_x 1
		.amdhsa_system_sgpr_workgroup_id_y 0
		.amdhsa_system_sgpr_workgroup_id_z 0
		.amdhsa_system_sgpr_workgroup_info 0
		.amdhsa_system_vgpr_workitem_id 0
		.amdhsa_next_free_vgpr 1
		.amdhsa_next_free_sgpr 1
		.amdhsa_reserve_vcc 0
		.amdhsa_float_round_mode_32 0
		.amdhsa_float_round_mode_16_64 0
		.amdhsa_float_denorm_mode_32 3
		.amdhsa_float_denorm_mode_16_64 3
		.amdhsa_dx10_clamp 1
		.amdhsa_ieee_mode 1
		.amdhsa_fp16_overflow 0
		.amdhsa_workgroup_processor_mode 1
		.amdhsa_memory_ordered 1
		.amdhsa_forward_progress 0
		.amdhsa_shared_vgpr_count 0
		.amdhsa_exception_fp_ieee_invalid_op 0
		.amdhsa_exception_fp_denorm_src 0
		.amdhsa_exception_fp_ieee_div_zero 0
		.amdhsa_exception_fp_ieee_overflow 0
		.amdhsa_exception_fp_ieee_underflow 0
		.amdhsa_exception_fp_ieee_inexact 0
		.amdhsa_exception_int_div_zero 0
	.end_amdhsa_kernel
	.section	.text._ZN7rocprim17ROCPRIM_400000_NS6detail17trampoline_kernelINS0_14default_configENS1_25partition_config_selectorILNS1_17partition_subalgoE9EjjbEEZZNS1_14partition_implILS5_9ELb0ES3_jN6thrust23THRUST_200600_302600_NS6detail15normal_iteratorINS9_10device_ptrIjEEEESE_PNS0_10empty_typeENS0_5tupleIJNS9_16discard_iteratorINS9_11use_defaultEEESF_EEENSH_IJSK_SG_EEENS0_18inequality_wrapperINS9_8equal_toIjEEEEPmJSF_EEE10hipError_tPvRmT3_T4_T5_T6_T7_T9_mT8_P12ihipStream_tbDpT10_ENKUlT_T0_E_clISt17integral_constantIbLb1EES1B_EEDaS16_S17_EUlS16_E_NS1_11comp_targetILNS1_3genE2ELNS1_11target_archE906ELNS1_3gpuE6ELNS1_3repE0EEENS1_30default_config_static_selectorELNS0_4arch9wavefront6targetE0EEEvT1_,"axG",@progbits,_ZN7rocprim17ROCPRIM_400000_NS6detail17trampoline_kernelINS0_14default_configENS1_25partition_config_selectorILNS1_17partition_subalgoE9EjjbEEZZNS1_14partition_implILS5_9ELb0ES3_jN6thrust23THRUST_200600_302600_NS6detail15normal_iteratorINS9_10device_ptrIjEEEESE_PNS0_10empty_typeENS0_5tupleIJNS9_16discard_iteratorINS9_11use_defaultEEESF_EEENSH_IJSK_SG_EEENS0_18inequality_wrapperINS9_8equal_toIjEEEEPmJSF_EEE10hipError_tPvRmT3_T4_T5_T6_T7_T9_mT8_P12ihipStream_tbDpT10_ENKUlT_T0_E_clISt17integral_constantIbLb1EES1B_EEDaS16_S17_EUlS16_E_NS1_11comp_targetILNS1_3genE2ELNS1_11target_archE906ELNS1_3gpuE6ELNS1_3repE0EEENS1_30default_config_static_selectorELNS0_4arch9wavefront6targetE0EEEvT1_,comdat
.Lfunc_end801:
	.size	_ZN7rocprim17ROCPRIM_400000_NS6detail17trampoline_kernelINS0_14default_configENS1_25partition_config_selectorILNS1_17partition_subalgoE9EjjbEEZZNS1_14partition_implILS5_9ELb0ES3_jN6thrust23THRUST_200600_302600_NS6detail15normal_iteratorINS9_10device_ptrIjEEEESE_PNS0_10empty_typeENS0_5tupleIJNS9_16discard_iteratorINS9_11use_defaultEEESF_EEENSH_IJSK_SG_EEENS0_18inequality_wrapperINS9_8equal_toIjEEEEPmJSF_EEE10hipError_tPvRmT3_T4_T5_T6_T7_T9_mT8_P12ihipStream_tbDpT10_ENKUlT_T0_E_clISt17integral_constantIbLb1EES1B_EEDaS16_S17_EUlS16_E_NS1_11comp_targetILNS1_3genE2ELNS1_11target_archE906ELNS1_3gpuE6ELNS1_3repE0EEENS1_30default_config_static_selectorELNS0_4arch9wavefront6targetE0EEEvT1_, .Lfunc_end801-_ZN7rocprim17ROCPRIM_400000_NS6detail17trampoline_kernelINS0_14default_configENS1_25partition_config_selectorILNS1_17partition_subalgoE9EjjbEEZZNS1_14partition_implILS5_9ELb0ES3_jN6thrust23THRUST_200600_302600_NS6detail15normal_iteratorINS9_10device_ptrIjEEEESE_PNS0_10empty_typeENS0_5tupleIJNS9_16discard_iteratorINS9_11use_defaultEEESF_EEENSH_IJSK_SG_EEENS0_18inequality_wrapperINS9_8equal_toIjEEEEPmJSF_EEE10hipError_tPvRmT3_T4_T5_T6_T7_T9_mT8_P12ihipStream_tbDpT10_ENKUlT_T0_E_clISt17integral_constantIbLb1EES1B_EEDaS16_S17_EUlS16_E_NS1_11comp_targetILNS1_3genE2ELNS1_11target_archE906ELNS1_3gpuE6ELNS1_3repE0EEENS1_30default_config_static_selectorELNS0_4arch9wavefront6targetE0EEEvT1_
                                        ; -- End function
	.section	.AMDGPU.csdata,"",@progbits
; Kernel info:
; codeLenInByte = 0
; NumSgprs: 0
; NumVgprs: 0
; ScratchSize: 0
; MemoryBound: 0
; FloatMode: 240
; IeeeMode: 1
; LDSByteSize: 0 bytes/workgroup (compile time only)
; SGPRBlocks: 0
; VGPRBlocks: 0
; NumSGPRsForWavesPerEU: 1
; NumVGPRsForWavesPerEU: 1
; Occupancy: 16
; WaveLimiterHint : 0
; COMPUTE_PGM_RSRC2:SCRATCH_EN: 0
; COMPUTE_PGM_RSRC2:USER_SGPR: 15
; COMPUTE_PGM_RSRC2:TRAP_HANDLER: 0
; COMPUTE_PGM_RSRC2:TGID_X_EN: 1
; COMPUTE_PGM_RSRC2:TGID_Y_EN: 0
; COMPUTE_PGM_RSRC2:TGID_Z_EN: 0
; COMPUTE_PGM_RSRC2:TIDIG_COMP_CNT: 0
	.section	.text._ZN7rocprim17ROCPRIM_400000_NS6detail17trampoline_kernelINS0_14default_configENS1_25partition_config_selectorILNS1_17partition_subalgoE9EjjbEEZZNS1_14partition_implILS5_9ELb0ES3_jN6thrust23THRUST_200600_302600_NS6detail15normal_iteratorINS9_10device_ptrIjEEEESE_PNS0_10empty_typeENS0_5tupleIJNS9_16discard_iteratorINS9_11use_defaultEEESF_EEENSH_IJSK_SG_EEENS0_18inequality_wrapperINS9_8equal_toIjEEEEPmJSF_EEE10hipError_tPvRmT3_T4_T5_T6_T7_T9_mT8_P12ihipStream_tbDpT10_ENKUlT_T0_E_clISt17integral_constantIbLb1EES1B_EEDaS16_S17_EUlS16_E_NS1_11comp_targetILNS1_3genE10ELNS1_11target_archE1200ELNS1_3gpuE4ELNS1_3repE0EEENS1_30default_config_static_selectorELNS0_4arch9wavefront6targetE0EEEvT1_,"axG",@progbits,_ZN7rocprim17ROCPRIM_400000_NS6detail17trampoline_kernelINS0_14default_configENS1_25partition_config_selectorILNS1_17partition_subalgoE9EjjbEEZZNS1_14partition_implILS5_9ELb0ES3_jN6thrust23THRUST_200600_302600_NS6detail15normal_iteratorINS9_10device_ptrIjEEEESE_PNS0_10empty_typeENS0_5tupleIJNS9_16discard_iteratorINS9_11use_defaultEEESF_EEENSH_IJSK_SG_EEENS0_18inequality_wrapperINS9_8equal_toIjEEEEPmJSF_EEE10hipError_tPvRmT3_T4_T5_T6_T7_T9_mT8_P12ihipStream_tbDpT10_ENKUlT_T0_E_clISt17integral_constantIbLb1EES1B_EEDaS16_S17_EUlS16_E_NS1_11comp_targetILNS1_3genE10ELNS1_11target_archE1200ELNS1_3gpuE4ELNS1_3repE0EEENS1_30default_config_static_selectorELNS0_4arch9wavefront6targetE0EEEvT1_,comdat
	.protected	_ZN7rocprim17ROCPRIM_400000_NS6detail17trampoline_kernelINS0_14default_configENS1_25partition_config_selectorILNS1_17partition_subalgoE9EjjbEEZZNS1_14partition_implILS5_9ELb0ES3_jN6thrust23THRUST_200600_302600_NS6detail15normal_iteratorINS9_10device_ptrIjEEEESE_PNS0_10empty_typeENS0_5tupleIJNS9_16discard_iteratorINS9_11use_defaultEEESF_EEENSH_IJSK_SG_EEENS0_18inequality_wrapperINS9_8equal_toIjEEEEPmJSF_EEE10hipError_tPvRmT3_T4_T5_T6_T7_T9_mT8_P12ihipStream_tbDpT10_ENKUlT_T0_E_clISt17integral_constantIbLb1EES1B_EEDaS16_S17_EUlS16_E_NS1_11comp_targetILNS1_3genE10ELNS1_11target_archE1200ELNS1_3gpuE4ELNS1_3repE0EEENS1_30default_config_static_selectorELNS0_4arch9wavefront6targetE0EEEvT1_ ; -- Begin function _ZN7rocprim17ROCPRIM_400000_NS6detail17trampoline_kernelINS0_14default_configENS1_25partition_config_selectorILNS1_17partition_subalgoE9EjjbEEZZNS1_14partition_implILS5_9ELb0ES3_jN6thrust23THRUST_200600_302600_NS6detail15normal_iteratorINS9_10device_ptrIjEEEESE_PNS0_10empty_typeENS0_5tupleIJNS9_16discard_iteratorINS9_11use_defaultEEESF_EEENSH_IJSK_SG_EEENS0_18inequality_wrapperINS9_8equal_toIjEEEEPmJSF_EEE10hipError_tPvRmT3_T4_T5_T6_T7_T9_mT8_P12ihipStream_tbDpT10_ENKUlT_T0_E_clISt17integral_constantIbLb1EES1B_EEDaS16_S17_EUlS16_E_NS1_11comp_targetILNS1_3genE10ELNS1_11target_archE1200ELNS1_3gpuE4ELNS1_3repE0EEENS1_30default_config_static_selectorELNS0_4arch9wavefront6targetE0EEEvT1_
	.globl	_ZN7rocprim17ROCPRIM_400000_NS6detail17trampoline_kernelINS0_14default_configENS1_25partition_config_selectorILNS1_17partition_subalgoE9EjjbEEZZNS1_14partition_implILS5_9ELb0ES3_jN6thrust23THRUST_200600_302600_NS6detail15normal_iteratorINS9_10device_ptrIjEEEESE_PNS0_10empty_typeENS0_5tupleIJNS9_16discard_iteratorINS9_11use_defaultEEESF_EEENSH_IJSK_SG_EEENS0_18inequality_wrapperINS9_8equal_toIjEEEEPmJSF_EEE10hipError_tPvRmT3_T4_T5_T6_T7_T9_mT8_P12ihipStream_tbDpT10_ENKUlT_T0_E_clISt17integral_constantIbLb1EES1B_EEDaS16_S17_EUlS16_E_NS1_11comp_targetILNS1_3genE10ELNS1_11target_archE1200ELNS1_3gpuE4ELNS1_3repE0EEENS1_30default_config_static_selectorELNS0_4arch9wavefront6targetE0EEEvT1_
	.p2align	8
	.type	_ZN7rocprim17ROCPRIM_400000_NS6detail17trampoline_kernelINS0_14default_configENS1_25partition_config_selectorILNS1_17partition_subalgoE9EjjbEEZZNS1_14partition_implILS5_9ELb0ES3_jN6thrust23THRUST_200600_302600_NS6detail15normal_iteratorINS9_10device_ptrIjEEEESE_PNS0_10empty_typeENS0_5tupleIJNS9_16discard_iteratorINS9_11use_defaultEEESF_EEENSH_IJSK_SG_EEENS0_18inequality_wrapperINS9_8equal_toIjEEEEPmJSF_EEE10hipError_tPvRmT3_T4_T5_T6_T7_T9_mT8_P12ihipStream_tbDpT10_ENKUlT_T0_E_clISt17integral_constantIbLb1EES1B_EEDaS16_S17_EUlS16_E_NS1_11comp_targetILNS1_3genE10ELNS1_11target_archE1200ELNS1_3gpuE4ELNS1_3repE0EEENS1_30default_config_static_selectorELNS0_4arch9wavefront6targetE0EEEvT1_,@function
_ZN7rocprim17ROCPRIM_400000_NS6detail17trampoline_kernelINS0_14default_configENS1_25partition_config_selectorILNS1_17partition_subalgoE9EjjbEEZZNS1_14partition_implILS5_9ELb0ES3_jN6thrust23THRUST_200600_302600_NS6detail15normal_iteratorINS9_10device_ptrIjEEEESE_PNS0_10empty_typeENS0_5tupleIJNS9_16discard_iteratorINS9_11use_defaultEEESF_EEENSH_IJSK_SG_EEENS0_18inequality_wrapperINS9_8equal_toIjEEEEPmJSF_EEE10hipError_tPvRmT3_T4_T5_T6_T7_T9_mT8_P12ihipStream_tbDpT10_ENKUlT_T0_E_clISt17integral_constantIbLb1EES1B_EEDaS16_S17_EUlS16_E_NS1_11comp_targetILNS1_3genE10ELNS1_11target_archE1200ELNS1_3gpuE4ELNS1_3repE0EEENS1_30default_config_static_selectorELNS0_4arch9wavefront6targetE0EEEvT1_: ; @_ZN7rocprim17ROCPRIM_400000_NS6detail17trampoline_kernelINS0_14default_configENS1_25partition_config_selectorILNS1_17partition_subalgoE9EjjbEEZZNS1_14partition_implILS5_9ELb0ES3_jN6thrust23THRUST_200600_302600_NS6detail15normal_iteratorINS9_10device_ptrIjEEEESE_PNS0_10empty_typeENS0_5tupleIJNS9_16discard_iteratorINS9_11use_defaultEEESF_EEENSH_IJSK_SG_EEENS0_18inequality_wrapperINS9_8equal_toIjEEEEPmJSF_EEE10hipError_tPvRmT3_T4_T5_T6_T7_T9_mT8_P12ihipStream_tbDpT10_ENKUlT_T0_E_clISt17integral_constantIbLb1EES1B_EEDaS16_S17_EUlS16_E_NS1_11comp_targetILNS1_3genE10ELNS1_11target_archE1200ELNS1_3gpuE4ELNS1_3repE0EEENS1_30default_config_static_selectorELNS0_4arch9wavefront6targetE0EEEvT1_
; %bb.0:
	.section	.rodata,"a",@progbits
	.p2align	6, 0x0
	.amdhsa_kernel _ZN7rocprim17ROCPRIM_400000_NS6detail17trampoline_kernelINS0_14default_configENS1_25partition_config_selectorILNS1_17partition_subalgoE9EjjbEEZZNS1_14partition_implILS5_9ELb0ES3_jN6thrust23THRUST_200600_302600_NS6detail15normal_iteratorINS9_10device_ptrIjEEEESE_PNS0_10empty_typeENS0_5tupleIJNS9_16discard_iteratorINS9_11use_defaultEEESF_EEENSH_IJSK_SG_EEENS0_18inequality_wrapperINS9_8equal_toIjEEEEPmJSF_EEE10hipError_tPvRmT3_T4_T5_T6_T7_T9_mT8_P12ihipStream_tbDpT10_ENKUlT_T0_E_clISt17integral_constantIbLb1EES1B_EEDaS16_S17_EUlS16_E_NS1_11comp_targetILNS1_3genE10ELNS1_11target_archE1200ELNS1_3gpuE4ELNS1_3repE0EEENS1_30default_config_static_selectorELNS0_4arch9wavefront6targetE0EEEvT1_
		.amdhsa_group_segment_fixed_size 0
		.amdhsa_private_segment_fixed_size 0
		.amdhsa_kernarg_size 144
		.amdhsa_user_sgpr_count 15
		.amdhsa_user_sgpr_dispatch_ptr 0
		.amdhsa_user_sgpr_queue_ptr 0
		.amdhsa_user_sgpr_kernarg_segment_ptr 1
		.amdhsa_user_sgpr_dispatch_id 0
		.amdhsa_user_sgpr_private_segment_size 0
		.amdhsa_wavefront_size32 1
		.amdhsa_uses_dynamic_stack 0
		.amdhsa_enable_private_segment 0
		.amdhsa_system_sgpr_workgroup_id_x 1
		.amdhsa_system_sgpr_workgroup_id_y 0
		.amdhsa_system_sgpr_workgroup_id_z 0
		.amdhsa_system_sgpr_workgroup_info 0
		.amdhsa_system_vgpr_workitem_id 0
		.amdhsa_next_free_vgpr 1
		.amdhsa_next_free_sgpr 1
		.amdhsa_reserve_vcc 0
		.amdhsa_float_round_mode_32 0
		.amdhsa_float_round_mode_16_64 0
		.amdhsa_float_denorm_mode_32 3
		.amdhsa_float_denorm_mode_16_64 3
		.amdhsa_dx10_clamp 1
		.amdhsa_ieee_mode 1
		.amdhsa_fp16_overflow 0
		.amdhsa_workgroup_processor_mode 1
		.amdhsa_memory_ordered 1
		.amdhsa_forward_progress 0
		.amdhsa_shared_vgpr_count 0
		.amdhsa_exception_fp_ieee_invalid_op 0
		.amdhsa_exception_fp_denorm_src 0
		.amdhsa_exception_fp_ieee_div_zero 0
		.amdhsa_exception_fp_ieee_overflow 0
		.amdhsa_exception_fp_ieee_underflow 0
		.amdhsa_exception_fp_ieee_inexact 0
		.amdhsa_exception_int_div_zero 0
	.end_amdhsa_kernel
	.section	.text._ZN7rocprim17ROCPRIM_400000_NS6detail17trampoline_kernelINS0_14default_configENS1_25partition_config_selectorILNS1_17partition_subalgoE9EjjbEEZZNS1_14partition_implILS5_9ELb0ES3_jN6thrust23THRUST_200600_302600_NS6detail15normal_iteratorINS9_10device_ptrIjEEEESE_PNS0_10empty_typeENS0_5tupleIJNS9_16discard_iteratorINS9_11use_defaultEEESF_EEENSH_IJSK_SG_EEENS0_18inequality_wrapperINS9_8equal_toIjEEEEPmJSF_EEE10hipError_tPvRmT3_T4_T5_T6_T7_T9_mT8_P12ihipStream_tbDpT10_ENKUlT_T0_E_clISt17integral_constantIbLb1EES1B_EEDaS16_S17_EUlS16_E_NS1_11comp_targetILNS1_3genE10ELNS1_11target_archE1200ELNS1_3gpuE4ELNS1_3repE0EEENS1_30default_config_static_selectorELNS0_4arch9wavefront6targetE0EEEvT1_,"axG",@progbits,_ZN7rocprim17ROCPRIM_400000_NS6detail17trampoline_kernelINS0_14default_configENS1_25partition_config_selectorILNS1_17partition_subalgoE9EjjbEEZZNS1_14partition_implILS5_9ELb0ES3_jN6thrust23THRUST_200600_302600_NS6detail15normal_iteratorINS9_10device_ptrIjEEEESE_PNS0_10empty_typeENS0_5tupleIJNS9_16discard_iteratorINS9_11use_defaultEEESF_EEENSH_IJSK_SG_EEENS0_18inequality_wrapperINS9_8equal_toIjEEEEPmJSF_EEE10hipError_tPvRmT3_T4_T5_T6_T7_T9_mT8_P12ihipStream_tbDpT10_ENKUlT_T0_E_clISt17integral_constantIbLb1EES1B_EEDaS16_S17_EUlS16_E_NS1_11comp_targetILNS1_3genE10ELNS1_11target_archE1200ELNS1_3gpuE4ELNS1_3repE0EEENS1_30default_config_static_selectorELNS0_4arch9wavefront6targetE0EEEvT1_,comdat
.Lfunc_end802:
	.size	_ZN7rocprim17ROCPRIM_400000_NS6detail17trampoline_kernelINS0_14default_configENS1_25partition_config_selectorILNS1_17partition_subalgoE9EjjbEEZZNS1_14partition_implILS5_9ELb0ES3_jN6thrust23THRUST_200600_302600_NS6detail15normal_iteratorINS9_10device_ptrIjEEEESE_PNS0_10empty_typeENS0_5tupleIJNS9_16discard_iteratorINS9_11use_defaultEEESF_EEENSH_IJSK_SG_EEENS0_18inequality_wrapperINS9_8equal_toIjEEEEPmJSF_EEE10hipError_tPvRmT3_T4_T5_T6_T7_T9_mT8_P12ihipStream_tbDpT10_ENKUlT_T0_E_clISt17integral_constantIbLb1EES1B_EEDaS16_S17_EUlS16_E_NS1_11comp_targetILNS1_3genE10ELNS1_11target_archE1200ELNS1_3gpuE4ELNS1_3repE0EEENS1_30default_config_static_selectorELNS0_4arch9wavefront6targetE0EEEvT1_, .Lfunc_end802-_ZN7rocprim17ROCPRIM_400000_NS6detail17trampoline_kernelINS0_14default_configENS1_25partition_config_selectorILNS1_17partition_subalgoE9EjjbEEZZNS1_14partition_implILS5_9ELb0ES3_jN6thrust23THRUST_200600_302600_NS6detail15normal_iteratorINS9_10device_ptrIjEEEESE_PNS0_10empty_typeENS0_5tupleIJNS9_16discard_iteratorINS9_11use_defaultEEESF_EEENSH_IJSK_SG_EEENS0_18inequality_wrapperINS9_8equal_toIjEEEEPmJSF_EEE10hipError_tPvRmT3_T4_T5_T6_T7_T9_mT8_P12ihipStream_tbDpT10_ENKUlT_T0_E_clISt17integral_constantIbLb1EES1B_EEDaS16_S17_EUlS16_E_NS1_11comp_targetILNS1_3genE10ELNS1_11target_archE1200ELNS1_3gpuE4ELNS1_3repE0EEENS1_30default_config_static_selectorELNS0_4arch9wavefront6targetE0EEEvT1_
                                        ; -- End function
	.section	.AMDGPU.csdata,"",@progbits
; Kernel info:
; codeLenInByte = 0
; NumSgprs: 0
; NumVgprs: 0
; ScratchSize: 0
; MemoryBound: 0
; FloatMode: 240
; IeeeMode: 1
; LDSByteSize: 0 bytes/workgroup (compile time only)
; SGPRBlocks: 0
; VGPRBlocks: 0
; NumSGPRsForWavesPerEU: 1
; NumVGPRsForWavesPerEU: 1
; Occupancy: 15
; WaveLimiterHint : 0
; COMPUTE_PGM_RSRC2:SCRATCH_EN: 0
; COMPUTE_PGM_RSRC2:USER_SGPR: 15
; COMPUTE_PGM_RSRC2:TRAP_HANDLER: 0
; COMPUTE_PGM_RSRC2:TGID_X_EN: 1
; COMPUTE_PGM_RSRC2:TGID_Y_EN: 0
; COMPUTE_PGM_RSRC2:TGID_Z_EN: 0
; COMPUTE_PGM_RSRC2:TIDIG_COMP_CNT: 0
	.section	.text._ZN7rocprim17ROCPRIM_400000_NS6detail17trampoline_kernelINS0_14default_configENS1_25partition_config_selectorILNS1_17partition_subalgoE9EjjbEEZZNS1_14partition_implILS5_9ELb0ES3_jN6thrust23THRUST_200600_302600_NS6detail15normal_iteratorINS9_10device_ptrIjEEEESE_PNS0_10empty_typeENS0_5tupleIJNS9_16discard_iteratorINS9_11use_defaultEEESF_EEENSH_IJSK_SG_EEENS0_18inequality_wrapperINS9_8equal_toIjEEEEPmJSF_EEE10hipError_tPvRmT3_T4_T5_T6_T7_T9_mT8_P12ihipStream_tbDpT10_ENKUlT_T0_E_clISt17integral_constantIbLb1EES1B_EEDaS16_S17_EUlS16_E_NS1_11comp_targetILNS1_3genE9ELNS1_11target_archE1100ELNS1_3gpuE3ELNS1_3repE0EEENS1_30default_config_static_selectorELNS0_4arch9wavefront6targetE0EEEvT1_,"axG",@progbits,_ZN7rocprim17ROCPRIM_400000_NS6detail17trampoline_kernelINS0_14default_configENS1_25partition_config_selectorILNS1_17partition_subalgoE9EjjbEEZZNS1_14partition_implILS5_9ELb0ES3_jN6thrust23THRUST_200600_302600_NS6detail15normal_iteratorINS9_10device_ptrIjEEEESE_PNS0_10empty_typeENS0_5tupleIJNS9_16discard_iteratorINS9_11use_defaultEEESF_EEENSH_IJSK_SG_EEENS0_18inequality_wrapperINS9_8equal_toIjEEEEPmJSF_EEE10hipError_tPvRmT3_T4_T5_T6_T7_T9_mT8_P12ihipStream_tbDpT10_ENKUlT_T0_E_clISt17integral_constantIbLb1EES1B_EEDaS16_S17_EUlS16_E_NS1_11comp_targetILNS1_3genE9ELNS1_11target_archE1100ELNS1_3gpuE3ELNS1_3repE0EEENS1_30default_config_static_selectorELNS0_4arch9wavefront6targetE0EEEvT1_,comdat
	.protected	_ZN7rocprim17ROCPRIM_400000_NS6detail17trampoline_kernelINS0_14default_configENS1_25partition_config_selectorILNS1_17partition_subalgoE9EjjbEEZZNS1_14partition_implILS5_9ELb0ES3_jN6thrust23THRUST_200600_302600_NS6detail15normal_iteratorINS9_10device_ptrIjEEEESE_PNS0_10empty_typeENS0_5tupleIJNS9_16discard_iteratorINS9_11use_defaultEEESF_EEENSH_IJSK_SG_EEENS0_18inequality_wrapperINS9_8equal_toIjEEEEPmJSF_EEE10hipError_tPvRmT3_T4_T5_T6_T7_T9_mT8_P12ihipStream_tbDpT10_ENKUlT_T0_E_clISt17integral_constantIbLb1EES1B_EEDaS16_S17_EUlS16_E_NS1_11comp_targetILNS1_3genE9ELNS1_11target_archE1100ELNS1_3gpuE3ELNS1_3repE0EEENS1_30default_config_static_selectorELNS0_4arch9wavefront6targetE0EEEvT1_ ; -- Begin function _ZN7rocprim17ROCPRIM_400000_NS6detail17trampoline_kernelINS0_14default_configENS1_25partition_config_selectorILNS1_17partition_subalgoE9EjjbEEZZNS1_14partition_implILS5_9ELb0ES3_jN6thrust23THRUST_200600_302600_NS6detail15normal_iteratorINS9_10device_ptrIjEEEESE_PNS0_10empty_typeENS0_5tupleIJNS9_16discard_iteratorINS9_11use_defaultEEESF_EEENSH_IJSK_SG_EEENS0_18inequality_wrapperINS9_8equal_toIjEEEEPmJSF_EEE10hipError_tPvRmT3_T4_T5_T6_T7_T9_mT8_P12ihipStream_tbDpT10_ENKUlT_T0_E_clISt17integral_constantIbLb1EES1B_EEDaS16_S17_EUlS16_E_NS1_11comp_targetILNS1_3genE9ELNS1_11target_archE1100ELNS1_3gpuE3ELNS1_3repE0EEENS1_30default_config_static_selectorELNS0_4arch9wavefront6targetE0EEEvT1_
	.globl	_ZN7rocprim17ROCPRIM_400000_NS6detail17trampoline_kernelINS0_14default_configENS1_25partition_config_selectorILNS1_17partition_subalgoE9EjjbEEZZNS1_14partition_implILS5_9ELb0ES3_jN6thrust23THRUST_200600_302600_NS6detail15normal_iteratorINS9_10device_ptrIjEEEESE_PNS0_10empty_typeENS0_5tupleIJNS9_16discard_iteratorINS9_11use_defaultEEESF_EEENSH_IJSK_SG_EEENS0_18inequality_wrapperINS9_8equal_toIjEEEEPmJSF_EEE10hipError_tPvRmT3_T4_T5_T6_T7_T9_mT8_P12ihipStream_tbDpT10_ENKUlT_T0_E_clISt17integral_constantIbLb1EES1B_EEDaS16_S17_EUlS16_E_NS1_11comp_targetILNS1_3genE9ELNS1_11target_archE1100ELNS1_3gpuE3ELNS1_3repE0EEENS1_30default_config_static_selectorELNS0_4arch9wavefront6targetE0EEEvT1_
	.p2align	8
	.type	_ZN7rocprim17ROCPRIM_400000_NS6detail17trampoline_kernelINS0_14default_configENS1_25partition_config_selectorILNS1_17partition_subalgoE9EjjbEEZZNS1_14partition_implILS5_9ELb0ES3_jN6thrust23THRUST_200600_302600_NS6detail15normal_iteratorINS9_10device_ptrIjEEEESE_PNS0_10empty_typeENS0_5tupleIJNS9_16discard_iteratorINS9_11use_defaultEEESF_EEENSH_IJSK_SG_EEENS0_18inequality_wrapperINS9_8equal_toIjEEEEPmJSF_EEE10hipError_tPvRmT3_T4_T5_T6_T7_T9_mT8_P12ihipStream_tbDpT10_ENKUlT_T0_E_clISt17integral_constantIbLb1EES1B_EEDaS16_S17_EUlS16_E_NS1_11comp_targetILNS1_3genE9ELNS1_11target_archE1100ELNS1_3gpuE3ELNS1_3repE0EEENS1_30default_config_static_selectorELNS0_4arch9wavefront6targetE0EEEvT1_,@function
_ZN7rocprim17ROCPRIM_400000_NS6detail17trampoline_kernelINS0_14default_configENS1_25partition_config_selectorILNS1_17partition_subalgoE9EjjbEEZZNS1_14partition_implILS5_9ELb0ES3_jN6thrust23THRUST_200600_302600_NS6detail15normal_iteratorINS9_10device_ptrIjEEEESE_PNS0_10empty_typeENS0_5tupleIJNS9_16discard_iteratorINS9_11use_defaultEEESF_EEENSH_IJSK_SG_EEENS0_18inequality_wrapperINS9_8equal_toIjEEEEPmJSF_EEE10hipError_tPvRmT3_T4_T5_T6_T7_T9_mT8_P12ihipStream_tbDpT10_ENKUlT_T0_E_clISt17integral_constantIbLb1EES1B_EEDaS16_S17_EUlS16_E_NS1_11comp_targetILNS1_3genE9ELNS1_11target_archE1100ELNS1_3gpuE3ELNS1_3repE0EEENS1_30default_config_static_selectorELNS0_4arch9wavefront6targetE0EEEvT1_: ; @_ZN7rocprim17ROCPRIM_400000_NS6detail17trampoline_kernelINS0_14default_configENS1_25partition_config_selectorILNS1_17partition_subalgoE9EjjbEEZZNS1_14partition_implILS5_9ELb0ES3_jN6thrust23THRUST_200600_302600_NS6detail15normal_iteratorINS9_10device_ptrIjEEEESE_PNS0_10empty_typeENS0_5tupleIJNS9_16discard_iteratorINS9_11use_defaultEEESF_EEENSH_IJSK_SG_EEENS0_18inequality_wrapperINS9_8equal_toIjEEEEPmJSF_EEE10hipError_tPvRmT3_T4_T5_T6_T7_T9_mT8_P12ihipStream_tbDpT10_ENKUlT_T0_E_clISt17integral_constantIbLb1EES1B_EEDaS16_S17_EUlS16_E_NS1_11comp_targetILNS1_3genE9ELNS1_11target_archE1100ELNS1_3gpuE3ELNS1_3repE0EEENS1_30default_config_static_selectorELNS0_4arch9wavefront6targetE0EEEvT1_
; %bb.0:
	s_clause 0x4
	s_load_b128 s[4:7], s[0:1], 0x8
	s_load_b64 s[8:9], s[0:1], 0x18
	s_load_b64 s[16:17], s[0:1], 0x60
	s_load_b128 s[12:15], s[0:1], 0x50
	s_load_b64 s[10:11], s[0:1], 0x70
	v_cmp_ne_u32_e64 s3, 0, v0
	v_cmp_eq_u32_e64 s2, 0, v0
	s_delay_alu instid0(VALU_DEP_1)
	s_and_saveexec_b32 s18, s2
	s_cbranch_execz .LBB803_4
; %bb.1:
	s_mov_b32 s20, exec_lo
	s_mov_b32 s19, exec_lo
	v_mbcnt_lo_u32_b32 v1, s20, 0
                                        ; implicit-def: $vgpr2
	s_delay_alu instid0(VALU_DEP_1)
	v_cmpx_eq_u32_e32 0, v1
	s_cbranch_execz .LBB803_3
; %bb.2:
	s_load_b64 s[22:23], s[0:1], 0x80
	s_bcnt1_i32_b32 s20, s20
	s_delay_alu instid0(SALU_CYCLE_1)
	v_dual_mov_b32 v2, 0 :: v_dual_mov_b32 v3, s20
	s_waitcnt lgkmcnt(0)
	global_atomic_add_u32 v2, v2, v3, s[22:23] glc
.LBB803_3:
	s_or_b32 exec_lo, exec_lo, s19
	s_waitcnt vmcnt(0)
	v_readfirstlane_b32 s19, v2
	s_delay_alu instid0(VALU_DEP_1)
	v_dual_mov_b32 v2, 0 :: v_dual_add_nc_u32 v1, s19, v1
	ds_store_b32 v2, v1
.LBB803_4:
	s_or_b32 exec_lo, exec_lo, s18
	v_dual_mov_b32 v1, 0 :: v_dual_add_nc_u32 v18, 0x180, v0
	s_waitcnt lgkmcnt(0)
	s_barrier
	buffer_gl0_inv
	ds_load_b32 v2, v1
	s_waitcnt lgkmcnt(0)
	s_barrier
	buffer_gl0_inv
	global_load_b64 v[9:10], v1, s[14:15]
	s_load_b32 s0, s[0:1], 0x78
	s_lshl_b64 s[14:15], s[6:7], 2
	v_lshrrev_b32_e32 v16, 3, v0
	s_add_u32 s21, s4, s14
	s_addc_u32 s22, s5, s15
	v_add_nc_u32_e32 v17, 0x300, v0
	v_add_nc_u32_e32 v15, 0x480, v0
	v_or_b32_e32 v14, 0x600, v0
	v_add_nc_u32_e32 v13, 0x780, v0
	v_add_nc_u32_e32 v12, 0x900, v0
	;; [unrolled: 1-line block ×3, first 2 shown]
	v_readfirstlane_b32 s18, v2
	s_waitcnt lgkmcnt(0)
	s_mul_i32 s1, s0, 0xc00
	s_delay_alu instid0(SALU_CYCLE_1) | instskip(NEXT) | instid1(SALU_CYCLE_1)
	s_add_i32 s4, s1, s6
	s_sub_i32 s19, s16, s4
	s_add_i32 s4, s0, -1
	s_addk_i32 s19, 0xc00
	s_add_u32 s0, s6, s1
	s_addc_u32 s1, s7, 0
	s_cmp_eq_u32 s18, s4
	v_cmp_ge_u64_e64 s5, s[0:1], s[16:17]
	s_cselect_b32 s16, -1, 0
	s_mul_i32 s0, s18, 0xc00
	s_mov_b32 s1, 0
	s_delay_alu instid0(VALU_DEP_1)
	s_and_b32 s17, s5, s16
	s_lshl_b64 s[4:5], s[0:1], 2
	s_xor_b32 s20, s17, -1
	s_add_u32 s21, s21, s4
	s_addc_u32 s1, s22, s5
	s_and_b32 vcc_lo, exec_lo, s20
	s_mov_b32 s22, -1
	s_cbranch_vccz .LBB803_6
; %bb.5:
	v_lshlrev_b32_e32 v7, 2, v0
	v_lshrrev_b32_e32 v21, 3, v18
	v_lshrrev_b32_e32 v22, 3, v17
	;; [unrolled: 1-line block ×4, first 2 shown]
	v_add_co_u32 v1, s0, s21, v7
	s_delay_alu instid0(VALU_DEP_1) | instskip(SKIP_1) | instid1(VALU_DEP_3)
	v_add_co_ci_u32_e64 v2, null, s1, 0, s0
	v_lshrrev_b32_e32 v25, 3, v13
	v_add_co_u32 v3, vcc_lo, 0x1000, v1
	s_delay_alu instid0(VALU_DEP_3)
	v_add_co_ci_u32_e32 v4, vcc_lo, 0, v2, vcc_lo
	v_add_co_u32 v5, vcc_lo, 0x2000, v1
	v_add_co_ci_u32_e32 v6, vcc_lo, 0, v2, vcc_lo
	s_clause 0x7
	flat_load_b32 v8, v[1:2]
	flat_load_b32 v19, v[1:2] offset:1536
	flat_load_b32 v1, v[1:2] offset:3072
	;; [unrolled: 1-line block ×7, first 2 shown]
	v_and_b32_e32 v6, 60, v16
	v_lshrrev_b32_e32 v26, 3, v12
	v_lshrrev_b32_e32 v27, 3, v11
	v_and_b32_e32 v21, 0x7c, v21
	v_and_b32_e32 v22, 0xfc, v22
	;; [unrolled: 1-line block ×4, first 2 shown]
	v_add_nc_u32_e32 v6, v6, v7
	v_and_b32_e32 v25, 0x1fc, v25
	v_and_b32_e32 v26, 0x17c, v26
	;; [unrolled: 1-line block ×3, first 2 shown]
	v_add_nc_u32_e32 v21, v21, v7
	v_add_nc_u32_e32 v22, v22, v7
	;; [unrolled: 1-line block ×4, first 2 shown]
	s_mov_b32 s22, 0
	v_add_nc_u32_e32 v25, v25, v7
	v_add_nc_u32_e32 v26, v26, v7
	;; [unrolled: 1-line block ×3, first 2 shown]
	s_waitcnt vmcnt(7) lgkmcnt(7)
	ds_store_b32 v6, v8
	s_waitcnt vmcnt(6) lgkmcnt(7)
	ds_store_b32 v21, v19 offset:1536
	s_waitcnt vmcnt(5) lgkmcnt(7)
	ds_store_b32 v22, v1 offset:3072
	s_waitcnt vmcnt(4) lgkmcnt(7)
	ds_store_b32 v23, v2 offset:4608
	s_waitcnt vmcnt(3) lgkmcnt(7)
	ds_store_b32 v24, v20 offset:6144
	s_waitcnt vmcnt(2) lgkmcnt(7)
	ds_store_b32 v25, v3 offset:7680
	s_waitcnt vmcnt(1) lgkmcnt(7)
	ds_store_b32 v26, v4 offset:9216
	s_waitcnt vmcnt(0) lgkmcnt(7)
	ds_store_b32 v7, v5 offset:10752
	s_waitcnt lgkmcnt(0)
	s_barrier
.LBB803_6:
	v_cmp_gt_u32_e64 s0, s19, v0
	s_and_not1_b32 vcc_lo, exec_lo, s22
	s_cbranch_vccnz .LBB803_24
; %bb.7:
                                        ; implicit-def: $vgpr1_vgpr2_vgpr3_vgpr4_vgpr5_vgpr6_vgpr7_vgpr8
	s_delay_alu instid0(VALU_DEP_1)
	s_and_saveexec_b32 s22, s0
	s_cbranch_execz .LBB803_15
; %bb.8:
	v_lshlrev_b32_e32 v1, 2, v0
	s_delay_alu instid0(VALU_DEP_1) | instskip(NEXT) | instid1(VALU_DEP_1)
	v_add_co_u32 v1, s0, s21, v1
	v_add_co_ci_u32_e64 v2, null, s1, 0, s0
	flat_load_b32 v1, v[1:2]
	s_or_b32 exec_lo, exec_lo, s22
	s_delay_alu instid0(SALU_CYCLE_1)
	s_mov_b32 s0, exec_lo
	v_cmpx_gt_u32_e64 s19, v18
	s_cbranch_execnz .LBB803_16
.LBB803_9:
	s_or_b32 exec_lo, exec_lo, s0
	s_delay_alu instid0(SALU_CYCLE_1)
	s_mov_b32 s0, exec_lo
	v_cmpx_gt_u32_e64 s19, v17
	s_cbranch_execz .LBB803_17
.LBB803_10:
	v_lshlrev_b32_e32 v3, 2, v0
	s_delay_alu instid0(VALU_DEP_1) | instskip(NEXT) | instid1(VALU_DEP_1)
	v_add_co_u32 v19, s22, s21, v3
	v_add_co_ci_u32_e64 v20, null, s1, 0, s22
	flat_load_b32 v3, v[19:20] offset:3072
	s_or_b32 exec_lo, exec_lo, s0
	s_delay_alu instid0(SALU_CYCLE_1)
	s_mov_b32 s0, exec_lo
	v_cmpx_gt_u32_e64 s19, v15
	s_cbranch_execnz .LBB803_18
.LBB803_11:
	s_or_b32 exec_lo, exec_lo, s0
	s_delay_alu instid0(SALU_CYCLE_1)
	s_mov_b32 s0, exec_lo
	v_cmpx_gt_u32_e64 s19, v14
	s_cbranch_execz .LBB803_19
.LBB803_12:
	v_lshlrev_b32_e32 v5, 2, v14
	s_delay_alu instid0(VALU_DEP_1) | instskip(NEXT) | instid1(VALU_DEP_1)
	v_add_co_u32 v19, s22, s21, v5
	v_add_co_ci_u32_e64 v20, null, s1, 0, s22
	flat_load_b32 v5, v[19:20]
	s_or_b32 exec_lo, exec_lo, s0
	s_delay_alu instid0(SALU_CYCLE_1)
	s_mov_b32 s0, exec_lo
	v_cmpx_gt_u32_e64 s19, v13
	s_cbranch_execnz .LBB803_20
.LBB803_13:
	s_or_b32 exec_lo, exec_lo, s0
	s_delay_alu instid0(SALU_CYCLE_1)
	s_mov_b32 s0, exec_lo
	v_cmpx_gt_u32_e64 s19, v12
	s_cbranch_execz .LBB803_21
.LBB803_14:
	v_lshlrev_b32_e32 v7, 2, v12
	s_delay_alu instid0(VALU_DEP_1) | instskip(NEXT) | instid1(VALU_DEP_1)
	v_add_co_u32 v19, s22, s21, v7
	v_add_co_ci_u32_e64 v20, null, s1, 0, s22
	flat_load_b32 v7, v[19:20]
	s_or_b32 exec_lo, exec_lo, s0
	s_delay_alu instid0(SALU_CYCLE_1)
	s_mov_b32 s0, exec_lo
	v_cmpx_gt_u32_e64 s19, v11
	s_cbranch_execnz .LBB803_22
	s_branch .LBB803_23
.LBB803_15:
	s_or_b32 exec_lo, exec_lo, s22
	s_delay_alu instid0(SALU_CYCLE_1)
	s_mov_b32 s0, exec_lo
	v_cmpx_gt_u32_e64 s19, v18
	s_cbranch_execz .LBB803_9
.LBB803_16:
	v_lshlrev_b32_e32 v2, 2, v0
	s_delay_alu instid0(VALU_DEP_1) | instskip(NEXT) | instid1(VALU_DEP_1)
	v_add_co_u32 v19, s22, s21, v2
	v_add_co_ci_u32_e64 v20, null, s1, 0, s22
	flat_load_b32 v2, v[19:20] offset:1536
	s_or_b32 exec_lo, exec_lo, s0
	s_delay_alu instid0(SALU_CYCLE_1)
	s_mov_b32 s0, exec_lo
	v_cmpx_gt_u32_e64 s19, v17
	s_cbranch_execnz .LBB803_10
.LBB803_17:
	s_or_b32 exec_lo, exec_lo, s0
	s_delay_alu instid0(SALU_CYCLE_1)
	s_mov_b32 s0, exec_lo
	v_cmpx_gt_u32_e64 s19, v15
	s_cbranch_execz .LBB803_11
.LBB803_18:
	v_lshlrev_b32_e32 v4, 2, v15
	s_delay_alu instid0(VALU_DEP_1) | instskip(NEXT) | instid1(VALU_DEP_1)
	v_add_co_u32 v19, s22, s21, v4
	v_add_co_ci_u32_e64 v20, null, s1, 0, s22
	flat_load_b32 v4, v[19:20]
	s_or_b32 exec_lo, exec_lo, s0
	s_delay_alu instid0(SALU_CYCLE_1)
	s_mov_b32 s0, exec_lo
	v_cmpx_gt_u32_e64 s19, v14
	s_cbranch_execnz .LBB803_12
.LBB803_19:
	s_or_b32 exec_lo, exec_lo, s0
	s_delay_alu instid0(SALU_CYCLE_1)
	s_mov_b32 s0, exec_lo
	v_cmpx_gt_u32_e64 s19, v13
	s_cbranch_execz .LBB803_13
.LBB803_20:
	v_lshlrev_b32_e32 v6, 2, v13
	s_delay_alu instid0(VALU_DEP_1) | instskip(NEXT) | instid1(VALU_DEP_1)
	v_add_co_u32 v19, s22, s21, v6
	v_add_co_ci_u32_e64 v20, null, s1, 0, s22
	flat_load_b32 v6, v[19:20]
	s_or_b32 exec_lo, exec_lo, s0
	s_delay_alu instid0(SALU_CYCLE_1)
	s_mov_b32 s0, exec_lo
	v_cmpx_gt_u32_e64 s19, v12
	s_cbranch_execnz .LBB803_14
.LBB803_21:
	s_or_b32 exec_lo, exec_lo, s0
	s_delay_alu instid0(SALU_CYCLE_1)
	s_mov_b32 s0, exec_lo
	v_cmpx_gt_u32_e64 s19, v11
	s_cbranch_execz .LBB803_23
.LBB803_22:
	v_lshlrev_b32_e32 v8, 2, v11
	s_delay_alu instid0(VALU_DEP_1) | instskip(NEXT) | instid1(VALU_DEP_1)
	v_add_co_u32 v19, s22, s21, v8
	v_add_co_ci_u32_e64 v20, null, s1, 0, s22
	flat_load_b32 v8, v[19:20]
.LBB803_23:
	s_or_b32 exec_lo, exec_lo, s0
	v_lshrrev_b32_e32 v19, 3, v18
	v_lshrrev_b32_e32 v20, 3, v17
	;; [unrolled: 1-line block ×4, first 2 shown]
	v_and_b32_e32 v21, 60, v16
	v_lshlrev_b32_e32 v22, 2, v0
	v_lshrrev_b32_e32 v25, 3, v13
	v_lshrrev_b32_e32 v26, 3, v12
	v_lshrrev_b32_e32 v27, 3, v11
	v_and_b32_e32 v19, 0x7c, v19
	v_and_b32_e32 v20, 0xfc, v20
	;; [unrolled: 1-line block ×4, first 2 shown]
	v_add_nc_u32_e32 v21, v21, v22
	v_and_b32_e32 v25, 0x1fc, v25
	v_and_b32_e32 v26, 0x1fc, v26
	;; [unrolled: 1-line block ×3, first 2 shown]
	v_add_nc_u32_e32 v19, v19, v22
	v_add_nc_u32_e32 v20, v20, v22
	;; [unrolled: 1-line block ×7, first 2 shown]
	s_waitcnt vmcnt(0) lgkmcnt(0)
	ds_store_b32 v21, v1
	ds_store_b32 v19, v2 offset:1536
	ds_store_b32 v20, v3 offset:3072
	;; [unrolled: 1-line block ×7, first 2 shown]
	s_waitcnt lgkmcnt(0)
	s_barrier
.LBB803_24:
	v_lshlrev_b32_e32 v21, 3, v0
	v_lshrrev_b32_e32 v1, 2, v0
	s_waitcnt vmcnt(0)
	buffer_gl0_inv
	s_add_u32 s0, s8, s14
	s_addc_u32 s8, s9, s15
	s_add_u32 s0, s0, s4
	v_add_lshl_u32 v19, v1, v21, 2
	s_addc_u32 s4, s8, s5
	s_and_b32 vcc_lo, exec_lo, s20
	s_mov_b32 s5, -1
	ds_load_2addr_b32 v[7:8], v19 offset1:1
	ds_load_2addr_b32 v[5:6], v19 offset0:2 offset1:3
	ds_load_2addr_b32 v[3:4], v19 offset0:4 offset1:5
	;; [unrolled: 1-line block ×3, first 2 shown]
	s_waitcnt lgkmcnt(0)
	s_barrier
	buffer_gl0_inv
	s_cbranch_vccz .LBB803_26
; %bb.25:
	v_lshlrev_b32_e32 v20, 2, v0
	v_lshrrev_b32_e32 v31, 3, v18
	v_lshrrev_b32_e32 v32, 3, v17
	;; [unrolled: 1-line block ×4, first 2 shown]
	v_add_co_u32 v22, s5, s0, v20
	s_delay_alu instid0(VALU_DEP_1) | instskip(SKIP_1) | instid1(VALU_DEP_3)
	v_add_co_ci_u32_e64 v23, null, s4, 0, s5
	v_lshrrev_b32_e32 v35, 3, v13
	v_add_co_u32 v24, vcc_lo, 0x1000, v22
	s_delay_alu instid0(VALU_DEP_3)
	v_add_co_ci_u32_e32 v25, vcc_lo, 0, v23, vcc_lo
	v_add_co_u32 v26, vcc_lo, 0x2000, v22
	v_add_co_ci_u32_e32 v27, vcc_lo, 0, v23, vcc_lo
	s_clause 0x7
	flat_load_b32 v28, v[22:23]
	flat_load_b32 v29, v[22:23] offset:1536
	flat_load_b32 v22, v[22:23] offset:3072
	;; [unrolled: 1-line block ×7, first 2 shown]
	v_and_b32_e32 v27, 60, v16
	v_lshrrev_b32_e32 v36, 3, v12
	v_lshrrev_b32_e32 v37, 3, v11
	v_and_b32_e32 v31, 0x7c, v31
	v_and_b32_e32 v32, 0xfc, v32
	v_and_b32_e32 v33, 0xfc, v33
	v_and_b32_e32 v34, 0xfc, v34
	v_add_nc_u32_e32 v27, v27, v20
	v_and_b32_e32 v35, 0x1fc, v35
	v_and_b32_e32 v36, 0x17c, v36
	;; [unrolled: 1-line block ×3, first 2 shown]
	v_add_nc_u32_e32 v31, v31, v20
	v_add_nc_u32_e32 v32, v32, v20
	;; [unrolled: 1-line block ×4, first 2 shown]
	s_mov_b32 s5, 0
	v_add_nc_u32_e32 v35, v35, v20
	v_add_nc_u32_e32 v36, v36, v20
	;; [unrolled: 1-line block ×3, first 2 shown]
	s_waitcnt vmcnt(7) lgkmcnt(7)
	ds_store_b32 v27, v28
	s_waitcnt vmcnt(6) lgkmcnt(7)
	ds_store_b32 v31, v29 offset:1536
	s_waitcnt vmcnt(5) lgkmcnt(7)
	ds_store_b32 v32, v22 offset:3072
	s_waitcnt vmcnt(4) lgkmcnt(7)
	ds_store_b32 v33, v23 offset:4608
	s_waitcnt vmcnt(3) lgkmcnt(7)
	ds_store_b32 v34, v30 offset:6144
	s_waitcnt vmcnt(2) lgkmcnt(7)
	ds_store_b32 v35, v24 offset:7680
	s_waitcnt vmcnt(1) lgkmcnt(7)
	ds_store_b32 v36, v25 offset:9216
	s_waitcnt vmcnt(0) lgkmcnt(7)
	ds_store_b32 v20, v26 offset:10752
	s_waitcnt lgkmcnt(0)
	s_barrier
.LBB803_26:
	s_and_not1_b32 vcc_lo, exec_lo, s5
	s_cbranch_vccnz .LBB803_44
; %bb.27:
	s_mov_b32 s5, exec_lo
                                        ; implicit-def: $vgpr20
	v_cmpx_gt_u32_e64 s19, v0
	s_cbranch_execz .LBB803_29
; %bb.28:
	v_lshlrev_b32_e32 v20, 2, v0
	s_delay_alu instid0(VALU_DEP_1) | instskip(NEXT) | instid1(VALU_DEP_1)
	v_add_co_u32 v22, s8, s0, v20
	v_add_co_ci_u32_e64 v23, null, s4, 0, s8
	flat_load_b32 v20, v[22:23]
.LBB803_29:
	s_or_b32 exec_lo, exec_lo, s5
	s_delay_alu instid0(SALU_CYCLE_1)
	s_mov_b32 s5, exec_lo
                                        ; implicit-def: $vgpr22
	v_cmpx_gt_u32_e64 s19, v18
	s_cbranch_execz .LBB803_31
; %bb.30:
	v_lshlrev_b32_e32 v22, 2, v0
	s_delay_alu instid0(VALU_DEP_1) | instskip(NEXT) | instid1(VALU_DEP_1)
	v_add_co_u32 v22, s8, s0, v22
	v_add_co_ci_u32_e64 v23, null, s4, 0, s8
	flat_load_b32 v22, v[22:23] offset:1536
.LBB803_31:
	s_or_b32 exec_lo, exec_lo, s5
	s_delay_alu instid0(SALU_CYCLE_1)
	s_mov_b32 s5, exec_lo
                                        ; implicit-def: $vgpr23
	v_cmpx_gt_u32_e64 s19, v17
	s_cbranch_execz .LBB803_33
; %bb.32:
	v_lshlrev_b32_e32 v23, 2, v0
	s_delay_alu instid0(VALU_DEP_1) | instskip(NEXT) | instid1(VALU_DEP_1)
	v_add_co_u32 v23, s8, s0, v23
	v_add_co_ci_u32_e64 v24, null, s4, 0, s8
	flat_load_b32 v23, v[23:24] offset:3072
.LBB803_33:
	s_or_b32 exec_lo, exec_lo, s5
	s_delay_alu instid0(SALU_CYCLE_1)
	s_mov_b32 s5, exec_lo
                                        ; implicit-def: $vgpr24
	v_cmpx_gt_u32_e64 s19, v15
	s_cbranch_execz .LBB803_35
; %bb.34:
	v_lshlrev_b32_e32 v24, 2, v15
	s_delay_alu instid0(VALU_DEP_1) | instskip(NEXT) | instid1(VALU_DEP_1)
	v_add_co_u32 v24, s8, s0, v24
	v_add_co_ci_u32_e64 v25, null, s4, 0, s8
	flat_load_b32 v24, v[24:25]
.LBB803_35:
	s_or_b32 exec_lo, exec_lo, s5
	s_delay_alu instid0(SALU_CYCLE_1)
	s_mov_b32 s5, exec_lo
                                        ; implicit-def: $vgpr25
	v_cmpx_gt_u32_e64 s19, v14
	s_cbranch_execz .LBB803_37
; %bb.36:
	v_lshlrev_b32_e32 v25, 2, v14
	s_delay_alu instid0(VALU_DEP_1) | instskip(NEXT) | instid1(VALU_DEP_1)
	v_add_co_u32 v25, s8, s0, v25
	v_add_co_ci_u32_e64 v26, null, s4, 0, s8
	flat_load_b32 v25, v[25:26]
.LBB803_37:
	s_or_b32 exec_lo, exec_lo, s5
	s_delay_alu instid0(SALU_CYCLE_1)
	s_mov_b32 s5, exec_lo
                                        ; implicit-def: $vgpr26
	v_cmpx_gt_u32_e64 s19, v13
	s_cbranch_execz .LBB803_39
; %bb.38:
	v_lshlrev_b32_e32 v26, 2, v13
	s_delay_alu instid0(VALU_DEP_1) | instskip(NEXT) | instid1(VALU_DEP_1)
	v_add_co_u32 v26, s8, s0, v26
	v_add_co_ci_u32_e64 v27, null, s4, 0, s8
	flat_load_b32 v26, v[26:27]
.LBB803_39:
	s_or_b32 exec_lo, exec_lo, s5
	s_delay_alu instid0(SALU_CYCLE_1)
	s_mov_b32 s5, exec_lo
                                        ; implicit-def: $vgpr27
	v_cmpx_gt_u32_e64 s19, v12
	s_cbranch_execz .LBB803_41
; %bb.40:
	v_lshlrev_b32_e32 v27, 2, v12
	s_delay_alu instid0(VALU_DEP_1) | instskip(NEXT) | instid1(VALU_DEP_1)
	v_add_co_u32 v27, s8, s0, v27
	v_add_co_ci_u32_e64 v28, null, s4, 0, s8
	flat_load_b32 v27, v[27:28]
.LBB803_41:
	s_or_b32 exec_lo, exec_lo, s5
	s_delay_alu instid0(SALU_CYCLE_1)
	s_mov_b32 s5, exec_lo
                                        ; implicit-def: $vgpr28
	v_cmpx_gt_u32_e64 s19, v11
	s_cbranch_execz .LBB803_43
; %bb.42:
	v_lshlrev_b32_e32 v28, 2, v11
	s_delay_alu instid0(VALU_DEP_1) | instskip(NEXT) | instid1(VALU_DEP_1)
	v_add_co_u32 v28, s0, s0, v28
	v_add_co_ci_u32_e64 v29, null, s4, 0, s0
	flat_load_b32 v28, v[28:29]
.LBB803_43:
	s_or_b32 exec_lo, exec_lo, s5
	v_lshrrev_b32_e32 v18, 3, v18
	v_lshrrev_b32_e32 v17, 3, v17
	;; [unrolled: 1-line block ×4, first 2 shown]
	v_and_b32_e32 v16, 60, v16
	v_lshlrev_b32_e32 v29, 2, v0
	v_lshrrev_b32_e32 v13, 3, v13
	v_lshrrev_b32_e32 v12, 3, v12
	;; [unrolled: 1-line block ×3, first 2 shown]
	v_and_b32_e32 v18, 0x7c, v18
	v_and_b32_e32 v17, 0xfc, v17
	v_and_b32_e32 v15, 0xfc, v15
	v_and_b32_e32 v14, 0xfc, v14
	v_add_nc_u32_e32 v16, v16, v29
	v_and_b32_e32 v13, 0x1fc, v13
	v_and_b32_e32 v12, 0x1fc, v12
	;; [unrolled: 1-line block ×3, first 2 shown]
	v_add_nc_u32_e32 v18, v18, v29
	v_add_nc_u32_e32 v17, v17, v29
	;; [unrolled: 1-line block ×7, first 2 shown]
	s_waitcnt vmcnt(0) lgkmcnt(0)
	ds_store_b32 v16, v20
	ds_store_b32 v18, v22 offset:1536
	ds_store_b32 v17, v23 offset:3072
	;; [unrolled: 1-line block ×7, first 2 shown]
	s_waitcnt lgkmcnt(0)
	s_barrier
.LBB803_44:
	buffer_gl0_inv
	ds_load_2addr_b32 v[17:18], v19 offset1:1
	ds_load_2addr_b32 v[15:16], v19 offset0:2 offset1:3
	ds_load_2addr_b32 v[13:14], v19 offset0:4 offset1:5
	;; [unrolled: 1-line block ×3, first 2 shown]
	s_cmp_lg_u32 s18, 0
	s_mov_b32 s14, 0
	s_cselect_b32 s9, -1, 0
	s_cmp_lg_u64 s[6:7], 0
	s_waitcnt lgkmcnt(0)
	s_cselect_b32 s0, -1, 0
	s_barrier
	s_or_b32 s0, s0, s9
	buffer_gl0_inv
	s_and_b32 vcc_lo, exec_lo, s0
	s_cbranch_vccz .LBB803_49
; %bb.45:
	v_add_co_u32 v19, s0, -4, s21
	s_delay_alu instid0(VALU_DEP_1)
	v_add_co_ci_u32_e64 v20, null, -1, s1, s0
	v_lshlrev_b32_e32 v23, 2, v0
	s_mov_b32 s1, -1
	s_and_b32 vcc_lo, exec_lo, s20
	flat_load_b32 v22, v[19:20]
	ds_store_b32 v23, v2
	s_cbranch_vccz .LBB803_50
; %bb.46:
	s_waitcnt vmcnt(0) lgkmcnt(1)
	v_mov_b32_e32 v19, v22
	s_waitcnt lgkmcnt(0)
	s_barrier
	buffer_gl0_inv
	s_and_saveexec_b32 s0, s3
	s_cbranch_execz .LBB803_48
; %bb.47:
	v_add_nc_u32_e32 v19, -4, v23
	ds_load_b32 v19, v19
.LBB803_48:
	s_or_b32 exec_lo, exec_lo, s0
	v_cmp_ne_u32_e32 vcc_lo, v1, v2
	s_waitcnt lgkmcnt(0)
	v_cmp_ne_u32_e64 s0, v19, v7
	v_cndmask_b32_e64 v20, 0, 1, vcc_lo
	v_cmp_ne_u32_e32 vcc_lo, v4, v1
	s_delay_alu instid0(VALU_DEP_2) | instskip(SKIP_2) | instid1(VALU_DEP_2)
	v_lshlrev_b16 v20, 8, v20
	v_cndmask_b32_e64 v24, 0, 1, vcc_lo
	v_cmp_ne_u32_e32 vcc_lo, v3, v4
	v_or_b32_e32 v20, v24, v20
	v_cndmask_b32_e64 v25, 0, 1, vcc_lo
	v_cmp_ne_u32_e32 vcc_lo, v5, v6
	s_delay_alu instid0(VALU_DEP_3) | instskip(NEXT) | instid1(VALU_DEP_3)
	v_lshlrev_b32_e32 v20, 16, v20
	v_lshlrev_b16 v25, 8, v25
	v_cndmask_b32_e64 v26, 0, 1, vcc_lo
	v_cmp_ne_u32_e32 vcc_lo, v6, v3
	s_delay_alu instid0(VALU_DEP_2) | instskip(SKIP_2) | instid1(VALU_DEP_2)
	v_lshlrev_b16 v26, 8, v26
	v_cndmask_b32_e64 v27, 0, 1, vcc_lo
	v_cmp_ne_u32_e32 vcc_lo, v8, v5
	v_or_b32_e32 v25, v27, v25
	v_cndmask_b32_e64 v28, 0, 1, vcc_lo
	v_cmp_ne_u32_e32 vcc_lo, v7, v8
	s_delay_alu instid0(VALU_DEP_3) | instskip(NEXT) | instid1(VALU_DEP_3)
	v_and_b32_e32 v25, 0xffff, v25
	v_or_b32_e32 v26, v28, v26
	v_cndmask_b32_e64 v29, 0, 1, vcc_lo
	s_delay_alu instid0(VALU_DEP_3) | instskip(NEXT) | instid1(VALU_DEP_3)
	v_or_b32_e32 v20, v25, v20
	v_lshlrev_b32_e32 v24, 16, v26
	s_delay_alu instid0(VALU_DEP_3) | instskip(NEXT) | instid1(VALU_DEP_1)
	v_lshlrev_b16 v28, 8, v29
	v_and_b32_e32 v26, 0xffff, v28
	s_delay_alu instid0(VALU_DEP_1)
	v_or_b32_e32 v19, v26, v24
	s_branch .LBB803_54
.LBB803_49:
                                        ; implicit-def: $sgpr0
                                        ; implicit-def: $vgpr20
	s_branch .LBB803_55
.LBB803_50:
                                        ; implicit-def: $sgpr0
                                        ; implicit-def: $vgpr20
	s_and_b32 vcc_lo, exec_lo, s1
	s_cbranch_vccz .LBB803_54
; %bb.51:
	s_waitcnt vmcnt(0) lgkmcnt(0)
	s_barrier
	buffer_gl0_inv
	s_and_saveexec_b32 s0, s3
	s_cbranch_execz .LBB803_53
; %bb.52:
	v_add_nc_u32_e32 v19, -4, v23
	ds_load_b32 v22, v19
.LBB803_53:
	s_or_b32 exec_lo, exec_lo, s0
	v_or_b32_e32 v19, 7, v21
	v_or_b32_e32 v20, 6, v21
	;; [unrolled: 1-line block ×3, first 2 shown]
	v_cmp_ne_u32_e32 vcc_lo, v1, v2
	v_cmp_ne_u32_e64 s1, v4, v1
	v_cmp_gt_u32_e64 s0, s19, v19
	v_cmp_gt_u32_e64 s5, s19, v20
	v_cmp_ne_u32_e64 s4, v3, v4
	v_cmp_gt_u32_e64 s6, s19, v23
	v_or_b32_e32 v20, 3, v21
	s_and_b32 s0, s0, vcc_lo
	v_or_b32_e32 v24, 4, v21
	v_cndmask_b32_e64 v19, 0, 1, s0
	s_and_b32 s0, s5, s1
	v_cmp_gt_u32_e32 vcc_lo, s19, v20
	v_cndmask_b32_e64 v23, 0, 1, s0
	s_and_b32 s0, s6, s4
	v_or_b32_e32 v20, 2, v21
	v_cndmask_b32_e64 v25, 0, 1, s0
	v_cmp_ne_u32_e64 s0, v5, v6
	v_cmp_gt_u32_e64 s1, s19, v24
	v_or_b32_e32 v24, 1, v21
	v_cmp_ne_u32_e64 s4, v6, v3
	v_cmp_ne_u32_e64 s6, v7, v8
	s_and_b32 s0, vcc_lo, s0
	v_cmp_gt_u32_e32 vcc_lo, s19, v20
	v_cndmask_b32_e64 v26, 0, 1, s0
	v_cmp_ne_u32_e64 s0, v8, v5
	v_cmp_gt_u32_e64 s5, s19, v24
	s_and_b32 s1, s1, s4
	v_lshlrev_b16 v25, 8, v25
	v_cndmask_b32_e64 v20, 0, 1, s1
	s_and_b32 s0, vcc_lo, s0
	v_lshlrev_b16 v26, 8, v26
	v_cndmask_b32_e64 v24, 0, 1, s0
	s_and_b32 s0, s5, s6
	v_lshlrev_b16 v19, 8, v19
	v_cndmask_b32_e64 v27, 0, 1, s0
	v_or_b32_e32 v20, v20, v25
	v_or_b32_e32 v24, v24, v26
	v_cmp_gt_u32_e32 vcc_lo, s19, v21
	v_or_b32_e32 v19, v23, v19
	v_lshlrev_b16 v26, 8, v27
	v_and_b32_e32 v20, 0xffff, v20
	v_lshlrev_b32_e32 v23, 16, v24
	s_waitcnt lgkmcnt(0)
	v_cmp_ne_u32_e64 s0, v22, v7
	v_lshlrev_b32_e32 v25, 16, v19
	v_and_b32_e32 v24, 0xffff, v26
	s_delay_alu instid0(VALU_DEP_3) | instskip(NEXT) | instid1(VALU_DEP_2)
	s_and_b32 s0, vcc_lo, s0
	v_or_b32_e32 v20, v20, v25
	s_delay_alu instid0(VALU_DEP_2)
	v_or_b32_e32 v19, v24, v23
.LBB803_54:
	s_mov_b32 s14, -1
	s_cbranch_execnz .LBB803_63
.LBB803_55:
	s_waitcnt vmcnt(0) lgkmcnt(1)
	v_lshlrev_b32_e32 v22, 2, v0
	v_cmp_ne_u32_e64 s1, v1, v2
	v_cmp_ne_u32_e64 s4, v4, v1
	;; [unrolled: 1-line block ×7, first 2 shown]
	s_and_b32 vcc_lo, exec_lo, s20
	ds_store_b32 v22, v2
	s_cbranch_vccz .LBB803_59
; %bb.56:
	v_cndmask_b32_e64 v19, 0, 1, s1
	v_cndmask_b32_e64 v23, 0, 1, s5
	;; [unrolled: 1-line block ×7, first 2 shown]
	v_lshlrev_b16 v23, 8, v23
	v_lshlrev_b16 v19, 8, v19
	;; [unrolled: 1-line block ×4, first 2 shown]
	s_waitcnt lgkmcnt(0)
	v_or_b32_e32 v23, v24, v23
	v_or_b32_e32 v19, v20, v19
	;; [unrolled: 1-line block ×4, first 2 shown]
	s_barrier
	v_and_b32_e32 v23, 0xffff, v23
	v_lshlrev_b32_e32 v19, 16, v19
	v_lshlrev_b32_e32 v25, 16, v20
	v_and_b32_e32 v24, 0xffff, v24
	buffer_gl0_inv
                                        ; implicit-def: $sgpr0
	v_or_b32_e32 v20, v23, v19
	v_or_b32_e32 v19, v24, v25
	s_and_saveexec_b32 s1, s3
	s_delay_alu instid0(SALU_CYCLE_1)
	s_xor_b32 s1, exec_lo, s1
	s_cbranch_execz .LBB803_58
; %bb.57:
	v_add_nc_u32_e32 v23, -4, v22
	s_or_b32 s14, s14, exec_lo
	ds_load_b32 v23, v23
	s_waitcnt lgkmcnt(0)
	v_cmp_ne_u32_e32 vcc_lo, v23, v7
	s_and_b32 s0, vcc_lo, exec_lo
.LBB803_58:
	s_or_b32 exec_lo, exec_lo, s1
	s_branch .LBB803_63
.LBB803_59:
                                        ; implicit-def: $sgpr0
                                        ; implicit-def: $vgpr20
	s_cbranch_execz .LBB803_63
; %bb.60:
	v_or_b32_e32 v19, 7, v21
	v_or_b32_e32 v20, 6, v21
	v_cmp_ne_u32_e32 vcc_lo, v1, v2
	v_cmp_ne_u32_e64 s1, v4, v1
	v_or_b32_e32 v23, 5, v21
	v_cmp_gt_u32_e64 s0, s19, v19
	v_cmp_gt_u32_e64 s4, s19, v20
	v_or_b32_e32 v19, 4, v21
	v_or_b32_e32 v24, 3, v21
	v_cmp_gt_u32_e64 s5, s19, v23
	s_and_b32 s0, s0, vcc_lo
	v_cmp_ne_u32_e32 vcc_lo, v3, v4
	v_cndmask_b32_e64 v20, 0, 1, s0
	s_and_b32 s0, s4, s1
	v_cmp_ne_u32_e64 s1, v6, v3
	v_cndmask_b32_e64 v23, 0, 1, s0
	v_cmp_gt_u32_e64 s0, s19, v19
	v_or_b32_e32 v25, 1, v21
	s_and_b32 s4, s5, vcc_lo
	v_cmp_gt_u32_e32 vcc_lo, s19, v24
	v_cndmask_b32_e64 v19, 0, 1, s4
	s_and_b32 s0, s0, s1
	v_or_b32_e32 v27, 2, v21
	v_cndmask_b32_e64 v26, 0, 1, s0
	v_cmp_ne_u32_e64 s0, v5, v6
	v_cmp_gt_u32_e64 s1, s19, v25
	v_cmp_ne_u32_e64 s4, v7, v8
	v_cmp_gt_u32_e64 s5, s19, v27
	v_cmp_ne_u32_e64 s6, v8, v5
	s_and_b32 s0, vcc_lo, s0
	v_lshlrev_b16 v19, 8, v19
	v_cndmask_b32_e64 v24, 0, 1, s0
	s_and_b32 s0, s1, s4
	v_lshlrev_b16 v20, 8, v20
	v_cndmask_b32_e64 v25, 0, 1, s0
	s_and_b32 s0, s5, s6
	v_lshlrev_b16 v24, 8, v24
	v_cndmask_b32_e64 v27, 0, 1, s0
	v_or_b32_e32 v19, v26, v19
	v_lshlrev_b16 v25, 8, v25
	v_or_b32_e32 v20, v23, v20
	s_waitcnt lgkmcnt(0)
	v_or_b32_e32 v23, v27, v24
	v_and_b32_e32 v19, 0xffff, v19
	v_or_b32_e32 v24, 1, v25
	v_lshlrev_b32_e32 v20, 16, v20
	s_barrier
	v_lshlrev_b32_e32 v23, 16, v23
	buffer_gl0_inv
	v_and_b32_e32 v24, 0xffff, v24
	v_or_b32_e32 v20, v19, v20
                                        ; implicit-def: $sgpr0
	s_delay_alu instid0(VALU_DEP_2)
	v_or_b32_e32 v19, v24, v23
	s_and_saveexec_b32 s1, s3
	s_cbranch_execz .LBB803_62
; %bb.61:
	v_add_nc_u32_e32 v22, -4, v22
	v_cmp_gt_u32_e32 vcc_lo, s19, v21
	s_or_b32 s14, s14, exec_lo
	ds_load_b32 v22, v22
	s_waitcnt lgkmcnt(0)
	v_cmp_ne_u32_e64 s0, v22, v7
	s_delay_alu instid0(VALU_DEP_1) | instskip(NEXT) | instid1(SALU_CYCLE_1)
	s_and_b32 s0, vcc_lo, s0
	s_and_b32 s0, s0, exec_lo
.LBB803_62:
	s_or_b32 exec_lo, exec_lo, s1
.LBB803_63:
	s_and_saveexec_b32 s1, s14
	s_cbranch_execz .LBB803_65
; %bb.64:
	s_waitcnt vmcnt(0) lgkmcnt(1)
	v_and_b32_e32 v22, 0xffffff00, v19
	v_cndmask_b32_e64 v23, 0, 1, s0
	s_delay_alu instid0(VALU_DEP_1) | instskip(NEXT) | instid1(VALU_DEP_1)
	v_or_b32_e32 v22, v23, v22
	v_and_b32_e32 v22, 0xffff, v22
	s_delay_alu instid0(VALU_DEP_1)
	v_and_or_b32 v19, 0xffff0000, v19, v22
.LBB803_65:
	s_or_b32 exec_lo, exec_lo, s1
	s_delay_alu instid0(SALU_CYCLE_1)
	s_and_not1_b32 vcc_lo, exec_lo, s17
	s_cbranch_vccnz .LBB803_67
; %bb.66:
	v_cmp_gt_u32_e32 vcc_lo, s19, v21
	v_or_b32_e32 v23, 1, v21
	v_and_b32_e32 v24, 0xffffff00, v20
	v_or_b32_e32 v25, 2, v21
	s_waitcnt vmcnt(0) lgkmcnt(1)
	v_cndmask_b32_e32 v22, 0, v19, vcc_lo
	v_cmp_gt_u32_e32 vcc_lo, s19, v23
	v_or_b32_e32 v23, 4, v21
	v_cmp_gt_u32_e64 s0, s19, v25
	v_or_b32_e32 v25, 3, v21
	v_and_b32_e32 v22, 0xff, v22
	s_delay_alu instid0(VALU_DEP_2) | instskip(NEXT) | instid1(VALU_DEP_2)
	v_cmp_gt_u32_e64 s1, s19, v25
	v_cndmask_b32_e32 v22, v22, v19, vcc_lo
	v_cmp_gt_u32_e32 vcc_lo, s19, v23
	s_delay_alu instid0(VALU_DEP_2) | instskip(SKIP_1) | instid1(VALU_DEP_2)
	v_dual_cndmask_b32 v23, v24, v20 :: v_dual_and_b32 v22, 0xffff, v22
	v_or_b32_e32 v24, 5, v21
	v_cndmask_b32_e64 v22, v22, v19, s0
	s_delay_alu instid0(VALU_DEP_3) | instskip(NEXT) | instid1(VALU_DEP_3)
	v_and_b32_e32 v23, 0xffff00ff, v23
	v_cmp_gt_u32_e64 s0, s19, v24
	v_or_b32_e32 v24, 6, v21
	v_or_b32_e32 v21, 7, v21
	v_and_b32_e32 v22, 0xffffff, v22
	s_delay_alu instid0(VALU_DEP_4) | instskip(NEXT) | instid1(VALU_DEP_2)
	v_cndmask_b32_e64 v23, v23, v20, s0
	v_cndmask_b32_e64 v22, v22, v19, s1
	s_delay_alu instid0(VALU_DEP_2) | instskip(NEXT) | instid1(VALU_DEP_2)
	v_and_b32_e32 v23, 0xff00ffff, v23
	v_cndmask_b32_e32 v22, v22, v19, vcc_lo
	v_cmp_gt_u32_e32 vcc_lo, s19, v24
	s_delay_alu instid0(VALU_DEP_2) | instskip(NEXT) | instid1(VALU_DEP_1)
	v_cndmask_b32_e64 v22, v22, v19, s0
	v_dual_cndmask_b32 v23, v23, v20 :: v_dual_cndmask_b32 v22, v22, v19
	s_delay_alu instid0(VALU_DEP_1) | instskip(SKIP_1) | instid1(VALU_DEP_2)
	v_and_b32_e32 v23, 0xffffff, v23
	v_cmp_gt_u32_e32 vcc_lo, s19, v21
	v_dual_cndmask_b32 v20, v23, v20 :: v_dual_cndmask_b32 v19, v22, v19
.LBB803_67:
	s_delay_alu instid0(VALU_DEP_1) | instskip(NEXT) | instid1(VALU_DEP_2)
	v_and_b32_e32 v30, 0xff, v19
	v_alignbit_b32 v21, v20, v19, 24
	v_bfe_u32 v31, v19, 8, 8
	v_bfe_u32 v32, v19, 16, 8
	v_and_b32_e32 v34, 0xff, v20
	v_bfe_u32 v35, v20, 8, 8
	v_and_b32_e32 v33, 0xff, v21
	v_add_nc_u32_e32 v21, v31, v30
	s_waitcnt vmcnt(0) lgkmcnt(1)
	v_and_b32_e32 v22, 0x1e0, v0
	v_mbcnt_lo_u32_b32 v37, -1, 0
	v_bfe_u32 v36, v20, 16, 8
	v_lshrrev_b32_e32 v29, 24, v20
	v_add3_u32 v21, v21, v32, v33
	v_min_u32_e32 v22, 0x160, v22
	v_and_b32_e32 v23, 15, v37
	v_lshrrev_b32_e32 v38, 5, v0
	s_and_b32 vcc_lo, exec_lo, s9
	v_add3_u32 v21, v21, v34, v35
	v_or_b32_e32 v22, 31, v22
	v_cmp_eq_u32_e64 s3, 0, v23
	v_cmp_lt_u32_e64 s4, 1, v23
	v_cmp_lt_u32_e64 s1, 3, v23
	v_add3_u32 v39, v21, v36, v29
	v_and_b32_e32 v21, 16, v37
	v_cmp_lt_u32_e64 s0, 7, v23
	v_cmp_eq_u32_e64 s5, v22, v0
	s_mov_b32 s7, -1
	s_waitcnt lgkmcnt(0)
	v_cmp_eq_u32_e64 s6, 0, v21
	s_barrier
	buffer_gl0_inv
	s_cbranch_vccz .LBB803_98
; %bb.68:
	v_mov_b32_dpp v21, v39 row_shr:1 row_mask:0xf bank_mask:0xf
	s_delay_alu instid0(VALU_DEP_1) | instskip(NEXT) | instid1(VALU_DEP_1)
	v_cndmask_b32_e64 v21, v21, 0, s3
	v_add_nc_u32_e32 v21, v21, v39
	s_delay_alu instid0(VALU_DEP_1) | instskip(NEXT) | instid1(VALU_DEP_1)
	v_mov_b32_dpp v22, v21 row_shr:2 row_mask:0xf bank_mask:0xf
	v_cndmask_b32_e64 v22, 0, v22, s4
	s_delay_alu instid0(VALU_DEP_1) | instskip(NEXT) | instid1(VALU_DEP_1)
	v_add_nc_u32_e32 v21, v21, v22
	v_mov_b32_dpp v22, v21 row_shr:4 row_mask:0xf bank_mask:0xf
	s_delay_alu instid0(VALU_DEP_1) | instskip(NEXT) | instid1(VALU_DEP_1)
	v_cndmask_b32_e64 v22, 0, v22, s1
	v_add_nc_u32_e32 v21, v21, v22
	s_delay_alu instid0(VALU_DEP_1) | instskip(NEXT) | instid1(VALU_DEP_1)
	v_mov_b32_dpp v22, v21 row_shr:8 row_mask:0xf bank_mask:0xf
	v_cndmask_b32_e64 v22, 0, v22, s0
	s_delay_alu instid0(VALU_DEP_1) | instskip(SKIP_3) | instid1(VALU_DEP_1)
	v_add_nc_u32_e32 v21, v21, v22
	ds_swizzle_b32 v22, v21 offset:swizzle(BROADCAST,32,15)
	s_waitcnt lgkmcnt(0)
	v_cndmask_b32_e64 v22, v22, 0, s6
	v_add_nc_u32_e32 v21, v21, v22
	s_and_saveexec_b32 s7, s5
	s_cbranch_execz .LBB803_70
; %bb.69:
	v_lshlrev_b32_e32 v22, 2, v38
	ds_store_b32 v22, v21
.LBB803_70:
	s_or_b32 exec_lo, exec_lo, s7
	s_delay_alu instid0(SALU_CYCLE_1)
	s_mov_b32 s7, exec_lo
	s_waitcnt lgkmcnt(0)
	s_barrier
	buffer_gl0_inv
	v_cmpx_gt_u32_e32 12, v0
	s_cbranch_execz .LBB803_72
; %bb.71:
	v_lshlrev_b32_e32 v22, 2, v0
	ds_load_b32 v23, v22
	s_waitcnt lgkmcnt(0)
	v_mov_b32_dpp v24, v23 row_shr:1 row_mask:0xf bank_mask:0xf
	s_delay_alu instid0(VALU_DEP_1) | instskip(NEXT) | instid1(VALU_DEP_1)
	v_cndmask_b32_e64 v24, v24, 0, s3
	v_add_nc_u32_e32 v23, v24, v23
	s_delay_alu instid0(VALU_DEP_1) | instskip(NEXT) | instid1(VALU_DEP_1)
	v_mov_b32_dpp v24, v23 row_shr:2 row_mask:0xf bank_mask:0xf
	v_cndmask_b32_e64 v24, 0, v24, s4
	s_delay_alu instid0(VALU_DEP_1) | instskip(NEXT) | instid1(VALU_DEP_1)
	v_add_nc_u32_e32 v23, v23, v24
	v_mov_b32_dpp v24, v23 row_shr:4 row_mask:0xf bank_mask:0xf
	s_delay_alu instid0(VALU_DEP_1) | instskip(NEXT) | instid1(VALU_DEP_1)
	v_cndmask_b32_e64 v24, 0, v24, s1
	v_add_nc_u32_e32 v23, v23, v24
	s_delay_alu instid0(VALU_DEP_1) | instskip(NEXT) | instid1(VALU_DEP_1)
	v_mov_b32_dpp v24, v23 row_shr:8 row_mask:0xf bank_mask:0xf
	v_cndmask_b32_e64 v24, 0, v24, s0
	s_delay_alu instid0(VALU_DEP_1)
	v_add_nc_u32_e32 v23, v23, v24
	ds_store_b32 v22, v23
.LBB803_72:
	s_or_b32 exec_lo, exec_lo, s7
	v_cmp_gt_u32_e32 vcc_lo, 32, v0
	s_mov_b32 s8, exec_lo
	s_waitcnt lgkmcnt(0)
	s_barrier
	buffer_gl0_inv
                                        ; implicit-def: $vgpr40
	v_cmpx_lt_u32_e32 31, v0
	s_cbranch_execz .LBB803_74
; %bb.73:
	v_lshl_add_u32 v22, v38, 2, -4
	ds_load_b32 v40, v22
	s_waitcnt lgkmcnt(0)
	v_add_nc_u32_e32 v21, v40, v21
.LBB803_74:
	s_or_b32 exec_lo, exec_lo, s8
	v_add_nc_u32_e32 v22, -1, v37
	s_delay_alu instid0(VALU_DEP_1) | instskip(NEXT) | instid1(VALU_DEP_1)
	v_cmp_gt_i32_e64 s7, 0, v22
	v_cndmask_b32_e64 v22, v22, v37, s7
	v_cmp_eq_u32_e64 s7, 0, v37
	s_delay_alu instid0(VALU_DEP_2)
	v_lshlrev_b32_e32 v22, 2, v22
	ds_bpermute_b32 v41, v22, v21
	s_and_saveexec_b32 s8, vcc_lo
	s_cbranch_execz .LBB803_97
; %bb.75:
	v_mov_b32_e32 v25, 0
	ds_load_b32 v21, v25 offset:44
	s_and_saveexec_b32 s9, s7
	s_cbranch_execz .LBB803_77
; %bb.76:
	s_add_i32 s14, s18, 32
	s_mov_b32 s15, 0
	v_mov_b32_e32 v22, 1
	s_lshl_b64 s[14:15], s[14:15], 3
	s_delay_alu instid0(SALU_CYCLE_1)
	s_add_u32 s14, s10, s14
	s_addc_u32 s15, s11, s15
	s_waitcnt lgkmcnt(0)
	global_store_b64 v25, v[21:22], s[14:15]
.LBB803_77:
	s_or_b32 exec_lo, exec_lo, s9
	v_xad_u32 v23, v37, -1, s18
	s_mov_b32 s14, 0
	s_mov_b32 s9, exec_lo
	s_delay_alu instid0(VALU_DEP_1) | instskip(NEXT) | instid1(VALU_DEP_1)
	v_add_nc_u32_e32 v24, 32, v23
	v_lshlrev_b64 v[24:25], 3, v[24:25]
	s_delay_alu instid0(VALU_DEP_1) | instskip(NEXT) | instid1(VALU_DEP_2)
	v_add_co_u32 v27, vcc_lo, s10, v24
	v_add_co_ci_u32_e32 v28, vcc_lo, s11, v25, vcc_lo
	global_load_b64 v[25:26], v[27:28], off glc
	s_waitcnt vmcnt(0)
	v_and_b32_e32 v22, 0xff, v26
	s_delay_alu instid0(VALU_DEP_1)
	v_cmpx_eq_u16_e32 0, v22
	s_cbranch_execz .LBB803_83
; %bb.78:
	s_mov_b32 s15, 1
	.p2align	6
.LBB803_79:                             ; =>This Loop Header: Depth=1
                                        ;     Child Loop BB803_80 Depth 2
	s_delay_alu instid0(SALU_CYCLE_1)
	s_max_u32 s17, s15, 1
.LBB803_80:                             ;   Parent Loop BB803_79 Depth=1
                                        ; =>  This Inner Loop Header: Depth=2
	s_delay_alu instid0(SALU_CYCLE_1)
	s_add_i32 s17, s17, -1
	s_sleep 1
	s_cmp_eq_u32 s17, 0
	s_cbranch_scc0 .LBB803_80
; %bb.81:                               ;   in Loop: Header=BB803_79 Depth=1
	global_load_b64 v[25:26], v[27:28], off glc
	s_cmp_lt_u32 s15, 32
	s_cselect_b32 s17, -1, 0
	s_delay_alu instid0(SALU_CYCLE_1) | instskip(SKIP_3) | instid1(VALU_DEP_1)
	s_cmp_lg_u32 s17, 0
	s_addc_u32 s15, s15, 0
	s_waitcnt vmcnt(0)
	v_and_b32_e32 v22, 0xff, v26
	v_cmp_ne_u16_e32 vcc_lo, 0, v22
	s_or_b32 s14, vcc_lo, s14
	s_delay_alu instid0(SALU_CYCLE_1)
	s_and_not1_b32 exec_lo, exec_lo, s14
	s_cbranch_execnz .LBB803_79
; %bb.82:
	s_or_b32 exec_lo, exec_lo, s14
.LBB803_83:
	s_delay_alu instid0(SALU_CYCLE_1)
	s_or_b32 exec_lo, exec_lo, s9
	v_cmp_ne_u32_e32 vcc_lo, 31, v37
	v_lshlrev_b32_e64 v43, v37, -1
	v_add_nc_u32_e32 v45, 2, v37
	v_add_nc_u32_e32 v47, 4, v37
	;; [unrolled: 1-line block ×3, first 2 shown]
	v_add_co_ci_u32_e32 v22, vcc_lo, 0, v37, vcc_lo
	v_add_nc_u32_e32 v51, 16, v37
	s_delay_alu instid0(VALU_DEP_2)
	v_lshlrev_b32_e32 v42, 2, v22
	v_and_b32_e32 v22, 0xff, v26
	ds_bpermute_b32 v24, v42, v25
	v_cmp_eq_u16_e32 vcc_lo, 2, v22
	v_and_or_b32 v22, vcc_lo, v43, 0x80000000
	v_cmp_gt_u32_e32 vcc_lo, 30, v37
	s_delay_alu instid0(VALU_DEP_2) | instskip(SKIP_1) | instid1(VALU_DEP_2)
	v_ctz_i32_b32_e32 v22, v22
	v_cndmask_b32_e64 v27, 0, 1, vcc_lo
	v_cmp_lt_u32_e32 vcc_lo, v37, v22
	s_waitcnt lgkmcnt(0)
	s_delay_alu instid0(VALU_DEP_2) | instskip(NEXT) | instid1(VALU_DEP_1)
	v_dual_cndmask_b32 v24, 0, v24 :: v_dual_lshlrev_b32 v27, 1, v27
	v_add_lshl_u32 v44, v27, v37, 2
	v_cmp_gt_u32_e32 vcc_lo, 28, v37
	s_delay_alu instid0(VALU_DEP_3) | instskip(SKIP_4) | instid1(VALU_DEP_1)
	v_add_nc_u32_e32 v24, v24, v25
	v_cndmask_b32_e64 v27, 0, 1, vcc_lo
	v_cmp_le_u32_e32 vcc_lo, v45, v22
	ds_bpermute_b32 v25, v44, v24
	v_lshlrev_b32_e32 v27, 2, v27
	v_add_lshl_u32 v46, v27, v37, 2
	s_waitcnt lgkmcnt(0)
	v_cndmask_b32_e32 v25, 0, v25, vcc_lo
	v_cmp_gt_u32_e32 vcc_lo, 24, v37
	s_delay_alu instid0(VALU_DEP_2) | instskip(SKIP_4) | instid1(VALU_DEP_1)
	v_add_nc_u32_e32 v24, v24, v25
	v_cndmask_b32_e64 v27, 0, 1, vcc_lo
	v_cmp_le_u32_e32 vcc_lo, v47, v22
	ds_bpermute_b32 v25, v46, v24
	v_lshlrev_b32_e32 v27, 3, v27
	v_add_lshl_u32 v48, v27, v37, 2
	s_waitcnt lgkmcnt(0)
	v_cndmask_b32_e32 v25, 0, v25, vcc_lo
	v_cmp_gt_u32_e32 vcc_lo, 16, v37
	s_delay_alu instid0(VALU_DEP_2) | instskip(SKIP_4) | instid1(VALU_DEP_1)
	v_add_nc_u32_e32 v24, v24, v25
	v_cndmask_b32_e64 v27, 0, 1, vcc_lo
	v_cmp_le_u32_e32 vcc_lo, v49, v22
	ds_bpermute_b32 v25, v48, v24
	v_lshlrev_b32_e32 v27, 4, v27
	v_add_lshl_u32 v50, v27, v37, 2
	s_waitcnt lgkmcnt(0)
	v_cndmask_b32_e32 v25, 0, v25, vcc_lo
	v_cmp_le_u32_e32 vcc_lo, v51, v22
	s_delay_alu instid0(VALU_DEP_2) | instskip(SKIP_3) | instid1(VALU_DEP_1)
	v_add_nc_u32_e32 v24, v24, v25
	ds_bpermute_b32 v25, v50, v24
	s_waitcnt lgkmcnt(0)
	v_cndmask_b32_e32 v22, 0, v25, vcc_lo
	v_dual_mov_b32 v24, 0 :: v_dual_add_nc_u32 v25, v24, v22
	s_branch .LBB803_85
.LBB803_84:                             ;   in Loop: Header=BB803_85 Depth=1
	s_or_b32 exec_lo, exec_lo, s9
	ds_bpermute_b32 v28, v42, v25
	v_and_b32_e32 v27, 0xff, v26
	v_subrev_nc_u32_e32 v23, 32, v23
	s_delay_alu instid0(VALU_DEP_2) | instskip(SKIP_1) | instid1(VALU_DEP_1)
	v_cmp_eq_u16_e32 vcc_lo, 2, v27
	v_and_or_b32 v27, vcc_lo, v43, 0x80000000
	v_ctz_i32_b32_e32 v27, v27
	s_delay_alu instid0(VALU_DEP_1) | instskip(SKIP_3) | instid1(VALU_DEP_2)
	v_cmp_lt_u32_e32 vcc_lo, v37, v27
	s_waitcnt lgkmcnt(0)
	v_cndmask_b32_e32 v28, 0, v28, vcc_lo
	v_cmp_le_u32_e32 vcc_lo, v45, v27
	v_add_nc_u32_e32 v25, v28, v25
	ds_bpermute_b32 v28, v44, v25
	s_waitcnt lgkmcnt(0)
	v_cndmask_b32_e32 v28, 0, v28, vcc_lo
	v_cmp_le_u32_e32 vcc_lo, v47, v27
	s_delay_alu instid0(VALU_DEP_2) | instskip(SKIP_4) | instid1(VALU_DEP_2)
	v_add_nc_u32_e32 v25, v25, v28
	ds_bpermute_b32 v28, v46, v25
	s_waitcnt lgkmcnt(0)
	v_cndmask_b32_e32 v28, 0, v28, vcc_lo
	v_cmp_le_u32_e32 vcc_lo, v49, v27
	v_add_nc_u32_e32 v25, v25, v28
	ds_bpermute_b32 v28, v48, v25
	s_waitcnt lgkmcnt(0)
	v_cndmask_b32_e32 v28, 0, v28, vcc_lo
	v_cmp_le_u32_e32 vcc_lo, v51, v27
	s_delay_alu instid0(VALU_DEP_2) | instskip(SKIP_3) | instid1(VALU_DEP_1)
	v_add_nc_u32_e32 v25, v25, v28
	ds_bpermute_b32 v28, v50, v25
	s_waitcnt lgkmcnt(0)
	v_cndmask_b32_e32 v27, 0, v28, vcc_lo
	v_add3_u32 v25, v27, v22, v25
.LBB803_85:                             ; =>This Loop Header: Depth=1
                                        ;     Child Loop BB803_88 Depth 2
                                        ;       Child Loop BB803_89 Depth 3
	v_and_b32_e32 v22, 0xff, v26
	s_delay_alu instid0(VALU_DEP_1) | instskip(SKIP_2) | instid1(VALU_DEP_1)
	v_cmp_ne_u16_e32 vcc_lo, 2, v22
	v_cndmask_b32_e64 v22, 0, 1, vcc_lo
	;;#ASMSTART
	;;#ASMEND
	v_cmp_ne_u32_e32 vcc_lo, 0, v22
	v_mov_b32_e32 v22, v25
	s_cmp_lg_u32 vcc_lo, exec_lo
	s_cbranch_scc1 .LBB803_92
; %bb.86:                               ;   in Loop: Header=BB803_85 Depth=1
	v_lshlrev_b64 v[25:26], 3, v[23:24]
	s_mov_b32 s9, exec_lo
	s_delay_alu instid0(VALU_DEP_1) | instskip(NEXT) | instid1(VALU_DEP_2)
	v_add_co_u32 v27, vcc_lo, s10, v25
	v_add_co_ci_u32_e32 v28, vcc_lo, s11, v26, vcc_lo
	global_load_b64 v[25:26], v[27:28], off glc
	s_waitcnt vmcnt(0)
	v_and_b32_e32 v52, 0xff, v26
	s_delay_alu instid0(VALU_DEP_1)
	v_cmpx_eq_u16_e32 0, v52
	s_cbranch_execz .LBB803_84
; %bb.87:                               ;   in Loop: Header=BB803_85 Depth=1
	s_mov_b32 s15, 1
	s_mov_b32 s14, 0
	.p2align	6
.LBB803_88:                             ;   Parent Loop BB803_85 Depth=1
                                        ; =>  This Loop Header: Depth=2
                                        ;       Child Loop BB803_89 Depth 3
	s_max_u32 s17, s15, 1
.LBB803_89:                             ;   Parent Loop BB803_85 Depth=1
                                        ;     Parent Loop BB803_88 Depth=2
                                        ; =>    This Inner Loop Header: Depth=3
	s_delay_alu instid0(SALU_CYCLE_1)
	s_add_i32 s17, s17, -1
	s_sleep 1
	s_cmp_eq_u32 s17, 0
	s_cbranch_scc0 .LBB803_89
; %bb.90:                               ;   in Loop: Header=BB803_88 Depth=2
	global_load_b64 v[25:26], v[27:28], off glc
	s_cmp_lt_u32 s15, 32
	s_cselect_b32 s17, -1, 0
	s_delay_alu instid0(SALU_CYCLE_1) | instskip(SKIP_3) | instid1(VALU_DEP_1)
	s_cmp_lg_u32 s17, 0
	s_addc_u32 s15, s15, 0
	s_waitcnt vmcnt(0)
	v_and_b32_e32 v52, 0xff, v26
	v_cmp_ne_u16_e32 vcc_lo, 0, v52
	s_or_b32 s14, vcc_lo, s14
	s_delay_alu instid0(SALU_CYCLE_1)
	s_and_not1_b32 exec_lo, exec_lo, s14
	s_cbranch_execnz .LBB803_88
; %bb.91:                               ;   in Loop: Header=BB803_85 Depth=1
	s_or_b32 exec_lo, exec_lo, s14
	s_branch .LBB803_84
.LBB803_92:                             ;   in Loop: Header=BB803_85 Depth=1
                                        ; implicit-def: $vgpr25
                                        ; implicit-def: $vgpr26
	s_cbranch_execz .LBB803_85
; %bb.93:
	s_and_saveexec_b32 s9, s7
	s_cbranch_execz .LBB803_95
; %bb.94:
	s_add_i32 s14, s18, 32
	s_mov_b32 s15, 0
	v_dual_mov_b32 v24, 2 :: v_dual_add_nc_u32 v23, v22, v21
	s_lshl_b64 s[14:15], s[14:15], 3
	v_mov_b32_e32 v25, 0
	s_add_u32 s14, s10, s14
	s_addc_u32 s15, s11, s15
	global_store_b64 v25, v[23:24], s[14:15]
	ds_store_b64 v25, v[21:22] offset:12672
.LBB803_95:
	s_or_b32 exec_lo, exec_lo, s9
	s_delay_alu instid0(SALU_CYCLE_1)
	s_and_b32 exec_lo, exec_lo, s2
	s_cbranch_execz .LBB803_97
; %bb.96:
	v_mov_b32_e32 v21, 0
	ds_store_b32 v21, v22 offset:44
.LBB803_97:
	s_or_b32 exec_lo, exec_lo, s8
	v_mov_b32_e32 v21, 0
	s_waitcnt lgkmcnt(0)
	s_waitcnt_vscnt null, 0x0
	s_barrier
	buffer_gl0_inv
	v_cndmask_b32_e64 v23, v41, v40, s7
	ds_load_b32 v22, v21 offset:44
	s_waitcnt lgkmcnt(0)
	s_barrier
	buffer_gl0_inv
	v_cndmask_b32_e64 v23, v23, 0, s2
	s_delay_alu instid0(VALU_DEP_1) | instskip(NEXT) | instid1(VALU_DEP_1)
	v_add_nc_u32_e32 v43, v22, v23
	v_add_nc_u32_e32 v42, v43, v30
	ds_load_b64 v[21:22], v21 offset:12672
	v_add_nc_u32_e32 v41, v42, v31
	s_delay_alu instid0(VALU_DEP_1) | instskip(NEXT) | instid1(VALU_DEP_1)
	v_add_nc_u32_e32 v40, v41, v32
	v_add_nc_u32_e32 v28, v40, v33
	s_delay_alu instid0(VALU_DEP_1) | instskip(NEXT) | instid1(VALU_DEP_1)
	v_add_nc_u32_e32 v27, v28, v34
	v_add_nc_u32_e32 v26, v27, v35
	s_delay_alu instid0(VALU_DEP_1)
	v_add_nc_u32_e32 v25, v26, v36
	v_lshrrev_b64 v[23:24], 24, v[19:20]
	s_branch .LBB803_108
.LBB803_98:
                                        ; implicit-def: $vgpr25
                                        ; implicit-def: $vgpr26
                                        ; implicit-def: $vgpr27
                                        ; implicit-def: $vgpr28
                                        ; implicit-def: $vgpr40
                                        ; implicit-def: $vgpr41
                                        ; implicit-def: $vgpr42
                                        ; implicit-def: $vgpr43
                                        ; implicit-def: $vgpr22
	v_lshrrev_b64 v[23:24], 24, v[19:20]
	s_and_b32 vcc_lo, exec_lo, s7
	s_cbranch_vccz .LBB803_108
; %bb.99:
	s_waitcnt lgkmcnt(0)
	v_mov_b32_dpp v21, v39 row_shr:1 row_mask:0xf bank_mask:0xf
	s_delay_alu instid0(VALU_DEP_1) | instskip(NEXT) | instid1(VALU_DEP_1)
	v_cndmask_b32_e64 v21, v21, 0, s3
	v_add_nc_u32_e32 v21, v21, v39
	s_delay_alu instid0(VALU_DEP_1) | instskip(NEXT) | instid1(VALU_DEP_1)
	v_mov_b32_dpp v22, v21 row_shr:2 row_mask:0xf bank_mask:0xf
	v_cndmask_b32_e64 v22, 0, v22, s4
	s_delay_alu instid0(VALU_DEP_1) | instskip(NEXT) | instid1(VALU_DEP_1)
	v_add_nc_u32_e32 v21, v21, v22
	v_mov_b32_dpp v22, v21 row_shr:4 row_mask:0xf bank_mask:0xf
	s_delay_alu instid0(VALU_DEP_1) | instskip(NEXT) | instid1(VALU_DEP_1)
	v_cndmask_b32_e64 v22, 0, v22, s1
	v_add_nc_u32_e32 v21, v21, v22
	s_delay_alu instid0(VALU_DEP_1) | instskip(NEXT) | instid1(VALU_DEP_1)
	v_mov_b32_dpp v22, v21 row_shr:8 row_mask:0xf bank_mask:0xf
	v_cndmask_b32_e64 v22, 0, v22, s0
	s_delay_alu instid0(VALU_DEP_1) | instskip(SKIP_3) | instid1(VALU_DEP_1)
	v_add_nc_u32_e32 v21, v21, v22
	ds_swizzle_b32 v22, v21 offset:swizzle(BROADCAST,32,15)
	s_waitcnt lgkmcnt(0)
	v_cndmask_b32_e64 v22, v22, 0, s6
	v_add_nc_u32_e32 v21, v21, v22
	s_and_saveexec_b32 s6, s5
	s_cbranch_execz .LBB803_101
; %bb.100:
	v_lshlrev_b32_e32 v22, 2, v38
	ds_store_b32 v22, v21
.LBB803_101:
	s_or_b32 exec_lo, exec_lo, s6
	s_delay_alu instid0(SALU_CYCLE_1)
	s_mov_b32 s5, exec_lo
	s_waitcnt lgkmcnt(0)
	s_barrier
	buffer_gl0_inv
	v_cmpx_gt_u32_e32 12, v0
	s_cbranch_execz .LBB803_103
; %bb.102:
	v_lshlrev_b32_e32 v22, 2, v0
	ds_load_b32 v24, v22
	s_waitcnt lgkmcnt(0)
	v_mov_b32_dpp v25, v24 row_shr:1 row_mask:0xf bank_mask:0xf
	s_delay_alu instid0(VALU_DEP_1) | instskip(NEXT) | instid1(VALU_DEP_1)
	v_cndmask_b32_e64 v25, v25, 0, s3
	v_add_nc_u32_e32 v24, v25, v24
	s_delay_alu instid0(VALU_DEP_1) | instskip(NEXT) | instid1(VALU_DEP_1)
	v_mov_b32_dpp v25, v24 row_shr:2 row_mask:0xf bank_mask:0xf
	v_cndmask_b32_e64 v25, 0, v25, s4
	s_delay_alu instid0(VALU_DEP_1) | instskip(NEXT) | instid1(VALU_DEP_1)
	v_add_nc_u32_e32 v24, v24, v25
	v_mov_b32_dpp v25, v24 row_shr:4 row_mask:0xf bank_mask:0xf
	s_delay_alu instid0(VALU_DEP_1) | instskip(NEXT) | instid1(VALU_DEP_1)
	v_cndmask_b32_e64 v25, 0, v25, s1
	v_add_nc_u32_e32 v24, v24, v25
	s_delay_alu instid0(VALU_DEP_1) | instskip(NEXT) | instid1(VALU_DEP_1)
	v_mov_b32_dpp v25, v24 row_shr:8 row_mask:0xf bank_mask:0xf
	v_cndmask_b32_e64 v25, 0, v25, s0
	s_delay_alu instid0(VALU_DEP_1)
	v_add_nc_u32_e32 v24, v24, v25
	ds_store_b32 v22, v24
.LBB803_103:
	s_or_b32 exec_lo, exec_lo, s5
	v_cmp_lt_u32_e32 vcc_lo, 31, v0
	v_mov_b32_e32 v22, 0
	v_mov_b32_e32 v0, 0
	s_waitcnt lgkmcnt(0)
	s_barrier
	buffer_gl0_inv
	s_and_saveexec_b32 s0, vcc_lo
	s_cbranch_execz .LBB803_105
; %bb.104:
	v_lshl_add_u32 v0, v38, 2, -4
	ds_load_b32 v0, v0
.LBB803_105:
	s_or_b32 exec_lo, exec_lo, s0
	v_add_nc_u32_e32 v24, -1, v37
	s_waitcnt lgkmcnt(0)
	v_add_nc_u32_e32 v21, v0, v21
	s_delay_alu instid0(VALU_DEP_2) | instskip(SKIP_1) | instid1(VALU_DEP_1)
	v_cmp_gt_i32_e32 vcc_lo, 0, v24
	v_cndmask_b32_e32 v24, v24, v37, vcc_lo
	v_lshlrev_b32_e32 v24, 2, v24
	ds_bpermute_b32 v24, v24, v21
	ds_load_b32 v21, v22 offset:44
	s_and_saveexec_b32 s0, s2
	s_cbranch_execz .LBB803_107
; %bb.106:
	v_dual_mov_b32 v25, 0 :: v_dual_mov_b32 v22, 2
	s_waitcnt lgkmcnt(0)
	global_store_b64 v25, v[21:22], s[10:11] offset:256
.LBB803_107:
	s_or_b32 exec_lo, exec_lo, s0
	v_cmp_eq_u32_e32 vcc_lo, 0, v37
	s_waitcnt lgkmcnt(0)
	s_waitcnt_vscnt null, 0x0
	s_barrier
	buffer_gl0_inv
	v_mov_b32_e32 v22, 0
	v_cndmask_b32_e32 v0, v24, v0, vcc_lo
	s_delay_alu instid0(VALU_DEP_1) | instskip(NEXT) | instid1(VALU_DEP_1)
	v_cndmask_b32_e64 v43, v0, 0, s2
	v_add_nc_u32_e32 v42, v43, v30
	s_delay_alu instid0(VALU_DEP_1) | instskip(NEXT) | instid1(VALU_DEP_1)
	v_add_nc_u32_e32 v41, v42, v31
	v_add_nc_u32_e32 v40, v41, v32
	s_delay_alu instid0(VALU_DEP_1) | instskip(NEXT) | instid1(VALU_DEP_1)
	v_add_nc_u32_e32 v28, v40, v33
	;; [unrolled: 3-line block ×3, first 2 shown]
	v_add_nc_u32_e32 v25, v26, v36
.LBB803_108:
	v_lshrrev_b32_e32 v31, 8, v19
	v_lshrrev_b32_e32 v30, 16, v19
	v_and_b32_e32 v19, 1, v19
	s_waitcnt lgkmcnt(0)
	v_cmp_gt_u32_e32 vcc_lo, 0x181, v21
	v_lshrrev_b32_e32 v24, 8, v20
	v_lshrrev_b32_e32 v0, 16, v20
	v_cmp_lt_u32_e64 s0, 0x180, v21
	v_cmp_eq_u32_e64 s1, 1, v19
	s_cbranch_vccnz .LBB803_126
; %bb.109:
	s_delay_alu instid0(VALU_DEP_1)
	s_and_saveexec_b32 s3, s1
	s_cbranch_execz .LBB803_111
; %bb.110:
	v_sub_nc_u32_e32 v32, v43, v22
	s_delay_alu instid0(VALU_DEP_1)
	v_lshlrev_b32_e32 v32, 2, v32
	ds_store_b32 v32, v7
.LBB803_111:
	s_or_b32 exec_lo, exec_lo, s3
	v_and_b32_e32 v7, 1, v31
	s_mov_b32 s1, exec_lo
	s_delay_alu instid0(VALU_DEP_1)
	v_cmpx_eq_u32_e32 1, v7
	s_cbranch_execz .LBB803_113
; %bb.112:
	v_sub_nc_u32_e32 v7, v42, v22
	s_delay_alu instid0(VALU_DEP_1)
	v_lshlrev_b32_e32 v7, 2, v7
	ds_store_b32 v7, v8
.LBB803_113:
	s_or_b32 exec_lo, exec_lo, s1
	v_and_b32_e32 v7, 1, v30
	s_mov_b32 s1, exec_lo
	s_delay_alu instid0(VALU_DEP_1)
	v_cmpx_eq_u32_e32 1, v7
	;; [unrolled: 12-line block ×7, first 2 shown]
	s_cbranch_execz .LBB803_125
; %bb.124:
	v_sub_nc_u32_e32 v1, v25, v22
	s_delay_alu instid0(VALU_DEP_1)
	v_lshlrev_b32_e32 v1, 2, v1
	ds_store_b32 v1, v2
.LBB803_125:
	s_or_b32 exec_lo, exec_lo, s1
	s_waitcnt lgkmcnt(0)
	s_barrier
	buffer_gl0_inv
.LBB803_126:
	s_delay_alu instid0(VALU_DEP_2)
	s_and_not1_b32 vcc_lo, exec_lo, s0
	s_barrier
	buffer_gl0_inv
	s_cbranch_vccnz .LBB803_145
; %bb.127:
	s_mov_b32 s0, exec_lo
	v_cmpx_eq_u32_e32 1, v19
	s_cbranch_execz .LBB803_129
; %bb.128:
	v_sub_nc_u32_e32 v1, v43, v22
	s_delay_alu instid0(VALU_DEP_1)
	v_lshlrev_b32_e32 v1, 2, v1
	ds_store_b32 v1, v17
.LBB803_129:
	s_or_b32 exec_lo, exec_lo, s0
	v_and_b32_e32 v1, 1, v31
	s_mov_b32 s0, exec_lo
	s_delay_alu instid0(VALU_DEP_1)
	v_cmpx_eq_u32_e32 1, v1
	s_cbranch_execz .LBB803_131
; %bb.130:
	v_sub_nc_u32_e32 v1, v42, v22
	s_delay_alu instid0(VALU_DEP_1)
	v_lshlrev_b32_e32 v1, 2, v1
	ds_store_b32 v1, v18
.LBB803_131:
	s_or_b32 exec_lo, exec_lo, s0
	v_and_b32_e32 v1, 1, v30
	s_mov_b32 s0, exec_lo
	s_delay_alu instid0(VALU_DEP_1)
	;; [unrolled: 12-line block ×7, first 2 shown]
	v_cmpx_eq_u32_e32 1, v0
	s_cbranch_execz .LBB803_143
; %bb.142:
	v_sub_nc_u32_e32 v0, v25, v22
	s_delay_alu instid0(VALU_DEP_1)
	v_lshlrev_b32_e32 v0, 2, v0
	ds_store_b32 v0, v12
.LBB803_143:
	s_or_b32 exec_lo, exec_lo, s0
	s_waitcnt lgkmcnt(0)
	s_barrier
	buffer_gl0_inv
	s_and_b32 s0, s2, s16
	s_delay_alu instid0(SALU_CYCLE_1)
	s_and_saveexec_b32 s1, s0
	s_cbranch_execnz .LBB803_146
.LBB803_144:
	s_endpgm
.LBB803_145:
	s_and_b32 s0, s2, s16
	s_delay_alu instid0(SALU_CYCLE_1)
	s_and_saveexec_b32 s1, s0
	s_cbranch_execz .LBB803_144
.LBB803_146:
	v_add_co_u32 v0, vcc_lo, v9, v21
	v_add_co_ci_u32_e32 v1, vcc_lo, 0, v10, vcc_lo
	v_mov_b32_e32 v2, 0
	s_delay_alu instid0(VALU_DEP_3) | instskip(NEXT) | instid1(VALU_DEP_3)
	v_add_co_u32 v0, vcc_lo, v0, v22
	v_add_co_ci_u32_e32 v1, vcc_lo, 0, v1, vcc_lo
	global_store_b64 v2, v[0:1], s[12:13]
	s_nop 0
	s_sendmsg sendmsg(MSG_DEALLOC_VGPRS)
	s_endpgm
	.section	.rodata,"a",@progbits
	.p2align	6, 0x0
	.amdhsa_kernel _ZN7rocprim17ROCPRIM_400000_NS6detail17trampoline_kernelINS0_14default_configENS1_25partition_config_selectorILNS1_17partition_subalgoE9EjjbEEZZNS1_14partition_implILS5_9ELb0ES3_jN6thrust23THRUST_200600_302600_NS6detail15normal_iteratorINS9_10device_ptrIjEEEESE_PNS0_10empty_typeENS0_5tupleIJNS9_16discard_iteratorINS9_11use_defaultEEESF_EEENSH_IJSK_SG_EEENS0_18inequality_wrapperINS9_8equal_toIjEEEEPmJSF_EEE10hipError_tPvRmT3_T4_T5_T6_T7_T9_mT8_P12ihipStream_tbDpT10_ENKUlT_T0_E_clISt17integral_constantIbLb1EES1B_EEDaS16_S17_EUlS16_E_NS1_11comp_targetILNS1_3genE9ELNS1_11target_archE1100ELNS1_3gpuE3ELNS1_3repE0EEENS1_30default_config_static_selectorELNS0_4arch9wavefront6targetE0EEEvT1_
		.amdhsa_group_segment_fixed_size 12680
		.amdhsa_private_segment_fixed_size 0
		.amdhsa_kernarg_size 144
		.amdhsa_user_sgpr_count 15
		.amdhsa_user_sgpr_dispatch_ptr 0
		.amdhsa_user_sgpr_queue_ptr 0
		.amdhsa_user_sgpr_kernarg_segment_ptr 1
		.amdhsa_user_sgpr_dispatch_id 0
		.amdhsa_user_sgpr_private_segment_size 0
		.amdhsa_wavefront_size32 1
		.amdhsa_uses_dynamic_stack 0
		.amdhsa_enable_private_segment 0
		.amdhsa_system_sgpr_workgroup_id_x 1
		.amdhsa_system_sgpr_workgroup_id_y 0
		.amdhsa_system_sgpr_workgroup_id_z 0
		.amdhsa_system_sgpr_workgroup_info 0
		.amdhsa_system_vgpr_workitem_id 0
		.amdhsa_next_free_vgpr 53
		.amdhsa_next_free_sgpr 24
		.amdhsa_reserve_vcc 1
		.amdhsa_float_round_mode_32 0
		.amdhsa_float_round_mode_16_64 0
		.amdhsa_float_denorm_mode_32 3
		.amdhsa_float_denorm_mode_16_64 3
		.amdhsa_dx10_clamp 1
		.amdhsa_ieee_mode 1
		.amdhsa_fp16_overflow 0
		.amdhsa_workgroup_processor_mode 1
		.amdhsa_memory_ordered 1
		.amdhsa_forward_progress 0
		.amdhsa_shared_vgpr_count 0
		.amdhsa_exception_fp_ieee_invalid_op 0
		.amdhsa_exception_fp_denorm_src 0
		.amdhsa_exception_fp_ieee_div_zero 0
		.amdhsa_exception_fp_ieee_overflow 0
		.amdhsa_exception_fp_ieee_underflow 0
		.amdhsa_exception_fp_ieee_inexact 0
		.amdhsa_exception_int_div_zero 0
	.end_amdhsa_kernel
	.section	.text._ZN7rocprim17ROCPRIM_400000_NS6detail17trampoline_kernelINS0_14default_configENS1_25partition_config_selectorILNS1_17partition_subalgoE9EjjbEEZZNS1_14partition_implILS5_9ELb0ES3_jN6thrust23THRUST_200600_302600_NS6detail15normal_iteratorINS9_10device_ptrIjEEEESE_PNS0_10empty_typeENS0_5tupleIJNS9_16discard_iteratorINS9_11use_defaultEEESF_EEENSH_IJSK_SG_EEENS0_18inequality_wrapperINS9_8equal_toIjEEEEPmJSF_EEE10hipError_tPvRmT3_T4_T5_T6_T7_T9_mT8_P12ihipStream_tbDpT10_ENKUlT_T0_E_clISt17integral_constantIbLb1EES1B_EEDaS16_S17_EUlS16_E_NS1_11comp_targetILNS1_3genE9ELNS1_11target_archE1100ELNS1_3gpuE3ELNS1_3repE0EEENS1_30default_config_static_selectorELNS0_4arch9wavefront6targetE0EEEvT1_,"axG",@progbits,_ZN7rocprim17ROCPRIM_400000_NS6detail17trampoline_kernelINS0_14default_configENS1_25partition_config_selectorILNS1_17partition_subalgoE9EjjbEEZZNS1_14partition_implILS5_9ELb0ES3_jN6thrust23THRUST_200600_302600_NS6detail15normal_iteratorINS9_10device_ptrIjEEEESE_PNS0_10empty_typeENS0_5tupleIJNS9_16discard_iteratorINS9_11use_defaultEEESF_EEENSH_IJSK_SG_EEENS0_18inequality_wrapperINS9_8equal_toIjEEEEPmJSF_EEE10hipError_tPvRmT3_T4_T5_T6_T7_T9_mT8_P12ihipStream_tbDpT10_ENKUlT_T0_E_clISt17integral_constantIbLb1EES1B_EEDaS16_S17_EUlS16_E_NS1_11comp_targetILNS1_3genE9ELNS1_11target_archE1100ELNS1_3gpuE3ELNS1_3repE0EEENS1_30default_config_static_selectorELNS0_4arch9wavefront6targetE0EEEvT1_,comdat
.Lfunc_end803:
	.size	_ZN7rocprim17ROCPRIM_400000_NS6detail17trampoline_kernelINS0_14default_configENS1_25partition_config_selectorILNS1_17partition_subalgoE9EjjbEEZZNS1_14partition_implILS5_9ELb0ES3_jN6thrust23THRUST_200600_302600_NS6detail15normal_iteratorINS9_10device_ptrIjEEEESE_PNS0_10empty_typeENS0_5tupleIJNS9_16discard_iteratorINS9_11use_defaultEEESF_EEENSH_IJSK_SG_EEENS0_18inequality_wrapperINS9_8equal_toIjEEEEPmJSF_EEE10hipError_tPvRmT3_T4_T5_T6_T7_T9_mT8_P12ihipStream_tbDpT10_ENKUlT_T0_E_clISt17integral_constantIbLb1EES1B_EEDaS16_S17_EUlS16_E_NS1_11comp_targetILNS1_3genE9ELNS1_11target_archE1100ELNS1_3gpuE3ELNS1_3repE0EEENS1_30default_config_static_selectorELNS0_4arch9wavefront6targetE0EEEvT1_, .Lfunc_end803-_ZN7rocprim17ROCPRIM_400000_NS6detail17trampoline_kernelINS0_14default_configENS1_25partition_config_selectorILNS1_17partition_subalgoE9EjjbEEZZNS1_14partition_implILS5_9ELb0ES3_jN6thrust23THRUST_200600_302600_NS6detail15normal_iteratorINS9_10device_ptrIjEEEESE_PNS0_10empty_typeENS0_5tupleIJNS9_16discard_iteratorINS9_11use_defaultEEESF_EEENSH_IJSK_SG_EEENS0_18inequality_wrapperINS9_8equal_toIjEEEEPmJSF_EEE10hipError_tPvRmT3_T4_T5_T6_T7_T9_mT8_P12ihipStream_tbDpT10_ENKUlT_T0_E_clISt17integral_constantIbLb1EES1B_EEDaS16_S17_EUlS16_E_NS1_11comp_targetILNS1_3genE9ELNS1_11target_archE1100ELNS1_3gpuE3ELNS1_3repE0EEENS1_30default_config_static_selectorELNS0_4arch9wavefront6targetE0EEEvT1_
                                        ; -- End function
	.section	.AMDGPU.csdata,"",@progbits
; Kernel info:
; codeLenInByte = 7688
; NumSgprs: 26
; NumVgprs: 53
; ScratchSize: 0
; MemoryBound: 0
; FloatMode: 240
; IeeeMode: 1
; LDSByteSize: 12680 bytes/workgroup (compile time only)
; SGPRBlocks: 3
; VGPRBlocks: 6
; NumSGPRsForWavesPerEU: 26
; NumVGPRsForWavesPerEU: 53
; Occupancy: 15
; WaveLimiterHint : 1
; COMPUTE_PGM_RSRC2:SCRATCH_EN: 0
; COMPUTE_PGM_RSRC2:USER_SGPR: 15
; COMPUTE_PGM_RSRC2:TRAP_HANDLER: 0
; COMPUTE_PGM_RSRC2:TGID_X_EN: 1
; COMPUTE_PGM_RSRC2:TGID_Y_EN: 0
; COMPUTE_PGM_RSRC2:TGID_Z_EN: 0
; COMPUTE_PGM_RSRC2:TIDIG_COMP_CNT: 0
	.section	.text._ZN7rocprim17ROCPRIM_400000_NS6detail17trampoline_kernelINS0_14default_configENS1_25partition_config_selectorILNS1_17partition_subalgoE9EjjbEEZZNS1_14partition_implILS5_9ELb0ES3_jN6thrust23THRUST_200600_302600_NS6detail15normal_iteratorINS9_10device_ptrIjEEEESE_PNS0_10empty_typeENS0_5tupleIJNS9_16discard_iteratorINS9_11use_defaultEEESF_EEENSH_IJSK_SG_EEENS0_18inequality_wrapperINS9_8equal_toIjEEEEPmJSF_EEE10hipError_tPvRmT3_T4_T5_T6_T7_T9_mT8_P12ihipStream_tbDpT10_ENKUlT_T0_E_clISt17integral_constantIbLb1EES1B_EEDaS16_S17_EUlS16_E_NS1_11comp_targetILNS1_3genE8ELNS1_11target_archE1030ELNS1_3gpuE2ELNS1_3repE0EEENS1_30default_config_static_selectorELNS0_4arch9wavefront6targetE0EEEvT1_,"axG",@progbits,_ZN7rocprim17ROCPRIM_400000_NS6detail17trampoline_kernelINS0_14default_configENS1_25partition_config_selectorILNS1_17partition_subalgoE9EjjbEEZZNS1_14partition_implILS5_9ELb0ES3_jN6thrust23THRUST_200600_302600_NS6detail15normal_iteratorINS9_10device_ptrIjEEEESE_PNS0_10empty_typeENS0_5tupleIJNS9_16discard_iteratorINS9_11use_defaultEEESF_EEENSH_IJSK_SG_EEENS0_18inequality_wrapperINS9_8equal_toIjEEEEPmJSF_EEE10hipError_tPvRmT3_T4_T5_T6_T7_T9_mT8_P12ihipStream_tbDpT10_ENKUlT_T0_E_clISt17integral_constantIbLb1EES1B_EEDaS16_S17_EUlS16_E_NS1_11comp_targetILNS1_3genE8ELNS1_11target_archE1030ELNS1_3gpuE2ELNS1_3repE0EEENS1_30default_config_static_selectorELNS0_4arch9wavefront6targetE0EEEvT1_,comdat
	.protected	_ZN7rocprim17ROCPRIM_400000_NS6detail17trampoline_kernelINS0_14default_configENS1_25partition_config_selectorILNS1_17partition_subalgoE9EjjbEEZZNS1_14partition_implILS5_9ELb0ES3_jN6thrust23THRUST_200600_302600_NS6detail15normal_iteratorINS9_10device_ptrIjEEEESE_PNS0_10empty_typeENS0_5tupleIJNS9_16discard_iteratorINS9_11use_defaultEEESF_EEENSH_IJSK_SG_EEENS0_18inequality_wrapperINS9_8equal_toIjEEEEPmJSF_EEE10hipError_tPvRmT3_T4_T5_T6_T7_T9_mT8_P12ihipStream_tbDpT10_ENKUlT_T0_E_clISt17integral_constantIbLb1EES1B_EEDaS16_S17_EUlS16_E_NS1_11comp_targetILNS1_3genE8ELNS1_11target_archE1030ELNS1_3gpuE2ELNS1_3repE0EEENS1_30default_config_static_selectorELNS0_4arch9wavefront6targetE0EEEvT1_ ; -- Begin function _ZN7rocprim17ROCPRIM_400000_NS6detail17trampoline_kernelINS0_14default_configENS1_25partition_config_selectorILNS1_17partition_subalgoE9EjjbEEZZNS1_14partition_implILS5_9ELb0ES3_jN6thrust23THRUST_200600_302600_NS6detail15normal_iteratorINS9_10device_ptrIjEEEESE_PNS0_10empty_typeENS0_5tupleIJNS9_16discard_iteratorINS9_11use_defaultEEESF_EEENSH_IJSK_SG_EEENS0_18inequality_wrapperINS9_8equal_toIjEEEEPmJSF_EEE10hipError_tPvRmT3_T4_T5_T6_T7_T9_mT8_P12ihipStream_tbDpT10_ENKUlT_T0_E_clISt17integral_constantIbLb1EES1B_EEDaS16_S17_EUlS16_E_NS1_11comp_targetILNS1_3genE8ELNS1_11target_archE1030ELNS1_3gpuE2ELNS1_3repE0EEENS1_30default_config_static_selectorELNS0_4arch9wavefront6targetE0EEEvT1_
	.globl	_ZN7rocprim17ROCPRIM_400000_NS6detail17trampoline_kernelINS0_14default_configENS1_25partition_config_selectorILNS1_17partition_subalgoE9EjjbEEZZNS1_14partition_implILS5_9ELb0ES3_jN6thrust23THRUST_200600_302600_NS6detail15normal_iteratorINS9_10device_ptrIjEEEESE_PNS0_10empty_typeENS0_5tupleIJNS9_16discard_iteratorINS9_11use_defaultEEESF_EEENSH_IJSK_SG_EEENS0_18inequality_wrapperINS9_8equal_toIjEEEEPmJSF_EEE10hipError_tPvRmT3_T4_T5_T6_T7_T9_mT8_P12ihipStream_tbDpT10_ENKUlT_T0_E_clISt17integral_constantIbLb1EES1B_EEDaS16_S17_EUlS16_E_NS1_11comp_targetILNS1_3genE8ELNS1_11target_archE1030ELNS1_3gpuE2ELNS1_3repE0EEENS1_30default_config_static_selectorELNS0_4arch9wavefront6targetE0EEEvT1_
	.p2align	8
	.type	_ZN7rocprim17ROCPRIM_400000_NS6detail17trampoline_kernelINS0_14default_configENS1_25partition_config_selectorILNS1_17partition_subalgoE9EjjbEEZZNS1_14partition_implILS5_9ELb0ES3_jN6thrust23THRUST_200600_302600_NS6detail15normal_iteratorINS9_10device_ptrIjEEEESE_PNS0_10empty_typeENS0_5tupleIJNS9_16discard_iteratorINS9_11use_defaultEEESF_EEENSH_IJSK_SG_EEENS0_18inequality_wrapperINS9_8equal_toIjEEEEPmJSF_EEE10hipError_tPvRmT3_T4_T5_T6_T7_T9_mT8_P12ihipStream_tbDpT10_ENKUlT_T0_E_clISt17integral_constantIbLb1EES1B_EEDaS16_S17_EUlS16_E_NS1_11comp_targetILNS1_3genE8ELNS1_11target_archE1030ELNS1_3gpuE2ELNS1_3repE0EEENS1_30default_config_static_selectorELNS0_4arch9wavefront6targetE0EEEvT1_,@function
_ZN7rocprim17ROCPRIM_400000_NS6detail17trampoline_kernelINS0_14default_configENS1_25partition_config_selectorILNS1_17partition_subalgoE9EjjbEEZZNS1_14partition_implILS5_9ELb0ES3_jN6thrust23THRUST_200600_302600_NS6detail15normal_iteratorINS9_10device_ptrIjEEEESE_PNS0_10empty_typeENS0_5tupleIJNS9_16discard_iteratorINS9_11use_defaultEEESF_EEENSH_IJSK_SG_EEENS0_18inequality_wrapperINS9_8equal_toIjEEEEPmJSF_EEE10hipError_tPvRmT3_T4_T5_T6_T7_T9_mT8_P12ihipStream_tbDpT10_ENKUlT_T0_E_clISt17integral_constantIbLb1EES1B_EEDaS16_S17_EUlS16_E_NS1_11comp_targetILNS1_3genE8ELNS1_11target_archE1030ELNS1_3gpuE2ELNS1_3repE0EEENS1_30default_config_static_selectorELNS0_4arch9wavefront6targetE0EEEvT1_: ; @_ZN7rocprim17ROCPRIM_400000_NS6detail17trampoline_kernelINS0_14default_configENS1_25partition_config_selectorILNS1_17partition_subalgoE9EjjbEEZZNS1_14partition_implILS5_9ELb0ES3_jN6thrust23THRUST_200600_302600_NS6detail15normal_iteratorINS9_10device_ptrIjEEEESE_PNS0_10empty_typeENS0_5tupleIJNS9_16discard_iteratorINS9_11use_defaultEEESF_EEENSH_IJSK_SG_EEENS0_18inequality_wrapperINS9_8equal_toIjEEEEPmJSF_EEE10hipError_tPvRmT3_T4_T5_T6_T7_T9_mT8_P12ihipStream_tbDpT10_ENKUlT_T0_E_clISt17integral_constantIbLb1EES1B_EEDaS16_S17_EUlS16_E_NS1_11comp_targetILNS1_3genE8ELNS1_11target_archE1030ELNS1_3gpuE2ELNS1_3repE0EEENS1_30default_config_static_selectorELNS0_4arch9wavefront6targetE0EEEvT1_
; %bb.0:
	.section	.rodata,"a",@progbits
	.p2align	6, 0x0
	.amdhsa_kernel _ZN7rocprim17ROCPRIM_400000_NS6detail17trampoline_kernelINS0_14default_configENS1_25partition_config_selectorILNS1_17partition_subalgoE9EjjbEEZZNS1_14partition_implILS5_9ELb0ES3_jN6thrust23THRUST_200600_302600_NS6detail15normal_iteratorINS9_10device_ptrIjEEEESE_PNS0_10empty_typeENS0_5tupleIJNS9_16discard_iteratorINS9_11use_defaultEEESF_EEENSH_IJSK_SG_EEENS0_18inequality_wrapperINS9_8equal_toIjEEEEPmJSF_EEE10hipError_tPvRmT3_T4_T5_T6_T7_T9_mT8_P12ihipStream_tbDpT10_ENKUlT_T0_E_clISt17integral_constantIbLb1EES1B_EEDaS16_S17_EUlS16_E_NS1_11comp_targetILNS1_3genE8ELNS1_11target_archE1030ELNS1_3gpuE2ELNS1_3repE0EEENS1_30default_config_static_selectorELNS0_4arch9wavefront6targetE0EEEvT1_
		.amdhsa_group_segment_fixed_size 0
		.amdhsa_private_segment_fixed_size 0
		.amdhsa_kernarg_size 144
		.amdhsa_user_sgpr_count 15
		.amdhsa_user_sgpr_dispatch_ptr 0
		.amdhsa_user_sgpr_queue_ptr 0
		.amdhsa_user_sgpr_kernarg_segment_ptr 1
		.amdhsa_user_sgpr_dispatch_id 0
		.amdhsa_user_sgpr_private_segment_size 0
		.amdhsa_wavefront_size32 1
		.amdhsa_uses_dynamic_stack 0
		.amdhsa_enable_private_segment 0
		.amdhsa_system_sgpr_workgroup_id_x 1
		.amdhsa_system_sgpr_workgroup_id_y 0
		.amdhsa_system_sgpr_workgroup_id_z 0
		.amdhsa_system_sgpr_workgroup_info 0
		.amdhsa_system_vgpr_workitem_id 0
		.amdhsa_next_free_vgpr 1
		.amdhsa_next_free_sgpr 1
		.amdhsa_reserve_vcc 0
		.amdhsa_float_round_mode_32 0
		.amdhsa_float_round_mode_16_64 0
		.amdhsa_float_denorm_mode_32 3
		.amdhsa_float_denorm_mode_16_64 3
		.amdhsa_dx10_clamp 1
		.amdhsa_ieee_mode 1
		.amdhsa_fp16_overflow 0
		.amdhsa_workgroup_processor_mode 1
		.amdhsa_memory_ordered 1
		.amdhsa_forward_progress 0
		.amdhsa_shared_vgpr_count 0
		.amdhsa_exception_fp_ieee_invalid_op 0
		.amdhsa_exception_fp_denorm_src 0
		.amdhsa_exception_fp_ieee_div_zero 0
		.amdhsa_exception_fp_ieee_overflow 0
		.amdhsa_exception_fp_ieee_underflow 0
		.amdhsa_exception_fp_ieee_inexact 0
		.amdhsa_exception_int_div_zero 0
	.end_amdhsa_kernel
	.section	.text._ZN7rocprim17ROCPRIM_400000_NS6detail17trampoline_kernelINS0_14default_configENS1_25partition_config_selectorILNS1_17partition_subalgoE9EjjbEEZZNS1_14partition_implILS5_9ELb0ES3_jN6thrust23THRUST_200600_302600_NS6detail15normal_iteratorINS9_10device_ptrIjEEEESE_PNS0_10empty_typeENS0_5tupleIJNS9_16discard_iteratorINS9_11use_defaultEEESF_EEENSH_IJSK_SG_EEENS0_18inequality_wrapperINS9_8equal_toIjEEEEPmJSF_EEE10hipError_tPvRmT3_T4_T5_T6_T7_T9_mT8_P12ihipStream_tbDpT10_ENKUlT_T0_E_clISt17integral_constantIbLb1EES1B_EEDaS16_S17_EUlS16_E_NS1_11comp_targetILNS1_3genE8ELNS1_11target_archE1030ELNS1_3gpuE2ELNS1_3repE0EEENS1_30default_config_static_selectorELNS0_4arch9wavefront6targetE0EEEvT1_,"axG",@progbits,_ZN7rocprim17ROCPRIM_400000_NS6detail17trampoline_kernelINS0_14default_configENS1_25partition_config_selectorILNS1_17partition_subalgoE9EjjbEEZZNS1_14partition_implILS5_9ELb0ES3_jN6thrust23THRUST_200600_302600_NS6detail15normal_iteratorINS9_10device_ptrIjEEEESE_PNS0_10empty_typeENS0_5tupleIJNS9_16discard_iteratorINS9_11use_defaultEEESF_EEENSH_IJSK_SG_EEENS0_18inequality_wrapperINS9_8equal_toIjEEEEPmJSF_EEE10hipError_tPvRmT3_T4_T5_T6_T7_T9_mT8_P12ihipStream_tbDpT10_ENKUlT_T0_E_clISt17integral_constantIbLb1EES1B_EEDaS16_S17_EUlS16_E_NS1_11comp_targetILNS1_3genE8ELNS1_11target_archE1030ELNS1_3gpuE2ELNS1_3repE0EEENS1_30default_config_static_selectorELNS0_4arch9wavefront6targetE0EEEvT1_,comdat
.Lfunc_end804:
	.size	_ZN7rocprim17ROCPRIM_400000_NS6detail17trampoline_kernelINS0_14default_configENS1_25partition_config_selectorILNS1_17partition_subalgoE9EjjbEEZZNS1_14partition_implILS5_9ELb0ES3_jN6thrust23THRUST_200600_302600_NS6detail15normal_iteratorINS9_10device_ptrIjEEEESE_PNS0_10empty_typeENS0_5tupleIJNS9_16discard_iteratorINS9_11use_defaultEEESF_EEENSH_IJSK_SG_EEENS0_18inequality_wrapperINS9_8equal_toIjEEEEPmJSF_EEE10hipError_tPvRmT3_T4_T5_T6_T7_T9_mT8_P12ihipStream_tbDpT10_ENKUlT_T0_E_clISt17integral_constantIbLb1EES1B_EEDaS16_S17_EUlS16_E_NS1_11comp_targetILNS1_3genE8ELNS1_11target_archE1030ELNS1_3gpuE2ELNS1_3repE0EEENS1_30default_config_static_selectorELNS0_4arch9wavefront6targetE0EEEvT1_, .Lfunc_end804-_ZN7rocprim17ROCPRIM_400000_NS6detail17trampoline_kernelINS0_14default_configENS1_25partition_config_selectorILNS1_17partition_subalgoE9EjjbEEZZNS1_14partition_implILS5_9ELb0ES3_jN6thrust23THRUST_200600_302600_NS6detail15normal_iteratorINS9_10device_ptrIjEEEESE_PNS0_10empty_typeENS0_5tupleIJNS9_16discard_iteratorINS9_11use_defaultEEESF_EEENSH_IJSK_SG_EEENS0_18inequality_wrapperINS9_8equal_toIjEEEEPmJSF_EEE10hipError_tPvRmT3_T4_T5_T6_T7_T9_mT8_P12ihipStream_tbDpT10_ENKUlT_T0_E_clISt17integral_constantIbLb1EES1B_EEDaS16_S17_EUlS16_E_NS1_11comp_targetILNS1_3genE8ELNS1_11target_archE1030ELNS1_3gpuE2ELNS1_3repE0EEENS1_30default_config_static_selectorELNS0_4arch9wavefront6targetE0EEEvT1_
                                        ; -- End function
	.section	.AMDGPU.csdata,"",@progbits
; Kernel info:
; codeLenInByte = 0
; NumSgprs: 0
; NumVgprs: 0
; ScratchSize: 0
; MemoryBound: 0
; FloatMode: 240
; IeeeMode: 1
; LDSByteSize: 0 bytes/workgroup (compile time only)
; SGPRBlocks: 0
; VGPRBlocks: 0
; NumSGPRsForWavesPerEU: 1
; NumVGPRsForWavesPerEU: 1
; Occupancy: 16
; WaveLimiterHint : 0
; COMPUTE_PGM_RSRC2:SCRATCH_EN: 0
; COMPUTE_PGM_RSRC2:USER_SGPR: 15
; COMPUTE_PGM_RSRC2:TRAP_HANDLER: 0
; COMPUTE_PGM_RSRC2:TGID_X_EN: 1
; COMPUTE_PGM_RSRC2:TGID_Y_EN: 0
; COMPUTE_PGM_RSRC2:TGID_Z_EN: 0
; COMPUTE_PGM_RSRC2:TIDIG_COMP_CNT: 0
	.section	.text._ZN7rocprim17ROCPRIM_400000_NS6detail17trampoline_kernelINS0_14default_configENS1_25partition_config_selectorILNS1_17partition_subalgoE9EjjbEEZZNS1_14partition_implILS5_9ELb0ES3_jN6thrust23THRUST_200600_302600_NS6detail15normal_iteratorINS9_10device_ptrIjEEEESE_PNS0_10empty_typeENS0_5tupleIJNS9_16discard_iteratorINS9_11use_defaultEEESF_EEENSH_IJSK_SG_EEENS0_18inequality_wrapperINS9_8equal_toIjEEEEPmJSF_EEE10hipError_tPvRmT3_T4_T5_T6_T7_T9_mT8_P12ihipStream_tbDpT10_ENKUlT_T0_E_clISt17integral_constantIbLb1EES1A_IbLb0EEEEDaS16_S17_EUlS16_E_NS1_11comp_targetILNS1_3genE0ELNS1_11target_archE4294967295ELNS1_3gpuE0ELNS1_3repE0EEENS1_30default_config_static_selectorELNS0_4arch9wavefront6targetE0EEEvT1_,"axG",@progbits,_ZN7rocprim17ROCPRIM_400000_NS6detail17trampoline_kernelINS0_14default_configENS1_25partition_config_selectorILNS1_17partition_subalgoE9EjjbEEZZNS1_14partition_implILS5_9ELb0ES3_jN6thrust23THRUST_200600_302600_NS6detail15normal_iteratorINS9_10device_ptrIjEEEESE_PNS0_10empty_typeENS0_5tupleIJNS9_16discard_iteratorINS9_11use_defaultEEESF_EEENSH_IJSK_SG_EEENS0_18inequality_wrapperINS9_8equal_toIjEEEEPmJSF_EEE10hipError_tPvRmT3_T4_T5_T6_T7_T9_mT8_P12ihipStream_tbDpT10_ENKUlT_T0_E_clISt17integral_constantIbLb1EES1A_IbLb0EEEEDaS16_S17_EUlS16_E_NS1_11comp_targetILNS1_3genE0ELNS1_11target_archE4294967295ELNS1_3gpuE0ELNS1_3repE0EEENS1_30default_config_static_selectorELNS0_4arch9wavefront6targetE0EEEvT1_,comdat
	.protected	_ZN7rocprim17ROCPRIM_400000_NS6detail17trampoline_kernelINS0_14default_configENS1_25partition_config_selectorILNS1_17partition_subalgoE9EjjbEEZZNS1_14partition_implILS5_9ELb0ES3_jN6thrust23THRUST_200600_302600_NS6detail15normal_iteratorINS9_10device_ptrIjEEEESE_PNS0_10empty_typeENS0_5tupleIJNS9_16discard_iteratorINS9_11use_defaultEEESF_EEENSH_IJSK_SG_EEENS0_18inequality_wrapperINS9_8equal_toIjEEEEPmJSF_EEE10hipError_tPvRmT3_T4_T5_T6_T7_T9_mT8_P12ihipStream_tbDpT10_ENKUlT_T0_E_clISt17integral_constantIbLb1EES1A_IbLb0EEEEDaS16_S17_EUlS16_E_NS1_11comp_targetILNS1_3genE0ELNS1_11target_archE4294967295ELNS1_3gpuE0ELNS1_3repE0EEENS1_30default_config_static_selectorELNS0_4arch9wavefront6targetE0EEEvT1_ ; -- Begin function _ZN7rocprim17ROCPRIM_400000_NS6detail17trampoline_kernelINS0_14default_configENS1_25partition_config_selectorILNS1_17partition_subalgoE9EjjbEEZZNS1_14partition_implILS5_9ELb0ES3_jN6thrust23THRUST_200600_302600_NS6detail15normal_iteratorINS9_10device_ptrIjEEEESE_PNS0_10empty_typeENS0_5tupleIJNS9_16discard_iteratorINS9_11use_defaultEEESF_EEENSH_IJSK_SG_EEENS0_18inequality_wrapperINS9_8equal_toIjEEEEPmJSF_EEE10hipError_tPvRmT3_T4_T5_T6_T7_T9_mT8_P12ihipStream_tbDpT10_ENKUlT_T0_E_clISt17integral_constantIbLb1EES1A_IbLb0EEEEDaS16_S17_EUlS16_E_NS1_11comp_targetILNS1_3genE0ELNS1_11target_archE4294967295ELNS1_3gpuE0ELNS1_3repE0EEENS1_30default_config_static_selectorELNS0_4arch9wavefront6targetE0EEEvT1_
	.globl	_ZN7rocprim17ROCPRIM_400000_NS6detail17trampoline_kernelINS0_14default_configENS1_25partition_config_selectorILNS1_17partition_subalgoE9EjjbEEZZNS1_14partition_implILS5_9ELb0ES3_jN6thrust23THRUST_200600_302600_NS6detail15normal_iteratorINS9_10device_ptrIjEEEESE_PNS0_10empty_typeENS0_5tupleIJNS9_16discard_iteratorINS9_11use_defaultEEESF_EEENSH_IJSK_SG_EEENS0_18inequality_wrapperINS9_8equal_toIjEEEEPmJSF_EEE10hipError_tPvRmT3_T4_T5_T6_T7_T9_mT8_P12ihipStream_tbDpT10_ENKUlT_T0_E_clISt17integral_constantIbLb1EES1A_IbLb0EEEEDaS16_S17_EUlS16_E_NS1_11comp_targetILNS1_3genE0ELNS1_11target_archE4294967295ELNS1_3gpuE0ELNS1_3repE0EEENS1_30default_config_static_selectorELNS0_4arch9wavefront6targetE0EEEvT1_
	.p2align	8
	.type	_ZN7rocprim17ROCPRIM_400000_NS6detail17trampoline_kernelINS0_14default_configENS1_25partition_config_selectorILNS1_17partition_subalgoE9EjjbEEZZNS1_14partition_implILS5_9ELb0ES3_jN6thrust23THRUST_200600_302600_NS6detail15normal_iteratorINS9_10device_ptrIjEEEESE_PNS0_10empty_typeENS0_5tupleIJNS9_16discard_iteratorINS9_11use_defaultEEESF_EEENSH_IJSK_SG_EEENS0_18inequality_wrapperINS9_8equal_toIjEEEEPmJSF_EEE10hipError_tPvRmT3_T4_T5_T6_T7_T9_mT8_P12ihipStream_tbDpT10_ENKUlT_T0_E_clISt17integral_constantIbLb1EES1A_IbLb0EEEEDaS16_S17_EUlS16_E_NS1_11comp_targetILNS1_3genE0ELNS1_11target_archE4294967295ELNS1_3gpuE0ELNS1_3repE0EEENS1_30default_config_static_selectorELNS0_4arch9wavefront6targetE0EEEvT1_,@function
_ZN7rocprim17ROCPRIM_400000_NS6detail17trampoline_kernelINS0_14default_configENS1_25partition_config_selectorILNS1_17partition_subalgoE9EjjbEEZZNS1_14partition_implILS5_9ELb0ES3_jN6thrust23THRUST_200600_302600_NS6detail15normal_iteratorINS9_10device_ptrIjEEEESE_PNS0_10empty_typeENS0_5tupleIJNS9_16discard_iteratorINS9_11use_defaultEEESF_EEENSH_IJSK_SG_EEENS0_18inequality_wrapperINS9_8equal_toIjEEEEPmJSF_EEE10hipError_tPvRmT3_T4_T5_T6_T7_T9_mT8_P12ihipStream_tbDpT10_ENKUlT_T0_E_clISt17integral_constantIbLb1EES1A_IbLb0EEEEDaS16_S17_EUlS16_E_NS1_11comp_targetILNS1_3genE0ELNS1_11target_archE4294967295ELNS1_3gpuE0ELNS1_3repE0EEENS1_30default_config_static_selectorELNS0_4arch9wavefront6targetE0EEEvT1_: ; @_ZN7rocprim17ROCPRIM_400000_NS6detail17trampoline_kernelINS0_14default_configENS1_25partition_config_selectorILNS1_17partition_subalgoE9EjjbEEZZNS1_14partition_implILS5_9ELb0ES3_jN6thrust23THRUST_200600_302600_NS6detail15normal_iteratorINS9_10device_ptrIjEEEESE_PNS0_10empty_typeENS0_5tupleIJNS9_16discard_iteratorINS9_11use_defaultEEESF_EEENSH_IJSK_SG_EEENS0_18inequality_wrapperINS9_8equal_toIjEEEEPmJSF_EEE10hipError_tPvRmT3_T4_T5_T6_T7_T9_mT8_P12ihipStream_tbDpT10_ENKUlT_T0_E_clISt17integral_constantIbLb1EES1A_IbLb0EEEEDaS16_S17_EUlS16_E_NS1_11comp_targetILNS1_3genE0ELNS1_11target_archE4294967295ELNS1_3gpuE0ELNS1_3repE0EEENS1_30default_config_static_selectorELNS0_4arch9wavefront6targetE0EEEvT1_
; %bb.0:
	.section	.rodata,"a",@progbits
	.p2align	6, 0x0
	.amdhsa_kernel _ZN7rocprim17ROCPRIM_400000_NS6detail17trampoline_kernelINS0_14default_configENS1_25partition_config_selectorILNS1_17partition_subalgoE9EjjbEEZZNS1_14partition_implILS5_9ELb0ES3_jN6thrust23THRUST_200600_302600_NS6detail15normal_iteratorINS9_10device_ptrIjEEEESE_PNS0_10empty_typeENS0_5tupleIJNS9_16discard_iteratorINS9_11use_defaultEEESF_EEENSH_IJSK_SG_EEENS0_18inequality_wrapperINS9_8equal_toIjEEEEPmJSF_EEE10hipError_tPvRmT3_T4_T5_T6_T7_T9_mT8_P12ihipStream_tbDpT10_ENKUlT_T0_E_clISt17integral_constantIbLb1EES1A_IbLb0EEEEDaS16_S17_EUlS16_E_NS1_11comp_targetILNS1_3genE0ELNS1_11target_archE4294967295ELNS1_3gpuE0ELNS1_3repE0EEENS1_30default_config_static_selectorELNS0_4arch9wavefront6targetE0EEEvT1_
		.amdhsa_group_segment_fixed_size 0
		.amdhsa_private_segment_fixed_size 0
		.amdhsa_kernarg_size 128
		.amdhsa_user_sgpr_count 15
		.amdhsa_user_sgpr_dispatch_ptr 0
		.amdhsa_user_sgpr_queue_ptr 0
		.amdhsa_user_sgpr_kernarg_segment_ptr 1
		.amdhsa_user_sgpr_dispatch_id 0
		.amdhsa_user_sgpr_private_segment_size 0
		.amdhsa_wavefront_size32 1
		.amdhsa_uses_dynamic_stack 0
		.amdhsa_enable_private_segment 0
		.amdhsa_system_sgpr_workgroup_id_x 1
		.amdhsa_system_sgpr_workgroup_id_y 0
		.amdhsa_system_sgpr_workgroup_id_z 0
		.amdhsa_system_sgpr_workgroup_info 0
		.amdhsa_system_vgpr_workitem_id 0
		.amdhsa_next_free_vgpr 1
		.amdhsa_next_free_sgpr 1
		.amdhsa_reserve_vcc 0
		.amdhsa_float_round_mode_32 0
		.amdhsa_float_round_mode_16_64 0
		.amdhsa_float_denorm_mode_32 3
		.amdhsa_float_denorm_mode_16_64 3
		.amdhsa_dx10_clamp 1
		.amdhsa_ieee_mode 1
		.amdhsa_fp16_overflow 0
		.amdhsa_workgroup_processor_mode 1
		.amdhsa_memory_ordered 1
		.amdhsa_forward_progress 0
		.amdhsa_shared_vgpr_count 0
		.amdhsa_exception_fp_ieee_invalid_op 0
		.amdhsa_exception_fp_denorm_src 0
		.amdhsa_exception_fp_ieee_div_zero 0
		.amdhsa_exception_fp_ieee_overflow 0
		.amdhsa_exception_fp_ieee_underflow 0
		.amdhsa_exception_fp_ieee_inexact 0
		.amdhsa_exception_int_div_zero 0
	.end_amdhsa_kernel
	.section	.text._ZN7rocprim17ROCPRIM_400000_NS6detail17trampoline_kernelINS0_14default_configENS1_25partition_config_selectorILNS1_17partition_subalgoE9EjjbEEZZNS1_14partition_implILS5_9ELb0ES3_jN6thrust23THRUST_200600_302600_NS6detail15normal_iteratorINS9_10device_ptrIjEEEESE_PNS0_10empty_typeENS0_5tupleIJNS9_16discard_iteratorINS9_11use_defaultEEESF_EEENSH_IJSK_SG_EEENS0_18inequality_wrapperINS9_8equal_toIjEEEEPmJSF_EEE10hipError_tPvRmT3_T4_T5_T6_T7_T9_mT8_P12ihipStream_tbDpT10_ENKUlT_T0_E_clISt17integral_constantIbLb1EES1A_IbLb0EEEEDaS16_S17_EUlS16_E_NS1_11comp_targetILNS1_3genE0ELNS1_11target_archE4294967295ELNS1_3gpuE0ELNS1_3repE0EEENS1_30default_config_static_selectorELNS0_4arch9wavefront6targetE0EEEvT1_,"axG",@progbits,_ZN7rocprim17ROCPRIM_400000_NS6detail17trampoline_kernelINS0_14default_configENS1_25partition_config_selectorILNS1_17partition_subalgoE9EjjbEEZZNS1_14partition_implILS5_9ELb0ES3_jN6thrust23THRUST_200600_302600_NS6detail15normal_iteratorINS9_10device_ptrIjEEEESE_PNS0_10empty_typeENS0_5tupleIJNS9_16discard_iteratorINS9_11use_defaultEEESF_EEENSH_IJSK_SG_EEENS0_18inequality_wrapperINS9_8equal_toIjEEEEPmJSF_EEE10hipError_tPvRmT3_T4_T5_T6_T7_T9_mT8_P12ihipStream_tbDpT10_ENKUlT_T0_E_clISt17integral_constantIbLb1EES1A_IbLb0EEEEDaS16_S17_EUlS16_E_NS1_11comp_targetILNS1_3genE0ELNS1_11target_archE4294967295ELNS1_3gpuE0ELNS1_3repE0EEENS1_30default_config_static_selectorELNS0_4arch9wavefront6targetE0EEEvT1_,comdat
.Lfunc_end805:
	.size	_ZN7rocprim17ROCPRIM_400000_NS6detail17trampoline_kernelINS0_14default_configENS1_25partition_config_selectorILNS1_17partition_subalgoE9EjjbEEZZNS1_14partition_implILS5_9ELb0ES3_jN6thrust23THRUST_200600_302600_NS6detail15normal_iteratorINS9_10device_ptrIjEEEESE_PNS0_10empty_typeENS0_5tupleIJNS9_16discard_iteratorINS9_11use_defaultEEESF_EEENSH_IJSK_SG_EEENS0_18inequality_wrapperINS9_8equal_toIjEEEEPmJSF_EEE10hipError_tPvRmT3_T4_T5_T6_T7_T9_mT8_P12ihipStream_tbDpT10_ENKUlT_T0_E_clISt17integral_constantIbLb1EES1A_IbLb0EEEEDaS16_S17_EUlS16_E_NS1_11comp_targetILNS1_3genE0ELNS1_11target_archE4294967295ELNS1_3gpuE0ELNS1_3repE0EEENS1_30default_config_static_selectorELNS0_4arch9wavefront6targetE0EEEvT1_, .Lfunc_end805-_ZN7rocprim17ROCPRIM_400000_NS6detail17trampoline_kernelINS0_14default_configENS1_25partition_config_selectorILNS1_17partition_subalgoE9EjjbEEZZNS1_14partition_implILS5_9ELb0ES3_jN6thrust23THRUST_200600_302600_NS6detail15normal_iteratorINS9_10device_ptrIjEEEESE_PNS0_10empty_typeENS0_5tupleIJNS9_16discard_iteratorINS9_11use_defaultEEESF_EEENSH_IJSK_SG_EEENS0_18inequality_wrapperINS9_8equal_toIjEEEEPmJSF_EEE10hipError_tPvRmT3_T4_T5_T6_T7_T9_mT8_P12ihipStream_tbDpT10_ENKUlT_T0_E_clISt17integral_constantIbLb1EES1A_IbLb0EEEEDaS16_S17_EUlS16_E_NS1_11comp_targetILNS1_3genE0ELNS1_11target_archE4294967295ELNS1_3gpuE0ELNS1_3repE0EEENS1_30default_config_static_selectorELNS0_4arch9wavefront6targetE0EEEvT1_
                                        ; -- End function
	.section	.AMDGPU.csdata,"",@progbits
; Kernel info:
; codeLenInByte = 0
; NumSgprs: 0
; NumVgprs: 0
; ScratchSize: 0
; MemoryBound: 0
; FloatMode: 240
; IeeeMode: 1
; LDSByteSize: 0 bytes/workgroup (compile time only)
; SGPRBlocks: 0
; VGPRBlocks: 0
; NumSGPRsForWavesPerEU: 1
; NumVGPRsForWavesPerEU: 1
; Occupancy: 16
; WaveLimiterHint : 0
; COMPUTE_PGM_RSRC2:SCRATCH_EN: 0
; COMPUTE_PGM_RSRC2:USER_SGPR: 15
; COMPUTE_PGM_RSRC2:TRAP_HANDLER: 0
; COMPUTE_PGM_RSRC2:TGID_X_EN: 1
; COMPUTE_PGM_RSRC2:TGID_Y_EN: 0
; COMPUTE_PGM_RSRC2:TGID_Z_EN: 0
; COMPUTE_PGM_RSRC2:TIDIG_COMP_CNT: 0
	.section	.text._ZN7rocprim17ROCPRIM_400000_NS6detail17trampoline_kernelINS0_14default_configENS1_25partition_config_selectorILNS1_17partition_subalgoE9EjjbEEZZNS1_14partition_implILS5_9ELb0ES3_jN6thrust23THRUST_200600_302600_NS6detail15normal_iteratorINS9_10device_ptrIjEEEESE_PNS0_10empty_typeENS0_5tupleIJNS9_16discard_iteratorINS9_11use_defaultEEESF_EEENSH_IJSK_SG_EEENS0_18inequality_wrapperINS9_8equal_toIjEEEEPmJSF_EEE10hipError_tPvRmT3_T4_T5_T6_T7_T9_mT8_P12ihipStream_tbDpT10_ENKUlT_T0_E_clISt17integral_constantIbLb1EES1A_IbLb0EEEEDaS16_S17_EUlS16_E_NS1_11comp_targetILNS1_3genE5ELNS1_11target_archE942ELNS1_3gpuE9ELNS1_3repE0EEENS1_30default_config_static_selectorELNS0_4arch9wavefront6targetE0EEEvT1_,"axG",@progbits,_ZN7rocprim17ROCPRIM_400000_NS6detail17trampoline_kernelINS0_14default_configENS1_25partition_config_selectorILNS1_17partition_subalgoE9EjjbEEZZNS1_14partition_implILS5_9ELb0ES3_jN6thrust23THRUST_200600_302600_NS6detail15normal_iteratorINS9_10device_ptrIjEEEESE_PNS0_10empty_typeENS0_5tupleIJNS9_16discard_iteratorINS9_11use_defaultEEESF_EEENSH_IJSK_SG_EEENS0_18inequality_wrapperINS9_8equal_toIjEEEEPmJSF_EEE10hipError_tPvRmT3_T4_T5_T6_T7_T9_mT8_P12ihipStream_tbDpT10_ENKUlT_T0_E_clISt17integral_constantIbLb1EES1A_IbLb0EEEEDaS16_S17_EUlS16_E_NS1_11comp_targetILNS1_3genE5ELNS1_11target_archE942ELNS1_3gpuE9ELNS1_3repE0EEENS1_30default_config_static_selectorELNS0_4arch9wavefront6targetE0EEEvT1_,comdat
	.protected	_ZN7rocprim17ROCPRIM_400000_NS6detail17trampoline_kernelINS0_14default_configENS1_25partition_config_selectorILNS1_17partition_subalgoE9EjjbEEZZNS1_14partition_implILS5_9ELb0ES3_jN6thrust23THRUST_200600_302600_NS6detail15normal_iteratorINS9_10device_ptrIjEEEESE_PNS0_10empty_typeENS0_5tupleIJNS9_16discard_iteratorINS9_11use_defaultEEESF_EEENSH_IJSK_SG_EEENS0_18inequality_wrapperINS9_8equal_toIjEEEEPmJSF_EEE10hipError_tPvRmT3_T4_T5_T6_T7_T9_mT8_P12ihipStream_tbDpT10_ENKUlT_T0_E_clISt17integral_constantIbLb1EES1A_IbLb0EEEEDaS16_S17_EUlS16_E_NS1_11comp_targetILNS1_3genE5ELNS1_11target_archE942ELNS1_3gpuE9ELNS1_3repE0EEENS1_30default_config_static_selectorELNS0_4arch9wavefront6targetE0EEEvT1_ ; -- Begin function _ZN7rocprim17ROCPRIM_400000_NS6detail17trampoline_kernelINS0_14default_configENS1_25partition_config_selectorILNS1_17partition_subalgoE9EjjbEEZZNS1_14partition_implILS5_9ELb0ES3_jN6thrust23THRUST_200600_302600_NS6detail15normal_iteratorINS9_10device_ptrIjEEEESE_PNS0_10empty_typeENS0_5tupleIJNS9_16discard_iteratorINS9_11use_defaultEEESF_EEENSH_IJSK_SG_EEENS0_18inequality_wrapperINS9_8equal_toIjEEEEPmJSF_EEE10hipError_tPvRmT3_T4_T5_T6_T7_T9_mT8_P12ihipStream_tbDpT10_ENKUlT_T0_E_clISt17integral_constantIbLb1EES1A_IbLb0EEEEDaS16_S17_EUlS16_E_NS1_11comp_targetILNS1_3genE5ELNS1_11target_archE942ELNS1_3gpuE9ELNS1_3repE0EEENS1_30default_config_static_selectorELNS0_4arch9wavefront6targetE0EEEvT1_
	.globl	_ZN7rocprim17ROCPRIM_400000_NS6detail17trampoline_kernelINS0_14default_configENS1_25partition_config_selectorILNS1_17partition_subalgoE9EjjbEEZZNS1_14partition_implILS5_9ELb0ES3_jN6thrust23THRUST_200600_302600_NS6detail15normal_iteratorINS9_10device_ptrIjEEEESE_PNS0_10empty_typeENS0_5tupleIJNS9_16discard_iteratorINS9_11use_defaultEEESF_EEENSH_IJSK_SG_EEENS0_18inequality_wrapperINS9_8equal_toIjEEEEPmJSF_EEE10hipError_tPvRmT3_T4_T5_T6_T7_T9_mT8_P12ihipStream_tbDpT10_ENKUlT_T0_E_clISt17integral_constantIbLb1EES1A_IbLb0EEEEDaS16_S17_EUlS16_E_NS1_11comp_targetILNS1_3genE5ELNS1_11target_archE942ELNS1_3gpuE9ELNS1_3repE0EEENS1_30default_config_static_selectorELNS0_4arch9wavefront6targetE0EEEvT1_
	.p2align	8
	.type	_ZN7rocprim17ROCPRIM_400000_NS6detail17trampoline_kernelINS0_14default_configENS1_25partition_config_selectorILNS1_17partition_subalgoE9EjjbEEZZNS1_14partition_implILS5_9ELb0ES3_jN6thrust23THRUST_200600_302600_NS6detail15normal_iteratorINS9_10device_ptrIjEEEESE_PNS0_10empty_typeENS0_5tupleIJNS9_16discard_iteratorINS9_11use_defaultEEESF_EEENSH_IJSK_SG_EEENS0_18inequality_wrapperINS9_8equal_toIjEEEEPmJSF_EEE10hipError_tPvRmT3_T4_T5_T6_T7_T9_mT8_P12ihipStream_tbDpT10_ENKUlT_T0_E_clISt17integral_constantIbLb1EES1A_IbLb0EEEEDaS16_S17_EUlS16_E_NS1_11comp_targetILNS1_3genE5ELNS1_11target_archE942ELNS1_3gpuE9ELNS1_3repE0EEENS1_30default_config_static_selectorELNS0_4arch9wavefront6targetE0EEEvT1_,@function
_ZN7rocprim17ROCPRIM_400000_NS6detail17trampoline_kernelINS0_14default_configENS1_25partition_config_selectorILNS1_17partition_subalgoE9EjjbEEZZNS1_14partition_implILS5_9ELb0ES3_jN6thrust23THRUST_200600_302600_NS6detail15normal_iteratorINS9_10device_ptrIjEEEESE_PNS0_10empty_typeENS0_5tupleIJNS9_16discard_iteratorINS9_11use_defaultEEESF_EEENSH_IJSK_SG_EEENS0_18inequality_wrapperINS9_8equal_toIjEEEEPmJSF_EEE10hipError_tPvRmT3_T4_T5_T6_T7_T9_mT8_P12ihipStream_tbDpT10_ENKUlT_T0_E_clISt17integral_constantIbLb1EES1A_IbLb0EEEEDaS16_S17_EUlS16_E_NS1_11comp_targetILNS1_3genE5ELNS1_11target_archE942ELNS1_3gpuE9ELNS1_3repE0EEENS1_30default_config_static_selectorELNS0_4arch9wavefront6targetE0EEEvT1_: ; @_ZN7rocprim17ROCPRIM_400000_NS6detail17trampoline_kernelINS0_14default_configENS1_25partition_config_selectorILNS1_17partition_subalgoE9EjjbEEZZNS1_14partition_implILS5_9ELb0ES3_jN6thrust23THRUST_200600_302600_NS6detail15normal_iteratorINS9_10device_ptrIjEEEESE_PNS0_10empty_typeENS0_5tupleIJNS9_16discard_iteratorINS9_11use_defaultEEESF_EEENSH_IJSK_SG_EEENS0_18inequality_wrapperINS9_8equal_toIjEEEEPmJSF_EEE10hipError_tPvRmT3_T4_T5_T6_T7_T9_mT8_P12ihipStream_tbDpT10_ENKUlT_T0_E_clISt17integral_constantIbLb1EES1A_IbLb0EEEEDaS16_S17_EUlS16_E_NS1_11comp_targetILNS1_3genE5ELNS1_11target_archE942ELNS1_3gpuE9ELNS1_3repE0EEENS1_30default_config_static_selectorELNS0_4arch9wavefront6targetE0EEEvT1_
; %bb.0:
	.section	.rodata,"a",@progbits
	.p2align	6, 0x0
	.amdhsa_kernel _ZN7rocprim17ROCPRIM_400000_NS6detail17trampoline_kernelINS0_14default_configENS1_25partition_config_selectorILNS1_17partition_subalgoE9EjjbEEZZNS1_14partition_implILS5_9ELb0ES3_jN6thrust23THRUST_200600_302600_NS6detail15normal_iteratorINS9_10device_ptrIjEEEESE_PNS0_10empty_typeENS0_5tupleIJNS9_16discard_iteratorINS9_11use_defaultEEESF_EEENSH_IJSK_SG_EEENS0_18inequality_wrapperINS9_8equal_toIjEEEEPmJSF_EEE10hipError_tPvRmT3_T4_T5_T6_T7_T9_mT8_P12ihipStream_tbDpT10_ENKUlT_T0_E_clISt17integral_constantIbLb1EES1A_IbLb0EEEEDaS16_S17_EUlS16_E_NS1_11comp_targetILNS1_3genE5ELNS1_11target_archE942ELNS1_3gpuE9ELNS1_3repE0EEENS1_30default_config_static_selectorELNS0_4arch9wavefront6targetE0EEEvT1_
		.amdhsa_group_segment_fixed_size 0
		.amdhsa_private_segment_fixed_size 0
		.amdhsa_kernarg_size 128
		.amdhsa_user_sgpr_count 15
		.amdhsa_user_sgpr_dispatch_ptr 0
		.amdhsa_user_sgpr_queue_ptr 0
		.amdhsa_user_sgpr_kernarg_segment_ptr 1
		.amdhsa_user_sgpr_dispatch_id 0
		.amdhsa_user_sgpr_private_segment_size 0
		.amdhsa_wavefront_size32 1
		.amdhsa_uses_dynamic_stack 0
		.amdhsa_enable_private_segment 0
		.amdhsa_system_sgpr_workgroup_id_x 1
		.amdhsa_system_sgpr_workgroup_id_y 0
		.amdhsa_system_sgpr_workgroup_id_z 0
		.amdhsa_system_sgpr_workgroup_info 0
		.amdhsa_system_vgpr_workitem_id 0
		.amdhsa_next_free_vgpr 1
		.amdhsa_next_free_sgpr 1
		.amdhsa_reserve_vcc 0
		.amdhsa_float_round_mode_32 0
		.amdhsa_float_round_mode_16_64 0
		.amdhsa_float_denorm_mode_32 3
		.amdhsa_float_denorm_mode_16_64 3
		.amdhsa_dx10_clamp 1
		.amdhsa_ieee_mode 1
		.amdhsa_fp16_overflow 0
		.amdhsa_workgroup_processor_mode 1
		.amdhsa_memory_ordered 1
		.amdhsa_forward_progress 0
		.amdhsa_shared_vgpr_count 0
		.amdhsa_exception_fp_ieee_invalid_op 0
		.amdhsa_exception_fp_denorm_src 0
		.amdhsa_exception_fp_ieee_div_zero 0
		.amdhsa_exception_fp_ieee_overflow 0
		.amdhsa_exception_fp_ieee_underflow 0
		.amdhsa_exception_fp_ieee_inexact 0
		.amdhsa_exception_int_div_zero 0
	.end_amdhsa_kernel
	.section	.text._ZN7rocprim17ROCPRIM_400000_NS6detail17trampoline_kernelINS0_14default_configENS1_25partition_config_selectorILNS1_17partition_subalgoE9EjjbEEZZNS1_14partition_implILS5_9ELb0ES3_jN6thrust23THRUST_200600_302600_NS6detail15normal_iteratorINS9_10device_ptrIjEEEESE_PNS0_10empty_typeENS0_5tupleIJNS9_16discard_iteratorINS9_11use_defaultEEESF_EEENSH_IJSK_SG_EEENS0_18inequality_wrapperINS9_8equal_toIjEEEEPmJSF_EEE10hipError_tPvRmT3_T4_T5_T6_T7_T9_mT8_P12ihipStream_tbDpT10_ENKUlT_T0_E_clISt17integral_constantIbLb1EES1A_IbLb0EEEEDaS16_S17_EUlS16_E_NS1_11comp_targetILNS1_3genE5ELNS1_11target_archE942ELNS1_3gpuE9ELNS1_3repE0EEENS1_30default_config_static_selectorELNS0_4arch9wavefront6targetE0EEEvT1_,"axG",@progbits,_ZN7rocprim17ROCPRIM_400000_NS6detail17trampoline_kernelINS0_14default_configENS1_25partition_config_selectorILNS1_17partition_subalgoE9EjjbEEZZNS1_14partition_implILS5_9ELb0ES3_jN6thrust23THRUST_200600_302600_NS6detail15normal_iteratorINS9_10device_ptrIjEEEESE_PNS0_10empty_typeENS0_5tupleIJNS9_16discard_iteratorINS9_11use_defaultEEESF_EEENSH_IJSK_SG_EEENS0_18inequality_wrapperINS9_8equal_toIjEEEEPmJSF_EEE10hipError_tPvRmT3_T4_T5_T6_T7_T9_mT8_P12ihipStream_tbDpT10_ENKUlT_T0_E_clISt17integral_constantIbLb1EES1A_IbLb0EEEEDaS16_S17_EUlS16_E_NS1_11comp_targetILNS1_3genE5ELNS1_11target_archE942ELNS1_3gpuE9ELNS1_3repE0EEENS1_30default_config_static_selectorELNS0_4arch9wavefront6targetE0EEEvT1_,comdat
.Lfunc_end806:
	.size	_ZN7rocprim17ROCPRIM_400000_NS6detail17trampoline_kernelINS0_14default_configENS1_25partition_config_selectorILNS1_17partition_subalgoE9EjjbEEZZNS1_14partition_implILS5_9ELb0ES3_jN6thrust23THRUST_200600_302600_NS6detail15normal_iteratorINS9_10device_ptrIjEEEESE_PNS0_10empty_typeENS0_5tupleIJNS9_16discard_iteratorINS9_11use_defaultEEESF_EEENSH_IJSK_SG_EEENS0_18inequality_wrapperINS9_8equal_toIjEEEEPmJSF_EEE10hipError_tPvRmT3_T4_T5_T6_T7_T9_mT8_P12ihipStream_tbDpT10_ENKUlT_T0_E_clISt17integral_constantIbLb1EES1A_IbLb0EEEEDaS16_S17_EUlS16_E_NS1_11comp_targetILNS1_3genE5ELNS1_11target_archE942ELNS1_3gpuE9ELNS1_3repE0EEENS1_30default_config_static_selectorELNS0_4arch9wavefront6targetE0EEEvT1_, .Lfunc_end806-_ZN7rocprim17ROCPRIM_400000_NS6detail17trampoline_kernelINS0_14default_configENS1_25partition_config_selectorILNS1_17partition_subalgoE9EjjbEEZZNS1_14partition_implILS5_9ELb0ES3_jN6thrust23THRUST_200600_302600_NS6detail15normal_iteratorINS9_10device_ptrIjEEEESE_PNS0_10empty_typeENS0_5tupleIJNS9_16discard_iteratorINS9_11use_defaultEEESF_EEENSH_IJSK_SG_EEENS0_18inequality_wrapperINS9_8equal_toIjEEEEPmJSF_EEE10hipError_tPvRmT3_T4_T5_T6_T7_T9_mT8_P12ihipStream_tbDpT10_ENKUlT_T0_E_clISt17integral_constantIbLb1EES1A_IbLb0EEEEDaS16_S17_EUlS16_E_NS1_11comp_targetILNS1_3genE5ELNS1_11target_archE942ELNS1_3gpuE9ELNS1_3repE0EEENS1_30default_config_static_selectorELNS0_4arch9wavefront6targetE0EEEvT1_
                                        ; -- End function
	.section	.AMDGPU.csdata,"",@progbits
; Kernel info:
; codeLenInByte = 0
; NumSgprs: 0
; NumVgprs: 0
; ScratchSize: 0
; MemoryBound: 0
; FloatMode: 240
; IeeeMode: 1
; LDSByteSize: 0 bytes/workgroup (compile time only)
; SGPRBlocks: 0
; VGPRBlocks: 0
; NumSGPRsForWavesPerEU: 1
; NumVGPRsForWavesPerEU: 1
; Occupancy: 16
; WaveLimiterHint : 0
; COMPUTE_PGM_RSRC2:SCRATCH_EN: 0
; COMPUTE_PGM_RSRC2:USER_SGPR: 15
; COMPUTE_PGM_RSRC2:TRAP_HANDLER: 0
; COMPUTE_PGM_RSRC2:TGID_X_EN: 1
; COMPUTE_PGM_RSRC2:TGID_Y_EN: 0
; COMPUTE_PGM_RSRC2:TGID_Z_EN: 0
; COMPUTE_PGM_RSRC2:TIDIG_COMP_CNT: 0
	.section	.text._ZN7rocprim17ROCPRIM_400000_NS6detail17trampoline_kernelINS0_14default_configENS1_25partition_config_selectorILNS1_17partition_subalgoE9EjjbEEZZNS1_14partition_implILS5_9ELb0ES3_jN6thrust23THRUST_200600_302600_NS6detail15normal_iteratorINS9_10device_ptrIjEEEESE_PNS0_10empty_typeENS0_5tupleIJNS9_16discard_iteratorINS9_11use_defaultEEESF_EEENSH_IJSK_SG_EEENS0_18inequality_wrapperINS9_8equal_toIjEEEEPmJSF_EEE10hipError_tPvRmT3_T4_T5_T6_T7_T9_mT8_P12ihipStream_tbDpT10_ENKUlT_T0_E_clISt17integral_constantIbLb1EES1A_IbLb0EEEEDaS16_S17_EUlS16_E_NS1_11comp_targetILNS1_3genE4ELNS1_11target_archE910ELNS1_3gpuE8ELNS1_3repE0EEENS1_30default_config_static_selectorELNS0_4arch9wavefront6targetE0EEEvT1_,"axG",@progbits,_ZN7rocprim17ROCPRIM_400000_NS6detail17trampoline_kernelINS0_14default_configENS1_25partition_config_selectorILNS1_17partition_subalgoE9EjjbEEZZNS1_14partition_implILS5_9ELb0ES3_jN6thrust23THRUST_200600_302600_NS6detail15normal_iteratorINS9_10device_ptrIjEEEESE_PNS0_10empty_typeENS0_5tupleIJNS9_16discard_iteratorINS9_11use_defaultEEESF_EEENSH_IJSK_SG_EEENS0_18inequality_wrapperINS9_8equal_toIjEEEEPmJSF_EEE10hipError_tPvRmT3_T4_T5_T6_T7_T9_mT8_P12ihipStream_tbDpT10_ENKUlT_T0_E_clISt17integral_constantIbLb1EES1A_IbLb0EEEEDaS16_S17_EUlS16_E_NS1_11comp_targetILNS1_3genE4ELNS1_11target_archE910ELNS1_3gpuE8ELNS1_3repE0EEENS1_30default_config_static_selectorELNS0_4arch9wavefront6targetE0EEEvT1_,comdat
	.protected	_ZN7rocprim17ROCPRIM_400000_NS6detail17trampoline_kernelINS0_14default_configENS1_25partition_config_selectorILNS1_17partition_subalgoE9EjjbEEZZNS1_14partition_implILS5_9ELb0ES3_jN6thrust23THRUST_200600_302600_NS6detail15normal_iteratorINS9_10device_ptrIjEEEESE_PNS0_10empty_typeENS0_5tupleIJNS9_16discard_iteratorINS9_11use_defaultEEESF_EEENSH_IJSK_SG_EEENS0_18inequality_wrapperINS9_8equal_toIjEEEEPmJSF_EEE10hipError_tPvRmT3_T4_T5_T6_T7_T9_mT8_P12ihipStream_tbDpT10_ENKUlT_T0_E_clISt17integral_constantIbLb1EES1A_IbLb0EEEEDaS16_S17_EUlS16_E_NS1_11comp_targetILNS1_3genE4ELNS1_11target_archE910ELNS1_3gpuE8ELNS1_3repE0EEENS1_30default_config_static_selectorELNS0_4arch9wavefront6targetE0EEEvT1_ ; -- Begin function _ZN7rocprim17ROCPRIM_400000_NS6detail17trampoline_kernelINS0_14default_configENS1_25partition_config_selectorILNS1_17partition_subalgoE9EjjbEEZZNS1_14partition_implILS5_9ELb0ES3_jN6thrust23THRUST_200600_302600_NS6detail15normal_iteratorINS9_10device_ptrIjEEEESE_PNS0_10empty_typeENS0_5tupleIJNS9_16discard_iteratorINS9_11use_defaultEEESF_EEENSH_IJSK_SG_EEENS0_18inequality_wrapperINS9_8equal_toIjEEEEPmJSF_EEE10hipError_tPvRmT3_T4_T5_T6_T7_T9_mT8_P12ihipStream_tbDpT10_ENKUlT_T0_E_clISt17integral_constantIbLb1EES1A_IbLb0EEEEDaS16_S17_EUlS16_E_NS1_11comp_targetILNS1_3genE4ELNS1_11target_archE910ELNS1_3gpuE8ELNS1_3repE0EEENS1_30default_config_static_selectorELNS0_4arch9wavefront6targetE0EEEvT1_
	.globl	_ZN7rocprim17ROCPRIM_400000_NS6detail17trampoline_kernelINS0_14default_configENS1_25partition_config_selectorILNS1_17partition_subalgoE9EjjbEEZZNS1_14partition_implILS5_9ELb0ES3_jN6thrust23THRUST_200600_302600_NS6detail15normal_iteratorINS9_10device_ptrIjEEEESE_PNS0_10empty_typeENS0_5tupleIJNS9_16discard_iteratorINS9_11use_defaultEEESF_EEENSH_IJSK_SG_EEENS0_18inequality_wrapperINS9_8equal_toIjEEEEPmJSF_EEE10hipError_tPvRmT3_T4_T5_T6_T7_T9_mT8_P12ihipStream_tbDpT10_ENKUlT_T0_E_clISt17integral_constantIbLb1EES1A_IbLb0EEEEDaS16_S17_EUlS16_E_NS1_11comp_targetILNS1_3genE4ELNS1_11target_archE910ELNS1_3gpuE8ELNS1_3repE0EEENS1_30default_config_static_selectorELNS0_4arch9wavefront6targetE0EEEvT1_
	.p2align	8
	.type	_ZN7rocprim17ROCPRIM_400000_NS6detail17trampoline_kernelINS0_14default_configENS1_25partition_config_selectorILNS1_17partition_subalgoE9EjjbEEZZNS1_14partition_implILS5_9ELb0ES3_jN6thrust23THRUST_200600_302600_NS6detail15normal_iteratorINS9_10device_ptrIjEEEESE_PNS0_10empty_typeENS0_5tupleIJNS9_16discard_iteratorINS9_11use_defaultEEESF_EEENSH_IJSK_SG_EEENS0_18inequality_wrapperINS9_8equal_toIjEEEEPmJSF_EEE10hipError_tPvRmT3_T4_T5_T6_T7_T9_mT8_P12ihipStream_tbDpT10_ENKUlT_T0_E_clISt17integral_constantIbLb1EES1A_IbLb0EEEEDaS16_S17_EUlS16_E_NS1_11comp_targetILNS1_3genE4ELNS1_11target_archE910ELNS1_3gpuE8ELNS1_3repE0EEENS1_30default_config_static_selectorELNS0_4arch9wavefront6targetE0EEEvT1_,@function
_ZN7rocprim17ROCPRIM_400000_NS6detail17trampoline_kernelINS0_14default_configENS1_25partition_config_selectorILNS1_17partition_subalgoE9EjjbEEZZNS1_14partition_implILS5_9ELb0ES3_jN6thrust23THRUST_200600_302600_NS6detail15normal_iteratorINS9_10device_ptrIjEEEESE_PNS0_10empty_typeENS0_5tupleIJNS9_16discard_iteratorINS9_11use_defaultEEESF_EEENSH_IJSK_SG_EEENS0_18inequality_wrapperINS9_8equal_toIjEEEEPmJSF_EEE10hipError_tPvRmT3_T4_T5_T6_T7_T9_mT8_P12ihipStream_tbDpT10_ENKUlT_T0_E_clISt17integral_constantIbLb1EES1A_IbLb0EEEEDaS16_S17_EUlS16_E_NS1_11comp_targetILNS1_3genE4ELNS1_11target_archE910ELNS1_3gpuE8ELNS1_3repE0EEENS1_30default_config_static_selectorELNS0_4arch9wavefront6targetE0EEEvT1_: ; @_ZN7rocprim17ROCPRIM_400000_NS6detail17trampoline_kernelINS0_14default_configENS1_25partition_config_selectorILNS1_17partition_subalgoE9EjjbEEZZNS1_14partition_implILS5_9ELb0ES3_jN6thrust23THRUST_200600_302600_NS6detail15normal_iteratorINS9_10device_ptrIjEEEESE_PNS0_10empty_typeENS0_5tupleIJNS9_16discard_iteratorINS9_11use_defaultEEESF_EEENSH_IJSK_SG_EEENS0_18inequality_wrapperINS9_8equal_toIjEEEEPmJSF_EEE10hipError_tPvRmT3_T4_T5_T6_T7_T9_mT8_P12ihipStream_tbDpT10_ENKUlT_T0_E_clISt17integral_constantIbLb1EES1A_IbLb0EEEEDaS16_S17_EUlS16_E_NS1_11comp_targetILNS1_3genE4ELNS1_11target_archE910ELNS1_3gpuE8ELNS1_3repE0EEENS1_30default_config_static_selectorELNS0_4arch9wavefront6targetE0EEEvT1_
; %bb.0:
	.section	.rodata,"a",@progbits
	.p2align	6, 0x0
	.amdhsa_kernel _ZN7rocprim17ROCPRIM_400000_NS6detail17trampoline_kernelINS0_14default_configENS1_25partition_config_selectorILNS1_17partition_subalgoE9EjjbEEZZNS1_14partition_implILS5_9ELb0ES3_jN6thrust23THRUST_200600_302600_NS6detail15normal_iteratorINS9_10device_ptrIjEEEESE_PNS0_10empty_typeENS0_5tupleIJNS9_16discard_iteratorINS9_11use_defaultEEESF_EEENSH_IJSK_SG_EEENS0_18inequality_wrapperINS9_8equal_toIjEEEEPmJSF_EEE10hipError_tPvRmT3_T4_T5_T6_T7_T9_mT8_P12ihipStream_tbDpT10_ENKUlT_T0_E_clISt17integral_constantIbLb1EES1A_IbLb0EEEEDaS16_S17_EUlS16_E_NS1_11comp_targetILNS1_3genE4ELNS1_11target_archE910ELNS1_3gpuE8ELNS1_3repE0EEENS1_30default_config_static_selectorELNS0_4arch9wavefront6targetE0EEEvT1_
		.amdhsa_group_segment_fixed_size 0
		.amdhsa_private_segment_fixed_size 0
		.amdhsa_kernarg_size 128
		.amdhsa_user_sgpr_count 15
		.amdhsa_user_sgpr_dispatch_ptr 0
		.amdhsa_user_sgpr_queue_ptr 0
		.amdhsa_user_sgpr_kernarg_segment_ptr 1
		.amdhsa_user_sgpr_dispatch_id 0
		.amdhsa_user_sgpr_private_segment_size 0
		.amdhsa_wavefront_size32 1
		.amdhsa_uses_dynamic_stack 0
		.amdhsa_enable_private_segment 0
		.amdhsa_system_sgpr_workgroup_id_x 1
		.amdhsa_system_sgpr_workgroup_id_y 0
		.amdhsa_system_sgpr_workgroup_id_z 0
		.amdhsa_system_sgpr_workgroup_info 0
		.amdhsa_system_vgpr_workitem_id 0
		.amdhsa_next_free_vgpr 1
		.amdhsa_next_free_sgpr 1
		.amdhsa_reserve_vcc 0
		.amdhsa_float_round_mode_32 0
		.amdhsa_float_round_mode_16_64 0
		.amdhsa_float_denorm_mode_32 3
		.amdhsa_float_denorm_mode_16_64 3
		.amdhsa_dx10_clamp 1
		.amdhsa_ieee_mode 1
		.amdhsa_fp16_overflow 0
		.amdhsa_workgroup_processor_mode 1
		.amdhsa_memory_ordered 1
		.amdhsa_forward_progress 0
		.amdhsa_shared_vgpr_count 0
		.amdhsa_exception_fp_ieee_invalid_op 0
		.amdhsa_exception_fp_denorm_src 0
		.amdhsa_exception_fp_ieee_div_zero 0
		.amdhsa_exception_fp_ieee_overflow 0
		.amdhsa_exception_fp_ieee_underflow 0
		.amdhsa_exception_fp_ieee_inexact 0
		.amdhsa_exception_int_div_zero 0
	.end_amdhsa_kernel
	.section	.text._ZN7rocprim17ROCPRIM_400000_NS6detail17trampoline_kernelINS0_14default_configENS1_25partition_config_selectorILNS1_17partition_subalgoE9EjjbEEZZNS1_14partition_implILS5_9ELb0ES3_jN6thrust23THRUST_200600_302600_NS6detail15normal_iteratorINS9_10device_ptrIjEEEESE_PNS0_10empty_typeENS0_5tupleIJNS9_16discard_iteratorINS9_11use_defaultEEESF_EEENSH_IJSK_SG_EEENS0_18inequality_wrapperINS9_8equal_toIjEEEEPmJSF_EEE10hipError_tPvRmT3_T4_T5_T6_T7_T9_mT8_P12ihipStream_tbDpT10_ENKUlT_T0_E_clISt17integral_constantIbLb1EES1A_IbLb0EEEEDaS16_S17_EUlS16_E_NS1_11comp_targetILNS1_3genE4ELNS1_11target_archE910ELNS1_3gpuE8ELNS1_3repE0EEENS1_30default_config_static_selectorELNS0_4arch9wavefront6targetE0EEEvT1_,"axG",@progbits,_ZN7rocprim17ROCPRIM_400000_NS6detail17trampoline_kernelINS0_14default_configENS1_25partition_config_selectorILNS1_17partition_subalgoE9EjjbEEZZNS1_14partition_implILS5_9ELb0ES3_jN6thrust23THRUST_200600_302600_NS6detail15normal_iteratorINS9_10device_ptrIjEEEESE_PNS0_10empty_typeENS0_5tupleIJNS9_16discard_iteratorINS9_11use_defaultEEESF_EEENSH_IJSK_SG_EEENS0_18inequality_wrapperINS9_8equal_toIjEEEEPmJSF_EEE10hipError_tPvRmT3_T4_T5_T6_T7_T9_mT8_P12ihipStream_tbDpT10_ENKUlT_T0_E_clISt17integral_constantIbLb1EES1A_IbLb0EEEEDaS16_S17_EUlS16_E_NS1_11comp_targetILNS1_3genE4ELNS1_11target_archE910ELNS1_3gpuE8ELNS1_3repE0EEENS1_30default_config_static_selectorELNS0_4arch9wavefront6targetE0EEEvT1_,comdat
.Lfunc_end807:
	.size	_ZN7rocprim17ROCPRIM_400000_NS6detail17trampoline_kernelINS0_14default_configENS1_25partition_config_selectorILNS1_17partition_subalgoE9EjjbEEZZNS1_14partition_implILS5_9ELb0ES3_jN6thrust23THRUST_200600_302600_NS6detail15normal_iteratorINS9_10device_ptrIjEEEESE_PNS0_10empty_typeENS0_5tupleIJNS9_16discard_iteratorINS9_11use_defaultEEESF_EEENSH_IJSK_SG_EEENS0_18inequality_wrapperINS9_8equal_toIjEEEEPmJSF_EEE10hipError_tPvRmT3_T4_T5_T6_T7_T9_mT8_P12ihipStream_tbDpT10_ENKUlT_T0_E_clISt17integral_constantIbLb1EES1A_IbLb0EEEEDaS16_S17_EUlS16_E_NS1_11comp_targetILNS1_3genE4ELNS1_11target_archE910ELNS1_3gpuE8ELNS1_3repE0EEENS1_30default_config_static_selectorELNS0_4arch9wavefront6targetE0EEEvT1_, .Lfunc_end807-_ZN7rocprim17ROCPRIM_400000_NS6detail17trampoline_kernelINS0_14default_configENS1_25partition_config_selectorILNS1_17partition_subalgoE9EjjbEEZZNS1_14partition_implILS5_9ELb0ES3_jN6thrust23THRUST_200600_302600_NS6detail15normal_iteratorINS9_10device_ptrIjEEEESE_PNS0_10empty_typeENS0_5tupleIJNS9_16discard_iteratorINS9_11use_defaultEEESF_EEENSH_IJSK_SG_EEENS0_18inequality_wrapperINS9_8equal_toIjEEEEPmJSF_EEE10hipError_tPvRmT3_T4_T5_T6_T7_T9_mT8_P12ihipStream_tbDpT10_ENKUlT_T0_E_clISt17integral_constantIbLb1EES1A_IbLb0EEEEDaS16_S17_EUlS16_E_NS1_11comp_targetILNS1_3genE4ELNS1_11target_archE910ELNS1_3gpuE8ELNS1_3repE0EEENS1_30default_config_static_selectorELNS0_4arch9wavefront6targetE0EEEvT1_
                                        ; -- End function
	.section	.AMDGPU.csdata,"",@progbits
; Kernel info:
; codeLenInByte = 0
; NumSgprs: 0
; NumVgprs: 0
; ScratchSize: 0
; MemoryBound: 0
; FloatMode: 240
; IeeeMode: 1
; LDSByteSize: 0 bytes/workgroup (compile time only)
; SGPRBlocks: 0
; VGPRBlocks: 0
; NumSGPRsForWavesPerEU: 1
; NumVGPRsForWavesPerEU: 1
; Occupancy: 15
; WaveLimiterHint : 0
; COMPUTE_PGM_RSRC2:SCRATCH_EN: 0
; COMPUTE_PGM_RSRC2:USER_SGPR: 15
; COMPUTE_PGM_RSRC2:TRAP_HANDLER: 0
; COMPUTE_PGM_RSRC2:TGID_X_EN: 1
; COMPUTE_PGM_RSRC2:TGID_Y_EN: 0
; COMPUTE_PGM_RSRC2:TGID_Z_EN: 0
; COMPUTE_PGM_RSRC2:TIDIG_COMP_CNT: 0
	.section	.text._ZN7rocprim17ROCPRIM_400000_NS6detail17trampoline_kernelINS0_14default_configENS1_25partition_config_selectorILNS1_17partition_subalgoE9EjjbEEZZNS1_14partition_implILS5_9ELb0ES3_jN6thrust23THRUST_200600_302600_NS6detail15normal_iteratorINS9_10device_ptrIjEEEESE_PNS0_10empty_typeENS0_5tupleIJNS9_16discard_iteratorINS9_11use_defaultEEESF_EEENSH_IJSK_SG_EEENS0_18inequality_wrapperINS9_8equal_toIjEEEEPmJSF_EEE10hipError_tPvRmT3_T4_T5_T6_T7_T9_mT8_P12ihipStream_tbDpT10_ENKUlT_T0_E_clISt17integral_constantIbLb1EES1A_IbLb0EEEEDaS16_S17_EUlS16_E_NS1_11comp_targetILNS1_3genE3ELNS1_11target_archE908ELNS1_3gpuE7ELNS1_3repE0EEENS1_30default_config_static_selectorELNS0_4arch9wavefront6targetE0EEEvT1_,"axG",@progbits,_ZN7rocprim17ROCPRIM_400000_NS6detail17trampoline_kernelINS0_14default_configENS1_25partition_config_selectorILNS1_17partition_subalgoE9EjjbEEZZNS1_14partition_implILS5_9ELb0ES3_jN6thrust23THRUST_200600_302600_NS6detail15normal_iteratorINS9_10device_ptrIjEEEESE_PNS0_10empty_typeENS0_5tupleIJNS9_16discard_iteratorINS9_11use_defaultEEESF_EEENSH_IJSK_SG_EEENS0_18inequality_wrapperINS9_8equal_toIjEEEEPmJSF_EEE10hipError_tPvRmT3_T4_T5_T6_T7_T9_mT8_P12ihipStream_tbDpT10_ENKUlT_T0_E_clISt17integral_constantIbLb1EES1A_IbLb0EEEEDaS16_S17_EUlS16_E_NS1_11comp_targetILNS1_3genE3ELNS1_11target_archE908ELNS1_3gpuE7ELNS1_3repE0EEENS1_30default_config_static_selectorELNS0_4arch9wavefront6targetE0EEEvT1_,comdat
	.protected	_ZN7rocprim17ROCPRIM_400000_NS6detail17trampoline_kernelINS0_14default_configENS1_25partition_config_selectorILNS1_17partition_subalgoE9EjjbEEZZNS1_14partition_implILS5_9ELb0ES3_jN6thrust23THRUST_200600_302600_NS6detail15normal_iteratorINS9_10device_ptrIjEEEESE_PNS0_10empty_typeENS0_5tupleIJNS9_16discard_iteratorINS9_11use_defaultEEESF_EEENSH_IJSK_SG_EEENS0_18inequality_wrapperINS9_8equal_toIjEEEEPmJSF_EEE10hipError_tPvRmT3_T4_T5_T6_T7_T9_mT8_P12ihipStream_tbDpT10_ENKUlT_T0_E_clISt17integral_constantIbLb1EES1A_IbLb0EEEEDaS16_S17_EUlS16_E_NS1_11comp_targetILNS1_3genE3ELNS1_11target_archE908ELNS1_3gpuE7ELNS1_3repE0EEENS1_30default_config_static_selectorELNS0_4arch9wavefront6targetE0EEEvT1_ ; -- Begin function _ZN7rocprim17ROCPRIM_400000_NS6detail17trampoline_kernelINS0_14default_configENS1_25partition_config_selectorILNS1_17partition_subalgoE9EjjbEEZZNS1_14partition_implILS5_9ELb0ES3_jN6thrust23THRUST_200600_302600_NS6detail15normal_iteratorINS9_10device_ptrIjEEEESE_PNS0_10empty_typeENS0_5tupleIJNS9_16discard_iteratorINS9_11use_defaultEEESF_EEENSH_IJSK_SG_EEENS0_18inequality_wrapperINS9_8equal_toIjEEEEPmJSF_EEE10hipError_tPvRmT3_T4_T5_T6_T7_T9_mT8_P12ihipStream_tbDpT10_ENKUlT_T0_E_clISt17integral_constantIbLb1EES1A_IbLb0EEEEDaS16_S17_EUlS16_E_NS1_11comp_targetILNS1_3genE3ELNS1_11target_archE908ELNS1_3gpuE7ELNS1_3repE0EEENS1_30default_config_static_selectorELNS0_4arch9wavefront6targetE0EEEvT1_
	.globl	_ZN7rocprim17ROCPRIM_400000_NS6detail17trampoline_kernelINS0_14default_configENS1_25partition_config_selectorILNS1_17partition_subalgoE9EjjbEEZZNS1_14partition_implILS5_9ELb0ES3_jN6thrust23THRUST_200600_302600_NS6detail15normal_iteratorINS9_10device_ptrIjEEEESE_PNS0_10empty_typeENS0_5tupleIJNS9_16discard_iteratorINS9_11use_defaultEEESF_EEENSH_IJSK_SG_EEENS0_18inequality_wrapperINS9_8equal_toIjEEEEPmJSF_EEE10hipError_tPvRmT3_T4_T5_T6_T7_T9_mT8_P12ihipStream_tbDpT10_ENKUlT_T0_E_clISt17integral_constantIbLb1EES1A_IbLb0EEEEDaS16_S17_EUlS16_E_NS1_11comp_targetILNS1_3genE3ELNS1_11target_archE908ELNS1_3gpuE7ELNS1_3repE0EEENS1_30default_config_static_selectorELNS0_4arch9wavefront6targetE0EEEvT1_
	.p2align	8
	.type	_ZN7rocprim17ROCPRIM_400000_NS6detail17trampoline_kernelINS0_14default_configENS1_25partition_config_selectorILNS1_17partition_subalgoE9EjjbEEZZNS1_14partition_implILS5_9ELb0ES3_jN6thrust23THRUST_200600_302600_NS6detail15normal_iteratorINS9_10device_ptrIjEEEESE_PNS0_10empty_typeENS0_5tupleIJNS9_16discard_iteratorINS9_11use_defaultEEESF_EEENSH_IJSK_SG_EEENS0_18inequality_wrapperINS9_8equal_toIjEEEEPmJSF_EEE10hipError_tPvRmT3_T4_T5_T6_T7_T9_mT8_P12ihipStream_tbDpT10_ENKUlT_T0_E_clISt17integral_constantIbLb1EES1A_IbLb0EEEEDaS16_S17_EUlS16_E_NS1_11comp_targetILNS1_3genE3ELNS1_11target_archE908ELNS1_3gpuE7ELNS1_3repE0EEENS1_30default_config_static_selectorELNS0_4arch9wavefront6targetE0EEEvT1_,@function
_ZN7rocprim17ROCPRIM_400000_NS6detail17trampoline_kernelINS0_14default_configENS1_25partition_config_selectorILNS1_17partition_subalgoE9EjjbEEZZNS1_14partition_implILS5_9ELb0ES3_jN6thrust23THRUST_200600_302600_NS6detail15normal_iteratorINS9_10device_ptrIjEEEESE_PNS0_10empty_typeENS0_5tupleIJNS9_16discard_iteratorINS9_11use_defaultEEESF_EEENSH_IJSK_SG_EEENS0_18inequality_wrapperINS9_8equal_toIjEEEEPmJSF_EEE10hipError_tPvRmT3_T4_T5_T6_T7_T9_mT8_P12ihipStream_tbDpT10_ENKUlT_T0_E_clISt17integral_constantIbLb1EES1A_IbLb0EEEEDaS16_S17_EUlS16_E_NS1_11comp_targetILNS1_3genE3ELNS1_11target_archE908ELNS1_3gpuE7ELNS1_3repE0EEENS1_30default_config_static_selectorELNS0_4arch9wavefront6targetE0EEEvT1_: ; @_ZN7rocprim17ROCPRIM_400000_NS6detail17trampoline_kernelINS0_14default_configENS1_25partition_config_selectorILNS1_17partition_subalgoE9EjjbEEZZNS1_14partition_implILS5_9ELb0ES3_jN6thrust23THRUST_200600_302600_NS6detail15normal_iteratorINS9_10device_ptrIjEEEESE_PNS0_10empty_typeENS0_5tupleIJNS9_16discard_iteratorINS9_11use_defaultEEESF_EEENSH_IJSK_SG_EEENS0_18inequality_wrapperINS9_8equal_toIjEEEEPmJSF_EEE10hipError_tPvRmT3_T4_T5_T6_T7_T9_mT8_P12ihipStream_tbDpT10_ENKUlT_T0_E_clISt17integral_constantIbLb1EES1A_IbLb0EEEEDaS16_S17_EUlS16_E_NS1_11comp_targetILNS1_3genE3ELNS1_11target_archE908ELNS1_3gpuE7ELNS1_3repE0EEENS1_30default_config_static_selectorELNS0_4arch9wavefront6targetE0EEEvT1_
; %bb.0:
	.section	.rodata,"a",@progbits
	.p2align	6, 0x0
	.amdhsa_kernel _ZN7rocprim17ROCPRIM_400000_NS6detail17trampoline_kernelINS0_14default_configENS1_25partition_config_selectorILNS1_17partition_subalgoE9EjjbEEZZNS1_14partition_implILS5_9ELb0ES3_jN6thrust23THRUST_200600_302600_NS6detail15normal_iteratorINS9_10device_ptrIjEEEESE_PNS0_10empty_typeENS0_5tupleIJNS9_16discard_iteratorINS9_11use_defaultEEESF_EEENSH_IJSK_SG_EEENS0_18inequality_wrapperINS9_8equal_toIjEEEEPmJSF_EEE10hipError_tPvRmT3_T4_T5_T6_T7_T9_mT8_P12ihipStream_tbDpT10_ENKUlT_T0_E_clISt17integral_constantIbLb1EES1A_IbLb0EEEEDaS16_S17_EUlS16_E_NS1_11comp_targetILNS1_3genE3ELNS1_11target_archE908ELNS1_3gpuE7ELNS1_3repE0EEENS1_30default_config_static_selectorELNS0_4arch9wavefront6targetE0EEEvT1_
		.amdhsa_group_segment_fixed_size 0
		.amdhsa_private_segment_fixed_size 0
		.amdhsa_kernarg_size 128
		.amdhsa_user_sgpr_count 15
		.amdhsa_user_sgpr_dispatch_ptr 0
		.amdhsa_user_sgpr_queue_ptr 0
		.amdhsa_user_sgpr_kernarg_segment_ptr 1
		.amdhsa_user_sgpr_dispatch_id 0
		.amdhsa_user_sgpr_private_segment_size 0
		.amdhsa_wavefront_size32 1
		.amdhsa_uses_dynamic_stack 0
		.amdhsa_enable_private_segment 0
		.amdhsa_system_sgpr_workgroup_id_x 1
		.amdhsa_system_sgpr_workgroup_id_y 0
		.amdhsa_system_sgpr_workgroup_id_z 0
		.amdhsa_system_sgpr_workgroup_info 0
		.amdhsa_system_vgpr_workitem_id 0
		.amdhsa_next_free_vgpr 1
		.amdhsa_next_free_sgpr 1
		.amdhsa_reserve_vcc 0
		.amdhsa_float_round_mode_32 0
		.amdhsa_float_round_mode_16_64 0
		.amdhsa_float_denorm_mode_32 3
		.amdhsa_float_denorm_mode_16_64 3
		.amdhsa_dx10_clamp 1
		.amdhsa_ieee_mode 1
		.amdhsa_fp16_overflow 0
		.amdhsa_workgroup_processor_mode 1
		.amdhsa_memory_ordered 1
		.amdhsa_forward_progress 0
		.amdhsa_shared_vgpr_count 0
		.amdhsa_exception_fp_ieee_invalid_op 0
		.amdhsa_exception_fp_denorm_src 0
		.amdhsa_exception_fp_ieee_div_zero 0
		.amdhsa_exception_fp_ieee_overflow 0
		.amdhsa_exception_fp_ieee_underflow 0
		.amdhsa_exception_fp_ieee_inexact 0
		.amdhsa_exception_int_div_zero 0
	.end_amdhsa_kernel
	.section	.text._ZN7rocprim17ROCPRIM_400000_NS6detail17trampoline_kernelINS0_14default_configENS1_25partition_config_selectorILNS1_17partition_subalgoE9EjjbEEZZNS1_14partition_implILS5_9ELb0ES3_jN6thrust23THRUST_200600_302600_NS6detail15normal_iteratorINS9_10device_ptrIjEEEESE_PNS0_10empty_typeENS0_5tupleIJNS9_16discard_iteratorINS9_11use_defaultEEESF_EEENSH_IJSK_SG_EEENS0_18inequality_wrapperINS9_8equal_toIjEEEEPmJSF_EEE10hipError_tPvRmT3_T4_T5_T6_T7_T9_mT8_P12ihipStream_tbDpT10_ENKUlT_T0_E_clISt17integral_constantIbLb1EES1A_IbLb0EEEEDaS16_S17_EUlS16_E_NS1_11comp_targetILNS1_3genE3ELNS1_11target_archE908ELNS1_3gpuE7ELNS1_3repE0EEENS1_30default_config_static_selectorELNS0_4arch9wavefront6targetE0EEEvT1_,"axG",@progbits,_ZN7rocprim17ROCPRIM_400000_NS6detail17trampoline_kernelINS0_14default_configENS1_25partition_config_selectorILNS1_17partition_subalgoE9EjjbEEZZNS1_14partition_implILS5_9ELb0ES3_jN6thrust23THRUST_200600_302600_NS6detail15normal_iteratorINS9_10device_ptrIjEEEESE_PNS0_10empty_typeENS0_5tupleIJNS9_16discard_iteratorINS9_11use_defaultEEESF_EEENSH_IJSK_SG_EEENS0_18inequality_wrapperINS9_8equal_toIjEEEEPmJSF_EEE10hipError_tPvRmT3_T4_T5_T6_T7_T9_mT8_P12ihipStream_tbDpT10_ENKUlT_T0_E_clISt17integral_constantIbLb1EES1A_IbLb0EEEEDaS16_S17_EUlS16_E_NS1_11comp_targetILNS1_3genE3ELNS1_11target_archE908ELNS1_3gpuE7ELNS1_3repE0EEENS1_30default_config_static_selectorELNS0_4arch9wavefront6targetE0EEEvT1_,comdat
.Lfunc_end808:
	.size	_ZN7rocprim17ROCPRIM_400000_NS6detail17trampoline_kernelINS0_14default_configENS1_25partition_config_selectorILNS1_17partition_subalgoE9EjjbEEZZNS1_14partition_implILS5_9ELb0ES3_jN6thrust23THRUST_200600_302600_NS6detail15normal_iteratorINS9_10device_ptrIjEEEESE_PNS0_10empty_typeENS0_5tupleIJNS9_16discard_iteratorINS9_11use_defaultEEESF_EEENSH_IJSK_SG_EEENS0_18inequality_wrapperINS9_8equal_toIjEEEEPmJSF_EEE10hipError_tPvRmT3_T4_T5_T6_T7_T9_mT8_P12ihipStream_tbDpT10_ENKUlT_T0_E_clISt17integral_constantIbLb1EES1A_IbLb0EEEEDaS16_S17_EUlS16_E_NS1_11comp_targetILNS1_3genE3ELNS1_11target_archE908ELNS1_3gpuE7ELNS1_3repE0EEENS1_30default_config_static_selectorELNS0_4arch9wavefront6targetE0EEEvT1_, .Lfunc_end808-_ZN7rocprim17ROCPRIM_400000_NS6detail17trampoline_kernelINS0_14default_configENS1_25partition_config_selectorILNS1_17partition_subalgoE9EjjbEEZZNS1_14partition_implILS5_9ELb0ES3_jN6thrust23THRUST_200600_302600_NS6detail15normal_iteratorINS9_10device_ptrIjEEEESE_PNS0_10empty_typeENS0_5tupleIJNS9_16discard_iteratorINS9_11use_defaultEEESF_EEENSH_IJSK_SG_EEENS0_18inequality_wrapperINS9_8equal_toIjEEEEPmJSF_EEE10hipError_tPvRmT3_T4_T5_T6_T7_T9_mT8_P12ihipStream_tbDpT10_ENKUlT_T0_E_clISt17integral_constantIbLb1EES1A_IbLb0EEEEDaS16_S17_EUlS16_E_NS1_11comp_targetILNS1_3genE3ELNS1_11target_archE908ELNS1_3gpuE7ELNS1_3repE0EEENS1_30default_config_static_selectorELNS0_4arch9wavefront6targetE0EEEvT1_
                                        ; -- End function
	.section	.AMDGPU.csdata,"",@progbits
; Kernel info:
; codeLenInByte = 0
; NumSgprs: 0
; NumVgprs: 0
; ScratchSize: 0
; MemoryBound: 0
; FloatMode: 240
; IeeeMode: 1
; LDSByteSize: 0 bytes/workgroup (compile time only)
; SGPRBlocks: 0
; VGPRBlocks: 0
; NumSGPRsForWavesPerEU: 1
; NumVGPRsForWavesPerEU: 1
; Occupancy: 16
; WaveLimiterHint : 0
; COMPUTE_PGM_RSRC2:SCRATCH_EN: 0
; COMPUTE_PGM_RSRC2:USER_SGPR: 15
; COMPUTE_PGM_RSRC2:TRAP_HANDLER: 0
; COMPUTE_PGM_RSRC2:TGID_X_EN: 1
; COMPUTE_PGM_RSRC2:TGID_Y_EN: 0
; COMPUTE_PGM_RSRC2:TGID_Z_EN: 0
; COMPUTE_PGM_RSRC2:TIDIG_COMP_CNT: 0
	.section	.text._ZN7rocprim17ROCPRIM_400000_NS6detail17trampoline_kernelINS0_14default_configENS1_25partition_config_selectorILNS1_17partition_subalgoE9EjjbEEZZNS1_14partition_implILS5_9ELb0ES3_jN6thrust23THRUST_200600_302600_NS6detail15normal_iteratorINS9_10device_ptrIjEEEESE_PNS0_10empty_typeENS0_5tupleIJNS9_16discard_iteratorINS9_11use_defaultEEESF_EEENSH_IJSK_SG_EEENS0_18inequality_wrapperINS9_8equal_toIjEEEEPmJSF_EEE10hipError_tPvRmT3_T4_T5_T6_T7_T9_mT8_P12ihipStream_tbDpT10_ENKUlT_T0_E_clISt17integral_constantIbLb1EES1A_IbLb0EEEEDaS16_S17_EUlS16_E_NS1_11comp_targetILNS1_3genE2ELNS1_11target_archE906ELNS1_3gpuE6ELNS1_3repE0EEENS1_30default_config_static_selectorELNS0_4arch9wavefront6targetE0EEEvT1_,"axG",@progbits,_ZN7rocprim17ROCPRIM_400000_NS6detail17trampoline_kernelINS0_14default_configENS1_25partition_config_selectorILNS1_17partition_subalgoE9EjjbEEZZNS1_14partition_implILS5_9ELb0ES3_jN6thrust23THRUST_200600_302600_NS6detail15normal_iteratorINS9_10device_ptrIjEEEESE_PNS0_10empty_typeENS0_5tupleIJNS9_16discard_iteratorINS9_11use_defaultEEESF_EEENSH_IJSK_SG_EEENS0_18inequality_wrapperINS9_8equal_toIjEEEEPmJSF_EEE10hipError_tPvRmT3_T4_T5_T6_T7_T9_mT8_P12ihipStream_tbDpT10_ENKUlT_T0_E_clISt17integral_constantIbLb1EES1A_IbLb0EEEEDaS16_S17_EUlS16_E_NS1_11comp_targetILNS1_3genE2ELNS1_11target_archE906ELNS1_3gpuE6ELNS1_3repE0EEENS1_30default_config_static_selectorELNS0_4arch9wavefront6targetE0EEEvT1_,comdat
	.protected	_ZN7rocprim17ROCPRIM_400000_NS6detail17trampoline_kernelINS0_14default_configENS1_25partition_config_selectorILNS1_17partition_subalgoE9EjjbEEZZNS1_14partition_implILS5_9ELb0ES3_jN6thrust23THRUST_200600_302600_NS6detail15normal_iteratorINS9_10device_ptrIjEEEESE_PNS0_10empty_typeENS0_5tupleIJNS9_16discard_iteratorINS9_11use_defaultEEESF_EEENSH_IJSK_SG_EEENS0_18inequality_wrapperINS9_8equal_toIjEEEEPmJSF_EEE10hipError_tPvRmT3_T4_T5_T6_T7_T9_mT8_P12ihipStream_tbDpT10_ENKUlT_T0_E_clISt17integral_constantIbLb1EES1A_IbLb0EEEEDaS16_S17_EUlS16_E_NS1_11comp_targetILNS1_3genE2ELNS1_11target_archE906ELNS1_3gpuE6ELNS1_3repE0EEENS1_30default_config_static_selectorELNS0_4arch9wavefront6targetE0EEEvT1_ ; -- Begin function _ZN7rocprim17ROCPRIM_400000_NS6detail17trampoline_kernelINS0_14default_configENS1_25partition_config_selectorILNS1_17partition_subalgoE9EjjbEEZZNS1_14partition_implILS5_9ELb0ES3_jN6thrust23THRUST_200600_302600_NS6detail15normal_iteratorINS9_10device_ptrIjEEEESE_PNS0_10empty_typeENS0_5tupleIJNS9_16discard_iteratorINS9_11use_defaultEEESF_EEENSH_IJSK_SG_EEENS0_18inequality_wrapperINS9_8equal_toIjEEEEPmJSF_EEE10hipError_tPvRmT3_T4_T5_T6_T7_T9_mT8_P12ihipStream_tbDpT10_ENKUlT_T0_E_clISt17integral_constantIbLb1EES1A_IbLb0EEEEDaS16_S17_EUlS16_E_NS1_11comp_targetILNS1_3genE2ELNS1_11target_archE906ELNS1_3gpuE6ELNS1_3repE0EEENS1_30default_config_static_selectorELNS0_4arch9wavefront6targetE0EEEvT1_
	.globl	_ZN7rocprim17ROCPRIM_400000_NS6detail17trampoline_kernelINS0_14default_configENS1_25partition_config_selectorILNS1_17partition_subalgoE9EjjbEEZZNS1_14partition_implILS5_9ELb0ES3_jN6thrust23THRUST_200600_302600_NS6detail15normal_iteratorINS9_10device_ptrIjEEEESE_PNS0_10empty_typeENS0_5tupleIJNS9_16discard_iteratorINS9_11use_defaultEEESF_EEENSH_IJSK_SG_EEENS0_18inequality_wrapperINS9_8equal_toIjEEEEPmJSF_EEE10hipError_tPvRmT3_T4_T5_T6_T7_T9_mT8_P12ihipStream_tbDpT10_ENKUlT_T0_E_clISt17integral_constantIbLb1EES1A_IbLb0EEEEDaS16_S17_EUlS16_E_NS1_11comp_targetILNS1_3genE2ELNS1_11target_archE906ELNS1_3gpuE6ELNS1_3repE0EEENS1_30default_config_static_selectorELNS0_4arch9wavefront6targetE0EEEvT1_
	.p2align	8
	.type	_ZN7rocprim17ROCPRIM_400000_NS6detail17trampoline_kernelINS0_14default_configENS1_25partition_config_selectorILNS1_17partition_subalgoE9EjjbEEZZNS1_14partition_implILS5_9ELb0ES3_jN6thrust23THRUST_200600_302600_NS6detail15normal_iteratorINS9_10device_ptrIjEEEESE_PNS0_10empty_typeENS0_5tupleIJNS9_16discard_iteratorINS9_11use_defaultEEESF_EEENSH_IJSK_SG_EEENS0_18inequality_wrapperINS9_8equal_toIjEEEEPmJSF_EEE10hipError_tPvRmT3_T4_T5_T6_T7_T9_mT8_P12ihipStream_tbDpT10_ENKUlT_T0_E_clISt17integral_constantIbLb1EES1A_IbLb0EEEEDaS16_S17_EUlS16_E_NS1_11comp_targetILNS1_3genE2ELNS1_11target_archE906ELNS1_3gpuE6ELNS1_3repE0EEENS1_30default_config_static_selectorELNS0_4arch9wavefront6targetE0EEEvT1_,@function
_ZN7rocprim17ROCPRIM_400000_NS6detail17trampoline_kernelINS0_14default_configENS1_25partition_config_selectorILNS1_17partition_subalgoE9EjjbEEZZNS1_14partition_implILS5_9ELb0ES3_jN6thrust23THRUST_200600_302600_NS6detail15normal_iteratorINS9_10device_ptrIjEEEESE_PNS0_10empty_typeENS0_5tupleIJNS9_16discard_iteratorINS9_11use_defaultEEESF_EEENSH_IJSK_SG_EEENS0_18inequality_wrapperINS9_8equal_toIjEEEEPmJSF_EEE10hipError_tPvRmT3_T4_T5_T6_T7_T9_mT8_P12ihipStream_tbDpT10_ENKUlT_T0_E_clISt17integral_constantIbLb1EES1A_IbLb0EEEEDaS16_S17_EUlS16_E_NS1_11comp_targetILNS1_3genE2ELNS1_11target_archE906ELNS1_3gpuE6ELNS1_3repE0EEENS1_30default_config_static_selectorELNS0_4arch9wavefront6targetE0EEEvT1_: ; @_ZN7rocprim17ROCPRIM_400000_NS6detail17trampoline_kernelINS0_14default_configENS1_25partition_config_selectorILNS1_17partition_subalgoE9EjjbEEZZNS1_14partition_implILS5_9ELb0ES3_jN6thrust23THRUST_200600_302600_NS6detail15normal_iteratorINS9_10device_ptrIjEEEESE_PNS0_10empty_typeENS0_5tupleIJNS9_16discard_iteratorINS9_11use_defaultEEESF_EEENSH_IJSK_SG_EEENS0_18inequality_wrapperINS9_8equal_toIjEEEEPmJSF_EEE10hipError_tPvRmT3_T4_T5_T6_T7_T9_mT8_P12ihipStream_tbDpT10_ENKUlT_T0_E_clISt17integral_constantIbLb1EES1A_IbLb0EEEEDaS16_S17_EUlS16_E_NS1_11comp_targetILNS1_3genE2ELNS1_11target_archE906ELNS1_3gpuE6ELNS1_3repE0EEENS1_30default_config_static_selectorELNS0_4arch9wavefront6targetE0EEEvT1_
; %bb.0:
	.section	.rodata,"a",@progbits
	.p2align	6, 0x0
	.amdhsa_kernel _ZN7rocprim17ROCPRIM_400000_NS6detail17trampoline_kernelINS0_14default_configENS1_25partition_config_selectorILNS1_17partition_subalgoE9EjjbEEZZNS1_14partition_implILS5_9ELb0ES3_jN6thrust23THRUST_200600_302600_NS6detail15normal_iteratorINS9_10device_ptrIjEEEESE_PNS0_10empty_typeENS0_5tupleIJNS9_16discard_iteratorINS9_11use_defaultEEESF_EEENSH_IJSK_SG_EEENS0_18inequality_wrapperINS9_8equal_toIjEEEEPmJSF_EEE10hipError_tPvRmT3_T4_T5_T6_T7_T9_mT8_P12ihipStream_tbDpT10_ENKUlT_T0_E_clISt17integral_constantIbLb1EES1A_IbLb0EEEEDaS16_S17_EUlS16_E_NS1_11comp_targetILNS1_3genE2ELNS1_11target_archE906ELNS1_3gpuE6ELNS1_3repE0EEENS1_30default_config_static_selectorELNS0_4arch9wavefront6targetE0EEEvT1_
		.amdhsa_group_segment_fixed_size 0
		.amdhsa_private_segment_fixed_size 0
		.amdhsa_kernarg_size 128
		.amdhsa_user_sgpr_count 15
		.amdhsa_user_sgpr_dispatch_ptr 0
		.amdhsa_user_sgpr_queue_ptr 0
		.amdhsa_user_sgpr_kernarg_segment_ptr 1
		.amdhsa_user_sgpr_dispatch_id 0
		.amdhsa_user_sgpr_private_segment_size 0
		.amdhsa_wavefront_size32 1
		.amdhsa_uses_dynamic_stack 0
		.amdhsa_enable_private_segment 0
		.amdhsa_system_sgpr_workgroup_id_x 1
		.amdhsa_system_sgpr_workgroup_id_y 0
		.amdhsa_system_sgpr_workgroup_id_z 0
		.amdhsa_system_sgpr_workgroup_info 0
		.amdhsa_system_vgpr_workitem_id 0
		.amdhsa_next_free_vgpr 1
		.amdhsa_next_free_sgpr 1
		.amdhsa_reserve_vcc 0
		.amdhsa_float_round_mode_32 0
		.amdhsa_float_round_mode_16_64 0
		.amdhsa_float_denorm_mode_32 3
		.amdhsa_float_denorm_mode_16_64 3
		.amdhsa_dx10_clamp 1
		.amdhsa_ieee_mode 1
		.amdhsa_fp16_overflow 0
		.amdhsa_workgroup_processor_mode 1
		.amdhsa_memory_ordered 1
		.amdhsa_forward_progress 0
		.amdhsa_shared_vgpr_count 0
		.amdhsa_exception_fp_ieee_invalid_op 0
		.amdhsa_exception_fp_denorm_src 0
		.amdhsa_exception_fp_ieee_div_zero 0
		.amdhsa_exception_fp_ieee_overflow 0
		.amdhsa_exception_fp_ieee_underflow 0
		.amdhsa_exception_fp_ieee_inexact 0
		.amdhsa_exception_int_div_zero 0
	.end_amdhsa_kernel
	.section	.text._ZN7rocprim17ROCPRIM_400000_NS6detail17trampoline_kernelINS0_14default_configENS1_25partition_config_selectorILNS1_17partition_subalgoE9EjjbEEZZNS1_14partition_implILS5_9ELb0ES3_jN6thrust23THRUST_200600_302600_NS6detail15normal_iteratorINS9_10device_ptrIjEEEESE_PNS0_10empty_typeENS0_5tupleIJNS9_16discard_iteratorINS9_11use_defaultEEESF_EEENSH_IJSK_SG_EEENS0_18inequality_wrapperINS9_8equal_toIjEEEEPmJSF_EEE10hipError_tPvRmT3_T4_T5_T6_T7_T9_mT8_P12ihipStream_tbDpT10_ENKUlT_T0_E_clISt17integral_constantIbLb1EES1A_IbLb0EEEEDaS16_S17_EUlS16_E_NS1_11comp_targetILNS1_3genE2ELNS1_11target_archE906ELNS1_3gpuE6ELNS1_3repE0EEENS1_30default_config_static_selectorELNS0_4arch9wavefront6targetE0EEEvT1_,"axG",@progbits,_ZN7rocprim17ROCPRIM_400000_NS6detail17trampoline_kernelINS0_14default_configENS1_25partition_config_selectorILNS1_17partition_subalgoE9EjjbEEZZNS1_14partition_implILS5_9ELb0ES3_jN6thrust23THRUST_200600_302600_NS6detail15normal_iteratorINS9_10device_ptrIjEEEESE_PNS0_10empty_typeENS0_5tupleIJNS9_16discard_iteratorINS9_11use_defaultEEESF_EEENSH_IJSK_SG_EEENS0_18inequality_wrapperINS9_8equal_toIjEEEEPmJSF_EEE10hipError_tPvRmT3_T4_T5_T6_T7_T9_mT8_P12ihipStream_tbDpT10_ENKUlT_T0_E_clISt17integral_constantIbLb1EES1A_IbLb0EEEEDaS16_S17_EUlS16_E_NS1_11comp_targetILNS1_3genE2ELNS1_11target_archE906ELNS1_3gpuE6ELNS1_3repE0EEENS1_30default_config_static_selectorELNS0_4arch9wavefront6targetE0EEEvT1_,comdat
.Lfunc_end809:
	.size	_ZN7rocprim17ROCPRIM_400000_NS6detail17trampoline_kernelINS0_14default_configENS1_25partition_config_selectorILNS1_17partition_subalgoE9EjjbEEZZNS1_14partition_implILS5_9ELb0ES3_jN6thrust23THRUST_200600_302600_NS6detail15normal_iteratorINS9_10device_ptrIjEEEESE_PNS0_10empty_typeENS0_5tupleIJNS9_16discard_iteratorINS9_11use_defaultEEESF_EEENSH_IJSK_SG_EEENS0_18inequality_wrapperINS9_8equal_toIjEEEEPmJSF_EEE10hipError_tPvRmT3_T4_T5_T6_T7_T9_mT8_P12ihipStream_tbDpT10_ENKUlT_T0_E_clISt17integral_constantIbLb1EES1A_IbLb0EEEEDaS16_S17_EUlS16_E_NS1_11comp_targetILNS1_3genE2ELNS1_11target_archE906ELNS1_3gpuE6ELNS1_3repE0EEENS1_30default_config_static_selectorELNS0_4arch9wavefront6targetE0EEEvT1_, .Lfunc_end809-_ZN7rocprim17ROCPRIM_400000_NS6detail17trampoline_kernelINS0_14default_configENS1_25partition_config_selectorILNS1_17partition_subalgoE9EjjbEEZZNS1_14partition_implILS5_9ELb0ES3_jN6thrust23THRUST_200600_302600_NS6detail15normal_iteratorINS9_10device_ptrIjEEEESE_PNS0_10empty_typeENS0_5tupleIJNS9_16discard_iteratorINS9_11use_defaultEEESF_EEENSH_IJSK_SG_EEENS0_18inequality_wrapperINS9_8equal_toIjEEEEPmJSF_EEE10hipError_tPvRmT3_T4_T5_T6_T7_T9_mT8_P12ihipStream_tbDpT10_ENKUlT_T0_E_clISt17integral_constantIbLb1EES1A_IbLb0EEEEDaS16_S17_EUlS16_E_NS1_11comp_targetILNS1_3genE2ELNS1_11target_archE906ELNS1_3gpuE6ELNS1_3repE0EEENS1_30default_config_static_selectorELNS0_4arch9wavefront6targetE0EEEvT1_
                                        ; -- End function
	.section	.AMDGPU.csdata,"",@progbits
; Kernel info:
; codeLenInByte = 0
; NumSgprs: 0
; NumVgprs: 0
; ScratchSize: 0
; MemoryBound: 0
; FloatMode: 240
; IeeeMode: 1
; LDSByteSize: 0 bytes/workgroup (compile time only)
; SGPRBlocks: 0
; VGPRBlocks: 0
; NumSGPRsForWavesPerEU: 1
; NumVGPRsForWavesPerEU: 1
; Occupancy: 16
; WaveLimiterHint : 0
; COMPUTE_PGM_RSRC2:SCRATCH_EN: 0
; COMPUTE_PGM_RSRC2:USER_SGPR: 15
; COMPUTE_PGM_RSRC2:TRAP_HANDLER: 0
; COMPUTE_PGM_RSRC2:TGID_X_EN: 1
; COMPUTE_PGM_RSRC2:TGID_Y_EN: 0
; COMPUTE_PGM_RSRC2:TGID_Z_EN: 0
; COMPUTE_PGM_RSRC2:TIDIG_COMP_CNT: 0
	.section	.text._ZN7rocprim17ROCPRIM_400000_NS6detail17trampoline_kernelINS0_14default_configENS1_25partition_config_selectorILNS1_17partition_subalgoE9EjjbEEZZNS1_14partition_implILS5_9ELb0ES3_jN6thrust23THRUST_200600_302600_NS6detail15normal_iteratorINS9_10device_ptrIjEEEESE_PNS0_10empty_typeENS0_5tupleIJNS9_16discard_iteratorINS9_11use_defaultEEESF_EEENSH_IJSK_SG_EEENS0_18inequality_wrapperINS9_8equal_toIjEEEEPmJSF_EEE10hipError_tPvRmT3_T4_T5_T6_T7_T9_mT8_P12ihipStream_tbDpT10_ENKUlT_T0_E_clISt17integral_constantIbLb1EES1A_IbLb0EEEEDaS16_S17_EUlS16_E_NS1_11comp_targetILNS1_3genE10ELNS1_11target_archE1200ELNS1_3gpuE4ELNS1_3repE0EEENS1_30default_config_static_selectorELNS0_4arch9wavefront6targetE0EEEvT1_,"axG",@progbits,_ZN7rocprim17ROCPRIM_400000_NS6detail17trampoline_kernelINS0_14default_configENS1_25partition_config_selectorILNS1_17partition_subalgoE9EjjbEEZZNS1_14partition_implILS5_9ELb0ES3_jN6thrust23THRUST_200600_302600_NS6detail15normal_iteratorINS9_10device_ptrIjEEEESE_PNS0_10empty_typeENS0_5tupleIJNS9_16discard_iteratorINS9_11use_defaultEEESF_EEENSH_IJSK_SG_EEENS0_18inequality_wrapperINS9_8equal_toIjEEEEPmJSF_EEE10hipError_tPvRmT3_T4_T5_T6_T7_T9_mT8_P12ihipStream_tbDpT10_ENKUlT_T0_E_clISt17integral_constantIbLb1EES1A_IbLb0EEEEDaS16_S17_EUlS16_E_NS1_11comp_targetILNS1_3genE10ELNS1_11target_archE1200ELNS1_3gpuE4ELNS1_3repE0EEENS1_30default_config_static_selectorELNS0_4arch9wavefront6targetE0EEEvT1_,comdat
	.protected	_ZN7rocprim17ROCPRIM_400000_NS6detail17trampoline_kernelINS0_14default_configENS1_25partition_config_selectorILNS1_17partition_subalgoE9EjjbEEZZNS1_14partition_implILS5_9ELb0ES3_jN6thrust23THRUST_200600_302600_NS6detail15normal_iteratorINS9_10device_ptrIjEEEESE_PNS0_10empty_typeENS0_5tupleIJNS9_16discard_iteratorINS9_11use_defaultEEESF_EEENSH_IJSK_SG_EEENS0_18inequality_wrapperINS9_8equal_toIjEEEEPmJSF_EEE10hipError_tPvRmT3_T4_T5_T6_T7_T9_mT8_P12ihipStream_tbDpT10_ENKUlT_T0_E_clISt17integral_constantIbLb1EES1A_IbLb0EEEEDaS16_S17_EUlS16_E_NS1_11comp_targetILNS1_3genE10ELNS1_11target_archE1200ELNS1_3gpuE4ELNS1_3repE0EEENS1_30default_config_static_selectorELNS0_4arch9wavefront6targetE0EEEvT1_ ; -- Begin function _ZN7rocprim17ROCPRIM_400000_NS6detail17trampoline_kernelINS0_14default_configENS1_25partition_config_selectorILNS1_17partition_subalgoE9EjjbEEZZNS1_14partition_implILS5_9ELb0ES3_jN6thrust23THRUST_200600_302600_NS6detail15normal_iteratorINS9_10device_ptrIjEEEESE_PNS0_10empty_typeENS0_5tupleIJNS9_16discard_iteratorINS9_11use_defaultEEESF_EEENSH_IJSK_SG_EEENS0_18inequality_wrapperINS9_8equal_toIjEEEEPmJSF_EEE10hipError_tPvRmT3_T4_T5_T6_T7_T9_mT8_P12ihipStream_tbDpT10_ENKUlT_T0_E_clISt17integral_constantIbLb1EES1A_IbLb0EEEEDaS16_S17_EUlS16_E_NS1_11comp_targetILNS1_3genE10ELNS1_11target_archE1200ELNS1_3gpuE4ELNS1_3repE0EEENS1_30default_config_static_selectorELNS0_4arch9wavefront6targetE0EEEvT1_
	.globl	_ZN7rocprim17ROCPRIM_400000_NS6detail17trampoline_kernelINS0_14default_configENS1_25partition_config_selectorILNS1_17partition_subalgoE9EjjbEEZZNS1_14partition_implILS5_9ELb0ES3_jN6thrust23THRUST_200600_302600_NS6detail15normal_iteratorINS9_10device_ptrIjEEEESE_PNS0_10empty_typeENS0_5tupleIJNS9_16discard_iteratorINS9_11use_defaultEEESF_EEENSH_IJSK_SG_EEENS0_18inequality_wrapperINS9_8equal_toIjEEEEPmJSF_EEE10hipError_tPvRmT3_T4_T5_T6_T7_T9_mT8_P12ihipStream_tbDpT10_ENKUlT_T0_E_clISt17integral_constantIbLb1EES1A_IbLb0EEEEDaS16_S17_EUlS16_E_NS1_11comp_targetILNS1_3genE10ELNS1_11target_archE1200ELNS1_3gpuE4ELNS1_3repE0EEENS1_30default_config_static_selectorELNS0_4arch9wavefront6targetE0EEEvT1_
	.p2align	8
	.type	_ZN7rocprim17ROCPRIM_400000_NS6detail17trampoline_kernelINS0_14default_configENS1_25partition_config_selectorILNS1_17partition_subalgoE9EjjbEEZZNS1_14partition_implILS5_9ELb0ES3_jN6thrust23THRUST_200600_302600_NS6detail15normal_iteratorINS9_10device_ptrIjEEEESE_PNS0_10empty_typeENS0_5tupleIJNS9_16discard_iteratorINS9_11use_defaultEEESF_EEENSH_IJSK_SG_EEENS0_18inequality_wrapperINS9_8equal_toIjEEEEPmJSF_EEE10hipError_tPvRmT3_T4_T5_T6_T7_T9_mT8_P12ihipStream_tbDpT10_ENKUlT_T0_E_clISt17integral_constantIbLb1EES1A_IbLb0EEEEDaS16_S17_EUlS16_E_NS1_11comp_targetILNS1_3genE10ELNS1_11target_archE1200ELNS1_3gpuE4ELNS1_3repE0EEENS1_30default_config_static_selectorELNS0_4arch9wavefront6targetE0EEEvT1_,@function
_ZN7rocprim17ROCPRIM_400000_NS6detail17trampoline_kernelINS0_14default_configENS1_25partition_config_selectorILNS1_17partition_subalgoE9EjjbEEZZNS1_14partition_implILS5_9ELb0ES3_jN6thrust23THRUST_200600_302600_NS6detail15normal_iteratorINS9_10device_ptrIjEEEESE_PNS0_10empty_typeENS0_5tupleIJNS9_16discard_iteratorINS9_11use_defaultEEESF_EEENSH_IJSK_SG_EEENS0_18inequality_wrapperINS9_8equal_toIjEEEEPmJSF_EEE10hipError_tPvRmT3_T4_T5_T6_T7_T9_mT8_P12ihipStream_tbDpT10_ENKUlT_T0_E_clISt17integral_constantIbLb1EES1A_IbLb0EEEEDaS16_S17_EUlS16_E_NS1_11comp_targetILNS1_3genE10ELNS1_11target_archE1200ELNS1_3gpuE4ELNS1_3repE0EEENS1_30default_config_static_selectorELNS0_4arch9wavefront6targetE0EEEvT1_: ; @_ZN7rocprim17ROCPRIM_400000_NS6detail17trampoline_kernelINS0_14default_configENS1_25partition_config_selectorILNS1_17partition_subalgoE9EjjbEEZZNS1_14partition_implILS5_9ELb0ES3_jN6thrust23THRUST_200600_302600_NS6detail15normal_iteratorINS9_10device_ptrIjEEEESE_PNS0_10empty_typeENS0_5tupleIJNS9_16discard_iteratorINS9_11use_defaultEEESF_EEENSH_IJSK_SG_EEENS0_18inequality_wrapperINS9_8equal_toIjEEEEPmJSF_EEE10hipError_tPvRmT3_T4_T5_T6_T7_T9_mT8_P12ihipStream_tbDpT10_ENKUlT_T0_E_clISt17integral_constantIbLb1EES1A_IbLb0EEEEDaS16_S17_EUlS16_E_NS1_11comp_targetILNS1_3genE10ELNS1_11target_archE1200ELNS1_3gpuE4ELNS1_3repE0EEENS1_30default_config_static_selectorELNS0_4arch9wavefront6targetE0EEEvT1_
; %bb.0:
	.section	.rodata,"a",@progbits
	.p2align	6, 0x0
	.amdhsa_kernel _ZN7rocprim17ROCPRIM_400000_NS6detail17trampoline_kernelINS0_14default_configENS1_25partition_config_selectorILNS1_17partition_subalgoE9EjjbEEZZNS1_14partition_implILS5_9ELb0ES3_jN6thrust23THRUST_200600_302600_NS6detail15normal_iteratorINS9_10device_ptrIjEEEESE_PNS0_10empty_typeENS0_5tupleIJNS9_16discard_iteratorINS9_11use_defaultEEESF_EEENSH_IJSK_SG_EEENS0_18inequality_wrapperINS9_8equal_toIjEEEEPmJSF_EEE10hipError_tPvRmT3_T4_T5_T6_T7_T9_mT8_P12ihipStream_tbDpT10_ENKUlT_T0_E_clISt17integral_constantIbLb1EES1A_IbLb0EEEEDaS16_S17_EUlS16_E_NS1_11comp_targetILNS1_3genE10ELNS1_11target_archE1200ELNS1_3gpuE4ELNS1_3repE0EEENS1_30default_config_static_selectorELNS0_4arch9wavefront6targetE0EEEvT1_
		.amdhsa_group_segment_fixed_size 0
		.amdhsa_private_segment_fixed_size 0
		.amdhsa_kernarg_size 128
		.amdhsa_user_sgpr_count 15
		.amdhsa_user_sgpr_dispatch_ptr 0
		.amdhsa_user_sgpr_queue_ptr 0
		.amdhsa_user_sgpr_kernarg_segment_ptr 1
		.amdhsa_user_sgpr_dispatch_id 0
		.amdhsa_user_sgpr_private_segment_size 0
		.amdhsa_wavefront_size32 1
		.amdhsa_uses_dynamic_stack 0
		.amdhsa_enable_private_segment 0
		.amdhsa_system_sgpr_workgroup_id_x 1
		.amdhsa_system_sgpr_workgroup_id_y 0
		.amdhsa_system_sgpr_workgroup_id_z 0
		.amdhsa_system_sgpr_workgroup_info 0
		.amdhsa_system_vgpr_workitem_id 0
		.amdhsa_next_free_vgpr 1
		.amdhsa_next_free_sgpr 1
		.amdhsa_reserve_vcc 0
		.amdhsa_float_round_mode_32 0
		.amdhsa_float_round_mode_16_64 0
		.amdhsa_float_denorm_mode_32 3
		.amdhsa_float_denorm_mode_16_64 3
		.amdhsa_dx10_clamp 1
		.amdhsa_ieee_mode 1
		.amdhsa_fp16_overflow 0
		.amdhsa_workgroup_processor_mode 1
		.amdhsa_memory_ordered 1
		.amdhsa_forward_progress 0
		.amdhsa_shared_vgpr_count 0
		.amdhsa_exception_fp_ieee_invalid_op 0
		.amdhsa_exception_fp_denorm_src 0
		.amdhsa_exception_fp_ieee_div_zero 0
		.amdhsa_exception_fp_ieee_overflow 0
		.amdhsa_exception_fp_ieee_underflow 0
		.amdhsa_exception_fp_ieee_inexact 0
		.amdhsa_exception_int_div_zero 0
	.end_amdhsa_kernel
	.section	.text._ZN7rocprim17ROCPRIM_400000_NS6detail17trampoline_kernelINS0_14default_configENS1_25partition_config_selectorILNS1_17partition_subalgoE9EjjbEEZZNS1_14partition_implILS5_9ELb0ES3_jN6thrust23THRUST_200600_302600_NS6detail15normal_iteratorINS9_10device_ptrIjEEEESE_PNS0_10empty_typeENS0_5tupleIJNS9_16discard_iteratorINS9_11use_defaultEEESF_EEENSH_IJSK_SG_EEENS0_18inequality_wrapperINS9_8equal_toIjEEEEPmJSF_EEE10hipError_tPvRmT3_T4_T5_T6_T7_T9_mT8_P12ihipStream_tbDpT10_ENKUlT_T0_E_clISt17integral_constantIbLb1EES1A_IbLb0EEEEDaS16_S17_EUlS16_E_NS1_11comp_targetILNS1_3genE10ELNS1_11target_archE1200ELNS1_3gpuE4ELNS1_3repE0EEENS1_30default_config_static_selectorELNS0_4arch9wavefront6targetE0EEEvT1_,"axG",@progbits,_ZN7rocprim17ROCPRIM_400000_NS6detail17trampoline_kernelINS0_14default_configENS1_25partition_config_selectorILNS1_17partition_subalgoE9EjjbEEZZNS1_14partition_implILS5_9ELb0ES3_jN6thrust23THRUST_200600_302600_NS6detail15normal_iteratorINS9_10device_ptrIjEEEESE_PNS0_10empty_typeENS0_5tupleIJNS9_16discard_iteratorINS9_11use_defaultEEESF_EEENSH_IJSK_SG_EEENS0_18inequality_wrapperINS9_8equal_toIjEEEEPmJSF_EEE10hipError_tPvRmT3_T4_T5_T6_T7_T9_mT8_P12ihipStream_tbDpT10_ENKUlT_T0_E_clISt17integral_constantIbLb1EES1A_IbLb0EEEEDaS16_S17_EUlS16_E_NS1_11comp_targetILNS1_3genE10ELNS1_11target_archE1200ELNS1_3gpuE4ELNS1_3repE0EEENS1_30default_config_static_selectorELNS0_4arch9wavefront6targetE0EEEvT1_,comdat
.Lfunc_end810:
	.size	_ZN7rocprim17ROCPRIM_400000_NS6detail17trampoline_kernelINS0_14default_configENS1_25partition_config_selectorILNS1_17partition_subalgoE9EjjbEEZZNS1_14partition_implILS5_9ELb0ES3_jN6thrust23THRUST_200600_302600_NS6detail15normal_iteratorINS9_10device_ptrIjEEEESE_PNS0_10empty_typeENS0_5tupleIJNS9_16discard_iteratorINS9_11use_defaultEEESF_EEENSH_IJSK_SG_EEENS0_18inequality_wrapperINS9_8equal_toIjEEEEPmJSF_EEE10hipError_tPvRmT3_T4_T5_T6_T7_T9_mT8_P12ihipStream_tbDpT10_ENKUlT_T0_E_clISt17integral_constantIbLb1EES1A_IbLb0EEEEDaS16_S17_EUlS16_E_NS1_11comp_targetILNS1_3genE10ELNS1_11target_archE1200ELNS1_3gpuE4ELNS1_3repE0EEENS1_30default_config_static_selectorELNS0_4arch9wavefront6targetE0EEEvT1_, .Lfunc_end810-_ZN7rocprim17ROCPRIM_400000_NS6detail17trampoline_kernelINS0_14default_configENS1_25partition_config_selectorILNS1_17partition_subalgoE9EjjbEEZZNS1_14partition_implILS5_9ELb0ES3_jN6thrust23THRUST_200600_302600_NS6detail15normal_iteratorINS9_10device_ptrIjEEEESE_PNS0_10empty_typeENS0_5tupleIJNS9_16discard_iteratorINS9_11use_defaultEEESF_EEENSH_IJSK_SG_EEENS0_18inequality_wrapperINS9_8equal_toIjEEEEPmJSF_EEE10hipError_tPvRmT3_T4_T5_T6_T7_T9_mT8_P12ihipStream_tbDpT10_ENKUlT_T0_E_clISt17integral_constantIbLb1EES1A_IbLb0EEEEDaS16_S17_EUlS16_E_NS1_11comp_targetILNS1_3genE10ELNS1_11target_archE1200ELNS1_3gpuE4ELNS1_3repE0EEENS1_30default_config_static_selectorELNS0_4arch9wavefront6targetE0EEEvT1_
                                        ; -- End function
	.section	.AMDGPU.csdata,"",@progbits
; Kernel info:
; codeLenInByte = 0
; NumSgprs: 0
; NumVgprs: 0
; ScratchSize: 0
; MemoryBound: 0
; FloatMode: 240
; IeeeMode: 1
; LDSByteSize: 0 bytes/workgroup (compile time only)
; SGPRBlocks: 0
; VGPRBlocks: 0
; NumSGPRsForWavesPerEU: 1
; NumVGPRsForWavesPerEU: 1
; Occupancy: 15
; WaveLimiterHint : 0
; COMPUTE_PGM_RSRC2:SCRATCH_EN: 0
; COMPUTE_PGM_RSRC2:USER_SGPR: 15
; COMPUTE_PGM_RSRC2:TRAP_HANDLER: 0
; COMPUTE_PGM_RSRC2:TGID_X_EN: 1
; COMPUTE_PGM_RSRC2:TGID_Y_EN: 0
; COMPUTE_PGM_RSRC2:TGID_Z_EN: 0
; COMPUTE_PGM_RSRC2:TIDIG_COMP_CNT: 0
	.section	.text._ZN7rocprim17ROCPRIM_400000_NS6detail17trampoline_kernelINS0_14default_configENS1_25partition_config_selectorILNS1_17partition_subalgoE9EjjbEEZZNS1_14partition_implILS5_9ELb0ES3_jN6thrust23THRUST_200600_302600_NS6detail15normal_iteratorINS9_10device_ptrIjEEEESE_PNS0_10empty_typeENS0_5tupleIJNS9_16discard_iteratorINS9_11use_defaultEEESF_EEENSH_IJSK_SG_EEENS0_18inequality_wrapperINS9_8equal_toIjEEEEPmJSF_EEE10hipError_tPvRmT3_T4_T5_T6_T7_T9_mT8_P12ihipStream_tbDpT10_ENKUlT_T0_E_clISt17integral_constantIbLb1EES1A_IbLb0EEEEDaS16_S17_EUlS16_E_NS1_11comp_targetILNS1_3genE9ELNS1_11target_archE1100ELNS1_3gpuE3ELNS1_3repE0EEENS1_30default_config_static_selectorELNS0_4arch9wavefront6targetE0EEEvT1_,"axG",@progbits,_ZN7rocprim17ROCPRIM_400000_NS6detail17trampoline_kernelINS0_14default_configENS1_25partition_config_selectorILNS1_17partition_subalgoE9EjjbEEZZNS1_14partition_implILS5_9ELb0ES3_jN6thrust23THRUST_200600_302600_NS6detail15normal_iteratorINS9_10device_ptrIjEEEESE_PNS0_10empty_typeENS0_5tupleIJNS9_16discard_iteratorINS9_11use_defaultEEESF_EEENSH_IJSK_SG_EEENS0_18inequality_wrapperINS9_8equal_toIjEEEEPmJSF_EEE10hipError_tPvRmT3_T4_T5_T6_T7_T9_mT8_P12ihipStream_tbDpT10_ENKUlT_T0_E_clISt17integral_constantIbLb1EES1A_IbLb0EEEEDaS16_S17_EUlS16_E_NS1_11comp_targetILNS1_3genE9ELNS1_11target_archE1100ELNS1_3gpuE3ELNS1_3repE0EEENS1_30default_config_static_selectorELNS0_4arch9wavefront6targetE0EEEvT1_,comdat
	.protected	_ZN7rocprim17ROCPRIM_400000_NS6detail17trampoline_kernelINS0_14default_configENS1_25partition_config_selectorILNS1_17partition_subalgoE9EjjbEEZZNS1_14partition_implILS5_9ELb0ES3_jN6thrust23THRUST_200600_302600_NS6detail15normal_iteratorINS9_10device_ptrIjEEEESE_PNS0_10empty_typeENS0_5tupleIJNS9_16discard_iteratorINS9_11use_defaultEEESF_EEENSH_IJSK_SG_EEENS0_18inequality_wrapperINS9_8equal_toIjEEEEPmJSF_EEE10hipError_tPvRmT3_T4_T5_T6_T7_T9_mT8_P12ihipStream_tbDpT10_ENKUlT_T0_E_clISt17integral_constantIbLb1EES1A_IbLb0EEEEDaS16_S17_EUlS16_E_NS1_11comp_targetILNS1_3genE9ELNS1_11target_archE1100ELNS1_3gpuE3ELNS1_3repE0EEENS1_30default_config_static_selectorELNS0_4arch9wavefront6targetE0EEEvT1_ ; -- Begin function _ZN7rocprim17ROCPRIM_400000_NS6detail17trampoline_kernelINS0_14default_configENS1_25partition_config_selectorILNS1_17partition_subalgoE9EjjbEEZZNS1_14partition_implILS5_9ELb0ES3_jN6thrust23THRUST_200600_302600_NS6detail15normal_iteratorINS9_10device_ptrIjEEEESE_PNS0_10empty_typeENS0_5tupleIJNS9_16discard_iteratorINS9_11use_defaultEEESF_EEENSH_IJSK_SG_EEENS0_18inequality_wrapperINS9_8equal_toIjEEEEPmJSF_EEE10hipError_tPvRmT3_T4_T5_T6_T7_T9_mT8_P12ihipStream_tbDpT10_ENKUlT_T0_E_clISt17integral_constantIbLb1EES1A_IbLb0EEEEDaS16_S17_EUlS16_E_NS1_11comp_targetILNS1_3genE9ELNS1_11target_archE1100ELNS1_3gpuE3ELNS1_3repE0EEENS1_30default_config_static_selectorELNS0_4arch9wavefront6targetE0EEEvT1_
	.globl	_ZN7rocprim17ROCPRIM_400000_NS6detail17trampoline_kernelINS0_14default_configENS1_25partition_config_selectorILNS1_17partition_subalgoE9EjjbEEZZNS1_14partition_implILS5_9ELb0ES3_jN6thrust23THRUST_200600_302600_NS6detail15normal_iteratorINS9_10device_ptrIjEEEESE_PNS0_10empty_typeENS0_5tupleIJNS9_16discard_iteratorINS9_11use_defaultEEESF_EEENSH_IJSK_SG_EEENS0_18inequality_wrapperINS9_8equal_toIjEEEEPmJSF_EEE10hipError_tPvRmT3_T4_T5_T6_T7_T9_mT8_P12ihipStream_tbDpT10_ENKUlT_T0_E_clISt17integral_constantIbLb1EES1A_IbLb0EEEEDaS16_S17_EUlS16_E_NS1_11comp_targetILNS1_3genE9ELNS1_11target_archE1100ELNS1_3gpuE3ELNS1_3repE0EEENS1_30default_config_static_selectorELNS0_4arch9wavefront6targetE0EEEvT1_
	.p2align	8
	.type	_ZN7rocprim17ROCPRIM_400000_NS6detail17trampoline_kernelINS0_14default_configENS1_25partition_config_selectorILNS1_17partition_subalgoE9EjjbEEZZNS1_14partition_implILS5_9ELb0ES3_jN6thrust23THRUST_200600_302600_NS6detail15normal_iteratorINS9_10device_ptrIjEEEESE_PNS0_10empty_typeENS0_5tupleIJNS9_16discard_iteratorINS9_11use_defaultEEESF_EEENSH_IJSK_SG_EEENS0_18inequality_wrapperINS9_8equal_toIjEEEEPmJSF_EEE10hipError_tPvRmT3_T4_T5_T6_T7_T9_mT8_P12ihipStream_tbDpT10_ENKUlT_T0_E_clISt17integral_constantIbLb1EES1A_IbLb0EEEEDaS16_S17_EUlS16_E_NS1_11comp_targetILNS1_3genE9ELNS1_11target_archE1100ELNS1_3gpuE3ELNS1_3repE0EEENS1_30default_config_static_selectorELNS0_4arch9wavefront6targetE0EEEvT1_,@function
_ZN7rocprim17ROCPRIM_400000_NS6detail17trampoline_kernelINS0_14default_configENS1_25partition_config_selectorILNS1_17partition_subalgoE9EjjbEEZZNS1_14partition_implILS5_9ELb0ES3_jN6thrust23THRUST_200600_302600_NS6detail15normal_iteratorINS9_10device_ptrIjEEEESE_PNS0_10empty_typeENS0_5tupleIJNS9_16discard_iteratorINS9_11use_defaultEEESF_EEENSH_IJSK_SG_EEENS0_18inequality_wrapperINS9_8equal_toIjEEEEPmJSF_EEE10hipError_tPvRmT3_T4_T5_T6_T7_T9_mT8_P12ihipStream_tbDpT10_ENKUlT_T0_E_clISt17integral_constantIbLb1EES1A_IbLb0EEEEDaS16_S17_EUlS16_E_NS1_11comp_targetILNS1_3genE9ELNS1_11target_archE1100ELNS1_3gpuE3ELNS1_3repE0EEENS1_30default_config_static_selectorELNS0_4arch9wavefront6targetE0EEEvT1_: ; @_ZN7rocprim17ROCPRIM_400000_NS6detail17trampoline_kernelINS0_14default_configENS1_25partition_config_selectorILNS1_17partition_subalgoE9EjjbEEZZNS1_14partition_implILS5_9ELb0ES3_jN6thrust23THRUST_200600_302600_NS6detail15normal_iteratorINS9_10device_ptrIjEEEESE_PNS0_10empty_typeENS0_5tupleIJNS9_16discard_iteratorINS9_11use_defaultEEESF_EEENSH_IJSK_SG_EEENS0_18inequality_wrapperINS9_8equal_toIjEEEEPmJSF_EEE10hipError_tPvRmT3_T4_T5_T6_T7_T9_mT8_P12ihipStream_tbDpT10_ENKUlT_T0_E_clISt17integral_constantIbLb1EES1A_IbLb0EEEEDaS16_S17_EUlS16_E_NS1_11comp_targetILNS1_3genE9ELNS1_11target_archE1100ELNS1_3gpuE3ELNS1_3repE0EEENS1_30default_config_static_selectorELNS0_4arch9wavefront6targetE0EEEvT1_
; %bb.0:
	s_clause 0x4
	s_load_b128 s[4:7], s[0:1], 0x8
	s_load_b32 s14, s[0:1], 0x78
	s_load_b128 s[16:19], s[0:1], 0x50
	s_load_b64 s[2:3], s[0:1], 0x60
	s_load_b64 s[8:9], s[0:1], 0x18
	s_mov_b32 s21, 0
	s_mul_i32 s20, s15, 0xc00
	v_lshrrev_b32_e32 v10, 3, v0
	v_add_nc_u32_e32 v14, 0x180, v0
	v_add_nc_u32_e32 v13, 0x300, v0
	;; [unrolled: 1-line block ×3, first 2 shown]
	v_or_b32_e32 v15, 0x600, v0
	v_add_nc_u32_e32 v11, 0x780, v0
	v_add_nc_u32_e32 v9, 0x900, v0
	;; [unrolled: 1-line block ×3, first 2 shown]
	s_waitcnt lgkmcnt(0)
	s_lshl_b64 s[12:13], s[6:7], 2
	s_mul_i32 s22, s14, 0xc00
	s_add_u32 s23, s4, s12
	s_addc_u32 s24, s5, s13
	s_add_i32 s4, s22, s6
	s_load_b64 s[10:11], s[18:19], 0x0
	s_sub_i32 s18, s2, s4
	s_add_i32 s14, s14, -1
	s_addk_i32 s18, 0xc00
	s_add_u32 s4, s6, s22
	s_addc_u32 s5, s7, 0
	s_cmp_eq_u32 s15, s14
	v_cmp_ge_u64_e64 s2, s[4:5], s[2:3]
	s_cselect_b32 s14, -1, 0
	s_lshl_b64 s[4:5], s[20:21], 2
	s_mov_b32 s22, -1
	s_delay_alu instid0(VALU_DEP_1) | instskip(NEXT) | instid1(SALU_CYCLE_1)
	s_and_b32 s19, s14, s2
	s_xor_b32 s20, s19, -1
	s_add_u32 s21, s23, s4
	s_addc_u32 s3, s24, s5
	s_and_b32 vcc_lo, exec_lo, s20
	s_cbranch_vccz .LBB811_2
; %bb.1:
	v_lshlrev_b32_e32 v7, 2, v0
	v_lshrrev_b32_e32 v19, 3, v14
	v_lshrrev_b32_e32 v20, 3, v13
	;; [unrolled: 1-line block ×4, first 2 shown]
	v_add_co_u32 v1, s2, s21, v7
	s_delay_alu instid0(VALU_DEP_1) | instskip(SKIP_1) | instid1(VALU_DEP_3)
	v_add_co_ci_u32_e64 v2, null, s3, 0, s2
	v_lshrrev_b32_e32 v23, 3, v11
	v_add_co_u32 v3, vcc_lo, 0x1000, v1
	s_delay_alu instid0(VALU_DEP_3)
	v_add_co_ci_u32_e32 v4, vcc_lo, 0, v2, vcc_lo
	v_add_co_u32 v5, vcc_lo, 0x2000, v1
	v_add_co_ci_u32_e32 v6, vcc_lo, 0, v2, vcc_lo
	s_clause 0x7
	flat_load_b32 v8, v[1:2]
	flat_load_b32 v17, v[1:2] offset:1536
	flat_load_b32 v1, v[1:2] offset:3072
	;; [unrolled: 1-line block ×7, first 2 shown]
	v_and_b32_e32 v6, 60, v10
	v_lshrrev_b32_e32 v24, 3, v9
	v_lshrrev_b32_e32 v25, 3, v12
	v_and_b32_e32 v19, 0x7c, v19
	v_and_b32_e32 v20, 0xfc, v20
	;; [unrolled: 1-line block ×4, first 2 shown]
	v_add_nc_u32_e32 v6, v6, v7
	v_and_b32_e32 v23, 0x1fc, v23
	v_and_b32_e32 v24, 0x17c, v24
	;; [unrolled: 1-line block ×3, first 2 shown]
	v_add_nc_u32_e32 v19, v19, v7
	v_add_nc_u32_e32 v20, v20, v7
	;; [unrolled: 1-line block ×4, first 2 shown]
	s_mov_b32 s22, 0
	v_add_nc_u32_e32 v23, v23, v7
	v_add_nc_u32_e32 v24, v24, v7
	;; [unrolled: 1-line block ×3, first 2 shown]
	s_waitcnt vmcnt(7) lgkmcnt(0)
	ds_store_b32 v6, v8
	s_waitcnt vmcnt(6)
	ds_store_b32 v19, v17 offset:1536
	s_waitcnt vmcnt(5)
	ds_store_b32 v20, v1 offset:3072
	;; [unrolled: 2-line block ×7, first 2 shown]
	s_waitcnt lgkmcnt(0)
	s_barrier
.LBB811_2:
	v_cmp_gt_u32_e64 s2, s18, v0
	s_and_not1_b32 vcc_lo, exec_lo, s22
	s_cbranch_vccnz .LBB811_20
; %bb.3:
                                        ; implicit-def: $vgpr1_vgpr2_vgpr3_vgpr4_vgpr5_vgpr6_vgpr7_vgpr8
	s_delay_alu instid0(VALU_DEP_1)
	s_and_saveexec_b32 s22, s2
	s_cbranch_execz .LBB811_11
; %bb.4:
	v_lshlrev_b32_e32 v1, 2, v0
	s_delay_alu instid0(VALU_DEP_1) | instskip(NEXT) | instid1(VALU_DEP_1)
	v_add_co_u32 v1, s2, s21, v1
	v_add_co_ci_u32_e64 v2, null, s3, 0, s2
	flat_load_b32 v1, v[1:2]
	s_or_b32 exec_lo, exec_lo, s22
	s_delay_alu instid0(SALU_CYCLE_1)
	s_mov_b32 s2, exec_lo
	v_cmpx_gt_u32_e64 s18, v14
	s_cbranch_execnz .LBB811_12
.LBB811_5:
	s_or_b32 exec_lo, exec_lo, s2
	s_delay_alu instid0(SALU_CYCLE_1)
	s_mov_b32 s2, exec_lo
	v_cmpx_gt_u32_e64 s18, v13
	s_cbranch_execz .LBB811_13
.LBB811_6:
	v_lshlrev_b32_e32 v3, 2, v0
	s_delay_alu instid0(VALU_DEP_1) | instskip(NEXT) | instid1(VALU_DEP_1)
	v_add_co_u32 v17, s22, s21, v3
	v_add_co_ci_u32_e64 v18, null, s3, 0, s22
	flat_load_b32 v3, v[17:18] offset:3072
	s_or_b32 exec_lo, exec_lo, s2
	s_delay_alu instid0(SALU_CYCLE_1)
	s_mov_b32 s2, exec_lo
	v_cmpx_gt_u32_e64 s18, v16
	s_cbranch_execnz .LBB811_14
.LBB811_7:
	s_or_b32 exec_lo, exec_lo, s2
	s_delay_alu instid0(SALU_CYCLE_1)
	s_mov_b32 s2, exec_lo
	v_cmpx_gt_u32_e64 s18, v15
	s_cbranch_execz .LBB811_15
.LBB811_8:
	v_lshlrev_b32_e32 v5, 2, v15
	s_delay_alu instid0(VALU_DEP_1) | instskip(NEXT) | instid1(VALU_DEP_1)
	v_add_co_u32 v17, s22, s21, v5
	v_add_co_ci_u32_e64 v18, null, s3, 0, s22
	flat_load_b32 v5, v[17:18]
	s_or_b32 exec_lo, exec_lo, s2
	s_delay_alu instid0(SALU_CYCLE_1)
	s_mov_b32 s2, exec_lo
	v_cmpx_gt_u32_e64 s18, v11
	s_cbranch_execnz .LBB811_16
.LBB811_9:
	s_or_b32 exec_lo, exec_lo, s2
	s_delay_alu instid0(SALU_CYCLE_1)
	s_mov_b32 s2, exec_lo
	v_cmpx_gt_u32_e64 s18, v9
	s_cbranch_execz .LBB811_17
.LBB811_10:
	v_lshlrev_b32_e32 v7, 2, v9
	s_delay_alu instid0(VALU_DEP_1) | instskip(NEXT) | instid1(VALU_DEP_1)
	v_add_co_u32 v17, s22, s21, v7
	v_add_co_ci_u32_e64 v18, null, s3, 0, s22
	flat_load_b32 v7, v[17:18]
	s_or_b32 exec_lo, exec_lo, s2
	s_delay_alu instid0(SALU_CYCLE_1)
	s_mov_b32 s2, exec_lo
	v_cmpx_gt_u32_e64 s18, v12
	s_cbranch_execnz .LBB811_18
	s_branch .LBB811_19
.LBB811_11:
	s_or_b32 exec_lo, exec_lo, s22
	s_delay_alu instid0(SALU_CYCLE_1)
	s_mov_b32 s2, exec_lo
	v_cmpx_gt_u32_e64 s18, v14
	s_cbranch_execz .LBB811_5
.LBB811_12:
	v_lshlrev_b32_e32 v2, 2, v0
	s_delay_alu instid0(VALU_DEP_1) | instskip(NEXT) | instid1(VALU_DEP_1)
	v_add_co_u32 v17, s22, s21, v2
	v_add_co_ci_u32_e64 v18, null, s3, 0, s22
	flat_load_b32 v2, v[17:18] offset:1536
	s_or_b32 exec_lo, exec_lo, s2
	s_delay_alu instid0(SALU_CYCLE_1)
	s_mov_b32 s2, exec_lo
	v_cmpx_gt_u32_e64 s18, v13
	s_cbranch_execnz .LBB811_6
.LBB811_13:
	s_or_b32 exec_lo, exec_lo, s2
	s_delay_alu instid0(SALU_CYCLE_1)
	s_mov_b32 s2, exec_lo
	v_cmpx_gt_u32_e64 s18, v16
	s_cbranch_execz .LBB811_7
.LBB811_14:
	v_lshlrev_b32_e32 v4, 2, v16
	s_delay_alu instid0(VALU_DEP_1) | instskip(NEXT) | instid1(VALU_DEP_1)
	v_add_co_u32 v17, s22, s21, v4
	v_add_co_ci_u32_e64 v18, null, s3, 0, s22
	flat_load_b32 v4, v[17:18]
	s_or_b32 exec_lo, exec_lo, s2
	s_delay_alu instid0(SALU_CYCLE_1)
	s_mov_b32 s2, exec_lo
	v_cmpx_gt_u32_e64 s18, v15
	s_cbranch_execnz .LBB811_8
.LBB811_15:
	s_or_b32 exec_lo, exec_lo, s2
	s_delay_alu instid0(SALU_CYCLE_1)
	s_mov_b32 s2, exec_lo
	v_cmpx_gt_u32_e64 s18, v11
	s_cbranch_execz .LBB811_9
.LBB811_16:
	v_lshlrev_b32_e32 v6, 2, v11
	s_delay_alu instid0(VALU_DEP_1) | instskip(NEXT) | instid1(VALU_DEP_1)
	v_add_co_u32 v17, s22, s21, v6
	v_add_co_ci_u32_e64 v18, null, s3, 0, s22
	flat_load_b32 v6, v[17:18]
	s_or_b32 exec_lo, exec_lo, s2
	s_delay_alu instid0(SALU_CYCLE_1)
	s_mov_b32 s2, exec_lo
	v_cmpx_gt_u32_e64 s18, v9
	s_cbranch_execnz .LBB811_10
.LBB811_17:
	s_or_b32 exec_lo, exec_lo, s2
	s_delay_alu instid0(SALU_CYCLE_1)
	s_mov_b32 s2, exec_lo
	v_cmpx_gt_u32_e64 s18, v12
	s_cbranch_execz .LBB811_19
.LBB811_18:
	v_lshlrev_b32_e32 v8, 2, v12
	s_delay_alu instid0(VALU_DEP_1) | instskip(NEXT) | instid1(VALU_DEP_1)
	v_add_co_u32 v17, s22, s21, v8
	v_add_co_ci_u32_e64 v18, null, s3, 0, s22
	flat_load_b32 v8, v[17:18]
.LBB811_19:
	s_or_b32 exec_lo, exec_lo, s2
	v_lshrrev_b32_e32 v17, 3, v14
	v_lshrrev_b32_e32 v18, 3, v13
	;; [unrolled: 1-line block ×4, first 2 shown]
	v_and_b32_e32 v19, 60, v10
	v_lshlrev_b32_e32 v20, 2, v0
	v_lshrrev_b32_e32 v23, 3, v11
	v_lshrrev_b32_e32 v24, 3, v9
	;; [unrolled: 1-line block ×3, first 2 shown]
	v_and_b32_e32 v17, 0x7c, v17
	v_and_b32_e32 v18, 0xfc, v18
	;; [unrolled: 1-line block ×4, first 2 shown]
	v_add_nc_u32_e32 v19, v19, v20
	v_and_b32_e32 v23, 0x1fc, v23
	v_and_b32_e32 v24, 0x1fc, v24
	v_and_b32_e32 v25, 0x1fc, v25
	v_add_nc_u32_e32 v17, v17, v20
	v_add_nc_u32_e32 v18, v18, v20
	;; [unrolled: 1-line block ×7, first 2 shown]
	s_waitcnt vmcnt(0) lgkmcnt(0)
	ds_store_b32 v19, v1
	ds_store_b32 v17, v2 offset:1536
	ds_store_b32 v18, v3 offset:3072
	;; [unrolled: 1-line block ×7, first 2 shown]
	s_waitcnt lgkmcnt(0)
	s_barrier
.LBB811_20:
	v_lshlrev_b32_e32 v19, 3, v0
	v_lshrrev_b32_e32 v1, 2, v0
	s_waitcnt lgkmcnt(0)
	buffer_gl0_inv
	s_add_u32 s2, s8, s12
	s_addc_u32 s8, s9, s13
	s_add_u32 s2, s2, s4
	v_add_lshl_u32 v17, v1, v19, 2
	s_addc_u32 s4, s8, s5
	s_and_b32 vcc_lo, exec_lo, s20
	s_mov_b32 s5, -1
	ds_load_2addr_b32 v[7:8], v17 offset1:1
	ds_load_2addr_b32 v[5:6], v17 offset0:2 offset1:3
	ds_load_2addr_b32 v[3:4], v17 offset0:4 offset1:5
	;; [unrolled: 1-line block ×3, first 2 shown]
	s_waitcnt lgkmcnt(0)
	s_barrier
	buffer_gl0_inv
	s_cbranch_vccz .LBB811_22
; %bb.21:
	v_lshlrev_b32_e32 v18, 2, v0
	v_lshrrev_b32_e32 v29, 3, v14
	v_lshrrev_b32_e32 v30, 3, v13
	;; [unrolled: 1-line block ×4, first 2 shown]
	v_add_co_u32 v20, s5, s2, v18
	s_delay_alu instid0(VALU_DEP_1) | instskip(SKIP_1) | instid1(VALU_DEP_3)
	v_add_co_ci_u32_e64 v21, null, s4, 0, s5
	v_lshrrev_b32_e32 v33, 3, v11
	v_add_co_u32 v22, vcc_lo, 0x1000, v20
	s_delay_alu instid0(VALU_DEP_3)
	v_add_co_ci_u32_e32 v23, vcc_lo, 0, v21, vcc_lo
	v_add_co_u32 v24, vcc_lo, 0x2000, v20
	v_add_co_ci_u32_e32 v25, vcc_lo, 0, v21, vcc_lo
	s_clause 0x7
	flat_load_b32 v26, v[20:21]
	flat_load_b32 v27, v[20:21] offset:1536
	flat_load_b32 v20, v[20:21] offset:3072
	;; [unrolled: 1-line block ×7, first 2 shown]
	v_and_b32_e32 v25, 60, v10
	v_lshrrev_b32_e32 v34, 3, v9
	v_lshrrev_b32_e32 v35, 3, v12
	v_and_b32_e32 v29, 0x7c, v29
	v_and_b32_e32 v30, 0xfc, v30
	;; [unrolled: 1-line block ×4, first 2 shown]
	v_add_nc_u32_e32 v25, v25, v18
	v_and_b32_e32 v33, 0x1fc, v33
	v_and_b32_e32 v34, 0x17c, v34
	;; [unrolled: 1-line block ×3, first 2 shown]
	v_add_nc_u32_e32 v29, v29, v18
	v_add_nc_u32_e32 v30, v30, v18
	;; [unrolled: 1-line block ×4, first 2 shown]
	s_mov_b32 s5, 0
	v_add_nc_u32_e32 v33, v33, v18
	v_add_nc_u32_e32 v34, v34, v18
	v_add_nc_u32_e32 v18, v35, v18
	s_waitcnt vmcnt(7) lgkmcnt(7)
	ds_store_b32 v25, v26
	s_waitcnt vmcnt(6) lgkmcnt(7)
	ds_store_b32 v29, v27 offset:1536
	s_waitcnt vmcnt(5) lgkmcnt(7)
	ds_store_b32 v30, v20 offset:3072
	;; [unrolled: 2-line block ×7, first 2 shown]
	s_waitcnt lgkmcnt(0)
	s_barrier
.LBB811_22:
	s_and_not1_b32 vcc_lo, exec_lo, s5
	s_cbranch_vccnz .LBB811_40
; %bb.23:
	s_mov_b32 s5, exec_lo
                                        ; implicit-def: $vgpr18
	v_cmpx_gt_u32_e64 s18, v0
	s_cbranch_execz .LBB811_25
; %bb.24:
	v_lshlrev_b32_e32 v18, 2, v0
	s_delay_alu instid0(VALU_DEP_1) | instskip(NEXT) | instid1(VALU_DEP_1)
	v_add_co_u32 v20, s8, s2, v18
	v_add_co_ci_u32_e64 v21, null, s4, 0, s8
	flat_load_b32 v18, v[20:21]
.LBB811_25:
	s_or_b32 exec_lo, exec_lo, s5
	s_delay_alu instid0(SALU_CYCLE_1)
	s_mov_b32 s5, exec_lo
                                        ; implicit-def: $vgpr20
	v_cmpx_gt_u32_e64 s18, v14
	s_cbranch_execz .LBB811_27
; %bb.26:
	v_lshlrev_b32_e32 v20, 2, v0
	s_delay_alu instid0(VALU_DEP_1) | instskip(NEXT) | instid1(VALU_DEP_1)
	v_add_co_u32 v20, s8, s2, v20
	v_add_co_ci_u32_e64 v21, null, s4, 0, s8
	flat_load_b32 v20, v[20:21] offset:1536
.LBB811_27:
	s_or_b32 exec_lo, exec_lo, s5
	s_delay_alu instid0(SALU_CYCLE_1)
	s_mov_b32 s5, exec_lo
                                        ; implicit-def: $vgpr21
	v_cmpx_gt_u32_e64 s18, v13
	s_cbranch_execz .LBB811_29
; %bb.28:
	v_lshlrev_b32_e32 v21, 2, v0
	s_delay_alu instid0(VALU_DEP_1) | instskip(NEXT) | instid1(VALU_DEP_1)
	v_add_co_u32 v21, s8, s2, v21
	v_add_co_ci_u32_e64 v22, null, s4, 0, s8
	flat_load_b32 v21, v[21:22] offset:3072
.LBB811_29:
	s_or_b32 exec_lo, exec_lo, s5
	s_delay_alu instid0(SALU_CYCLE_1)
	s_mov_b32 s5, exec_lo
                                        ; implicit-def: $vgpr22
	v_cmpx_gt_u32_e64 s18, v16
	s_cbranch_execz .LBB811_31
; %bb.30:
	v_lshlrev_b32_e32 v22, 2, v16
	s_delay_alu instid0(VALU_DEP_1) | instskip(NEXT) | instid1(VALU_DEP_1)
	v_add_co_u32 v22, s8, s2, v22
	v_add_co_ci_u32_e64 v23, null, s4, 0, s8
	flat_load_b32 v22, v[22:23]
.LBB811_31:
	s_or_b32 exec_lo, exec_lo, s5
	s_delay_alu instid0(SALU_CYCLE_1)
	s_mov_b32 s5, exec_lo
                                        ; implicit-def: $vgpr23
	v_cmpx_gt_u32_e64 s18, v15
	s_cbranch_execz .LBB811_33
; %bb.32:
	v_lshlrev_b32_e32 v23, 2, v15
	s_delay_alu instid0(VALU_DEP_1) | instskip(NEXT) | instid1(VALU_DEP_1)
	v_add_co_u32 v23, s8, s2, v23
	v_add_co_ci_u32_e64 v24, null, s4, 0, s8
	flat_load_b32 v23, v[23:24]
.LBB811_33:
	s_or_b32 exec_lo, exec_lo, s5
	s_delay_alu instid0(SALU_CYCLE_1)
	s_mov_b32 s5, exec_lo
                                        ; implicit-def: $vgpr24
	v_cmpx_gt_u32_e64 s18, v11
	s_cbranch_execz .LBB811_35
; %bb.34:
	v_lshlrev_b32_e32 v24, 2, v11
	s_delay_alu instid0(VALU_DEP_1) | instskip(NEXT) | instid1(VALU_DEP_1)
	v_add_co_u32 v24, s8, s2, v24
	v_add_co_ci_u32_e64 v25, null, s4, 0, s8
	flat_load_b32 v24, v[24:25]
.LBB811_35:
	s_or_b32 exec_lo, exec_lo, s5
	s_delay_alu instid0(SALU_CYCLE_1)
	s_mov_b32 s5, exec_lo
                                        ; implicit-def: $vgpr25
	v_cmpx_gt_u32_e64 s18, v9
	s_cbranch_execz .LBB811_37
; %bb.36:
	v_lshlrev_b32_e32 v25, 2, v9
	s_delay_alu instid0(VALU_DEP_1) | instskip(NEXT) | instid1(VALU_DEP_1)
	v_add_co_u32 v25, s8, s2, v25
	v_add_co_ci_u32_e64 v26, null, s4, 0, s8
	flat_load_b32 v25, v[25:26]
.LBB811_37:
	s_or_b32 exec_lo, exec_lo, s5
	s_delay_alu instid0(SALU_CYCLE_1)
	s_mov_b32 s5, exec_lo
                                        ; implicit-def: $vgpr26
	v_cmpx_gt_u32_e64 s18, v12
	s_cbranch_execz .LBB811_39
; %bb.38:
	v_lshlrev_b32_e32 v26, 2, v12
	s_delay_alu instid0(VALU_DEP_1) | instskip(NEXT) | instid1(VALU_DEP_1)
	v_add_co_u32 v26, s2, s2, v26
	v_add_co_ci_u32_e64 v27, null, s4, 0, s2
	flat_load_b32 v26, v[26:27]
.LBB811_39:
	s_or_b32 exec_lo, exec_lo, s5
	v_lshrrev_b32_e32 v14, 3, v14
	v_lshrrev_b32_e32 v13, 3, v13
	;; [unrolled: 1-line block ×4, first 2 shown]
	v_and_b32_e32 v10, 60, v10
	v_lshlrev_b32_e32 v27, 2, v0
	v_lshrrev_b32_e32 v11, 3, v11
	v_lshrrev_b32_e32 v9, 3, v9
	;; [unrolled: 1-line block ×3, first 2 shown]
	v_and_b32_e32 v14, 0x7c, v14
	v_and_b32_e32 v13, 0xfc, v13
	;; [unrolled: 1-line block ×4, first 2 shown]
	v_add_nc_u32_e32 v10, v10, v27
	v_and_b32_e32 v11, 0x1fc, v11
	v_and_b32_e32 v9, 0x1fc, v9
	;; [unrolled: 1-line block ×3, first 2 shown]
	v_add_nc_u32_e32 v14, v14, v27
	v_add_nc_u32_e32 v13, v13, v27
	;; [unrolled: 1-line block ×7, first 2 shown]
	s_waitcnt vmcnt(0) lgkmcnt(0)
	ds_store_b32 v10, v18
	ds_store_b32 v14, v20 offset:1536
	ds_store_b32 v13, v21 offset:3072
	;; [unrolled: 1-line block ×7, first 2 shown]
	s_waitcnt lgkmcnt(0)
	s_barrier
.LBB811_40:
	buffer_gl0_inv
	ds_load_2addr_b32 v[15:16], v17 offset1:1
	ds_load_2addr_b32 v[13:14], v17 offset0:2 offset1:3
	ds_load_2addr_b32 v[11:12], v17 offset0:4 offset1:5
	;; [unrolled: 1-line block ×3, first 2 shown]
	s_cmp_lg_u32 s15, 0
	s_mov_b32 s9, 0
	s_cselect_b32 s12, -1, 0
	s_cmp_lg_u64 s[6:7], 0
	s_waitcnt lgkmcnt(0)
	s_cselect_b32 s2, -1, 0
	s_barrier
	s_or_b32 s2, s12, s2
	buffer_gl0_inv
	s_and_b32 vcc_lo, exec_lo, s2
	s_cbranch_vccz .LBB811_45
; %bb.41:
	v_add_co_u32 v17, s2, -4, s21
	s_delay_alu instid0(VALU_DEP_1)
	v_add_co_ci_u32_e64 v18, null, -1, s3, s2
	v_lshlrev_b32_e32 v21, 2, v0
	s_mov_b32 s3, -1
	s_and_b32 vcc_lo, exec_lo, s20
	flat_load_b32 v20, v[17:18]
	ds_store_b32 v21, v2
	s_cbranch_vccz .LBB811_46
; %bb.42:
	s_waitcnt vmcnt(0) lgkmcnt(1)
	v_mov_b32_e32 v17, v20
	s_mov_b32 s3, 0
	s_mov_b32 s2, exec_lo
	s_waitcnt lgkmcnt(0)
	s_barrier
	buffer_gl0_inv
	v_cmpx_ne_u32_e32 0, v0
	s_cbranch_execz .LBB811_44
; %bb.43:
	v_add_nc_u32_e32 v17, -4, v21
	ds_load_b32 v17, v17
.LBB811_44:
	s_or_b32 exec_lo, exec_lo, s2
	v_cmp_ne_u32_e32 vcc_lo, v1, v2
	s_waitcnt lgkmcnt(0)
	v_cmp_ne_u32_e64 s2, v17, v7
	v_cndmask_b32_e64 v18, 0, 1, vcc_lo
	v_cmp_ne_u32_e32 vcc_lo, v4, v1
	s_delay_alu instid0(VALU_DEP_2) | instskip(SKIP_2) | instid1(VALU_DEP_2)
	v_lshlrev_b16 v18, 8, v18
	v_cndmask_b32_e64 v22, 0, 1, vcc_lo
	v_cmp_ne_u32_e32 vcc_lo, v3, v4
	v_or_b32_e32 v18, v22, v18
	v_cndmask_b32_e64 v23, 0, 1, vcc_lo
	v_cmp_ne_u32_e32 vcc_lo, v5, v6
	s_delay_alu instid0(VALU_DEP_3) | instskip(NEXT) | instid1(VALU_DEP_3)
	v_lshlrev_b32_e32 v18, 16, v18
	v_lshlrev_b16 v23, 8, v23
	v_cndmask_b32_e64 v24, 0, 1, vcc_lo
	v_cmp_ne_u32_e32 vcc_lo, v6, v3
	s_delay_alu instid0(VALU_DEP_2) | instskip(SKIP_2) | instid1(VALU_DEP_2)
	v_lshlrev_b16 v24, 8, v24
	v_cndmask_b32_e64 v25, 0, 1, vcc_lo
	v_cmp_ne_u32_e32 vcc_lo, v8, v5
	v_or_b32_e32 v23, v25, v23
	v_cndmask_b32_e64 v26, 0, 1, vcc_lo
	v_cmp_ne_u32_e32 vcc_lo, v7, v8
	s_delay_alu instid0(VALU_DEP_3) | instskip(NEXT) | instid1(VALU_DEP_3)
	v_and_b32_e32 v23, 0xffff, v23
	v_or_b32_e32 v24, v26, v24
	v_cndmask_b32_e64 v27, 0, 1, vcc_lo
	s_delay_alu instid0(VALU_DEP_3) | instskip(NEXT) | instid1(VALU_DEP_3)
	v_or_b32_e32 v18, v23, v18
	v_lshlrev_b32_e32 v22, 16, v24
	s_delay_alu instid0(VALU_DEP_3) | instskip(NEXT) | instid1(VALU_DEP_1)
	v_lshlrev_b16 v26, 8, v27
	v_and_b32_e32 v24, 0xffff, v26
	s_delay_alu instid0(VALU_DEP_1)
	v_or_b32_e32 v17, v24, v22
	s_and_b32 vcc_lo, exec_lo, s3
	s_cbranch_vccnz .LBB811_47
	s_branch .LBB811_50
.LBB811_45:
                                        ; implicit-def: $sgpr2
                                        ; implicit-def: $vgpr18
	s_branch .LBB811_51
.LBB811_46:
                                        ; implicit-def: $sgpr2
                                        ; implicit-def: $vgpr18
	s_and_b32 vcc_lo, exec_lo, s3
	s_cbranch_vccz .LBB811_50
.LBB811_47:
	s_mov_b32 s2, exec_lo
	s_waitcnt vmcnt(0) lgkmcnt(0)
	s_barrier
	buffer_gl0_inv
	v_cmpx_ne_u32_e32 0, v0
	s_cbranch_execz .LBB811_49
; %bb.48:
	v_add_nc_u32_e32 v17, -4, v21
	ds_load_b32 v20, v17
.LBB811_49:
	s_or_b32 exec_lo, exec_lo, s2
	v_or_b32_e32 v17, 7, v19
	v_or_b32_e32 v18, 6, v19
	;; [unrolled: 1-line block ×3, first 2 shown]
	v_cmp_ne_u32_e32 vcc_lo, v1, v2
	v_cmp_ne_u32_e64 s3, v4, v1
	v_cmp_gt_u32_e64 s2, s18, v17
	v_cmp_gt_u32_e64 s5, s18, v18
	v_cmp_ne_u32_e64 s4, v3, v4
	v_cmp_gt_u32_e64 s6, s18, v21
	v_or_b32_e32 v18, 3, v19
	s_and_b32 s2, s2, vcc_lo
	v_or_b32_e32 v22, 4, v19
	v_cndmask_b32_e64 v17, 0, 1, s2
	s_and_b32 s2, s5, s3
	v_cmp_gt_u32_e32 vcc_lo, s18, v18
	v_cndmask_b32_e64 v21, 0, 1, s2
	s_and_b32 s2, s6, s4
	v_or_b32_e32 v18, 2, v19
	v_cndmask_b32_e64 v23, 0, 1, s2
	v_cmp_ne_u32_e64 s2, v5, v6
	v_cmp_gt_u32_e64 s3, s18, v22
	v_or_b32_e32 v22, 1, v19
	v_cmp_ne_u32_e64 s4, v6, v3
	v_cmp_ne_u32_e64 s6, v7, v8
	s_and_b32 s2, vcc_lo, s2
	v_cmp_gt_u32_e32 vcc_lo, s18, v18
	v_cndmask_b32_e64 v24, 0, 1, s2
	v_cmp_ne_u32_e64 s2, v8, v5
	v_cmp_gt_u32_e64 s5, s18, v22
	s_and_b32 s3, s3, s4
	v_lshlrev_b16 v23, 8, v23
	v_cndmask_b32_e64 v18, 0, 1, s3
	s_and_b32 s2, vcc_lo, s2
	v_lshlrev_b16 v24, 8, v24
	v_cndmask_b32_e64 v22, 0, 1, s2
	s_and_b32 s2, s5, s6
	v_lshlrev_b16 v17, 8, v17
	v_cndmask_b32_e64 v25, 0, 1, s2
	v_or_b32_e32 v18, v18, v23
	v_or_b32_e32 v22, v22, v24
	v_cmp_gt_u32_e32 vcc_lo, s18, v19
	v_or_b32_e32 v17, v21, v17
	v_lshlrev_b16 v24, 8, v25
	v_and_b32_e32 v18, 0xffff, v18
	v_lshlrev_b32_e32 v21, 16, v22
	s_waitcnt lgkmcnt(0)
	v_cmp_ne_u32_e64 s2, v20, v7
	v_lshlrev_b32_e32 v23, 16, v17
	v_and_b32_e32 v22, 0xffff, v24
	s_delay_alu instid0(VALU_DEP_3) | instskip(NEXT) | instid1(VALU_DEP_2)
	s_and_b32 s2, vcc_lo, s2
	v_or_b32_e32 v18, v18, v23
	s_delay_alu instid0(VALU_DEP_2)
	v_or_b32_e32 v17, v22, v21
.LBB811_50:
	s_mov_b32 s9, -1
	s_cbranch_execnz .LBB811_59
.LBB811_51:
	s_waitcnt vmcnt(0) lgkmcnt(1)
	v_lshlrev_b32_e32 v20, 2, v0
	v_cmp_ne_u32_e64 s3, v1, v2
	v_cmp_ne_u32_e64 s4, v4, v1
	;; [unrolled: 1-line block ×7, first 2 shown]
	s_and_b32 vcc_lo, exec_lo, s20
	ds_store_b32 v20, v2
	s_cbranch_vccz .LBB811_55
; %bb.52:
	v_cndmask_b32_e64 v17, 0, 1, s3
	v_cndmask_b32_e64 v21, 0, 1, s5
	v_cndmask_b32_e64 v23, 0, 1, s7
	v_cndmask_b32_e64 v24, 0, 1, s8
	v_cndmask_b32_e64 v18, 0, 1, s4
	v_cndmask_b32_e64 v22, 0, 1, s6
	v_cndmask_b32_e64 v25, 0, 1, s2
	v_lshlrev_b16 v21, 8, v21
	v_lshlrev_b16 v17, 8, v17
	;; [unrolled: 1-line block ×4, first 2 shown]
	s_mov_b32 s3, 0
	v_or_b32_e32 v21, v22, v21
	v_or_b32_e32 v17, v18, v17
	;; [unrolled: 1-line block ×4, first 2 shown]
	s_mov_b32 s4, exec_lo
	v_and_b32_e32 v21, 0xffff, v21
	v_lshlrev_b32_e32 v17, 16, v17
	v_lshlrev_b32_e32 v23, 16, v18
	v_and_b32_e32 v22, 0xffff, v22
	s_waitcnt lgkmcnt(0)
	s_barrier
	v_or_b32_e32 v18, v21, v17
	buffer_gl0_inv
	v_or_b32_e32 v17, v22, v23
                                        ; implicit-def: $sgpr2
	v_cmpx_ne_u32_e32 0, v0
	s_xor_b32 s4, exec_lo, s4
	s_cbranch_execz .LBB811_54
; %bb.53:
	v_add_nc_u32_e32 v21, -4, v20
	s_or_b32 s9, s9, exec_lo
	ds_load_b32 v21, v21
	s_waitcnt lgkmcnt(0)
	v_cmp_ne_u32_e32 vcc_lo, v21, v7
	s_and_b32 s2, vcc_lo, exec_lo
.LBB811_54:
	s_or_b32 exec_lo, exec_lo, s4
	s_delay_alu instid0(SALU_CYCLE_1)
	s_and_b32 vcc_lo, exec_lo, s3
	s_cbranch_vccnz .LBB811_56
	s_branch .LBB811_59
.LBB811_55:
                                        ; implicit-def: $sgpr2
                                        ; implicit-def: $vgpr18
	s_cbranch_execz .LBB811_59
.LBB811_56:
	v_or_b32_e32 v17, 7, v19
	v_or_b32_e32 v18, 6, v19
	v_cmp_ne_u32_e32 vcc_lo, v1, v2
	v_cmp_ne_u32_e64 s3, v4, v1
	v_or_b32_e32 v21, 5, v19
	v_cmp_gt_u32_e64 s2, s18, v17
	v_cmp_gt_u32_e64 s4, s18, v18
	v_or_b32_e32 v17, 4, v19
	v_or_b32_e32 v22, 3, v19
	v_cmp_gt_u32_e64 s5, s18, v21
	s_and_b32 s2, s2, vcc_lo
	v_cmp_ne_u32_e32 vcc_lo, v3, v4
	v_cndmask_b32_e64 v18, 0, 1, s2
	s_and_b32 s2, s4, s3
	v_cmp_ne_u32_e64 s3, v6, v3
	v_cndmask_b32_e64 v21, 0, 1, s2
	v_cmp_gt_u32_e64 s2, s18, v17
	v_or_b32_e32 v23, 1, v19
	s_and_b32 s4, s5, vcc_lo
	v_cmp_gt_u32_e32 vcc_lo, s18, v22
	v_cndmask_b32_e64 v17, 0, 1, s4
	s_and_b32 s2, s2, s3
	v_or_b32_e32 v25, 2, v19
	v_cndmask_b32_e64 v24, 0, 1, s2
	v_cmp_ne_u32_e64 s2, v5, v6
	v_cmp_gt_u32_e64 s3, s18, v23
	v_cmp_ne_u32_e64 s4, v7, v8
	v_cmp_gt_u32_e64 s5, s18, v25
	v_cmp_ne_u32_e64 s6, v8, v5
	s_and_b32 s2, vcc_lo, s2
	v_lshlrev_b16 v17, 8, v17
	v_cndmask_b32_e64 v22, 0, 1, s2
	s_and_b32 s2, s3, s4
	v_lshlrev_b16 v18, 8, v18
	v_cndmask_b32_e64 v23, 0, 1, s2
	s_and_b32 s2, s5, s6
	v_lshlrev_b16 v22, 8, v22
	v_cndmask_b32_e64 v25, 0, 1, s2
	v_or_b32_e32 v17, v24, v17
	v_lshlrev_b16 v23, 8, v23
	v_or_b32_e32 v18, v21, v18
	s_mov_b32 s3, exec_lo
	v_or_b32_e32 v21, v25, v22
	v_and_b32_e32 v17, 0xffff, v17
	v_or_b32_e32 v22, 1, v23
	v_lshlrev_b32_e32 v18, 16, v18
	s_waitcnt lgkmcnt(0)
	v_lshlrev_b32_e32 v21, 16, v21
	s_barrier
	v_and_b32_e32 v22, 0xffff, v22
	v_or_b32_e32 v18, v17, v18
	buffer_gl0_inv
                                        ; implicit-def: $sgpr2
	v_or_b32_e32 v17, v22, v21
	v_cmpx_ne_u32_e32 0, v0
	s_cbranch_execz .LBB811_58
; %bb.57:
	v_add_nc_u32_e32 v20, -4, v20
	v_cmp_gt_u32_e32 vcc_lo, s18, v19
	s_or_b32 s9, s9, exec_lo
	ds_load_b32 v20, v20
	s_waitcnt lgkmcnt(0)
	v_cmp_ne_u32_e64 s2, v20, v7
	s_delay_alu instid0(VALU_DEP_1) | instskip(NEXT) | instid1(SALU_CYCLE_1)
	s_and_b32 s2, vcc_lo, s2
	s_and_b32 s2, s2, exec_lo
.LBB811_58:
	s_or_b32 exec_lo, exec_lo, s3
.LBB811_59:
	s_and_saveexec_b32 s3, s9
	s_cbranch_execz .LBB811_61
; %bb.60:
	s_waitcnt vmcnt(0) lgkmcnt(1)
	v_and_b32_e32 v20, 0xffffff00, v17
	v_cndmask_b32_e64 v21, 0, 1, s2
	s_delay_alu instid0(VALU_DEP_1) | instskip(NEXT) | instid1(VALU_DEP_1)
	v_or_b32_e32 v20, v21, v20
	v_and_b32_e32 v20, 0xffff, v20
	s_delay_alu instid0(VALU_DEP_1)
	v_and_or_b32 v17, 0xffff0000, v17, v20
.LBB811_61:
	s_or_b32 exec_lo, exec_lo, s3
	s_load_b64 s[8:9], s[0:1], 0x70
	s_and_not1_b32 vcc_lo, exec_lo, s19
	s_cbranch_vccnz .LBB811_63
; %bb.62:
	v_cmp_gt_u32_e32 vcc_lo, s18, v19
	v_or_b32_e32 v21, 1, v19
	v_and_b32_e32 v22, 0xffffff00, v18
	v_or_b32_e32 v23, 2, v19
	s_waitcnt vmcnt(0) lgkmcnt(0)
	v_cndmask_b32_e32 v20, 0, v17, vcc_lo
	v_cmp_gt_u32_e32 vcc_lo, s18, v21
	v_or_b32_e32 v21, 4, v19
	v_cmp_gt_u32_e64 s0, s18, v23
	v_or_b32_e32 v23, 3, v19
	v_and_b32_e32 v20, 0xff, v20
	s_delay_alu instid0(VALU_DEP_2) | instskip(NEXT) | instid1(VALU_DEP_2)
	v_cmp_gt_u32_e64 s1, s18, v23
	v_cndmask_b32_e32 v20, v20, v17, vcc_lo
	v_cmp_gt_u32_e32 vcc_lo, s18, v21
	s_delay_alu instid0(VALU_DEP_2) | instskip(SKIP_1) | instid1(VALU_DEP_2)
	v_dual_cndmask_b32 v21, v22, v18 :: v_dual_and_b32 v20, 0xffff, v20
	v_or_b32_e32 v22, 5, v19
	v_cndmask_b32_e64 v20, v20, v17, s0
	s_delay_alu instid0(VALU_DEP_3) | instskip(NEXT) | instid1(VALU_DEP_3)
	v_and_b32_e32 v21, 0xffff00ff, v21
	v_cmp_gt_u32_e64 s0, s18, v22
	v_or_b32_e32 v22, 6, v19
	v_or_b32_e32 v19, 7, v19
	v_and_b32_e32 v20, 0xffffff, v20
	s_delay_alu instid0(VALU_DEP_4) | instskip(NEXT) | instid1(VALU_DEP_2)
	v_cndmask_b32_e64 v21, v21, v18, s0
	v_cndmask_b32_e64 v20, v20, v17, s1
	s_delay_alu instid0(VALU_DEP_2) | instskip(NEXT) | instid1(VALU_DEP_2)
	v_and_b32_e32 v21, 0xff00ffff, v21
	v_cndmask_b32_e32 v20, v20, v17, vcc_lo
	v_cmp_gt_u32_e32 vcc_lo, s18, v22
	s_delay_alu instid0(VALU_DEP_2) | instskip(NEXT) | instid1(VALU_DEP_1)
	v_cndmask_b32_e64 v20, v20, v17, s0
	v_dual_cndmask_b32 v21, v21, v18 :: v_dual_cndmask_b32 v20, v20, v17
	s_delay_alu instid0(VALU_DEP_1) | instskip(SKIP_1) | instid1(VALU_DEP_2)
	v_and_b32_e32 v21, 0xffffff, v21
	v_cmp_gt_u32_e32 vcc_lo, s18, v19
	v_dual_cndmask_b32 v18, v21, v18 :: v_dual_cndmask_b32 v17, v20, v17
.LBB811_63:
	s_delay_alu instid0(VALU_DEP_1) | instskip(NEXT) | instid1(VALU_DEP_2)
	v_and_b32_e32 v28, 0xff, v17
	v_alignbit_b32 v19, v18, v17, 24
	v_bfe_u32 v29, v17, 8, 8
	v_bfe_u32 v30, v17, 16, 8
	v_and_b32_e32 v32, 0xff, v18
	v_bfe_u32 v33, v18, 8, 8
	v_and_b32_e32 v31, 0xff, v19
	v_add_nc_u32_e32 v19, v29, v28
	s_waitcnt vmcnt(0) lgkmcnt(0)
	v_and_b32_e32 v20, 0x1e0, v0
	v_mbcnt_lo_u32_b32 v35, -1, 0
	v_bfe_u32 v34, v18, 16, 8
	v_lshrrev_b32_e32 v27, 24, v18
	v_add3_u32 v19, v19, v30, v31
	v_min_u32_e32 v20, 0x160, v20
	v_and_b32_e32 v21, 15, v35
	v_lshrrev_b32_e32 v36, 5, v0
	s_and_b32 vcc_lo, exec_lo, s12
	v_add3_u32 v19, v19, v32, v33
	v_or_b32_e32 v20, 31, v20
	v_cmp_eq_u32_e64 s2, 0, v21
	v_cmp_lt_u32_e64 s3, 1, v21
	v_cmp_lt_u32_e64 s1, 3, v21
	v_add3_u32 v37, v19, v34, v27
	v_and_b32_e32 v19, 16, v35
	v_cmp_lt_u32_e64 s0, 7, v21
	v_cmp_eq_u32_e64 s4, v20, v0
	s_mov_b32 s6, -1
	s_delay_alu instid0(VALU_DEP_3)
	v_cmp_eq_u32_e64 s5, 0, v19
	s_barrier
	buffer_gl0_inv
	s_cbranch_vccz .LBB811_94
; %bb.64:
	v_mov_b32_dpp v19, v37 row_shr:1 row_mask:0xf bank_mask:0xf
	s_delay_alu instid0(VALU_DEP_1) | instskip(NEXT) | instid1(VALU_DEP_1)
	v_cndmask_b32_e64 v19, v19, 0, s2
	v_add_nc_u32_e32 v19, v19, v37
	s_delay_alu instid0(VALU_DEP_1) | instskip(NEXT) | instid1(VALU_DEP_1)
	v_mov_b32_dpp v20, v19 row_shr:2 row_mask:0xf bank_mask:0xf
	v_cndmask_b32_e64 v20, 0, v20, s3
	s_delay_alu instid0(VALU_DEP_1) | instskip(NEXT) | instid1(VALU_DEP_1)
	v_add_nc_u32_e32 v19, v19, v20
	v_mov_b32_dpp v20, v19 row_shr:4 row_mask:0xf bank_mask:0xf
	s_delay_alu instid0(VALU_DEP_1) | instskip(NEXT) | instid1(VALU_DEP_1)
	v_cndmask_b32_e64 v20, 0, v20, s1
	v_add_nc_u32_e32 v19, v19, v20
	s_delay_alu instid0(VALU_DEP_1) | instskip(NEXT) | instid1(VALU_DEP_1)
	v_mov_b32_dpp v20, v19 row_shr:8 row_mask:0xf bank_mask:0xf
	v_cndmask_b32_e64 v20, 0, v20, s0
	s_delay_alu instid0(VALU_DEP_1) | instskip(SKIP_3) | instid1(VALU_DEP_1)
	v_add_nc_u32_e32 v19, v19, v20
	ds_swizzle_b32 v20, v19 offset:swizzle(BROADCAST,32,15)
	s_waitcnt lgkmcnt(0)
	v_cndmask_b32_e64 v20, v20, 0, s5
	v_add_nc_u32_e32 v19, v19, v20
	s_and_saveexec_b32 s6, s4
	s_cbranch_execz .LBB811_66
; %bb.65:
	v_lshlrev_b32_e32 v20, 2, v36
	ds_store_b32 v20, v19
.LBB811_66:
	s_or_b32 exec_lo, exec_lo, s6
	s_delay_alu instid0(SALU_CYCLE_1)
	s_mov_b32 s6, exec_lo
	s_waitcnt lgkmcnt(0)
	s_barrier
	buffer_gl0_inv
	v_cmpx_gt_u32_e32 12, v0
	s_cbranch_execz .LBB811_68
; %bb.67:
	v_lshlrev_b32_e32 v20, 2, v0
	ds_load_b32 v21, v20
	s_waitcnt lgkmcnt(0)
	v_mov_b32_dpp v22, v21 row_shr:1 row_mask:0xf bank_mask:0xf
	s_delay_alu instid0(VALU_DEP_1) | instskip(NEXT) | instid1(VALU_DEP_1)
	v_cndmask_b32_e64 v22, v22, 0, s2
	v_add_nc_u32_e32 v21, v22, v21
	s_delay_alu instid0(VALU_DEP_1) | instskip(NEXT) | instid1(VALU_DEP_1)
	v_mov_b32_dpp v22, v21 row_shr:2 row_mask:0xf bank_mask:0xf
	v_cndmask_b32_e64 v22, 0, v22, s3
	s_delay_alu instid0(VALU_DEP_1) | instskip(NEXT) | instid1(VALU_DEP_1)
	v_add_nc_u32_e32 v21, v21, v22
	v_mov_b32_dpp v22, v21 row_shr:4 row_mask:0xf bank_mask:0xf
	s_delay_alu instid0(VALU_DEP_1) | instskip(NEXT) | instid1(VALU_DEP_1)
	v_cndmask_b32_e64 v22, 0, v22, s1
	v_add_nc_u32_e32 v21, v21, v22
	s_delay_alu instid0(VALU_DEP_1) | instskip(NEXT) | instid1(VALU_DEP_1)
	v_mov_b32_dpp v22, v21 row_shr:8 row_mask:0xf bank_mask:0xf
	v_cndmask_b32_e64 v22, 0, v22, s0
	s_delay_alu instid0(VALU_DEP_1)
	v_add_nc_u32_e32 v21, v21, v22
	ds_store_b32 v20, v21
.LBB811_68:
	s_or_b32 exec_lo, exec_lo, s6
	v_cmp_gt_u32_e32 vcc_lo, 32, v0
	s_mov_b32 s7, exec_lo
	s_waitcnt lgkmcnt(0)
	s_barrier
	buffer_gl0_inv
                                        ; implicit-def: $vgpr38
	v_cmpx_lt_u32_e32 31, v0
	s_cbranch_execz .LBB811_70
; %bb.69:
	v_lshl_add_u32 v20, v36, 2, -4
	ds_load_b32 v38, v20
	s_waitcnt lgkmcnt(0)
	v_add_nc_u32_e32 v19, v38, v19
.LBB811_70:
	s_or_b32 exec_lo, exec_lo, s7
	v_add_nc_u32_e32 v20, -1, v35
	s_delay_alu instid0(VALU_DEP_1) | instskip(NEXT) | instid1(VALU_DEP_1)
	v_cmp_gt_i32_e64 s6, 0, v20
	v_cndmask_b32_e64 v20, v20, v35, s6
	v_cmp_eq_u32_e64 s6, 0, v35
	s_delay_alu instid0(VALU_DEP_2)
	v_lshlrev_b32_e32 v20, 2, v20
	ds_bpermute_b32 v39, v20, v19
	s_and_saveexec_b32 s7, vcc_lo
	s_cbranch_execz .LBB811_93
; %bb.71:
	v_mov_b32_e32 v23, 0
	ds_load_b32 v19, v23 offset:44
	s_and_saveexec_b32 s12, s6
	s_cbranch_execz .LBB811_73
; %bb.72:
	s_add_i32 s18, s15, 32
	s_mov_b32 s19, 0
	v_mov_b32_e32 v20, 1
	s_lshl_b64 s[18:19], s[18:19], 3
	s_delay_alu instid0(SALU_CYCLE_1)
	s_add_u32 s18, s8, s18
	s_addc_u32 s19, s9, s19
	s_waitcnt lgkmcnt(0)
	global_store_b64 v23, v[19:20], s[18:19]
.LBB811_73:
	s_or_b32 exec_lo, exec_lo, s12
	v_xad_u32 v21, v35, -1, s15
	s_mov_b32 s13, 0
	s_mov_b32 s12, exec_lo
	s_delay_alu instid0(VALU_DEP_1) | instskip(NEXT) | instid1(VALU_DEP_1)
	v_add_nc_u32_e32 v22, 32, v21
	v_lshlrev_b64 v[22:23], 3, v[22:23]
	s_delay_alu instid0(VALU_DEP_1) | instskip(NEXT) | instid1(VALU_DEP_2)
	v_add_co_u32 v25, vcc_lo, s8, v22
	v_add_co_ci_u32_e32 v26, vcc_lo, s9, v23, vcc_lo
	global_load_b64 v[23:24], v[25:26], off glc
	s_waitcnt vmcnt(0)
	v_and_b32_e32 v20, 0xff, v24
	s_delay_alu instid0(VALU_DEP_1)
	v_cmpx_eq_u16_e32 0, v20
	s_cbranch_execz .LBB811_79
; %bb.74:
	s_mov_b32 s18, 1
	.p2align	6
.LBB811_75:                             ; =>This Loop Header: Depth=1
                                        ;     Child Loop BB811_76 Depth 2
	s_delay_alu instid0(SALU_CYCLE_1)
	s_max_u32 s19, s18, 1
.LBB811_76:                             ;   Parent Loop BB811_75 Depth=1
                                        ; =>  This Inner Loop Header: Depth=2
	s_delay_alu instid0(SALU_CYCLE_1)
	s_add_i32 s19, s19, -1
	s_sleep 1
	s_cmp_eq_u32 s19, 0
	s_cbranch_scc0 .LBB811_76
; %bb.77:                               ;   in Loop: Header=BB811_75 Depth=1
	global_load_b64 v[23:24], v[25:26], off glc
	s_cmp_lt_u32 s18, 32
	s_cselect_b32 s19, -1, 0
	s_delay_alu instid0(SALU_CYCLE_1) | instskip(SKIP_3) | instid1(VALU_DEP_1)
	s_cmp_lg_u32 s19, 0
	s_addc_u32 s18, s18, 0
	s_waitcnt vmcnt(0)
	v_and_b32_e32 v20, 0xff, v24
	v_cmp_ne_u16_e32 vcc_lo, 0, v20
	s_or_b32 s13, vcc_lo, s13
	s_delay_alu instid0(SALU_CYCLE_1)
	s_and_not1_b32 exec_lo, exec_lo, s13
	s_cbranch_execnz .LBB811_75
; %bb.78:
	s_or_b32 exec_lo, exec_lo, s13
.LBB811_79:
	s_delay_alu instid0(SALU_CYCLE_1)
	s_or_b32 exec_lo, exec_lo, s12
	v_cmp_ne_u32_e32 vcc_lo, 31, v35
	v_lshlrev_b32_e64 v41, v35, -1
	v_add_nc_u32_e32 v43, 2, v35
	v_add_nc_u32_e32 v45, 4, v35
	;; [unrolled: 1-line block ×3, first 2 shown]
	v_add_co_ci_u32_e32 v20, vcc_lo, 0, v35, vcc_lo
	v_add_nc_u32_e32 v49, 16, v35
	s_delay_alu instid0(VALU_DEP_2)
	v_lshlrev_b32_e32 v40, 2, v20
	v_and_b32_e32 v20, 0xff, v24
	ds_bpermute_b32 v22, v40, v23
	v_cmp_eq_u16_e32 vcc_lo, 2, v20
	v_and_or_b32 v20, vcc_lo, v41, 0x80000000
	v_cmp_gt_u32_e32 vcc_lo, 30, v35
	s_delay_alu instid0(VALU_DEP_2) | instskip(SKIP_1) | instid1(VALU_DEP_2)
	v_ctz_i32_b32_e32 v20, v20
	v_cndmask_b32_e64 v25, 0, 1, vcc_lo
	v_cmp_lt_u32_e32 vcc_lo, v35, v20
	s_waitcnt lgkmcnt(0)
	s_delay_alu instid0(VALU_DEP_2) | instskip(NEXT) | instid1(VALU_DEP_1)
	v_dual_cndmask_b32 v22, 0, v22 :: v_dual_lshlrev_b32 v25, 1, v25
	v_add_lshl_u32 v42, v25, v35, 2
	v_cmp_gt_u32_e32 vcc_lo, 28, v35
	s_delay_alu instid0(VALU_DEP_3) | instskip(SKIP_4) | instid1(VALU_DEP_1)
	v_add_nc_u32_e32 v22, v22, v23
	v_cndmask_b32_e64 v25, 0, 1, vcc_lo
	v_cmp_le_u32_e32 vcc_lo, v43, v20
	ds_bpermute_b32 v23, v42, v22
	v_lshlrev_b32_e32 v25, 2, v25
	v_add_lshl_u32 v44, v25, v35, 2
	s_waitcnt lgkmcnt(0)
	v_cndmask_b32_e32 v23, 0, v23, vcc_lo
	v_cmp_gt_u32_e32 vcc_lo, 24, v35
	s_delay_alu instid0(VALU_DEP_2) | instskip(SKIP_4) | instid1(VALU_DEP_1)
	v_add_nc_u32_e32 v22, v22, v23
	v_cndmask_b32_e64 v25, 0, 1, vcc_lo
	v_cmp_le_u32_e32 vcc_lo, v45, v20
	ds_bpermute_b32 v23, v44, v22
	v_lshlrev_b32_e32 v25, 3, v25
	v_add_lshl_u32 v46, v25, v35, 2
	s_waitcnt lgkmcnt(0)
	v_cndmask_b32_e32 v23, 0, v23, vcc_lo
	v_cmp_gt_u32_e32 vcc_lo, 16, v35
	s_delay_alu instid0(VALU_DEP_2) | instskip(SKIP_4) | instid1(VALU_DEP_1)
	v_add_nc_u32_e32 v22, v22, v23
	v_cndmask_b32_e64 v25, 0, 1, vcc_lo
	v_cmp_le_u32_e32 vcc_lo, v47, v20
	ds_bpermute_b32 v23, v46, v22
	v_lshlrev_b32_e32 v25, 4, v25
	v_add_lshl_u32 v48, v25, v35, 2
	s_waitcnt lgkmcnt(0)
	v_cndmask_b32_e32 v23, 0, v23, vcc_lo
	v_cmp_le_u32_e32 vcc_lo, v49, v20
	s_delay_alu instid0(VALU_DEP_2) | instskip(SKIP_3) | instid1(VALU_DEP_1)
	v_add_nc_u32_e32 v22, v22, v23
	ds_bpermute_b32 v23, v48, v22
	s_waitcnt lgkmcnt(0)
	v_cndmask_b32_e32 v20, 0, v23, vcc_lo
	v_dual_mov_b32 v22, 0 :: v_dual_add_nc_u32 v23, v22, v20
	s_branch .LBB811_81
.LBB811_80:                             ;   in Loop: Header=BB811_81 Depth=1
	s_or_b32 exec_lo, exec_lo, s12
	ds_bpermute_b32 v26, v40, v23
	v_and_b32_e32 v25, 0xff, v24
	v_subrev_nc_u32_e32 v21, 32, v21
	s_delay_alu instid0(VALU_DEP_2) | instskip(SKIP_1) | instid1(VALU_DEP_1)
	v_cmp_eq_u16_e32 vcc_lo, 2, v25
	v_and_or_b32 v25, vcc_lo, v41, 0x80000000
	v_ctz_i32_b32_e32 v25, v25
	s_delay_alu instid0(VALU_DEP_1) | instskip(SKIP_3) | instid1(VALU_DEP_2)
	v_cmp_lt_u32_e32 vcc_lo, v35, v25
	s_waitcnt lgkmcnt(0)
	v_cndmask_b32_e32 v26, 0, v26, vcc_lo
	v_cmp_le_u32_e32 vcc_lo, v43, v25
	v_add_nc_u32_e32 v23, v26, v23
	ds_bpermute_b32 v26, v42, v23
	s_waitcnt lgkmcnt(0)
	v_cndmask_b32_e32 v26, 0, v26, vcc_lo
	v_cmp_le_u32_e32 vcc_lo, v45, v25
	s_delay_alu instid0(VALU_DEP_2) | instskip(SKIP_4) | instid1(VALU_DEP_2)
	v_add_nc_u32_e32 v23, v23, v26
	ds_bpermute_b32 v26, v44, v23
	s_waitcnt lgkmcnt(0)
	v_cndmask_b32_e32 v26, 0, v26, vcc_lo
	v_cmp_le_u32_e32 vcc_lo, v47, v25
	v_add_nc_u32_e32 v23, v23, v26
	ds_bpermute_b32 v26, v46, v23
	s_waitcnt lgkmcnt(0)
	v_cndmask_b32_e32 v26, 0, v26, vcc_lo
	v_cmp_le_u32_e32 vcc_lo, v49, v25
	s_delay_alu instid0(VALU_DEP_2) | instskip(SKIP_3) | instid1(VALU_DEP_1)
	v_add_nc_u32_e32 v23, v23, v26
	ds_bpermute_b32 v26, v48, v23
	s_waitcnt lgkmcnt(0)
	v_cndmask_b32_e32 v25, 0, v26, vcc_lo
	v_add3_u32 v23, v25, v20, v23
.LBB811_81:                             ; =>This Loop Header: Depth=1
                                        ;     Child Loop BB811_84 Depth 2
                                        ;       Child Loop BB811_85 Depth 3
	v_and_b32_e32 v20, 0xff, v24
	s_delay_alu instid0(VALU_DEP_1) | instskip(SKIP_2) | instid1(VALU_DEP_1)
	v_cmp_ne_u16_e32 vcc_lo, 2, v20
	v_cndmask_b32_e64 v20, 0, 1, vcc_lo
	;;#ASMSTART
	;;#ASMEND
	v_cmp_ne_u32_e32 vcc_lo, 0, v20
	v_mov_b32_e32 v20, v23
	s_cmp_lg_u32 vcc_lo, exec_lo
	s_cbranch_scc1 .LBB811_88
; %bb.82:                               ;   in Loop: Header=BB811_81 Depth=1
	v_lshlrev_b64 v[23:24], 3, v[21:22]
	s_mov_b32 s12, exec_lo
	s_delay_alu instid0(VALU_DEP_1) | instskip(NEXT) | instid1(VALU_DEP_2)
	v_add_co_u32 v25, vcc_lo, s8, v23
	v_add_co_ci_u32_e32 v26, vcc_lo, s9, v24, vcc_lo
	global_load_b64 v[23:24], v[25:26], off glc
	s_waitcnt vmcnt(0)
	v_and_b32_e32 v50, 0xff, v24
	s_delay_alu instid0(VALU_DEP_1)
	v_cmpx_eq_u16_e32 0, v50
	s_cbranch_execz .LBB811_80
; %bb.83:                               ;   in Loop: Header=BB811_81 Depth=1
	s_mov_b32 s18, 1
	s_mov_b32 s13, 0
	.p2align	6
.LBB811_84:                             ;   Parent Loop BB811_81 Depth=1
                                        ; =>  This Loop Header: Depth=2
                                        ;       Child Loop BB811_85 Depth 3
	s_max_u32 s19, s18, 1
.LBB811_85:                             ;   Parent Loop BB811_81 Depth=1
                                        ;     Parent Loop BB811_84 Depth=2
                                        ; =>    This Inner Loop Header: Depth=3
	s_delay_alu instid0(SALU_CYCLE_1)
	s_add_i32 s19, s19, -1
	s_sleep 1
	s_cmp_eq_u32 s19, 0
	s_cbranch_scc0 .LBB811_85
; %bb.86:                               ;   in Loop: Header=BB811_84 Depth=2
	global_load_b64 v[23:24], v[25:26], off glc
	s_cmp_lt_u32 s18, 32
	s_cselect_b32 s19, -1, 0
	s_delay_alu instid0(SALU_CYCLE_1) | instskip(SKIP_3) | instid1(VALU_DEP_1)
	s_cmp_lg_u32 s19, 0
	s_addc_u32 s18, s18, 0
	s_waitcnt vmcnt(0)
	v_and_b32_e32 v50, 0xff, v24
	v_cmp_ne_u16_e32 vcc_lo, 0, v50
	s_or_b32 s13, vcc_lo, s13
	s_delay_alu instid0(SALU_CYCLE_1)
	s_and_not1_b32 exec_lo, exec_lo, s13
	s_cbranch_execnz .LBB811_84
; %bb.87:                               ;   in Loop: Header=BB811_81 Depth=1
	s_or_b32 exec_lo, exec_lo, s13
	s_branch .LBB811_80
.LBB811_88:                             ;   in Loop: Header=BB811_81 Depth=1
                                        ; implicit-def: $vgpr23
                                        ; implicit-def: $vgpr24
	s_cbranch_execz .LBB811_81
; %bb.89:
	s_and_saveexec_b32 s12, s6
	s_cbranch_execz .LBB811_91
; %bb.90:
	s_add_i32 s18, s15, 32
	s_mov_b32 s19, 0
	v_dual_mov_b32 v22, 2 :: v_dual_add_nc_u32 v21, v20, v19
	s_lshl_b64 s[18:19], s[18:19], 3
	v_mov_b32_e32 v23, 0
	s_add_u32 s18, s8, s18
	s_addc_u32 s19, s9, s19
	global_store_b64 v23, v[21:22], s[18:19]
	ds_store_b64 v23, v[19:20] offset:12672
.LBB811_91:
	s_or_b32 exec_lo, exec_lo, s12
	v_cmp_eq_u32_e32 vcc_lo, 0, v0
	s_and_b32 exec_lo, exec_lo, vcc_lo
	s_cbranch_execz .LBB811_93
; %bb.92:
	v_mov_b32_e32 v19, 0
	ds_store_b32 v19, v20 offset:44
.LBB811_93:
	s_or_b32 exec_lo, exec_lo, s7
	v_mov_b32_e32 v19, 0
	s_waitcnt lgkmcnt(0)
	s_waitcnt_vscnt null, 0x0
	s_barrier
	buffer_gl0_inv
	v_cndmask_b32_e64 v21, v39, v38, s6
	ds_load_b32 v20, v19 offset:44
	v_cmp_ne_u32_e32 vcc_lo, 0, v0
	s_waitcnt lgkmcnt(0)
	s_barrier
	buffer_gl0_inv
	v_cndmask_b32_e32 v21, 0, v21, vcc_lo
	s_delay_alu instid0(VALU_DEP_1) | instskip(NEXT) | instid1(VALU_DEP_1)
	v_add_nc_u32_e32 v41, v20, v21
	v_add_nc_u32_e32 v40, v41, v28
	ds_load_b64 v[19:20], v19 offset:12672
	v_add_nc_u32_e32 v39, v40, v29
	s_delay_alu instid0(VALU_DEP_1) | instskip(NEXT) | instid1(VALU_DEP_1)
	v_add_nc_u32_e32 v38, v39, v30
	v_add_nc_u32_e32 v26, v38, v31
	s_delay_alu instid0(VALU_DEP_1) | instskip(NEXT) | instid1(VALU_DEP_1)
	v_add_nc_u32_e32 v25, v26, v32
	v_add_nc_u32_e32 v24, v25, v33
	s_delay_alu instid0(VALU_DEP_1)
	v_add_nc_u32_e32 v23, v24, v34
	v_lshrrev_b64 v[21:22], 24, v[17:18]
	s_branch .LBB811_104
.LBB811_94:
                                        ; implicit-def: $vgpr23
                                        ; implicit-def: $vgpr24
                                        ; implicit-def: $vgpr25
                                        ; implicit-def: $vgpr26
                                        ; implicit-def: $vgpr38
                                        ; implicit-def: $vgpr39
                                        ; implicit-def: $vgpr40
                                        ; implicit-def: $vgpr41
                                        ; implicit-def: $vgpr20
	v_lshrrev_b64 v[21:22], 24, v[17:18]
	s_and_b32 vcc_lo, exec_lo, s6
	s_cbranch_vccz .LBB811_104
; %bb.95:
	s_waitcnt lgkmcnt(0)
	v_mov_b32_dpp v19, v37 row_shr:1 row_mask:0xf bank_mask:0xf
	s_delay_alu instid0(VALU_DEP_1) | instskip(NEXT) | instid1(VALU_DEP_1)
	v_cndmask_b32_e64 v19, v19, 0, s2
	v_add_nc_u32_e32 v19, v19, v37
	s_delay_alu instid0(VALU_DEP_1) | instskip(NEXT) | instid1(VALU_DEP_1)
	v_mov_b32_dpp v20, v19 row_shr:2 row_mask:0xf bank_mask:0xf
	v_cndmask_b32_e64 v20, 0, v20, s3
	s_delay_alu instid0(VALU_DEP_1) | instskip(NEXT) | instid1(VALU_DEP_1)
	v_add_nc_u32_e32 v19, v19, v20
	v_mov_b32_dpp v20, v19 row_shr:4 row_mask:0xf bank_mask:0xf
	s_delay_alu instid0(VALU_DEP_1) | instskip(NEXT) | instid1(VALU_DEP_1)
	v_cndmask_b32_e64 v20, 0, v20, s1
	v_add_nc_u32_e32 v19, v19, v20
	s_delay_alu instid0(VALU_DEP_1) | instskip(NEXT) | instid1(VALU_DEP_1)
	v_mov_b32_dpp v20, v19 row_shr:8 row_mask:0xf bank_mask:0xf
	v_cndmask_b32_e64 v20, 0, v20, s0
	s_delay_alu instid0(VALU_DEP_1) | instskip(SKIP_3) | instid1(VALU_DEP_1)
	v_add_nc_u32_e32 v19, v19, v20
	ds_swizzle_b32 v20, v19 offset:swizzle(BROADCAST,32,15)
	s_waitcnt lgkmcnt(0)
	v_cndmask_b32_e64 v20, v20, 0, s5
	v_add_nc_u32_e32 v19, v19, v20
	s_and_saveexec_b32 s5, s4
	s_cbranch_execz .LBB811_97
; %bb.96:
	v_lshlrev_b32_e32 v20, 2, v36
	ds_store_b32 v20, v19
.LBB811_97:
	s_or_b32 exec_lo, exec_lo, s5
	s_delay_alu instid0(SALU_CYCLE_1)
	s_mov_b32 s4, exec_lo
	s_waitcnt lgkmcnt(0)
	s_barrier
	buffer_gl0_inv
	v_cmpx_gt_u32_e32 12, v0
	s_cbranch_execz .LBB811_99
; %bb.98:
	v_lshlrev_b32_e32 v20, 2, v0
	ds_load_b32 v22, v20
	s_waitcnt lgkmcnt(0)
	v_mov_b32_dpp v23, v22 row_shr:1 row_mask:0xf bank_mask:0xf
	s_delay_alu instid0(VALU_DEP_1) | instskip(NEXT) | instid1(VALU_DEP_1)
	v_cndmask_b32_e64 v23, v23, 0, s2
	v_add_nc_u32_e32 v22, v23, v22
	s_delay_alu instid0(VALU_DEP_1) | instskip(NEXT) | instid1(VALU_DEP_1)
	v_mov_b32_dpp v23, v22 row_shr:2 row_mask:0xf bank_mask:0xf
	v_cndmask_b32_e64 v23, 0, v23, s3
	s_delay_alu instid0(VALU_DEP_1) | instskip(NEXT) | instid1(VALU_DEP_1)
	v_add_nc_u32_e32 v22, v22, v23
	v_mov_b32_dpp v23, v22 row_shr:4 row_mask:0xf bank_mask:0xf
	s_delay_alu instid0(VALU_DEP_1) | instskip(NEXT) | instid1(VALU_DEP_1)
	v_cndmask_b32_e64 v23, 0, v23, s1
	v_add_nc_u32_e32 v22, v22, v23
	s_delay_alu instid0(VALU_DEP_1) | instskip(NEXT) | instid1(VALU_DEP_1)
	v_mov_b32_dpp v23, v22 row_shr:8 row_mask:0xf bank_mask:0xf
	v_cndmask_b32_e64 v23, 0, v23, s0
	s_delay_alu instid0(VALU_DEP_1)
	v_add_nc_u32_e32 v22, v22, v23
	ds_store_b32 v20, v22
.LBB811_99:
	s_or_b32 exec_lo, exec_lo, s4
	v_mov_b32_e32 v20, 0
	v_mov_b32_e32 v22, 0
	s_mov_b32 s0, exec_lo
	s_waitcnt lgkmcnt(0)
	s_barrier
	buffer_gl0_inv
	v_cmpx_lt_u32_e32 31, v0
	s_cbranch_execz .LBB811_101
; %bb.100:
	v_lshl_add_u32 v22, v36, 2, -4
	ds_load_b32 v22, v22
.LBB811_101:
	s_or_b32 exec_lo, exec_lo, s0
	v_add_nc_u32_e32 v23, -1, v35
	s_waitcnt lgkmcnt(0)
	v_add_nc_u32_e32 v19, v22, v19
	s_delay_alu instid0(VALU_DEP_2) | instskip(SKIP_2) | instid1(VALU_DEP_2)
	v_cmp_gt_i32_e32 vcc_lo, 0, v23
	v_cndmask_b32_e32 v23, v23, v35, vcc_lo
	v_cmp_eq_u32_e32 vcc_lo, 0, v0
	v_lshlrev_b32_e32 v23, 2, v23
	ds_bpermute_b32 v23, v23, v19
	ds_load_b32 v19, v20 offset:44
	s_and_saveexec_b32 s0, vcc_lo
	s_cbranch_execz .LBB811_103
; %bb.102:
	v_mov_b32_e32 v24, 0
	v_mov_b32_e32 v20, 2
	s_waitcnt lgkmcnt(0)
	global_store_b64 v24, v[19:20], s[8:9] offset:256
.LBB811_103:
	s_or_b32 exec_lo, exec_lo, s0
	v_cmp_eq_u32_e64 s0, 0, v35
	s_waitcnt lgkmcnt(0)
	s_waitcnt_vscnt null, 0x0
	s_barrier
	buffer_gl0_inv
	v_cndmask_b32_e64 v20, v23, v22, s0
	s_delay_alu instid0(VALU_DEP_1) | instskip(SKIP_1) | instid1(VALU_DEP_2)
	v_cndmask_b32_e64 v41, v20, 0, vcc_lo
	v_mov_b32_e32 v20, 0
	v_add_nc_u32_e32 v40, v41, v28
	s_delay_alu instid0(VALU_DEP_1) | instskip(NEXT) | instid1(VALU_DEP_1)
	v_add_nc_u32_e32 v39, v40, v29
	v_add_nc_u32_e32 v38, v39, v30
	s_delay_alu instid0(VALU_DEP_1) | instskip(NEXT) | instid1(VALU_DEP_1)
	v_add_nc_u32_e32 v26, v38, v31
	;; [unrolled: 3-line block ×3, first 2 shown]
	v_add_nc_u32_e32 v23, v24, v34
.LBB811_104:
	v_lshrrev_b32_e32 v30, 8, v17
	v_lshrrev_b32_e32 v29, 16, v17
	v_and_b32_e32 v17, 1, v17
	s_waitcnt lgkmcnt(0)
	v_cmp_gt_u32_e32 vcc_lo, 0x181, v19
	v_lshrrev_b32_e32 v28, 8, v18
	v_lshrrev_b32_e32 v22, 16, v18
	v_cmp_lt_u32_e64 s0, 0x180, v19
	v_cmp_eq_u32_e64 s1, 1, v17
	s_cbranch_vccnz .LBB811_122
; %bb.105:
	s_delay_alu instid0(VALU_DEP_1)
	s_and_saveexec_b32 s2, s1
	s_cbranch_execz .LBB811_107
; %bb.106:
	v_sub_nc_u32_e32 v31, v41, v20
	s_delay_alu instid0(VALU_DEP_1)
	v_lshlrev_b32_e32 v31, 2, v31
	ds_store_b32 v31, v7
.LBB811_107:
	s_or_b32 exec_lo, exec_lo, s2
	v_and_b32_e32 v7, 1, v30
	s_mov_b32 s1, exec_lo
	s_delay_alu instid0(VALU_DEP_1)
	v_cmpx_eq_u32_e32 1, v7
	s_cbranch_execz .LBB811_109
; %bb.108:
	v_sub_nc_u32_e32 v7, v40, v20
	s_delay_alu instid0(VALU_DEP_1)
	v_lshlrev_b32_e32 v7, 2, v7
	ds_store_b32 v7, v8
.LBB811_109:
	s_or_b32 exec_lo, exec_lo, s1
	v_and_b32_e32 v7, 1, v29
	s_mov_b32 s1, exec_lo
	s_delay_alu instid0(VALU_DEP_1)
	v_cmpx_eq_u32_e32 1, v7
	;; [unrolled: 12-line block ×7, first 2 shown]
	s_cbranch_execz .LBB811_121
; %bb.120:
	v_sub_nc_u32_e32 v1, v23, v20
	s_delay_alu instid0(VALU_DEP_1)
	v_lshlrev_b32_e32 v1, 2, v1
	ds_store_b32 v1, v2
.LBB811_121:
	s_or_b32 exec_lo, exec_lo, s1
	s_waitcnt lgkmcnt(0)
	s_barrier
	buffer_gl0_inv
.LBB811_122:
	s_delay_alu instid0(VALU_DEP_2)
	s_and_not1_b32 vcc_lo, exec_lo, s0
	s_barrier
	buffer_gl0_inv
	s_cbranch_vccnz .LBB811_141
; %bb.123:
	s_mov_b32 s0, exec_lo
	v_cmpx_eq_u32_e32 1, v17
	s_cbranch_execz .LBB811_125
; %bb.124:
	v_sub_nc_u32_e32 v1, v41, v20
	s_delay_alu instid0(VALU_DEP_1)
	v_lshlrev_b32_e32 v1, 2, v1
	ds_store_b32 v1, v15
.LBB811_125:
	s_or_b32 exec_lo, exec_lo, s0
	v_and_b32_e32 v1, 1, v30
	s_mov_b32 s0, exec_lo
	s_delay_alu instid0(VALU_DEP_1)
	v_cmpx_eq_u32_e32 1, v1
	s_cbranch_execz .LBB811_127
; %bb.126:
	v_sub_nc_u32_e32 v1, v40, v20
	s_delay_alu instid0(VALU_DEP_1)
	v_lshlrev_b32_e32 v1, 2, v1
	ds_store_b32 v1, v16
.LBB811_127:
	s_or_b32 exec_lo, exec_lo, s0
	v_and_b32_e32 v1, 1, v29
	s_mov_b32 s0, exec_lo
	s_delay_alu instid0(VALU_DEP_1)
	;; [unrolled: 12-line block ×7, first 2 shown]
	v_cmpx_eq_u32_e32 1, v1
	s_cbranch_execz .LBB811_139
; %bb.138:
	v_sub_nc_u32_e32 v1, v23, v20
	s_delay_alu instid0(VALU_DEP_1)
	v_lshlrev_b32_e32 v1, 2, v1
	ds_store_b32 v1, v10
.LBB811_139:
	s_or_b32 exec_lo, exec_lo, s0
	s_waitcnt lgkmcnt(0)
	s_barrier
	buffer_gl0_inv
	v_cmp_eq_u32_e32 vcc_lo, 0, v0
	s_and_b32 s0, vcc_lo, s14
	s_delay_alu instid0(SALU_CYCLE_1)
	s_and_saveexec_b32 s1, s0
	s_cbranch_execnz .LBB811_142
.LBB811_140:
	s_endpgm
.LBB811_141:
	v_cmp_eq_u32_e32 vcc_lo, 0, v0
	s_and_b32 s0, vcc_lo, s14
	s_delay_alu instid0(SALU_CYCLE_1)
	s_and_saveexec_b32 s1, s0
	s_cbranch_execz .LBB811_140
.LBB811_142:
	v_add_co_u32 v0, s0, s10, v19
	s_delay_alu instid0(VALU_DEP_1) | instskip(SKIP_1) | instid1(VALU_DEP_3)
	v_add_co_ci_u32_e64 v1, null, s11, 0, s0
	v_mov_b32_e32 v2, 0
	v_add_co_u32 v0, vcc_lo, v0, v20
	s_delay_alu instid0(VALU_DEP_3)
	v_add_co_ci_u32_e32 v1, vcc_lo, 0, v1, vcc_lo
	global_store_b64 v2, v[0:1], s[16:17]
	s_nop 0
	s_sendmsg sendmsg(MSG_DEALLOC_VGPRS)
	s_endpgm
	.section	.rodata,"a",@progbits
	.p2align	6, 0x0
	.amdhsa_kernel _ZN7rocprim17ROCPRIM_400000_NS6detail17trampoline_kernelINS0_14default_configENS1_25partition_config_selectorILNS1_17partition_subalgoE9EjjbEEZZNS1_14partition_implILS5_9ELb0ES3_jN6thrust23THRUST_200600_302600_NS6detail15normal_iteratorINS9_10device_ptrIjEEEESE_PNS0_10empty_typeENS0_5tupleIJNS9_16discard_iteratorINS9_11use_defaultEEESF_EEENSH_IJSK_SG_EEENS0_18inequality_wrapperINS9_8equal_toIjEEEEPmJSF_EEE10hipError_tPvRmT3_T4_T5_T6_T7_T9_mT8_P12ihipStream_tbDpT10_ENKUlT_T0_E_clISt17integral_constantIbLb1EES1A_IbLb0EEEEDaS16_S17_EUlS16_E_NS1_11comp_targetILNS1_3genE9ELNS1_11target_archE1100ELNS1_3gpuE3ELNS1_3repE0EEENS1_30default_config_static_selectorELNS0_4arch9wavefront6targetE0EEEvT1_
		.amdhsa_group_segment_fixed_size 12680
		.amdhsa_private_segment_fixed_size 0
		.amdhsa_kernarg_size 128
		.amdhsa_user_sgpr_count 15
		.amdhsa_user_sgpr_dispatch_ptr 0
		.amdhsa_user_sgpr_queue_ptr 0
		.amdhsa_user_sgpr_kernarg_segment_ptr 1
		.amdhsa_user_sgpr_dispatch_id 0
		.amdhsa_user_sgpr_private_segment_size 0
		.amdhsa_wavefront_size32 1
		.amdhsa_uses_dynamic_stack 0
		.amdhsa_enable_private_segment 0
		.amdhsa_system_sgpr_workgroup_id_x 1
		.amdhsa_system_sgpr_workgroup_id_y 0
		.amdhsa_system_sgpr_workgroup_id_z 0
		.amdhsa_system_sgpr_workgroup_info 0
		.amdhsa_system_vgpr_workitem_id 0
		.amdhsa_next_free_vgpr 51
		.amdhsa_next_free_sgpr 25
		.amdhsa_reserve_vcc 1
		.amdhsa_float_round_mode_32 0
		.amdhsa_float_round_mode_16_64 0
		.amdhsa_float_denorm_mode_32 3
		.amdhsa_float_denorm_mode_16_64 3
		.amdhsa_dx10_clamp 1
		.amdhsa_ieee_mode 1
		.amdhsa_fp16_overflow 0
		.amdhsa_workgroup_processor_mode 1
		.amdhsa_memory_ordered 1
		.amdhsa_forward_progress 0
		.amdhsa_shared_vgpr_count 0
		.amdhsa_exception_fp_ieee_invalid_op 0
		.amdhsa_exception_fp_denorm_src 0
		.amdhsa_exception_fp_ieee_div_zero 0
		.amdhsa_exception_fp_ieee_overflow 0
		.amdhsa_exception_fp_ieee_underflow 0
		.amdhsa_exception_fp_ieee_inexact 0
		.amdhsa_exception_int_div_zero 0
	.end_amdhsa_kernel
	.section	.text._ZN7rocprim17ROCPRIM_400000_NS6detail17trampoline_kernelINS0_14default_configENS1_25partition_config_selectorILNS1_17partition_subalgoE9EjjbEEZZNS1_14partition_implILS5_9ELb0ES3_jN6thrust23THRUST_200600_302600_NS6detail15normal_iteratorINS9_10device_ptrIjEEEESE_PNS0_10empty_typeENS0_5tupleIJNS9_16discard_iteratorINS9_11use_defaultEEESF_EEENSH_IJSK_SG_EEENS0_18inequality_wrapperINS9_8equal_toIjEEEEPmJSF_EEE10hipError_tPvRmT3_T4_T5_T6_T7_T9_mT8_P12ihipStream_tbDpT10_ENKUlT_T0_E_clISt17integral_constantIbLb1EES1A_IbLb0EEEEDaS16_S17_EUlS16_E_NS1_11comp_targetILNS1_3genE9ELNS1_11target_archE1100ELNS1_3gpuE3ELNS1_3repE0EEENS1_30default_config_static_selectorELNS0_4arch9wavefront6targetE0EEEvT1_,"axG",@progbits,_ZN7rocprim17ROCPRIM_400000_NS6detail17trampoline_kernelINS0_14default_configENS1_25partition_config_selectorILNS1_17partition_subalgoE9EjjbEEZZNS1_14partition_implILS5_9ELb0ES3_jN6thrust23THRUST_200600_302600_NS6detail15normal_iteratorINS9_10device_ptrIjEEEESE_PNS0_10empty_typeENS0_5tupleIJNS9_16discard_iteratorINS9_11use_defaultEEESF_EEENSH_IJSK_SG_EEENS0_18inequality_wrapperINS9_8equal_toIjEEEEPmJSF_EEE10hipError_tPvRmT3_T4_T5_T6_T7_T9_mT8_P12ihipStream_tbDpT10_ENKUlT_T0_E_clISt17integral_constantIbLb1EES1A_IbLb0EEEEDaS16_S17_EUlS16_E_NS1_11comp_targetILNS1_3genE9ELNS1_11target_archE1100ELNS1_3gpuE3ELNS1_3repE0EEENS1_30default_config_static_selectorELNS0_4arch9wavefront6targetE0EEEvT1_,comdat
.Lfunc_end811:
	.size	_ZN7rocprim17ROCPRIM_400000_NS6detail17trampoline_kernelINS0_14default_configENS1_25partition_config_selectorILNS1_17partition_subalgoE9EjjbEEZZNS1_14partition_implILS5_9ELb0ES3_jN6thrust23THRUST_200600_302600_NS6detail15normal_iteratorINS9_10device_ptrIjEEEESE_PNS0_10empty_typeENS0_5tupleIJNS9_16discard_iteratorINS9_11use_defaultEEESF_EEENSH_IJSK_SG_EEENS0_18inequality_wrapperINS9_8equal_toIjEEEEPmJSF_EEE10hipError_tPvRmT3_T4_T5_T6_T7_T9_mT8_P12ihipStream_tbDpT10_ENKUlT_T0_E_clISt17integral_constantIbLb1EES1A_IbLb0EEEEDaS16_S17_EUlS16_E_NS1_11comp_targetILNS1_3genE9ELNS1_11target_archE1100ELNS1_3gpuE3ELNS1_3repE0EEENS1_30default_config_static_selectorELNS0_4arch9wavefront6targetE0EEEvT1_, .Lfunc_end811-_ZN7rocprim17ROCPRIM_400000_NS6detail17trampoline_kernelINS0_14default_configENS1_25partition_config_selectorILNS1_17partition_subalgoE9EjjbEEZZNS1_14partition_implILS5_9ELb0ES3_jN6thrust23THRUST_200600_302600_NS6detail15normal_iteratorINS9_10device_ptrIjEEEESE_PNS0_10empty_typeENS0_5tupleIJNS9_16discard_iteratorINS9_11use_defaultEEESF_EEENSH_IJSK_SG_EEENS0_18inequality_wrapperINS9_8equal_toIjEEEEPmJSF_EEE10hipError_tPvRmT3_T4_T5_T6_T7_T9_mT8_P12ihipStream_tbDpT10_ENKUlT_T0_E_clISt17integral_constantIbLb1EES1A_IbLb0EEEEDaS16_S17_EUlS16_E_NS1_11comp_targetILNS1_3genE9ELNS1_11target_archE1100ELNS1_3gpuE3ELNS1_3repE0EEENS1_30default_config_static_selectorELNS0_4arch9wavefront6targetE0EEEvT1_
                                        ; -- End function
	.section	.AMDGPU.csdata,"",@progbits
; Kernel info:
; codeLenInByte = 7568
; NumSgprs: 27
; NumVgprs: 51
; ScratchSize: 0
; MemoryBound: 0
; FloatMode: 240
; IeeeMode: 1
; LDSByteSize: 12680 bytes/workgroup (compile time only)
; SGPRBlocks: 3
; VGPRBlocks: 6
; NumSGPRsForWavesPerEU: 27
; NumVGPRsForWavesPerEU: 51
; Occupancy: 15
; WaveLimiterHint : 1
; COMPUTE_PGM_RSRC2:SCRATCH_EN: 0
; COMPUTE_PGM_RSRC2:USER_SGPR: 15
; COMPUTE_PGM_RSRC2:TRAP_HANDLER: 0
; COMPUTE_PGM_RSRC2:TGID_X_EN: 1
; COMPUTE_PGM_RSRC2:TGID_Y_EN: 0
; COMPUTE_PGM_RSRC2:TGID_Z_EN: 0
; COMPUTE_PGM_RSRC2:TIDIG_COMP_CNT: 0
	.section	.text._ZN7rocprim17ROCPRIM_400000_NS6detail17trampoline_kernelINS0_14default_configENS1_25partition_config_selectorILNS1_17partition_subalgoE9EjjbEEZZNS1_14partition_implILS5_9ELb0ES3_jN6thrust23THRUST_200600_302600_NS6detail15normal_iteratorINS9_10device_ptrIjEEEESE_PNS0_10empty_typeENS0_5tupleIJNS9_16discard_iteratorINS9_11use_defaultEEESF_EEENSH_IJSK_SG_EEENS0_18inequality_wrapperINS9_8equal_toIjEEEEPmJSF_EEE10hipError_tPvRmT3_T4_T5_T6_T7_T9_mT8_P12ihipStream_tbDpT10_ENKUlT_T0_E_clISt17integral_constantIbLb1EES1A_IbLb0EEEEDaS16_S17_EUlS16_E_NS1_11comp_targetILNS1_3genE8ELNS1_11target_archE1030ELNS1_3gpuE2ELNS1_3repE0EEENS1_30default_config_static_selectorELNS0_4arch9wavefront6targetE0EEEvT1_,"axG",@progbits,_ZN7rocprim17ROCPRIM_400000_NS6detail17trampoline_kernelINS0_14default_configENS1_25partition_config_selectorILNS1_17partition_subalgoE9EjjbEEZZNS1_14partition_implILS5_9ELb0ES3_jN6thrust23THRUST_200600_302600_NS6detail15normal_iteratorINS9_10device_ptrIjEEEESE_PNS0_10empty_typeENS0_5tupleIJNS9_16discard_iteratorINS9_11use_defaultEEESF_EEENSH_IJSK_SG_EEENS0_18inequality_wrapperINS9_8equal_toIjEEEEPmJSF_EEE10hipError_tPvRmT3_T4_T5_T6_T7_T9_mT8_P12ihipStream_tbDpT10_ENKUlT_T0_E_clISt17integral_constantIbLb1EES1A_IbLb0EEEEDaS16_S17_EUlS16_E_NS1_11comp_targetILNS1_3genE8ELNS1_11target_archE1030ELNS1_3gpuE2ELNS1_3repE0EEENS1_30default_config_static_selectorELNS0_4arch9wavefront6targetE0EEEvT1_,comdat
	.protected	_ZN7rocprim17ROCPRIM_400000_NS6detail17trampoline_kernelINS0_14default_configENS1_25partition_config_selectorILNS1_17partition_subalgoE9EjjbEEZZNS1_14partition_implILS5_9ELb0ES3_jN6thrust23THRUST_200600_302600_NS6detail15normal_iteratorINS9_10device_ptrIjEEEESE_PNS0_10empty_typeENS0_5tupleIJNS9_16discard_iteratorINS9_11use_defaultEEESF_EEENSH_IJSK_SG_EEENS0_18inequality_wrapperINS9_8equal_toIjEEEEPmJSF_EEE10hipError_tPvRmT3_T4_T5_T6_T7_T9_mT8_P12ihipStream_tbDpT10_ENKUlT_T0_E_clISt17integral_constantIbLb1EES1A_IbLb0EEEEDaS16_S17_EUlS16_E_NS1_11comp_targetILNS1_3genE8ELNS1_11target_archE1030ELNS1_3gpuE2ELNS1_3repE0EEENS1_30default_config_static_selectorELNS0_4arch9wavefront6targetE0EEEvT1_ ; -- Begin function _ZN7rocprim17ROCPRIM_400000_NS6detail17trampoline_kernelINS0_14default_configENS1_25partition_config_selectorILNS1_17partition_subalgoE9EjjbEEZZNS1_14partition_implILS5_9ELb0ES3_jN6thrust23THRUST_200600_302600_NS6detail15normal_iteratorINS9_10device_ptrIjEEEESE_PNS0_10empty_typeENS0_5tupleIJNS9_16discard_iteratorINS9_11use_defaultEEESF_EEENSH_IJSK_SG_EEENS0_18inequality_wrapperINS9_8equal_toIjEEEEPmJSF_EEE10hipError_tPvRmT3_T4_T5_T6_T7_T9_mT8_P12ihipStream_tbDpT10_ENKUlT_T0_E_clISt17integral_constantIbLb1EES1A_IbLb0EEEEDaS16_S17_EUlS16_E_NS1_11comp_targetILNS1_3genE8ELNS1_11target_archE1030ELNS1_3gpuE2ELNS1_3repE0EEENS1_30default_config_static_selectorELNS0_4arch9wavefront6targetE0EEEvT1_
	.globl	_ZN7rocprim17ROCPRIM_400000_NS6detail17trampoline_kernelINS0_14default_configENS1_25partition_config_selectorILNS1_17partition_subalgoE9EjjbEEZZNS1_14partition_implILS5_9ELb0ES3_jN6thrust23THRUST_200600_302600_NS6detail15normal_iteratorINS9_10device_ptrIjEEEESE_PNS0_10empty_typeENS0_5tupleIJNS9_16discard_iteratorINS9_11use_defaultEEESF_EEENSH_IJSK_SG_EEENS0_18inequality_wrapperINS9_8equal_toIjEEEEPmJSF_EEE10hipError_tPvRmT3_T4_T5_T6_T7_T9_mT8_P12ihipStream_tbDpT10_ENKUlT_T0_E_clISt17integral_constantIbLb1EES1A_IbLb0EEEEDaS16_S17_EUlS16_E_NS1_11comp_targetILNS1_3genE8ELNS1_11target_archE1030ELNS1_3gpuE2ELNS1_3repE0EEENS1_30default_config_static_selectorELNS0_4arch9wavefront6targetE0EEEvT1_
	.p2align	8
	.type	_ZN7rocprim17ROCPRIM_400000_NS6detail17trampoline_kernelINS0_14default_configENS1_25partition_config_selectorILNS1_17partition_subalgoE9EjjbEEZZNS1_14partition_implILS5_9ELb0ES3_jN6thrust23THRUST_200600_302600_NS6detail15normal_iteratorINS9_10device_ptrIjEEEESE_PNS0_10empty_typeENS0_5tupleIJNS9_16discard_iteratorINS9_11use_defaultEEESF_EEENSH_IJSK_SG_EEENS0_18inequality_wrapperINS9_8equal_toIjEEEEPmJSF_EEE10hipError_tPvRmT3_T4_T5_T6_T7_T9_mT8_P12ihipStream_tbDpT10_ENKUlT_T0_E_clISt17integral_constantIbLb1EES1A_IbLb0EEEEDaS16_S17_EUlS16_E_NS1_11comp_targetILNS1_3genE8ELNS1_11target_archE1030ELNS1_3gpuE2ELNS1_3repE0EEENS1_30default_config_static_selectorELNS0_4arch9wavefront6targetE0EEEvT1_,@function
_ZN7rocprim17ROCPRIM_400000_NS6detail17trampoline_kernelINS0_14default_configENS1_25partition_config_selectorILNS1_17partition_subalgoE9EjjbEEZZNS1_14partition_implILS5_9ELb0ES3_jN6thrust23THRUST_200600_302600_NS6detail15normal_iteratorINS9_10device_ptrIjEEEESE_PNS0_10empty_typeENS0_5tupleIJNS9_16discard_iteratorINS9_11use_defaultEEESF_EEENSH_IJSK_SG_EEENS0_18inequality_wrapperINS9_8equal_toIjEEEEPmJSF_EEE10hipError_tPvRmT3_T4_T5_T6_T7_T9_mT8_P12ihipStream_tbDpT10_ENKUlT_T0_E_clISt17integral_constantIbLb1EES1A_IbLb0EEEEDaS16_S17_EUlS16_E_NS1_11comp_targetILNS1_3genE8ELNS1_11target_archE1030ELNS1_3gpuE2ELNS1_3repE0EEENS1_30default_config_static_selectorELNS0_4arch9wavefront6targetE0EEEvT1_: ; @_ZN7rocprim17ROCPRIM_400000_NS6detail17trampoline_kernelINS0_14default_configENS1_25partition_config_selectorILNS1_17partition_subalgoE9EjjbEEZZNS1_14partition_implILS5_9ELb0ES3_jN6thrust23THRUST_200600_302600_NS6detail15normal_iteratorINS9_10device_ptrIjEEEESE_PNS0_10empty_typeENS0_5tupleIJNS9_16discard_iteratorINS9_11use_defaultEEESF_EEENSH_IJSK_SG_EEENS0_18inequality_wrapperINS9_8equal_toIjEEEEPmJSF_EEE10hipError_tPvRmT3_T4_T5_T6_T7_T9_mT8_P12ihipStream_tbDpT10_ENKUlT_T0_E_clISt17integral_constantIbLb1EES1A_IbLb0EEEEDaS16_S17_EUlS16_E_NS1_11comp_targetILNS1_3genE8ELNS1_11target_archE1030ELNS1_3gpuE2ELNS1_3repE0EEENS1_30default_config_static_selectorELNS0_4arch9wavefront6targetE0EEEvT1_
; %bb.0:
	.section	.rodata,"a",@progbits
	.p2align	6, 0x0
	.amdhsa_kernel _ZN7rocprim17ROCPRIM_400000_NS6detail17trampoline_kernelINS0_14default_configENS1_25partition_config_selectorILNS1_17partition_subalgoE9EjjbEEZZNS1_14partition_implILS5_9ELb0ES3_jN6thrust23THRUST_200600_302600_NS6detail15normal_iteratorINS9_10device_ptrIjEEEESE_PNS0_10empty_typeENS0_5tupleIJNS9_16discard_iteratorINS9_11use_defaultEEESF_EEENSH_IJSK_SG_EEENS0_18inequality_wrapperINS9_8equal_toIjEEEEPmJSF_EEE10hipError_tPvRmT3_T4_T5_T6_T7_T9_mT8_P12ihipStream_tbDpT10_ENKUlT_T0_E_clISt17integral_constantIbLb1EES1A_IbLb0EEEEDaS16_S17_EUlS16_E_NS1_11comp_targetILNS1_3genE8ELNS1_11target_archE1030ELNS1_3gpuE2ELNS1_3repE0EEENS1_30default_config_static_selectorELNS0_4arch9wavefront6targetE0EEEvT1_
		.amdhsa_group_segment_fixed_size 0
		.amdhsa_private_segment_fixed_size 0
		.amdhsa_kernarg_size 128
		.amdhsa_user_sgpr_count 15
		.amdhsa_user_sgpr_dispatch_ptr 0
		.amdhsa_user_sgpr_queue_ptr 0
		.amdhsa_user_sgpr_kernarg_segment_ptr 1
		.amdhsa_user_sgpr_dispatch_id 0
		.amdhsa_user_sgpr_private_segment_size 0
		.amdhsa_wavefront_size32 1
		.amdhsa_uses_dynamic_stack 0
		.amdhsa_enable_private_segment 0
		.amdhsa_system_sgpr_workgroup_id_x 1
		.amdhsa_system_sgpr_workgroup_id_y 0
		.amdhsa_system_sgpr_workgroup_id_z 0
		.amdhsa_system_sgpr_workgroup_info 0
		.amdhsa_system_vgpr_workitem_id 0
		.amdhsa_next_free_vgpr 1
		.amdhsa_next_free_sgpr 1
		.amdhsa_reserve_vcc 0
		.amdhsa_float_round_mode_32 0
		.amdhsa_float_round_mode_16_64 0
		.amdhsa_float_denorm_mode_32 3
		.amdhsa_float_denorm_mode_16_64 3
		.amdhsa_dx10_clamp 1
		.amdhsa_ieee_mode 1
		.amdhsa_fp16_overflow 0
		.amdhsa_workgroup_processor_mode 1
		.amdhsa_memory_ordered 1
		.amdhsa_forward_progress 0
		.amdhsa_shared_vgpr_count 0
		.amdhsa_exception_fp_ieee_invalid_op 0
		.amdhsa_exception_fp_denorm_src 0
		.amdhsa_exception_fp_ieee_div_zero 0
		.amdhsa_exception_fp_ieee_overflow 0
		.amdhsa_exception_fp_ieee_underflow 0
		.amdhsa_exception_fp_ieee_inexact 0
		.amdhsa_exception_int_div_zero 0
	.end_amdhsa_kernel
	.section	.text._ZN7rocprim17ROCPRIM_400000_NS6detail17trampoline_kernelINS0_14default_configENS1_25partition_config_selectorILNS1_17partition_subalgoE9EjjbEEZZNS1_14partition_implILS5_9ELb0ES3_jN6thrust23THRUST_200600_302600_NS6detail15normal_iteratorINS9_10device_ptrIjEEEESE_PNS0_10empty_typeENS0_5tupleIJNS9_16discard_iteratorINS9_11use_defaultEEESF_EEENSH_IJSK_SG_EEENS0_18inequality_wrapperINS9_8equal_toIjEEEEPmJSF_EEE10hipError_tPvRmT3_T4_T5_T6_T7_T9_mT8_P12ihipStream_tbDpT10_ENKUlT_T0_E_clISt17integral_constantIbLb1EES1A_IbLb0EEEEDaS16_S17_EUlS16_E_NS1_11comp_targetILNS1_3genE8ELNS1_11target_archE1030ELNS1_3gpuE2ELNS1_3repE0EEENS1_30default_config_static_selectorELNS0_4arch9wavefront6targetE0EEEvT1_,"axG",@progbits,_ZN7rocprim17ROCPRIM_400000_NS6detail17trampoline_kernelINS0_14default_configENS1_25partition_config_selectorILNS1_17partition_subalgoE9EjjbEEZZNS1_14partition_implILS5_9ELb0ES3_jN6thrust23THRUST_200600_302600_NS6detail15normal_iteratorINS9_10device_ptrIjEEEESE_PNS0_10empty_typeENS0_5tupleIJNS9_16discard_iteratorINS9_11use_defaultEEESF_EEENSH_IJSK_SG_EEENS0_18inequality_wrapperINS9_8equal_toIjEEEEPmJSF_EEE10hipError_tPvRmT3_T4_T5_T6_T7_T9_mT8_P12ihipStream_tbDpT10_ENKUlT_T0_E_clISt17integral_constantIbLb1EES1A_IbLb0EEEEDaS16_S17_EUlS16_E_NS1_11comp_targetILNS1_3genE8ELNS1_11target_archE1030ELNS1_3gpuE2ELNS1_3repE0EEENS1_30default_config_static_selectorELNS0_4arch9wavefront6targetE0EEEvT1_,comdat
.Lfunc_end812:
	.size	_ZN7rocprim17ROCPRIM_400000_NS6detail17trampoline_kernelINS0_14default_configENS1_25partition_config_selectorILNS1_17partition_subalgoE9EjjbEEZZNS1_14partition_implILS5_9ELb0ES3_jN6thrust23THRUST_200600_302600_NS6detail15normal_iteratorINS9_10device_ptrIjEEEESE_PNS0_10empty_typeENS0_5tupleIJNS9_16discard_iteratorINS9_11use_defaultEEESF_EEENSH_IJSK_SG_EEENS0_18inequality_wrapperINS9_8equal_toIjEEEEPmJSF_EEE10hipError_tPvRmT3_T4_T5_T6_T7_T9_mT8_P12ihipStream_tbDpT10_ENKUlT_T0_E_clISt17integral_constantIbLb1EES1A_IbLb0EEEEDaS16_S17_EUlS16_E_NS1_11comp_targetILNS1_3genE8ELNS1_11target_archE1030ELNS1_3gpuE2ELNS1_3repE0EEENS1_30default_config_static_selectorELNS0_4arch9wavefront6targetE0EEEvT1_, .Lfunc_end812-_ZN7rocprim17ROCPRIM_400000_NS6detail17trampoline_kernelINS0_14default_configENS1_25partition_config_selectorILNS1_17partition_subalgoE9EjjbEEZZNS1_14partition_implILS5_9ELb0ES3_jN6thrust23THRUST_200600_302600_NS6detail15normal_iteratorINS9_10device_ptrIjEEEESE_PNS0_10empty_typeENS0_5tupleIJNS9_16discard_iteratorINS9_11use_defaultEEESF_EEENSH_IJSK_SG_EEENS0_18inequality_wrapperINS9_8equal_toIjEEEEPmJSF_EEE10hipError_tPvRmT3_T4_T5_T6_T7_T9_mT8_P12ihipStream_tbDpT10_ENKUlT_T0_E_clISt17integral_constantIbLb1EES1A_IbLb0EEEEDaS16_S17_EUlS16_E_NS1_11comp_targetILNS1_3genE8ELNS1_11target_archE1030ELNS1_3gpuE2ELNS1_3repE0EEENS1_30default_config_static_selectorELNS0_4arch9wavefront6targetE0EEEvT1_
                                        ; -- End function
	.section	.AMDGPU.csdata,"",@progbits
; Kernel info:
; codeLenInByte = 0
; NumSgprs: 0
; NumVgprs: 0
; ScratchSize: 0
; MemoryBound: 0
; FloatMode: 240
; IeeeMode: 1
; LDSByteSize: 0 bytes/workgroup (compile time only)
; SGPRBlocks: 0
; VGPRBlocks: 0
; NumSGPRsForWavesPerEU: 1
; NumVGPRsForWavesPerEU: 1
; Occupancy: 16
; WaveLimiterHint : 0
; COMPUTE_PGM_RSRC2:SCRATCH_EN: 0
; COMPUTE_PGM_RSRC2:USER_SGPR: 15
; COMPUTE_PGM_RSRC2:TRAP_HANDLER: 0
; COMPUTE_PGM_RSRC2:TGID_X_EN: 1
; COMPUTE_PGM_RSRC2:TGID_Y_EN: 0
; COMPUTE_PGM_RSRC2:TGID_Z_EN: 0
; COMPUTE_PGM_RSRC2:TIDIG_COMP_CNT: 0
	.section	.text._ZN7rocprim17ROCPRIM_400000_NS6detail17trampoline_kernelINS0_14default_configENS1_25partition_config_selectorILNS1_17partition_subalgoE9EjjbEEZZNS1_14partition_implILS5_9ELb0ES3_jN6thrust23THRUST_200600_302600_NS6detail15normal_iteratorINS9_10device_ptrIjEEEESE_PNS0_10empty_typeENS0_5tupleIJNS9_16discard_iteratorINS9_11use_defaultEEESF_EEENSH_IJSK_SG_EEENS0_18inequality_wrapperINS9_8equal_toIjEEEEPmJSF_EEE10hipError_tPvRmT3_T4_T5_T6_T7_T9_mT8_P12ihipStream_tbDpT10_ENKUlT_T0_E_clISt17integral_constantIbLb0EES1A_IbLb1EEEEDaS16_S17_EUlS16_E_NS1_11comp_targetILNS1_3genE0ELNS1_11target_archE4294967295ELNS1_3gpuE0ELNS1_3repE0EEENS1_30default_config_static_selectorELNS0_4arch9wavefront6targetE0EEEvT1_,"axG",@progbits,_ZN7rocprim17ROCPRIM_400000_NS6detail17trampoline_kernelINS0_14default_configENS1_25partition_config_selectorILNS1_17partition_subalgoE9EjjbEEZZNS1_14partition_implILS5_9ELb0ES3_jN6thrust23THRUST_200600_302600_NS6detail15normal_iteratorINS9_10device_ptrIjEEEESE_PNS0_10empty_typeENS0_5tupleIJNS9_16discard_iteratorINS9_11use_defaultEEESF_EEENSH_IJSK_SG_EEENS0_18inequality_wrapperINS9_8equal_toIjEEEEPmJSF_EEE10hipError_tPvRmT3_T4_T5_T6_T7_T9_mT8_P12ihipStream_tbDpT10_ENKUlT_T0_E_clISt17integral_constantIbLb0EES1A_IbLb1EEEEDaS16_S17_EUlS16_E_NS1_11comp_targetILNS1_3genE0ELNS1_11target_archE4294967295ELNS1_3gpuE0ELNS1_3repE0EEENS1_30default_config_static_selectorELNS0_4arch9wavefront6targetE0EEEvT1_,comdat
	.protected	_ZN7rocprim17ROCPRIM_400000_NS6detail17trampoline_kernelINS0_14default_configENS1_25partition_config_selectorILNS1_17partition_subalgoE9EjjbEEZZNS1_14partition_implILS5_9ELb0ES3_jN6thrust23THRUST_200600_302600_NS6detail15normal_iteratorINS9_10device_ptrIjEEEESE_PNS0_10empty_typeENS0_5tupleIJNS9_16discard_iteratorINS9_11use_defaultEEESF_EEENSH_IJSK_SG_EEENS0_18inequality_wrapperINS9_8equal_toIjEEEEPmJSF_EEE10hipError_tPvRmT3_T4_T5_T6_T7_T9_mT8_P12ihipStream_tbDpT10_ENKUlT_T0_E_clISt17integral_constantIbLb0EES1A_IbLb1EEEEDaS16_S17_EUlS16_E_NS1_11comp_targetILNS1_3genE0ELNS1_11target_archE4294967295ELNS1_3gpuE0ELNS1_3repE0EEENS1_30default_config_static_selectorELNS0_4arch9wavefront6targetE0EEEvT1_ ; -- Begin function _ZN7rocprim17ROCPRIM_400000_NS6detail17trampoline_kernelINS0_14default_configENS1_25partition_config_selectorILNS1_17partition_subalgoE9EjjbEEZZNS1_14partition_implILS5_9ELb0ES3_jN6thrust23THRUST_200600_302600_NS6detail15normal_iteratorINS9_10device_ptrIjEEEESE_PNS0_10empty_typeENS0_5tupleIJNS9_16discard_iteratorINS9_11use_defaultEEESF_EEENSH_IJSK_SG_EEENS0_18inequality_wrapperINS9_8equal_toIjEEEEPmJSF_EEE10hipError_tPvRmT3_T4_T5_T6_T7_T9_mT8_P12ihipStream_tbDpT10_ENKUlT_T0_E_clISt17integral_constantIbLb0EES1A_IbLb1EEEEDaS16_S17_EUlS16_E_NS1_11comp_targetILNS1_3genE0ELNS1_11target_archE4294967295ELNS1_3gpuE0ELNS1_3repE0EEENS1_30default_config_static_selectorELNS0_4arch9wavefront6targetE0EEEvT1_
	.globl	_ZN7rocprim17ROCPRIM_400000_NS6detail17trampoline_kernelINS0_14default_configENS1_25partition_config_selectorILNS1_17partition_subalgoE9EjjbEEZZNS1_14partition_implILS5_9ELb0ES3_jN6thrust23THRUST_200600_302600_NS6detail15normal_iteratorINS9_10device_ptrIjEEEESE_PNS0_10empty_typeENS0_5tupleIJNS9_16discard_iteratorINS9_11use_defaultEEESF_EEENSH_IJSK_SG_EEENS0_18inequality_wrapperINS9_8equal_toIjEEEEPmJSF_EEE10hipError_tPvRmT3_T4_T5_T6_T7_T9_mT8_P12ihipStream_tbDpT10_ENKUlT_T0_E_clISt17integral_constantIbLb0EES1A_IbLb1EEEEDaS16_S17_EUlS16_E_NS1_11comp_targetILNS1_3genE0ELNS1_11target_archE4294967295ELNS1_3gpuE0ELNS1_3repE0EEENS1_30default_config_static_selectorELNS0_4arch9wavefront6targetE0EEEvT1_
	.p2align	8
	.type	_ZN7rocprim17ROCPRIM_400000_NS6detail17trampoline_kernelINS0_14default_configENS1_25partition_config_selectorILNS1_17partition_subalgoE9EjjbEEZZNS1_14partition_implILS5_9ELb0ES3_jN6thrust23THRUST_200600_302600_NS6detail15normal_iteratorINS9_10device_ptrIjEEEESE_PNS0_10empty_typeENS0_5tupleIJNS9_16discard_iteratorINS9_11use_defaultEEESF_EEENSH_IJSK_SG_EEENS0_18inequality_wrapperINS9_8equal_toIjEEEEPmJSF_EEE10hipError_tPvRmT3_T4_T5_T6_T7_T9_mT8_P12ihipStream_tbDpT10_ENKUlT_T0_E_clISt17integral_constantIbLb0EES1A_IbLb1EEEEDaS16_S17_EUlS16_E_NS1_11comp_targetILNS1_3genE0ELNS1_11target_archE4294967295ELNS1_3gpuE0ELNS1_3repE0EEENS1_30default_config_static_selectorELNS0_4arch9wavefront6targetE0EEEvT1_,@function
_ZN7rocprim17ROCPRIM_400000_NS6detail17trampoline_kernelINS0_14default_configENS1_25partition_config_selectorILNS1_17partition_subalgoE9EjjbEEZZNS1_14partition_implILS5_9ELb0ES3_jN6thrust23THRUST_200600_302600_NS6detail15normal_iteratorINS9_10device_ptrIjEEEESE_PNS0_10empty_typeENS0_5tupleIJNS9_16discard_iteratorINS9_11use_defaultEEESF_EEENSH_IJSK_SG_EEENS0_18inequality_wrapperINS9_8equal_toIjEEEEPmJSF_EEE10hipError_tPvRmT3_T4_T5_T6_T7_T9_mT8_P12ihipStream_tbDpT10_ENKUlT_T0_E_clISt17integral_constantIbLb0EES1A_IbLb1EEEEDaS16_S17_EUlS16_E_NS1_11comp_targetILNS1_3genE0ELNS1_11target_archE4294967295ELNS1_3gpuE0ELNS1_3repE0EEENS1_30default_config_static_selectorELNS0_4arch9wavefront6targetE0EEEvT1_: ; @_ZN7rocprim17ROCPRIM_400000_NS6detail17trampoline_kernelINS0_14default_configENS1_25partition_config_selectorILNS1_17partition_subalgoE9EjjbEEZZNS1_14partition_implILS5_9ELb0ES3_jN6thrust23THRUST_200600_302600_NS6detail15normal_iteratorINS9_10device_ptrIjEEEESE_PNS0_10empty_typeENS0_5tupleIJNS9_16discard_iteratorINS9_11use_defaultEEESF_EEENSH_IJSK_SG_EEENS0_18inequality_wrapperINS9_8equal_toIjEEEEPmJSF_EEE10hipError_tPvRmT3_T4_T5_T6_T7_T9_mT8_P12ihipStream_tbDpT10_ENKUlT_T0_E_clISt17integral_constantIbLb0EES1A_IbLb1EEEEDaS16_S17_EUlS16_E_NS1_11comp_targetILNS1_3genE0ELNS1_11target_archE4294967295ELNS1_3gpuE0ELNS1_3repE0EEENS1_30default_config_static_selectorELNS0_4arch9wavefront6targetE0EEEvT1_
; %bb.0:
	.section	.rodata,"a",@progbits
	.p2align	6, 0x0
	.amdhsa_kernel _ZN7rocprim17ROCPRIM_400000_NS6detail17trampoline_kernelINS0_14default_configENS1_25partition_config_selectorILNS1_17partition_subalgoE9EjjbEEZZNS1_14partition_implILS5_9ELb0ES3_jN6thrust23THRUST_200600_302600_NS6detail15normal_iteratorINS9_10device_ptrIjEEEESE_PNS0_10empty_typeENS0_5tupleIJNS9_16discard_iteratorINS9_11use_defaultEEESF_EEENSH_IJSK_SG_EEENS0_18inequality_wrapperINS9_8equal_toIjEEEEPmJSF_EEE10hipError_tPvRmT3_T4_T5_T6_T7_T9_mT8_P12ihipStream_tbDpT10_ENKUlT_T0_E_clISt17integral_constantIbLb0EES1A_IbLb1EEEEDaS16_S17_EUlS16_E_NS1_11comp_targetILNS1_3genE0ELNS1_11target_archE4294967295ELNS1_3gpuE0ELNS1_3repE0EEENS1_30default_config_static_selectorELNS0_4arch9wavefront6targetE0EEEvT1_
		.amdhsa_group_segment_fixed_size 0
		.amdhsa_private_segment_fixed_size 0
		.amdhsa_kernarg_size 144
		.amdhsa_user_sgpr_count 15
		.amdhsa_user_sgpr_dispatch_ptr 0
		.amdhsa_user_sgpr_queue_ptr 0
		.amdhsa_user_sgpr_kernarg_segment_ptr 1
		.amdhsa_user_sgpr_dispatch_id 0
		.amdhsa_user_sgpr_private_segment_size 0
		.amdhsa_wavefront_size32 1
		.amdhsa_uses_dynamic_stack 0
		.amdhsa_enable_private_segment 0
		.amdhsa_system_sgpr_workgroup_id_x 1
		.amdhsa_system_sgpr_workgroup_id_y 0
		.amdhsa_system_sgpr_workgroup_id_z 0
		.amdhsa_system_sgpr_workgroup_info 0
		.amdhsa_system_vgpr_workitem_id 0
		.amdhsa_next_free_vgpr 1
		.amdhsa_next_free_sgpr 1
		.amdhsa_reserve_vcc 0
		.amdhsa_float_round_mode_32 0
		.amdhsa_float_round_mode_16_64 0
		.amdhsa_float_denorm_mode_32 3
		.amdhsa_float_denorm_mode_16_64 3
		.amdhsa_dx10_clamp 1
		.amdhsa_ieee_mode 1
		.amdhsa_fp16_overflow 0
		.amdhsa_workgroup_processor_mode 1
		.amdhsa_memory_ordered 1
		.amdhsa_forward_progress 0
		.amdhsa_shared_vgpr_count 0
		.amdhsa_exception_fp_ieee_invalid_op 0
		.amdhsa_exception_fp_denorm_src 0
		.amdhsa_exception_fp_ieee_div_zero 0
		.amdhsa_exception_fp_ieee_overflow 0
		.amdhsa_exception_fp_ieee_underflow 0
		.amdhsa_exception_fp_ieee_inexact 0
		.amdhsa_exception_int_div_zero 0
	.end_amdhsa_kernel
	.section	.text._ZN7rocprim17ROCPRIM_400000_NS6detail17trampoline_kernelINS0_14default_configENS1_25partition_config_selectorILNS1_17partition_subalgoE9EjjbEEZZNS1_14partition_implILS5_9ELb0ES3_jN6thrust23THRUST_200600_302600_NS6detail15normal_iteratorINS9_10device_ptrIjEEEESE_PNS0_10empty_typeENS0_5tupleIJNS9_16discard_iteratorINS9_11use_defaultEEESF_EEENSH_IJSK_SG_EEENS0_18inequality_wrapperINS9_8equal_toIjEEEEPmJSF_EEE10hipError_tPvRmT3_T4_T5_T6_T7_T9_mT8_P12ihipStream_tbDpT10_ENKUlT_T0_E_clISt17integral_constantIbLb0EES1A_IbLb1EEEEDaS16_S17_EUlS16_E_NS1_11comp_targetILNS1_3genE0ELNS1_11target_archE4294967295ELNS1_3gpuE0ELNS1_3repE0EEENS1_30default_config_static_selectorELNS0_4arch9wavefront6targetE0EEEvT1_,"axG",@progbits,_ZN7rocprim17ROCPRIM_400000_NS6detail17trampoline_kernelINS0_14default_configENS1_25partition_config_selectorILNS1_17partition_subalgoE9EjjbEEZZNS1_14partition_implILS5_9ELb0ES3_jN6thrust23THRUST_200600_302600_NS6detail15normal_iteratorINS9_10device_ptrIjEEEESE_PNS0_10empty_typeENS0_5tupleIJNS9_16discard_iteratorINS9_11use_defaultEEESF_EEENSH_IJSK_SG_EEENS0_18inequality_wrapperINS9_8equal_toIjEEEEPmJSF_EEE10hipError_tPvRmT3_T4_T5_T6_T7_T9_mT8_P12ihipStream_tbDpT10_ENKUlT_T0_E_clISt17integral_constantIbLb0EES1A_IbLb1EEEEDaS16_S17_EUlS16_E_NS1_11comp_targetILNS1_3genE0ELNS1_11target_archE4294967295ELNS1_3gpuE0ELNS1_3repE0EEENS1_30default_config_static_selectorELNS0_4arch9wavefront6targetE0EEEvT1_,comdat
.Lfunc_end813:
	.size	_ZN7rocprim17ROCPRIM_400000_NS6detail17trampoline_kernelINS0_14default_configENS1_25partition_config_selectorILNS1_17partition_subalgoE9EjjbEEZZNS1_14partition_implILS5_9ELb0ES3_jN6thrust23THRUST_200600_302600_NS6detail15normal_iteratorINS9_10device_ptrIjEEEESE_PNS0_10empty_typeENS0_5tupleIJNS9_16discard_iteratorINS9_11use_defaultEEESF_EEENSH_IJSK_SG_EEENS0_18inequality_wrapperINS9_8equal_toIjEEEEPmJSF_EEE10hipError_tPvRmT3_T4_T5_T6_T7_T9_mT8_P12ihipStream_tbDpT10_ENKUlT_T0_E_clISt17integral_constantIbLb0EES1A_IbLb1EEEEDaS16_S17_EUlS16_E_NS1_11comp_targetILNS1_3genE0ELNS1_11target_archE4294967295ELNS1_3gpuE0ELNS1_3repE0EEENS1_30default_config_static_selectorELNS0_4arch9wavefront6targetE0EEEvT1_, .Lfunc_end813-_ZN7rocprim17ROCPRIM_400000_NS6detail17trampoline_kernelINS0_14default_configENS1_25partition_config_selectorILNS1_17partition_subalgoE9EjjbEEZZNS1_14partition_implILS5_9ELb0ES3_jN6thrust23THRUST_200600_302600_NS6detail15normal_iteratorINS9_10device_ptrIjEEEESE_PNS0_10empty_typeENS0_5tupleIJNS9_16discard_iteratorINS9_11use_defaultEEESF_EEENSH_IJSK_SG_EEENS0_18inequality_wrapperINS9_8equal_toIjEEEEPmJSF_EEE10hipError_tPvRmT3_T4_T5_T6_T7_T9_mT8_P12ihipStream_tbDpT10_ENKUlT_T0_E_clISt17integral_constantIbLb0EES1A_IbLb1EEEEDaS16_S17_EUlS16_E_NS1_11comp_targetILNS1_3genE0ELNS1_11target_archE4294967295ELNS1_3gpuE0ELNS1_3repE0EEENS1_30default_config_static_selectorELNS0_4arch9wavefront6targetE0EEEvT1_
                                        ; -- End function
	.section	.AMDGPU.csdata,"",@progbits
; Kernel info:
; codeLenInByte = 0
; NumSgprs: 0
; NumVgprs: 0
; ScratchSize: 0
; MemoryBound: 0
; FloatMode: 240
; IeeeMode: 1
; LDSByteSize: 0 bytes/workgroup (compile time only)
; SGPRBlocks: 0
; VGPRBlocks: 0
; NumSGPRsForWavesPerEU: 1
; NumVGPRsForWavesPerEU: 1
; Occupancy: 16
; WaveLimiterHint : 0
; COMPUTE_PGM_RSRC2:SCRATCH_EN: 0
; COMPUTE_PGM_RSRC2:USER_SGPR: 15
; COMPUTE_PGM_RSRC2:TRAP_HANDLER: 0
; COMPUTE_PGM_RSRC2:TGID_X_EN: 1
; COMPUTE_PGM_RSRC2:TGID_Y_EN: 0
; COMPUTE_PGM_RSRC2:TGID_Z_EN: 0
; COMPUTE_PGM_RSRC2:TIDIG_COMP_CNT: 0
	.section	.text._ZN7rocprim17ROCPRIM_400000_NS6detail17trampoline_kernelINS0_14default_configENS1_25partition_config_selectorILNS1_17partition_subalgoE9EjjbEEZZNS1_14partition_implILS5_9ELb0ES3_jN6thrust23THRUST_200600_302600_NS6detail15normal_iteratorINS9_10device_ptrIjEEEESE_PNS0_10empty_typeENS0_5tupleIJNS9_16discard_iteratorINS9_11use_defaultEEESF_EEENSH_IJSK_SG_EEENS0_18inequality_wrapperINS9_8equal_toIjEEEEPmJSF_EEE10hipError_tPvRmT3_T4_T5_T6_T7_T9_mT8_P12ihipStream_tbDpT10_ENKUlT_T0_E_clISt17integral_constantIbLb0EES1A_IbLb1EEEEDaS16_S17_EUlS16_E_NS1_11comp_targetILNS1_3genE5ELNS1_11target_archE942ELNS1_3gpuE9ELNS1_3repE0EEENS1_30default_config_static_selectorELNS0_4arch9wavefront6targetE0EEEvT1_,"axG",@progbits,_ZN7rocprim17ROCPRIM_400000_NS6detail17trampoline_kernelINS0_14default_configENS1_25partition_config_selectorILNS1_17partition_subalgoE9EjjbEEZZNS1_14partition_implILS5_9ELb0ES3_jN6thrust23THRUST_200600_302600_NS6detail15normal_iteratorINS9_10device_ptrIjEEEESE_PNS0_10empty_typeENS0_5tupleIJNS9_16discard_iteratorINS9_11use_defaultEEESF_EEENSH_IJSK_SG_EEENS0_18inequality_wrapperINS9_8equal_toIjEEEEPmJSF_EEE10hipError_tPvRmT3_T4_T5_T6_T7_T9_mT8_P12ihipStream_tbDpT10_ENKUlT_T0_E_clISt17integral_constantIbLb0EES1A_IbLb1EEEEDaS16_S17_EUlS16_E_NS1_11comp_targetILNS1_3genE5ELNS1_11target_archE942ELNS1_3gpuE9ELNS1_3repE0EEENS1_30default_config_static_selectorELNS0_4arch9wavefront6targetE0EEEvT1_,comdat
	.protected	_ZN7rocprim17ROCPRIM_400000_NS6detail17trampoline_kernelINS0_14default_configENS1_25partition_config_selectorILNS1_17partition_subalgoE9EjjbEEZZNS1_14partition_implILS5_9ELb0ES3_jN6thrust23THRUST_200600_302600_NS6detail15normal_iteratorINS9_10device_ptrIjEEEESE_PNS0_10empty_typeENS0_5tupleIJNS9_16discard_iteratorINS9_11use_defaultEEESF_EEENSH_IJSK_SG_EEENS0_18inequality_wrapperINS9_8equal_toIjEEEEPmJSF_EEE10hipError_tPvRmT3_T4_T5_T6_T7_T9_mT8_P12ihipStream_tbDpT10_ENKUlT_T0_E_clISt17integral_constantIbLb0EES1A_IbLb1EEEEDaS16_S17_EUlS16_E_NS1_11comp_targetILNS1_3genE5ELNS1_11target_archE942ELNS1_3gpuE9ELNS1_3repE0EEENS1_30default_config_static_selectorELNS0_4arch9wavefront6targetE0EEEvT1_ ; -- Begin function _ZN7rocprim17ROCPRIM_400000_NS6detail17trampoline_kernelINS0_14default_configENS1_25partition_config_selectorILNS1_17partition_subalgoE9EjjbEEZZNS1_14partition_implILS5_9ELb0ES3_jN6thrust23THRUST_200600_302600_NS6detail15normal_iteratorINS9_10device_ptrIjEEEESE_PNS0_10empty_typeENS0_5tupleIJNS9_16discard_iteratorINS9_11use_defaultEEESF_EEENSH_IJSK_SG_EEENS0_18inequality_wrapperINS9_8equal_toIjEEEEPmJSF_EEE10hipError_tPvRmT3_T4_T5_T6_T7_T9_mT8_P12ihipStream_tbDpT10_ENKUlT_T0_E_clISt17integral_constantIbLb0EES1A_IbLb1EEEEDaS16_S17_EUlS16_E_NS1_11comp_targetILNS1_3genE5ELNS1_11target_archE942ELNS1_3gpuE9ELNS1_3repE0EEENS1_30default_config_static_selectorELNS0_4arch9wavefront6targetE0EEEvT1_
	.globl	_ZN7rocprim17ROCPRIM_400000_NS6detail17trampoline_kernelINS0_14default_configENS1_25partition_config_selectorILNS1_17partition_subalgoE9EjjbEEZZNS1_14partition_implILS5_9ELb0ES3_jN6thrust23THRUST_200600_302600_NS6detail15normal_iteratorINS9_10device_ptrIjEEEESE_PNS0_10empty_typeENS0_5tupleIJNS9_16discard_iteratorINS9_11use_defaultEEESF_EEENSH_IJSK_SG_EEENS0_18inequality_wrapperINS9_8equal_toIjEEEEPmJSF_EEE10hipError_tPvRmT3_T4_T5_T6_T7_T9_mT8_P12ihipStream_tbDpT10_ENKUlT_T0_E_clISt17integral_constantIbLb0EES1A_IbLb1EEEEDaS16_S17_EUlS16_E_NS1_11comp_targetILNS1_3genE5ELNS1_11target_archE942ELNS1_3gpuE9ELNS1_3repE0EEENS1_30default_config_static_selectorELNS0_4arch9wavefront6targetE0EEEvT1_
	.p2align	8
	.type	_ZN7rocprim17ROCPRIM_400000_NS6detail17trampoline_kernelINS0_14default_configENS1_25partition_config_selectorILNS1_17partition_subalgoE9EjjbEEZZNS1_14partition_implILS5_9ELb0ES3_jN6thrust23THRUST_200600_302600_NS6detail15normal_iteratorINS9_10device_ptrIjEEEESE_PNS0_10empty_typeENS0_5tupleIJNS9_16discard_iteratorINS9_11use_defaultEEESF_EEENSH_IJSK_SG_EEENS0_18inequality_wrapperINS9_8equal_toIjEEEEPmJSF_EEE10hipError_tPvRmT3_T4_T5_T6_T7_T9_mT8_P12ihipStream_tbDpT10_ENKUlT_T0_E_clISt17integral_constantIbLb0EES1A_IbLb1EEEEDaS16_S17_EUlS16_E_NS1_11comp_targetILNS1_3genE5ELNS1_11target_archE942ELNS1_3gpuE9ELNS1_3repE0EEENS1_30default_config_static_selectorELNS0_4arch9wavefront6targetE0EEEvT1_,@function
_ZN7rocprim17ROCPRIM_400000_NS6detail17trampoline_kernelINS0_14default_configENS1_25partition_config_selectorILNS1_17partition_subalgoE9EjjbEEZZNS1_14partition_implILS5_9ELb0ES3_jN6thrust23THRUST_200600_302600_NS6detail15normal_iteratorINS9_10device_ptrIjEEEESE_PNS0_10empty_typeENS0_5tupleIJNS9_16discard_iteratorINS9_11use_defaultEEESF_EEENSH_IJSK_SG_EEENS0_18inequality_wrapperINS9_8equal_toIjEEEEPmJSF_EEE10hipError_tPvRmT3_T4_T5_T6_T7_T9_mT8_P12ihipStream_tbDpT10_ENKUlT_T0_E_clISt17integral_constantIbLb0EES1A_IbLb1EEEEDaS16_S17_EUlS16_E_NS1_11comp_targetILNS1_3genE5ELNS1_11target_archE942ELNS1_3gpuE9ELNS1_3repE0EEENS1_30default_config_static_selectorELNS0_4arch9wavefront6targetE0EEEvT1_: ; @_ZN7rocprim17ROCPRIM_400000_NS6detail17trampoline_kernelINS0_14default_configENS1_25partition_config_selectorILNS1_17partition_subalgoE9EjjbEEZZNS1_14partition_implILS5_9ELb0ES3_jN6thrust23THRUST_200600_302600_NS6detail15normal_iteratorINS9_10device_ptrIjEEEESE_PNS0_10empty_typeENS0_5tupleIJNS9_16discard_iteratorINS9_11use_defaultEEESF_EEENSH_IJSK_SG_EEENS0_18inequality_wrapperINS9_8equal_toIjEEEEPmJSF_EEE10hipError_tPvRmT3_T4_T5_T6_T7_T9_mT8_P12ihipStream_tbDpT10_ENKUlT_T0_E_clISt17integral_constantIbLb0EES1A_IbLb1EEEEDaS16_S17_EUlS16_E_NS1_11comp_targetILNS1_3genE5ELNS1_11target_archE942ELNS1_3gpuE9ELNS1_3repE0EEENS1_30default_config_static_selectorELNS0_4arch9wavefront6targetE0EEEvT1_
; %bb.0:
	.section	.rodata,"a",@progbits
	.p2align	6, 0x0
	.amdhsa_kernel _ZN7rocprim17ROCPRIM_400000_NS6detail17trampoline_kernelINS0_14default_configENS1_25partition_config_selectorILNS1_17partition_subalgoE9EjjbEEZZNS1_14partition_implILS5_9ELb0ES3_jN6thrust23THRUST_200600_302600_NS6detail15normal_iteratorINS9_10device_ptrIjEEEESE_PNS0_10empty_typeENS0_5tupleIJNS9_16discard_iteratorINS9_11use_defaultEEESF_EEENSH_IJSK_SG_EEENS0_18inequality_wrapperINS9_8equal_toIjEEEEPmJSF_EEE10hipError_tPvRmT3_T4_T5_T6_T7_T9_mT8_P12ihipStream_tbDpT10_ENKUlT_T0_E_clISt17integral_constantIbLb0EES1A_IbLb1EEEEDaS16_S17_EUlS16_E_NS1_11comp_targetILNS1_3genE5ELNS1_11target_archE942ELNS1_3gpuE9ELNS1_3repE0EEENS1_30default_config_static_selectorELNS0_4arch9wavefront6targetE0EEEvT1_
		.amdhsa_group_segment_fixed_size 0
		.amdhsa_private_segment_fixed_size 0
		.amdhsa_kernarg_size 144
		.amdhsa_user_sgpr_count 15
		.amdhsa_user_sgpr_dispatch_ptr 0
		.amdhsa_user_sgpr_queue_ptr 0
		.amdhsa_user_sgpr_kernarg_segment_ptr 1
		.amdhsa_user_sgpr_dispatch_id 0
		.amdhsa_user_sgpr_private_segment_size 0
		.amdhsa_wavefront_size32 1
		.amdhsa_uses_dynamic_stack 0
		.amdhsa_enable_private_segment 0
		.amdhsa_system_sgpr_workgroup_id_x 1
		.amdhsa_system_sgpr_workgroup_id_y 0
		.amdhsa_system_sgpr_workgroup_id_z 0
		.amdhsa_system_sgpr_workgroup_info 0
		.amdhsa_system_vgpr_workitem_id 0
		.amdhsa_next_free_vgpr 1
		.amdhsa_next_free_sgpr 1
		.amdhsa_reserve_vcc 0
		.amdhsa_float_round_mode_32 0
		.amdhsa_float_round_mode_16_64 0
		.amdhsa_float_denorm_mode_32 3
		.amdhsa_float_denorm_mode_16_64 3
		.amdhsa_dx10_clamp 1
		.amdhsa_ieee_mode 1
		.amdhsa_fp16_overflow 0
		.amdhsa_workgroup_processor_mode 1
		.amdhsa_memory_ordered 1
		.amdhsa_forward_progress 0
		.amdhsa_shared_vgpr_count 0
		.amdhsa_exception_fp_ieee_invalid_op 0
		.amdhsa_exception_fp_denorm_src 0
		.amdhsa_exception_fp_ieee_div_zero 0
		.amdhsa_exception_fp_ieee_overflow 0
		.amdhsa_exception_fp_ieee_underflow 0
		.amdhsa_exception_fp_ieee_inexact 0
		.amdhsa_exception_int_div_zero 0
	.end_amdhsa_kernel
	.section	.text._ZN7rocprim17ROCPRIM_400000_NS6detail17trampoline_kernelINS0_14default_configENS1_25partition_config_selectorILNS1_17partition_subalgoE9EjjbEEZZNS1_14partition_implILS5_9ELb0ES3_jN6thrust23THRUST_200600_302600_NS6detail15normal_iteratorINS9_10device_ptrIjEEEESE_PNS0_10empty_typeENS0_5tupleIJNS9_16discard_iteratorINS9_11use_defaultEEESF_EEENSH_IJSK_SG_EEENS0_18inequality_wrapperINS9_8equal_toIjEEEEPmJSF_EEE10hipError_tPvRmT3_T4_T5_T6_T7_T9_mT8_P12ihipStream_tbDpT10_ENKUlT_T0_E_clISt17integral_constantIbLb0EES1A_IbLb1EEEEDaS16_S17_EUlS16_E_NS1_11comp_targetILNS1_3genE5ELNS1_11target_archE942ELNS1_3gpuE9ELNS1_3repE0EEENS1_30default_config_static_selectorELNS0_4arch9wavefront6targetE0EEEvT1_,"axG",@progbits,_ZN7rocprim17ROCPRIM_400000_NS6detail17trampoline_kernelINS0_14default_configENS1_25partition_config_selectorILNS1_17partition_subalgoE9EjjbEEZZNS1_14partition_implILS5_9ELb0ES3_jN6thrust23THRUST_200600_302600_NS6detail15normal_iteratorINS9_10device_ptrIjEEEESE_PNS0_10empty_typeENS0_5tupleIJNS9_16discard_iteratorINS9_11use_defaultEEESF_EEENSH_IJSK_SG_EEENS0_18inequality_wrapperINS9_8equal_toIjEEEEPmJSF_EEE10hipError_tPvRmT3_T4_T5_T6_T7_T9_mT8_P12ihipStream_tbDpT10_ENKUlT_T0_E_clISt17integral_constantIbLb0EES1A_IbLb1EEEEDaS16_S17_EUlS16_E_NS1_11comp_targetILNS1_3genE5ELNS1_11target_archE942ELNS1_3gpuE9ELNS1_3repE0EEENS1_30default_config_static_selectorELNS0_4arch9wavefront6targetE0EEEvT1_,comdat
.Lfunc_end814:
	.size	_ZN7rocprim17ROCPRIM_400000_NS6detail17trampoline_kernelINS0_14default_configENS1_25partition_config_selectorILNS1_17partition_subalgoE9EjjbEEZZNS1_14partition_implILS5_9ELb0ES3_jN6thrust23THRUST_200600_302600_NS6detail15normal_iteratorINS9_10device_ptrIjEEEESE_PNS0_10empty_typeENS0_5tupleIJNS9_16discard_iteratorINS9_11use_defaultEEESF_EEENSH_IJSK_SG_EEENS0_18inequality_wrapperINS9_8equal_toIjEEEEPmJSF_EEE10hipError_tPvRmT3_T4_T5_T6_T7_T9_mT8_P12ihipStream_tbDpT10_ENKUlT_T0_E_clISt17integral_constantIbLb0EES1A_IbLb1EEEEDaS16_S17_EUlS16_E_NS1_11comp_targetILNS1_3genE5ELNS1_11target_archE942ELNS1_3gpuE9ELNS1_3repE0EEENS1_30default_config_static_selectorELNS0_4arch9wavefront6targetE0EEEvT1_, .Lfunc_end814-_ZN7rocprim17ROCPRIM_400000_NS6detail17trampoline_kernelINS0_14default_configENS1_25partition_config_selectorILNS1_17partition_subalgoE9EjjbEEZZNS1_14partition_implILS5_9ELb0ES3_jN6thrust23THRUST_200600_302600_NS6detail15normal_iteratorINS9_10device_ptrIjEEEESE_PNS0_10empty_typeENS0_5tupleIJNS9_16discard_iteratorINS9_11use_defaultEEESF_EEENSH_IJSK_SG_EEENS0_18inequality_wrapperINS9_8equal_toIjEEEEPmJSF_EEE10hipError_tPvRmT3_T4_T5_T6_T7_T9_mT8_P12ihipStream_tbDpT10_ENKUlT_T0_E_clISt17integral_constantIbLb0EES1A_IbLb1EEEEDaS16_S17_EUlS16_E_NS1_11comp_targetILNS1_3genE5ELNS1_11target_archE942ELNS1_3gpuE9ELNS1_3repE0EEENS1_30default_config_static_selectorELNS0_4arch9wavefront6targetE0EEEvT1_
                                        ; -- End function
	.section	.AMDGPU.csdata,"",@progbits
; Kernel info:
; codeLenInByte = 0
; NumSgprs: 0
; NumVgprs: 0
; ScratchSize: 0
; MemoryBound: 0
; FloatMode: 240
; IeeeMode: 1
; LDSByteSize: 0 bytes/workgroup (compile time only)
; SGPRBlocks: 0
; VGPRBlocks: 0
; NumSGPRsForWavesPerEU: 1
; NumVGPRsForWavesPerEU: 1
; Occupancy: 16
; WaveLimiterHint : 0
; COMPUTE_PGM_RSRC2:SCRATCH_EN: 0
; COMPUTE_PGM_RSRC2:USER_SGPR: 15
; COMPUTE_PGM_RSRC2:TRAP_HANDLER: 0
; COMPUTE_PGM_RSRC2:TGID_X_EN: 1
; COMPUTE_PGM_RSRC2:TGID_Y_EN: 0
; COMPUTE_PGM_RSRC2:TGID_Z_EN: 0
; COMPUTE_PGM_RSRC2:TIDIG_COMP_CNT: 0
	.section	.text._ZN7rocprim17ROCPRIM_400000_NS6detail17trampoline_kernelINS0_14default_configENS1_25partition_config_selectorILNS1_17partition_subalgoE9EjjbEEZZNS1_14partition_implILS5_9ELb0ES3_jN6thrust23THRUST_200600_302600_NS6detail15normal_iteratorINS9_10device_ptrIjEEEESE_PNS0_10empty_typeENS0_5tupleIJNS9_16discard_iteratorINS9_11use_defaultEEESF_EEENSH_IJSK_SG_EEENS0_18inequality_wrapperINS9_8equal_toIjEEEEPmJSF_EEE10hipError_tPvRmT3_T4_T5_T6_T7_T9_mT8_P12ihipStream_tbDpT10_ENKUlT_T0_E_clISt17integral_constantIbLb0EES1A_IbLb1EEEEDaS16_S17_EUlS16_E_NS1_11comp_targetILNS1_3genE4ELNS1_11target_archE910ELNS1_3gpuE8ELNS1_3repE0EEENS1_30default_config_static_selectorELNS0_4arch9wavefront6targetE0EEEvT1_,"axG",@progbits,_ZN7rocprim17ROCPRIM_400000_NS6detail17trampoline_kernelINS0_14default_configENS1_25partition_config_selectorILNS1_17partition_subalgoE9EjjbEEZZNS1_14partition_implILS5_9ELb0ES3_jN6thrust23THRUST_200600_302600_NS6detail15normal_iteratorINS9_10device_ptrIjEEEESE_PNS0_10empty_typeENS0_5tupleIJNS9_16discard_iteratorINS9_11use_defaultEEESF_EEENSH_IJSK_SG_EEENS0_18inequality_wrapperINS9_8equal_toIjEEEEPmJSF_EEE10hipError_tPvRmT3_T4_T5_T6_T7_T9_mT8_P12ihipStream_tbDpT10_ENKUlT_T0_E_clISt17integral_constantIbLb0EES1A_IbLb1EEEEDaS16_S17_EUlS16_E_NS1_11comp_targetILNS1_3genE4ELNS1_11target_archE910ELNS1_3gpuE8ELNS1_3repE0EEENS1_30default_config_static_selectorELNS0_4arch9wavefront6targetE0EEEvT1_,comdat
	.protected	_ZN7rocprim17ROCPRIM_400000_NS6detail17trampoline_kernelINS0_14default_configENS1_25partition_config_selectorILNS1_17partition_subalgoE9EjjbEEZZNS1_14partition_implILS5_9ELb0ES3_jN6thrust23THRUST_200600_302600_NS6detail15normal_iteratorINS9_10device_ptrIjEEEESE_PNS0_10empty_typeENS0_5tupleIJNS9_16discard_iteratorINS9_11use_defaultEEESF_EEENSH_IJSK_SG_EEENS0_18inequality_wrapperINS9_8equal_toIjEEEEPmJSF_EEE10hipError_tPvRmT3_T4_T5_T6_T7_T9_mT8_P12ihipStream_tbDpT10_ENKUlT_T0_E_clISt17integral_constantIbLb0EES1A_IbLb1EEEEDaS16_S17_EUlS16_E_NS1_11comp_targetILNS1_3genE4ELNS1_11target_archE910ELNS1_3gpuE8ELNS1_3repE0EEENS1_30default_config_static_selectorELNS0_4arch9wavefront6targetE0EEEvT1_ ; -- Begin function _ZN7rocprim17ROCPRIM_400000_NS6detail17trampoline_kernelINS0_14default_configENS1_25partition_config_selectorILNS1_17partition_subalgoE9EjjbEEZZNS1_14partition_implILS5_9ELb0ES3_jN6thrust23THRUST_200600_302600_NS6detail15normal_iteratorINS9_10device_ptrIjEEEESE_PNS0_10empty_typeENS0_5tupleIJNS9_16discard_iteratorINS9_11use_defaultEEESF_EEENSH_IJSK_SG_EEENS0_18inequality_wrapperINS9_8equal_toIjEEEEPmJSF_EEE10hipError_tPvRmT3_T4_T5_T6_T7_T9_mT8_P12ihipStream_tbDpT10_ENKUlT_T0_E_clISt17integral_constantIbLb0EES1A_IbLb1EEEEDaS16_S17_EUlS16_E_NS1_11comp_targetILNS1_3genE4ELNS1_11target_archE910ELNS1_3gpuE8ELNS1_3repE0EEENS1_30default_config_static_selectorELNS0_4arch9wavefront6targetE0EEEvT1_
	.globl	_ZN7rocprim17ROCPRIM_400000_NS6detail17trampoline_kernelINS0_14default_configENS1_25partition_config_selectorILNS1_17partition_subalgoE9EjjbEEZZNS1_14partition_implILS5_9ELb0ES3_jN6thrust23THRUST_200600_302600_NS6detail15normal_iteratorINS9_10device_ptrIjEEEESE_PNS0_10empty_typeENS0_5tupleIJNS9_16discard_iteratorINS9_11use_defaultEEESF_EEENSH_IJSK_SG_EEENS0_18inequality_wrapperINS9_8equal_toIjEEEEPmJSF_EEE10hipError_tPvRmT3_T4_T5_T6_T7_T9_mT8_P12ihipStream_tbDpT10_ENKUlT_T0_E_clISt17integral_constantIbLb0EES1A_IbLb1EEEEDaS16_S17_EUlS16_E_NS1_11comp_targetILNS1_3genE4ELNS1_11target_archE910ELNS1_3gpuE8ELNS1_3repE0EEENS1_30default_config_static_selectorELNS0_4arch9wavefront6targetE0EEEvT1_
	.p2align	8
	.type	_ZN7rocprim17ROCPRIM_400000_NS6detail17trampoline_kernelINS0_14default_configENS1_25partition_config_selectorILNS1_17partition_subalgoE9EjjbEEZZNS1_14partition_implILS5_9ELb0ES3_jN6thrust23THRUST_200600_302600_NS6detail15normal_iteratorINS9_10device_ptrIjEEEESE_PNS0_10empty_typeENS0_5tupleIJNS9_16discard_iteratorINS9_11use_defaultEEESF_EEENSH_IJSK_SG_EEENS0_18inequality_wrapperINS9_8equal_toIjEEEEPmJSF_EEE10hipError_tPvRmT3_T4_T5_T6_T7_T9_mT8_P12ihipStream_tbDpT10_ENKUlT_T0_E_clISt17integral_constantIbLb0EES1A_IbLb1EEEEDaS16_S17_EUlS16_E_NS1_11comp_targetILNS1_3genE4ELNS1_11target_archE910ELNS1_3gpuE8ELNS1_3repE0EEENS1_30default_config_static_selectorELNS0_4arch9wavefront6targetE0EEEvT1_,@function
_ZN7rocprim17ROCPRIM_400000_NS6detail17trampoline_kernelINS0_14default_configENS1_25partition_config_selectorILNS1_17partition_subalgoE9EjjbEEZZNS1_14partition_implILS5_9ELb0ES3_jN6thrust23THRUST_200600_302600_NS6detail15normal_iteratorINS9_10device_ptrIjEEEESE_PNS0_10empty_typeENS0_5tupleIJNS9_16discard_iteratorINS9_11use_defaultEEESF_EEENSH_IJSK_SG_EEENS0_18inequality_wrapperINS9_8equal_toIjEEEEPmJSF_EEE10hipError_tPvRmT3_T4_T5_T6_T7_T9_mT8_P12ihipStream_tbDpT10_ENKUlT_T0_E_clISt17integral_constantIbLb0EES1A_IbLb1EEEEDaS16_S17_EUlS16_E_NS1_11comp_targetILNS1_3genE4ELNS1_11target_archE910ELNS1_3gpuE8ELNS1_3repE0EEENS1_30default_config_static_selectorELNS0_4arch9wavefront6targetE0EEEvT1_: ; @_ZN7rocprim17ROCPRIM_400000_NS6detail17trampoline_kernelINS0_14default_configENS1_25partition_config_selectorILNS1_17partition_subalgoE9EjjbEEZZNS1_14partition_implILS5_9ELb0ES3_jN6thrust23THRUST_200600_302600_NS6detail15normal_iteratorINS9_10device_ptrIjEEEESE_PNS0_10empty_typeENS0_5tupleIJNS9_16discard_iteratorINS9_11use_defaultEEESF_EEENSH_IJSK_SG_EEENS0_18inequality_wrapperINS9_8equal_toIjEEEEPmJSF_EEE10hipError_tPvRmT3_T4_T5_T6_T7_T9_mT8_P12ihipStream_tbDpT10_ENKUlT_T0_E_clISt17integral_constantIbLb0EES1A_IbLb1EEEEDaS16_S17_EUlS16_E_NS1_11comp_targetILNS1_3genE4ELNS1_11target_archE910ELNS1_3gpuE8ELNS1_3repE0EEENS1_30default_config_static_selectorELNS0_4arch9wavefront6targetE0EEEvT1_
; %bb.0:
	.section	.rodata,"a",@progbits
	.p2align	6, 0x0
	.amdhsa_kernel _ZN7rocprim17ROCPRIM_400000_NS6detail17trampoline_kernelINS0_14default_configENS1_25partition_config_selectorILNS1_17partition_subalgoE9EjjbEEZZNS1_14partition_implILS5_9ELb0ES3_jN6thrust23THRUST_200600_302600_NS6detail15normal_iteratorINS9_10device_ptrIjEEEESE_PNS0_10empty_typeENS0_5tupleIJNS9_16discard_iteratorINS9_11use_defaultEEESF_EEENSH_IJSK_SG_EEENS0_18inequality_wrapperINS9_8equal_toIjEEEEPmJSF_EEE10hipError_tPvRmT3_T4_T5_T6_T7_T9_mT8_P12ihipStream_tbDpT10_ENKUlT_T0_E_clISt17integral_constantIbLb0EES1A_IbLb1EEEEDaS16_S17_EUlS16_E_NS1_11comp_targetILNS1_3genE4ELNS1_11target_archE910ELNS1_3gpuE8ELNS1_3repE0EEENS1_30default_config_static_selectorELNS0_4arch9wavefront6targetE0EEEvT1_
		.amdhsa_group_segment_fixed_size 0
		.amdhsa_private_segment_fixed_size 0
		.amdhsa_kernarg_size 144
		.amdhsa_user_sgpr_count 15
		.amdhsa_user_sgpr_dispatch_ptr 0
		.amdhsa_user_sgpr_queue_ptr 0
		.amdhsa_user_sgpr_kernarg_segment_ptr 1
		.amdhsa_user_sgpr_dispatch_id 0
		.amdhsa_user_sgpr_private_segment_size 0
		.amdhsa_wavefront_size32 1
		.amdhsa_uses_dynamic_stack 0
		.amdhsa_enable_private_segment 0
		.amdhsa_system_sgpr_workgroup_id_x 1
		.amdhsa_system_sgpr_workgroup_id_y 0
		.amdhsa_system_sgpr_workgroup_id_z 0
		.amdhsa_system_sgpr_workgroup_info 0
		.amdhsa_system_vgpr_workitem_id 0
		.amdhsa_next_free_vgpr 1
		.amdhsa_next_free_sgpr 1
		.amdhsa_reserve_vcc 0
		.amdhsa_float_round_mode_32 0
		.amdhsa_float_round_mode_16_64 0
		.amdhsa_float_denorm_mode_32 3
		.amdhsa_float_denorm_mode_16_64 3
		.amdhsa_dx10_clamp 1
		.amdhsa_ieee_mode 1
		.amdhsa_fp16_overflow 0
		.amdhsa_workgroup_processor_mode 1
		.amdhsa_memory_ordered 1
		.amdhsa_forward_progress 0
		.amdhsa_shared_vgpr_count 0
		.amdhsa_exception_fp_ieee_invalid_op 0
		.amdhsa_exception_fp_denorm_src 0
		.amdhsa_exception_fp_ieee_div_zero 0
		.amdhsa_exception_fp_ieee_overflow 0
		.amdhsa_exception_fp_ieee_underflow 0
		.amdhsa_exception_fp_ieee_inexact 0
		.amdhsa_exception_int_div_zero 0
	.end_amdhsa_kernel
	.section	.text._ZN7rocprim17ROCPRIM_400000_NS6detail17trampoline_kernelINS0_14default_configENS1_25partition_config_selectorILNS1_17partition_subalgoE9EjjbEEZZNS1_14partition_implILS5_9ELb0ES3_jN6thrust23THRUST_200600_302600_NS6detail15normal_iteratorINS9_10device_ptrIjEEEESE_PNS0_10empty_typeENS0_5tupleIJNS9_16discard_iteratorINS9_11use_defaultEEESF_EEENSH_IJSK_SG_EEENS0_18inequality_wrapperINS9_8equal_toIjEEEEPmJSF_EEE10hipError_tPvRmT3_T4_T5_T6_T7_T9_mT8_P12ihipStream_tbDpT10_ENKUlT_T0_E_clISt17integral_constantIbLb0EES1A_IbLb1EEEEDaS16_S17_EUlS16_E_NS1_11comp_targetILNS1_3genE4ELNS1_11target_archE910ELNS1_3gpuE8ELNS1_3repE0EEENS1_30default_config_static_selectorELNS0_4arch9wavefront6targetE0EEEvT1_,"axG",@progbits,_ZN7rocprim17ROCPRIM_400000_NS6detail17trampoline_kernelINS0_14default_configENS1_25partition_config_selectorILNS1_17partition_subalgoE9EjjbEEZZNS1_14partition_implILS5_9ELb0ES3_jN6thrust23THRUST_200600_302600_NS6detail15normal_iteratorINS9_10device_ptrIjEEEESE_PNS0_10empty_typeENS0_5tupleIJNS9_16discard_iteratorINS9_11use_defaultEEESF_EEENSH_IJSK_SG_EEENS0_18inequality_wrapperINS9_8equal_toIjEEEEPmJSF_EEE10hipError_tPvRmT3_T4_T5_T6_T7_T9_mT8_P12ihipStream_tbDpT10_ENKUlT_T0_E_clISt17integral_constantIbLb0EES1A_IbLb1EEEEDaS16_S17_EUlS16_E_NS1_11comp_targetILNS1_3genE4ELNS1_11target_archE910ELNS1_3gpuE8ELNS1_3repE0EEENS1_30default_config_static_selectorELNS0_4arch9wavefront6targetE0EEEvT1_,comdat
.Lfunc_end815:
	.size	_ZN7rocprim17ROCPRIM_400000_NS6detail17trampoline_kernelINS0_14default_configENS1_25partition_config_selectorILNS1_17partition_subalgoE9EjjbEEZZNS1_14partition_implILS5_9ELb0ES3_jN6thrust23THRUST_200600_302600_NS6detail15normal_iteratorINS9_10device_ptrIjEEEESE_PNS0_10empty_typeENS0_5tupleIJNS9_16discard_iteratorINS9_11use_defaultEEESF_EEENSH_IJSK_SG_EEENS0_18inequality_wrapperINS9_8equal_toIjEEEEPmJSF_EEE10hipError_tPvRmT3_T4_T5_T6_T7_T9_mT8_P12ihipStream_tbDpT10_ENKUlT_T0_E_clISt17integral_constantIbLb0EES1A_IbLb1EEEEDaS16_S17_EUlS16_E_NS1_11comp_targetILNS1_3genE4ELNS1_11target_archE910ELNS1_3gpuE8ELNS1_3repE0EEENS1_30default_config_static_selectorELNS0_4arch9wavefront6targetE0EEEvT1_, .Lfunc_end815-_ZN7rocprim17ROCPRIM_400000_NS6detail17trampoline_kernelINS0_14default_configENS1_25partition_config_selectorILNS1_17partition_subalgoE9EjjbEEZZNS1_14partition_implILS5_9ELb0ES3_jN6thrust23THRUST_200600_302600_NS6detail15normal_iteratorINS9_10device_ptrIjEEEESE_PNS0_10empty_typeENS0_5tupleIJNS9_16discard_iteratorINS9_11use_defaultEEESF_EEENSH_IJSK_SG_EEENS0_18inequality_wrapperINS9_8equal_toIjEEEEPmJSF_EEE10hipError_tPvRmT3_T4_T5_T6_T7_T9_mT8_P12ihipStream_tbDpT10_ENKUlT_T0_E_clISt17integral_constantIbLb0EES1A_IbLb1EEEEDaS16_S17_EUlS16_E_NS1_11comp_targetILNS1_3genE4ELNS1_11target_archE910ELNS1_3gpuE8ELNS1_3repE0EEENS1_30default_config_static_selectorELNS0_4arch9wavefront6targetE0EEEvT1_
                                        ; -- End function
	.section	.AMDGPU.csdata,"",@progbits
; Kernel info:
; codeLenInByte = 0
; NumSgprs: 0
; NumVgprs: 0
; ScratchSize: 0
; MemoryBound: 0
; FloatMode: 240
; IeeeMode: 1
; LDSByteSize: 0 bytes/workgroup (compile time only)
; SGPRBlocks: 0
; VGPRBlocks: 0
; NumSGPRsForWavesPerEU: 1
; NumVGPRsForWavesPerEU: 1
; Occupancy: 15
; WaveLimiterHint : 0
; COMPUTE_PGM_RSRC2:SCRATCH_EN: 0
; COMPUTE_PGM_RSRC2:USER_SGPR: 15
; COMPUTE_PGM_RSRC2:TRAP_HANDLER: 0
; COMPUTE_PGM_RSRC2:TGID_X_EN: 1
; COMPUTE_PGM_RSRC2:TGID_Y_EN: 0
; COMPUTE_PGM_RSRC2:TGID_Z_EN: 0
; COMPUTE_PGM_RSRC2:TIDIG_COMP_CNT: 0
	.section	.text._ZN7rocprim17ROCPRIM_400000_NS6detail17trampoline_kernelINS0_14default_configENS1_25partition_config_selectorILNS1_17partition_subalgoE9EjjbEEZZNS1_14partition_implILS5_9ELb0ES3_jN6thrust23THRUST_200600_302600_NS6detail15normal_iteratorINS9_10device_ptrIjEEEESE_PNS0_10empty_typeENS0_5tupleIJNS9_16discard_iteratorINS9_11use_defaultEEESF_EEENSH_IJSK_SG_EEENS0_18inequality_wrapperINS9_8equal_toIjEEEEPmJSF_EEE10hipError_tPvRmT3_T4_T5_T6_T7_T9_mT8_P12ihipStream_tbDpT10_ENKUlT_T0_E_clISt17integral_constantIbLb0EES1A_IbLb1EEEEDaS16_S17_EUlS16_E_NS1_11comp_targetILNS1_3genE3ELNS1_11target_archE908ELNS1_3gpuE7ELNS1_3repE0EEENS1_30default_config_static_selectorELNS0_4arch9wavefront6targetE0EEEvT1_,"axG",@progbits,_ZN7rocprim17ROCPRIM_400000_NS6detail17trampoline_kernelINS0_14default_configENS1_25partition_config_selectorILNS1_17partition_subalgoE9EjjbEEZZNS1_14partition_implILS5_9ELb0ES3_jN6thrust23THRUST_200600_302600_NS6detail15normal_iteratorINS9_10device_ptrIjEEEESE_PNS0_10empty_typeENS0_5tupleIJNS9_16discard_iteratorINS9_11use_defaultEEESF_EEENSH_IJSK_SG_EEENS0_18inequality_wrapperINS9_8equal_toIjEEEEPmJSF_EEE10hipError_tPvRmT3_T4_T5_T6_T7_T9_mT8_P12ihipStream_tbDpT10_ENKUlT_T0_E_clISt17integral_constantIbLb0EES1A_IbLb1EEEEDaS16_S17_EUlS16_E_NS1_11comp_targetILNS1_3genE3ELNS1_11target_archE908ELNS1_3gpuE7ELNS1_3repE0EEENS1_30default_config_static_selectorELNS0_4arch9wavefront6targetE0EEEvT1_,comdat
	.protected	_ZN7rocprim17ROCPRIM_400000_NS6detail17trampoline_kernelINS0_14default_configENS1_25partition_config_selectorILNS1_17partition_subalgoE9EjjbEEZZNS1_14partition_implILS5_9ELb0ES3_jN6thrust23THRUST_200600_302600_NS6detail15normal_iteratorINS9_10device_ptrIjEEEESE_PNS0_10empty_typeENS0_5tupleIJNS9_16discard_iteratorINS9_11use_defaultEEESF_EEENSH_IJSK_SG_EEENS0_18inequality_wrapperINS9_8equal_toIjEEEEPmJSF_EEE10hipError_tPvRmT3_T4_T5_T6_T7_T9_mT8_P12ihipStream_tbDpT10_ENKUlT_T0_E_clISt17integral_constantIbLb0EES1A_IbLb1EEEEDaS16_S17_EUlS16_E_NS1_11comp_targetILNS1_3genE3ELNS1_11target_archE908ELNS1_3gpuE7ELNS1_3repE0EEENS1_30default_config_static_selectorELNS0_4arch9wavefront6targetE0EEEvT1_ ; -- Begin function _ZN7rocprim17ROCPRIM_400000_NS6detail17trampoline_kernelINS0_14default_configENS1_25partition_config_selectorILNS1_17partition_subalgoE9EjjbEEZZNS1_14partition_implILS5_9ELb0ES3_jN6thrust23THRUST_200600_302600_NS6detail15normal_iteratorINS9_10device_ptrIjEEEESE_PNS0_10empty_typeENS0_5tupleIJNS9_16discard_iteratorINS9_11use_defaultEEESF_EEENSH_IJSK_SG_EEENS0_18inequality_wrapperINS9_8equal_toIjEEEEPmJSF_EEE10hipError_tPvRmT3_T4_T5_T6_T7_T9_mT8_P12ihipStream_tbDpT10_ENKUlT_T0_E_clISt17integral_constantIbLb0EES1A_IbLb1EEEEDaS16_S17_EUlS16_E_NS1_11comp_targetILNS1_3genE3ELNS1_11target_archE908ELNS1_3gpuE7ELNS1_3repE0EEENS1_30default_config_static_selectorELNS0_4arch9wavefront6targetE0EEEvT1_
	.globl	_ZN7rocprim17ROCPRIM_400000_NS6detail17trampoline_kernelINS0_14default_configENS1_25partition_config_selectorILNS1_17partition_subalgoE9EjjbEEZZNS1_14partition_implILS5_9ELb0ES3_jN6thrust23THRUST_200600_302600_NS6detail15normal_iteratorINS9_10device_ptrIjEEEESE_PNS0_10empty_typeENS0_5tupleIJNS9_16discard_iteratorINS9_11use_defaultEEESF_EEENSH_IJSK_SG_EEENS0_18inequality_wrapperINS9_8equal_toIjEEEEPmJSF_EEE10hipError_tPvRmT3_T4_T5_T6_T7_T9_mT8_P12ihipStream_tbDpT10_ENKUlT_T0_E_clISt17integral_constantIbLb0EES1A_IbLb1EEEEDaS16_S17_EUlS16_E_NS1_11comp_targetILNS1_3genE3ELNS1_11target_archE908ELNS1_3gpuE7ELNS1_3repE0EEENS1_30default_config_static_selectorELNS0_4arch9wavefront6targetE0EEEvT1_
	.p2align	8
	.type	_ZN7rocprim17ROCPRIM_400000_NS6detail17trampoline_kernelINS0_14default_configENS1_25partition_config_selectorILNS1_17partition_subalgoE9EjjbEEZZNS1_14partition_implILS5_9ELb0ES3_jN6thrust23THRUST_200600_302600_NS6detail15normal_iteratorINS9_10device_ptrIjEEEESE_PNS0_10empty_typeENS0_5tupleIJNS9_16discard_iteratorINS9_11use_defaultEEESF_EEENSH_IJSK_SG_EEENS0_18inequality_wrapperINS9_8equal_toIjEEEEPmJSF_EEE10hipError_tPvRmT3_T4_T5_T6_T7_T9_mT8_P12ihipStream_tbDpT10_ENKUlT_T0_E_clISt17integral_constantIbLb0EES1A_IbLb1EEEEDaS16_S17_EUlS16_E_NS1_11comp_targetILNS1_3genE3ELNS1_11target_archE908ELNS1_3gpuE7ELNS1_3repE0EEENS1_30default_config_static_selectorELNS0_4arch9wavefront6targetE0EEEvT1_,@function
_ZN7rocprim17ROCPRIM_400000_NS6detail17trampoline_kernelINS0_14default_configENS1_25partition_config_selectorILNS1_17partition_subalgoE9EjjbEEZZNS1_14partition_implILS5_9ELb0ES3_jN6thrust23THRUST_200600_302600_NS6detail15normal_iteratorINS9_10device_ptrIjEEEESE_PNS0_10empty_typeENS0_5tupleIJNS9_16discard_iteratorINS9_11use_defaultEEESF_EEENSH_IJSK_SG_EEENS0_18inequality_wrapperINS9_8equal_toIjEEEEPmJSF_EEE10hipError_tPvRmT3_T4_T5_T6_T7_T9_mT8_P12ihipStream_tbDpT10_ENKUlT_T0_E_clISt17integral_constantIbLb0EES1A_IbLb1EEEEDaS16_S17_EUlS16_E_NS1_11comp_targetILNS1_3genE3ELNS1_11target_archE908ELNS1_3gpuE7ELNS1_3repE0EEENS1_30default_config_static_selectorELNS0_4arch9wavefront6targetE0EEEvT1_: ; @_ZN7rocprim17ROCPRIM_400000_NS6detail17trampoline_kernelINS0_14default_configENS1_25partition_config_selectorILNS1_17partition_subalgoE9EjjbEEZZNS1_14partition_implILS5_9ELb0ES3_jN6thrust23THRUST_200600_302600_NS6detail15normal_iteratorINS9_10device_ptrIjEEEESE_PNS0_10empty_typeENS0_5tupleIJNS9_16discard_iteratorINS9_11use_defaultEEESF_EEENSH_IJSK_SG_EEENS0_18inequality_wrapperINS9_8equal_toIjEEEEPmJSF_EEE10hipError_tPvRmT3_T4_T5_T6_T7_T9_mT8_P12ihipStream_tbDpT10_ENKUlT_T0_E_clISt17integral_constantIbLb0EES1A_IbLb1EEEEDaS16_S17_EUlS16_E_NS1_11comp_targetILNS1_3genE3ELNS1_11target_archE908ELNS1_3gpuE7ELNS1_3repE0EEENS1_30default_config_static_selectorELNS0_4arch9wavefront6targetE0EEEvT1_
; %bb.0:
	.section	.rodata,"a",@progbits
	.p2align	6, 0x0
	.amdhsa_kernel _ZN7rocprim17ROCPRIM_400000_NS6detail17trampoline_kernelINS0_14default_configENS1_25partition_config_selectorILNS1_17partition_subalgoE9EjjbEEZZNS1_14partition_implILS5_9ELb0ES3_jN6thrust23THRUST_200600_302600_NS6detail15normal_iteratorINS9_10device_ptrIjEEEESE_PNS0_10empty_typeENS0_5tupleIJNS9_16discard_iteratorINS9_11use_defaultEEESF_EEENSH_IJSK_SG_EEENS0_18inequality_wrapperINS9_8equal_toIjEEEEPmJSF_EEE10hipError_tPvRmT3_T4_T5_T6_T7_T9_mT8_P12ihipStream_tbDpT10_ENKUlT_T0_E_clISt17integral_constantIbLb0EES1A_IbLb1EEEEDaS16_S17_EUlS16_E_NS1_11comp_targetILNS1_3genE3ELNS1_11target_archE908ELNS1_3gpuE7ELNS1_3repE0EEENS1_30default_config_static_selectorELNS0_4arch9wavefront6targetE0EEEvT1_
		.amdhsa_group_segment_fixed_size 0
		.amdhsa_private_segment_fixed_size 0
		.amdhsa_kernarg_size 144
		.amdhsa_user_sgpr_count 15
		.amdhsa_user_sgpr_dispatch_ptr 0
		.amdhsa_user_sgpr_queue_ptr 0
		.amdhsa_user_sgpr_kernarg_segment_ptr 1
		.amdhsa_user_sgpr_dispatch_id 0
		.amdhsa_user_sgpr_private_segment_size 0
		.amdhsa_wavefront_size32 1
		.amdhsa_uses_dynamic_stack 0
		.amdhsa_enable_private_segment 0
		.amdhsa_system_sgpr_workgroup_id_x 1
		.amdhsa_system_sgpr_workgroup_id_y 0
		.amdhsa_system_sgpr_workgroup_id_z 0
		.amdhsa_system_sgpr_workgroup_info 0
		.amdhsa_system_vgpr_workitem_id 0
		.amdhsa_next_free_vgpr 1
		.amdhsa_next_free_sgpr 1
		.amdhsa_reserve_vcc 0
		.amdhsa_float_round_mode_32 0
		.amdhsa_float_round_mode_16_64 0
		.amdhsa_float_denorm_mode_32 3
		.amdhsa_float_denorm_mode_16_64 3
		.amdhsa_dx10_clamp 1
		.amdhsa_ieee_mode 1
		.amdhsa_fp16_overflow 0
		.amdhsa_workgroup_processor_mode 1
		.amdhsa_memory_ordered 1
		.amdhsa_forward_progress 0
		.amdhsa_shared_vgpr_count 0
		.amdhsa_exception_fp_ieee_invalid_op 0
		.amdhsa_exception_fp_denorm_src 0
		.amdhsa_exception_fp_ieee_div_zero 0
		.amdhsa_exception_fp_ieee_overflow 0
		.amdhsa_exception_fp_ieee_underflow 0
		.amdhsa_exception_fp_ieee_inexact 0
		.amdhsa_exception_int_div_zero 0
	.end_amdhsa_kernel
	.section	.text._ZN7rocprim17ROCPRIM_400000_NS6detail17trampoline_kernelINS0_14default_configENS1_25partition_config_selectorILNS1_17partition_subalgoE9EjjbEEZZNS1_14partition_implILS5_9ELb0ES3_jN6thrust23THRUST_200600_302600_NS6detail15normal_iteratorINS9_10device_ptrIjEEEESE_PNS0_10empty_typeENS0_5tupleIJNS9_16discard_iteratorINS9_11use_defaultEEESF_EEENSH_IJSK_SG_EEENS0_18inequality_wrapperINS9_8equal_toIjEEEEPmJSF_EEE10hipError_tPvRmT3_T4_T5_T6_T7_T9_mT8_P12ihipStream_tbDpT10_ENKUlT_T0_E_clISt17integral_constantIbLb0EES1A_IbLb1EEEEDaS16_S17_EUlS16_E_NS1_11comp_targetILNS1_3genE3ELNS1_11target_archE908ELNS1_3gpuE7ELNS1_3repE0EEENS1_30default_config_static_selectorELNS0_4arch9wavefront6targetE0EEEvT1_,"axG",@progbits,_ZN7rocprim17ROCPRIM_400000_NS6detail17trampoline_kernelINS0_14default_configENS1_25partition_config_selectorILNS1_17partition_subalgoE9EjjbEEZZNS1_14partition_implILS5_9ELb0ES3_jN6thrust23THRUST_200600_302600_NS6detail15normal_iteratorINS9_10device_ptrIjEEEESE_PNS0_10empty_typeENS0_5tupleIJNS9_16discard_iteratorINS9_11use_defaultEEESF_EEENSH_IJSK_SG_EEENS0_18inequality_wrapperINS9_8equal_toIjEEEEPmJSF_EEE10hipError_tPvRmT3_T4_T5_T6_T7_T9_mT8_P12ihipStream_tbDpT10_ENKUlT_T0_E_clISt17integral_constantIbLb0EES1A_IbLb1EEEEDaS16_S17_EUlS16_E_NS1_11comp_targetILNS1_3genE3ELNS1_11target_archE908ELNS1_3gpuE7ELNS1_3repE0EEENS1_30default_config_static_selectorELNS0_4arch9wavefront6targetE0EEEvT1_,comdat
.Lfunc_end816:
	.size	_ZN7rocprim17ROCPRIM_400000_NS6detail17trampoline_kernelINS0_14default_configENS1_25partition_config_selectorILNS1_17partition_subalgoE9EjjbEEZZNS1_14partition_implILS5_9ELb0ES3_jN6thrust23THRUST_200600_302600_NS6detail15normal_iteratorINS9_10device_ptrIjEEEESE_PNS0_10empty_typeENS0_5tupleIJNS9_16discard_iteratorINS9_11use_defaultEEESF_EEENSH_IJSK_SG_EEENS0_18inequality_wrapperINS9_8equal_toIjEEEEPmJSF_EEE10hipError_tPvRmT3_T4_T5_T6_T7_T9_mT8_P12ihipStream_tbDpT10_ENKUlT_T0_E_clISt17integral_constantIbLb0EES1A_IbLb1EEEEDaS16_S17_EUlS16_E_NS1_11comp_targetILNS1_3genE3ELNS1_11target_archE908ELNS1_3gpuE7ELNS1_3repE0EEENS1_30default_config_static_selectorELNS0_4arch9wavefront6targetE0EEEvT1_, .Lfunc_end816-_ZN7rocprim17ROCPRIM_400000_NS6detail17trampoline_kernelINS0_14default_configENS1_25partition_config_selectorILNS1_17partition_subalgoE9EjjbEEZZNS1_14partition_implILS5_9ELb0ES3_jN6thrust23THRUST_200600_302600_NS6detail15normal_iteratorINS9_10device_ptrIjEEEESE_PNS0_10empty_typeENS0_5tupleIJNS9_16discard_iteratorINS9_11use_defaultEEESF_EEENSH_IJSK_SG_EEENS0_18inequality_wrapperINS9_8equal_toIjEEEEPmJSF_EEE10hipError_tPvRmT3_T4_T5_T6_T7_T9_mT8_P12ihipStream_tbDpT10_ENKUlT_T0_E_clISt17integral_constantIbLb0EES1A_IbLb1EEEEDaS16_S17_EUlS16_E_NS1_11comp_targetILNS1_3genE3ELNS1_11target_archE908ELNS1_3gpuE7ELNS1_3repE0EEENS1_30default_config_static_selectorELNS0_4arch9wavefront6targetE0EEEvT1_
                                        ; -- End function
	.section	.AMDGPU.csdata,"",@progbits
; Kernel info:
; codeLenInByte = 0
; NumSgprs: 0
; NumVgprs: 0
; ScratchSize: 0
; MemoryBound: 0
; FloatMode: 240
; IeeeMode: 1
; LDSByteSize: 0 bytes/workgroup (compile time only)
; SGPRBlocks: 0
; VGPRBlocks: 0
; NumSGPRsForWavesPerEU: 1
; NumVGPRsForWavesPerEU: 1
; Occupancy: 16
; WaveLimiterHint : 0
; COMPUTE_PGM_RSRC2:SCRATCH_EN: 0
; COMPUTE_PGM_RSRC2:USER_SGPR: 15
; COMPUTE_PGM_RSRC2:TRAP_HANDLER: 0
; COMPUTE_PGM_RSRC2:TGID_X_EN: 1
; COMPUTE_PGM_RSRC2:TGID_Y_EN: 0
; COMPUTE_PGM_RSRC2:TGID_Z_EN: 0
; COMPUTE_PGM_RSRC2:TIDIG_COMP_CNT: 0
	.section	.text._ZN7rocprim17ROCPRIM_400000_NS6detail17trampoline_kernelINS0_14default_configENS1_25partition_config_selectorILNS1_17partition_subalgoE9EjjbEEZZNS1_14partition_implILS5_9ELb0ES3_jN6thrust23THRUST_200600_302600_NS6detail15normal_iteratorINS9_10device_ptrIjEEEESE_PNS0_10empty_typeENS0_5tupleIJNS9_16discard_iteratorINS9_11use_defaultEEESF_EEENSH_IJSK_SG_EEENS0_18inequality_wrapperINS9_8equal_toIjEEEEPmJSF_EEE10hipError_tPvRmT3_T4_T5_T6_T7_T9_mT8_P12ihipStream_tbDpT10_ENKUlT_T0_E_clISt17integral_constantIbLb0EES1A_IbLb1EEEEDaS16_S17_EUlS16_E_NS1_11comp_targetILNS1_3genE2ELNS1_11target_archE906ELNS1_3gpuE6ELNS1_3repE0EEENS1_30default_config_static_selectorELNS0_4arch9wavefront6targetE0EEEvT1_,"axG",@progbits,_ZN7rocprim17ROCPRIM_400000_NS6detail17trampoline_kernelINS0_14default_configENS1_25partition_config_selectorILNS1_17partition_subalgoE9EjjbEEZZNS1_14partition_implILS5_9ELb0ES3_jN6thrust23THRUST_200600_302600_NS6detail15normal_iteratorINS9_10device_ptrIjEEEESE_PNS0_10empty_typeENS0_5tupleIJNS9_16discard_iteratorINS9_11use_defaultEEESF_EEENSH_IJSK_SG_EEENS0_18inequality_wrapperINS9_8equal_toIjEEEEPmJSF_EEE10hipError_tPvRmT3_T4_T5_T6_T7_T9_mT8_P12ihipStream_tbDpT10_ENKUlT_T0_E_clISt17integral_constantIbLb0EES1A_IbLb1EEEEDaS16_S17_EUlS16_E_NS1_11comp_targetILNS1_3genE2ELNS1_11target_archE906ELNS1_3gpuE6ELNS1_3repE0EEENS1_30default_config_static_selectorELNS0_4arch9wavefront6targetE0EEEvT1_,comdat
	.protected	_ZN7rocprim17ROCPRIM_400000_NS6detail17trampoline_kernelINS0_14default_configENS1_25partition_config_selectorILNS1_17partition_subalgoE9EjjbEEZZNS1_14partition_implILS5_9ELb0ES3_jN6thrust23THRUST_200600_302600_NS6detail15normal_iteratorINS9_10device_ptrIjEEEESE_PNS0_10empty_typeENS0_5tupleIJNS9_16discard_iteratorINS9_11use_defaultEEESF_EEENSH_IJSK_SG_EEENS0_18inequality_wrapperINS9_8equal_toIjEEEEPmJSF_EEE10hipError_tPvRmT3_T4_T5_T6_T7_T9_mT8_P12ihipStream_tbDpT10_ENKUlT_T0_E_clISt17integral_constantIbLb0EES1A_IbLb1EEEEDaS16_S17_EUlS16_E_NS1_11comp_targetILNS1_3genE2ELNS1_11target_archE906ELNS1_3gpuE6ELNS1_3repE0EEENS1_30default_config_static_selectorELNS0_4arch9wavefront6targetE0EEEvT1_ ; -- Begin function _ZN7rocprim17ROCPRIM_400000_NS6detail17trampoline_kernelINS0_14default_configENS1_25partition_config_selectorILNS1_17partition_subalgoE9EjjbEEZZNS1_14partition_implILS5_9ELb0ES3_jN6thrust23THRUST_200600_302600_NS6detail15normal_iteratorINS9_10device_ptrIjEEEESE_PNS0_10empty_typeENS0_5tupleIJNS9_16discard_iteratorINS9_11use_defaultEEESF_EEENSH_IJSK_SG_EEENS0_18inequality_wrapperINS9_8equal_toIjEEEEPmJSF_EEE10hipError_tPvRmT3_T4_T5_T6_T7_T9_mT8_P12ihipStream_tbDpT10_ENKUlT_T0_E_clISt17integral_constantIbLb0EES1A_IbLb1EEEEDaS16_S17_EUlS16_E_NS1_11comp_targetILNS1_3genE2ELNS1_11target_archE906ELNS1_3gpuE6ELNS1_3repE0EEENS1_30default_config_static_selectorELNS0_4arch9wavefront6targetE0EEEvT1_
	.globl	_ZN7rocprim17ROCPRIM_400000_NS6detail17trampoline_kernelINS0_14default_configENS1_25partition_config_selectorILNS1_17partition_subalgoE9EjjbEEZZNS1_14partition_implILS5_9ELb0ES3_jN6thrust23THRUST_200600_302600_NS6detail15normal_iteratorINS9_10device_ptrIjEEEESE_PNS0_10empty_typeENS0_5tupleIJNS9_16discard_iteratorINS9_11use_defaultEEESF_EEENSH_IJSK_SG_EEENS0_18inequality_wrapperINS9_8equal_toIjEEEEPmJSF_EEE10hipError_tPvRmT3_T4_T5_T6_T7_T9_mT8_P12ihipStream_tbDpT10_ENKUlT_T0_E_clISt17integral_constantIbLb0EES1A_IbLb1EEEEDaS16_S17_EUlS16_E_NS1_11comp_targetILNS1_3genE2ELNS1_11target_archE906ELNS1_3gpuE6ELNS1_3repE0EEENS1_30default_config_static_selectorELNS0_4arch9wavefront6targetE0EEEvT1_
	.p2align	8
	.type	_ZN7rocprim17ROCPRIM_400000_NS6detail17trampoline_kernelINS0_14default_configENS1_25partition_config_selectorILNS1_17partition_subalgoE9EjjbEEZZNS1_14partition_implILS5_9ELb0ES3_jN6thrust23THRUST_200600_302600_NS6detail15normal_iteratorINS9_10device_ptrIjEEEESE_PNS0_10empty_typeENS0_5tupleIJNS9_16discard_iteratorINS9_11use_defaultEEESF_EEENSH_IJSK_SG_EEENS0_18inequality_wrapperINS9_8equal_toIjEEEEPmJSF_EEE10hipError_tPvRmT3_T4_T5_T6_T7_T9_mT8_P12ihipStream_tbDpT10_ENKUlT_T0_E_clISt17integral_constantIbLb0EES1A_IbLb1EEEEDaS16_S17_EUlS16_E_NS1_11comp_targetILNS1_3genE2ELNS1_11target_archE906ELNS1_3gpuE6ELNS1_3repE0EEENS1_30default_config_static_selectorELNS0_4arch9wavefront6targetE0EEEvT1_,@function
_ZN7rocprim17ROCPRIM_400000_NS6detail17trampoline_kernelINS0_14default_configENS1_25partition_config_selectorILNS1_17partition_subalgoE9EjjbEEZZNS1_14partition_implILS5_9ELb0ES3_jN6thrust23THRUST_200600_302600_NS6detail15normal_iteratorINS9_10device_ptrIjEEEESE_PNS0_10empty_typeENS0_5tupleIJNS9_16discard_iteratorINS9_11use_defaultEEESF_EEENSH_IJSK_SG_EEENS0_18inequality_wrapperINS9_8equal_toIjEEEEPmJSF_EEE10hipError_tPvRmT3_T4_T5_T6_T7_T9_mT8_P12ihipStream_tbDpT10_ENKUlT_T0_E_clISt17integral_constantIbLb0EES1A_IbLb1EEEEDaS16_S17_EUlS16_E_NS1_11comp_targetILNS1_3genE2ELNS1_11target_archE906ELNS1_3gpuE6ELNS1_3repE0EEENS1_30default_config_static_selectorELNS0_4arch9wavefront6targetE0EEEvT1_: ; @_ZN7rocprim17ROCPRIM_400000_NS6detail17trampoline_kernelINS0_14default_configENS1_25partition_config_selectorILNS1_17partition_subalgoE9EjjbEEZZNS1_14partition_implILS5_9ELb0ES3_jN6thrust23THRUST_200600_302600_NS6detail15normal_iteratorINS9_10device_ptrIjEEEESE_PNS0_10empty_typeENS0_5tupleIJNS9_16discard_iteratorINS9_11use_defaultEEESF_EEENSH_IJSK_SG_EEENS0_18inequality_wrapperINS9_8equal_toIjEEEEPmJSF_EEE10hipError_tPvRmT3_T4_T5_T6_T7_T9_mT8_P12ihipStream_tbDpT10_ENKUlT_T0_E_clISt17integral_constantIbLb0EES1A_IbLb1EEEEDaS16_S17_EUlS16_E_NS1_11comp_targetILNS1_3genE2ELNS1_11target_archE906ELNS1_3gpuE6ELNS1_3repE0EEENS1_30default_config_static_selectorELNS0_4arch9wavefront6targetE0EEEvT1_
; %bb.0:
	.section	.rodata,"a",@progbits
	.p2align	6, 0x0
	.amdhsa_kernel _ZN7rocprim17ROCPRIM_400000_NS6detail17trampoline_kernelINS0_14default_configENS1_25partition_config_selectorILNS1_17partition_subalgoE9EjjbEEZZNS1_14partition_implILS5_9ELb0ES3_jN6thrust23THRUST_200600_302600_NS6detail15normal_iteratorINS9_10device_ptrIjEEEESE_PNS0_10empty_typeENS0_5tupleIJNS9_16discard_iteratorINS9_11use_defaultEEESF_EEENSH_IJSK_SG_EEENS0_18inequality_wrapperINS9_8equal_toIjEEEEPmJSF_EEE10hipError_tPvRmT3_T4_T5_T6_T7_T9_mT8_P12ihipStream_tbDpT10_ENKUlT_T0_E_clISt17integral_constantIbLb0EES1A_IbLb1EEEEDaS16_S17_EUlS16_E_NS1_11comp_targetILNS1_3genE2ELNS1_11target_archE906ELNS1_3gpuE6ELNS1_3repE0EEENS1_30default_config_static_selectorELNS0_4arch9wavefront6targetE0EEEvT1_
		.amdhsa_group_segment_fixed_size 0
		.amdhsa_private_segment_fixed_size 0
		.amdhsa_kernarg_size 144
		.amdhsa_user_sgpr_count 15
		.amdhsa_user_sgpr_dispatch_ptr 0
		.amdhsa_user_sgpr_queue_ptr 0
		.amdhsa_user_sgpr_kernarg_segment_ptr 1
		.amdhsa_user_sgpr_dispatch_id 0
		.amdhsa_user_sgpr_private_segment_size 0
		.amdhsa_wavefront_size32 1
		.amdhsa_uses_dynamic_stack 0
		.amdhsa_enable_private_segment 0
		.amdhsa_system_sgpr_workgroup_id_x 1
		.amdhsa_system_sgpr_workgroup_id_y 0
		.amdhsa_system_sgpr_workgroup_id_z 0
		.amdhsa_system_sgpr_workgroup_info 0
		.amdhsa_system_vgpr_workitem_id 0
		.amdhsa_next_free_vgpr 1
		.amdhsa_next_free_sgpr 1
		.amdhsa_reserve_vcc 0
		.amdhsa_float_round_mode_32 0
		.amdhsa_float_round_mode_16_64 0
		.amdhsa_float_denorm_mode_32 3
		.amdhsa_float_denorm_mode_16_64 3
		.amdhsa_dx10_clamp 1
		.amdhsa_ieee_mode 1
		.amdhsa_fp16_overflow 0
		.amdhsa_workgroup_processor_mode 1
		.amdhsa_memory_ordered 1
		.amdhsa_forward_progress 0
		.amdhsa_shared_vgpr_count 0
		.amdhsa_exception_fp_ieee_invalid_op 0
		.amdhsa_exception_fp_denorm_src 0
		.amdhsa_exception_fp_ieee_div_zero 0
		.amdhsa_exception_fp_ieee_overflow 0
		.amdhsa_exception_fp_ieee_underflow 0
		.amdhsa_exception_fp_ieee_inexact 0
		.amdhsa_exception_int_div_zero 0
	.end_amdhsa_kernel
	.section	.text._ZN7rocprim17ROCPRIM_400000_NS6detail17trampoline_kernelINS0_14default_configENS1_25partition_config_selectorILNS1_17partition_subalgoE9EjjbEEZZNS1_14partition_implILS5_9ELb0ES3_jN6thrust23THRUST_200600_302600_NS6detail15normal_iteratorINS9_10device_ptrIjEEEESE_PNS0_10empty_typeENS0_5tupleIJNS9_16discard_iteratorINS9_11use_defaultEEESF_EEENSH_IJSK_SG_EEENS0_18inequality_wrapperINS9_8equal_toIjEEEEPmJSF_EEE10hipError_tPvRmT3_T4_T5_T6_T7_T9_mT8_P12ihipStream_tbDpT10_ENKUlT_T0_E_clISt17integral_constantIbLb0EES1A_IbLb1EEEEDaS16_S17_EUlS16_E_NS1_11comp_targetILNS1_3genE2ELNS1_11target_archE906ELNS1_3gpuE6ELNS1_3repE0EEENS1_30default_config_static_selectorELNS0_4arch9wavefront6targetE0EEEvT1_,"axG",@progbits,_ZN7rocprim17ROCPRIM_400000_NS6detail17trampoline_kernelINS0_14default_configENS1_25partition_config_selectorILNS1_17partition_subalgoE9EjjbEEZZNS1_14partition_implILS5_9ELb0ES3_jN6thrust23THRUST_200600_302600_NS6detail15normal_iteratorINS9_10device_ptrIjEEEESE_PNS0_10empty_typeENS0_5tupleIJNS9_16discard_iteratorINS9_11use_defaultEEESF_EEENSH_IJSK_SG_EEENS0_18inequality_wrapperINS9_8equal_toIjEEEEPmJSF_EEE10hipError_tPvRmT3_T4_T5_T6_T7_T9_mT8_P12ihipStream_tbDpT10_ENKUlT_T0_E_clISt17integral_constantIbLb0EES1A_IbLb1EEEEDaS16_S17_EUlS16_E_NS1_11comp_targetILNS1_3genE2ELNS1_11target_archE906ELNS1_3gpuE6ELNS1_3repE0EEENS1_30default_config_static_selectorELNS0_4arch9wavefront6targetE0EEEvT1_,comdat
.Lfunc_end817:
	.size	_ZN7rocprim17ROCPRIM_400000_NS6detail17trampoline_kernelINS0_14default_configENS1_25partition_config_selectorILNS1_17partition_subalgoE9EjjbEEZZNS1_14partition_implILS5_9ELb0ES3_jN6thrust23THRUST_200600_302600_NS6detail15normal_iteratorINS9_10device_ptrIjEEEESE_PNS0_10empty_typeENS0_5tupleIJNS9_16discard_iteratorINS9_11use_defaultEEESF_EEENSH_IJSK_SG_EEENS0_18inequality_wrapperINS9_8equal_toIjEEEEPmJSF_EEE10hipError_tPvRmT3_T4_T5_T6_T7_T9_mT8_P12ihipStream_tbDpT10_ENKUlT_T0_E_clISt17integral_constantIbLb0EES1A_IbLb1EEEEDaS16_S17_EUlS16_E_NS1_11comp_targetILNS1_3genE2ELNS1_11target_archE906ELNS1_3gpuE6ELNS1_3repE0EEENS1_30default_config_static_selectorELNS0_4arch9wavefront6targetE0EEEvT1_, .Lfunc_end817-_ZN7rocprim17ROCPRIM_400000_NS6detail17trampoline_kernelINS0_14default_configENS1_25partition_config_selectorILNS1_17partition_subalgoE9EjjbEEZZNS1_14partition_implILS5_9ELb0ES3_jN6thrust23THRUST_200600_302600_NS6detail15normal_iteratorINS9_10device_ptrIjEEEESE_PNS0_10empty_typeENS0_5tupleIJNS9_16discard_iteratorINS9_11use_defaultEEESF_EEENSH_IJSK_SG_EEENS0_18inequality_wrapperINS9_8equal_toIjEEEEPmJSF_EEE10hipError_tPvRmT3_T4_T5_T6_T7_T9_mT8_P12ihipStream_tbDpT10_ENKUlT_T0_E_clISt17integral_constantIbLb0EES1A_IbLb1EEEEDaS16_S17_EUlS16_E_NS1_11comp_targetILNS1_3genE2ELNS1_11target_archE906ELNS1_3gpuE6ELNS1_3repE0EEENS1_30default_config_static_selectorELNS0_4arch9wavefront6targetE0EEEvT1_
                                        ; -- End function
	.section	.AMDGPU.csdata,"",@progbits
; Kernel info:
; codeLenInByte = 0
; NumSgprs: 0
; NumVgprs: 0
; ScratchSize: 0
; MemoryBound: 0
; FloatMode: 240
; IeeeMode: 1
; LDSByteSize: 0 bytes/workgroup (compile time only)
; SGPRBlocks: 0
; VGPRBlocks: 0
; NumSGPRsForWavesPerEU: 1
; NumVGPRsForWavesPerEU: 1
; Occupancy: 16
; WaveLimiterHint : 0
; COMPUTE_PGM_RSRC2:SCRATCH_EN: 0
; COMPUTE_PGM_RSRC2:USER_SGPR: 15
; COMPUTE_PGM_RSRC2:TRAP_HANDLER: 0
; COMPUTE_PGM_RSRC2:TGID_X_EN: 1
; COMPUTE_PGM_RSRC2:TGID_Y_EN: 0
; COMPUTE_PGM_RSRC2:TGID_Z_EN: 0
; COMPUTE_PGM_RSRC2:TIDIG_COMP_CNT: 0
	.section	.text._ZN7rocprim17ROCPRIM_400000_NS6detail17trampoline_kernelINS0_14default_configENS1_25partition_config_selectorILNS1_17partition_subalgoE9EjjbEEZZNS1_14partition_implILS5_9ELb0ES3_jN6thrust23THRUST_200600_302600_NS6detail15normal_iteratorINS9_10device_ptrIjEEEESE_PNS0_10empty_typeENS0_5tupleIJNS9_16discard_iteratorINS9_11use_defaultEEESF_EEENSH_IJSK_SG_EEENS0_18inequality_wrapperINS9_8equal_toIjEEEEPmJSF_EEE10hipError_tPvRmT3_T4_T5_T6_T7_T9_mT8_P12ihipStream_tbDpT10_ENKUlT_T0_E_clISt17integral_constantIbLb0EES1A_IbLb1EEEEDaS16_S17_EUlS16_E_NS1_11comp_targetILNS1_3genE10ELNS1_11target_archE1200ELNS1_3gpuE4ELNS1_3repE0EEENS1_30default_config_static_selectorELNS0_4arch9wavefront6targetE0EEEvT1_,"axG",@progbits,_ZN7rocprim17ROCPRIM_400000_NS6detail17trampoline_kernelINS0_14default_configENS1_25partition_config_selectorILNS1_17partition_subalgoE9EjjbEEZZNS1_14partition_implILS5_9ELb0ES3_jN6thrust23THRUST_200600_302600_NS6detail15normal_iteratorINS9_10device_ptrIjEEEESE_PNS0_10empty_typeENS0_5tupleIJNS9_16discard_iteratorINS9_11use_defaultEEESF_EEENSH_IJSK_SG_EEENS0_18inequality_wrapperINS9_8equal_toIjEEEEPmJSF_EEE10hipError_tPvRmT3_T4_T5_T6_T7_T9_mT8_P12ihipStream_tbDpT10_ENKUlT_T0_E_clISt17integral_constantIbLb0EES1A_IbLb1EEEEDaS16_S17_EUlS16_E_NS1_11comp_targetILNS1_3genE10ELNS1_11target_archE1200ELNS1_3gpuE4ELNS1_3repE0EEENS1_30default_config_static_selectorELNS0_4arch9wavefront6targetE0EEEvT1_,comdat
	.protected	_ZN7rocprim17ROCPRIM_400000_NS6detail17trampoline_kernelINS0_14default_configENS1_25partition_config_selectorILNS1_17partition_subalgoE9EjjbEEZZNS1_14partition_implILS5_9ELb0ES3_jN6thrust23THRUST_200600_302600_NS6detail15normal_iteratorINS9_10device_ptrIjEEEESE_PNS0_10empty_typeENS0_5tupleIJNS9_16discard_iteratorINS9_11use_defaultEEESF_EEENSH_IJSK_SG_EEENS0_18inequality_wrapperINS9_8equal_toIjEEEEPmJSF_EEE10hipError_tPvRmT3_T4_T5_T6_T7_T9_mT8_P12ihipStream_tbDpT10_ENKUlT_T0_E_clISt17integral_constantIbLb0EES1A_IbLb1EEEEDaS16_S17_EUlS16_E_NS1_11comp_targetILNS1_3genE10ELNS1_11target_archE1200ELNS1_3gpuE4ELNS1_3repE0EEENS1_30default_config_static_selectorELNS0_4arch9wavefront6targetE0EEEvT1_ ; -- Begin function _ZN7rocprim17ROCPRIM_400000_NS6detail17trampoline_kernelINS0_14default_configENS1_25partition_config_selectorILNS1_17partition_subalgoE9EjjbEEZZNS1_14partition_implILS5_9ELb0ES3_jN6thrust23THRUST_200600_302600_NS6detail15normal_iteratorINS9_10device_ptrIjEEEESE_PNS0_10empty_typeENS0_5tupleIJNS9_16discard_iteratorINS9_11use_defaultEEESF_EEENSH_IJSK_SG_EEENS0_18inequality_wrapperINS9_8equal_toIjEEEEPmJSF_EEE10hipError_tPvRmT3_T4_T5_T6_T7_T9_mT8_P12ihipStream_tbDpT10_ENKUlT_T0_E_clISt17integral_constantIbLb0EES1A_IbLb1EEEEDaS16_S17_EUlS16_E_NS1_11comp_targetILNS1_3genE10ELNS1_11target_archE1200ELNS1_3gpuE4ELNS1_3repE0EEENS1_30default_config_static_selectorELNS0_4arch9wavefront6targetE0EEEvT1_
	.globl	_ZN7rocprim17ROCPRIM_400000_NS6detail17trampoline_kernelINS0_14default_configENS1_25partition_config_selectorILNS1_17partition_subalgoE9EjjbEEZZNS1_14partition_implILS5_9ELb0ES3_jN6thrust23THRUST_200600_302600_NS6detail15normal_iteratorINS9_10device_ptrIjEEEESE_PNS0_10empty_typeENS0_5tupleIJNS9_16discard_iteratorINS9_11use_defaultEEESF_EEENSH_IJSK_SG_EEENS0_18inequality_wrapperINS9_8equal_toIjEEEEPmJSF_EEE10hipError_tPvRmT3_T4_T5_T6_T7_T9_mT8_P12ihipStream_tbDpT10_ENKUlT_T0_E_clISt17integral_constantIbLb0EES1A_IbLb1EEEEDaS16_S17_EUlS16_E_NS1_11comp_targetILNS1_3genE10ELNS1_11target_archE1200ELNS1_3gpuE4ELNS1_3repE0EEENS1_30default_config_static_selectorELNS0_4arch9wavefront6targetE0EEEvT1_
	.p2align	8
	.type	_ZN7rocprim17ROCPRIM_400000_NS6detail17trampoline_kernelINS0_14default_configENS1_25partition_config_selectorILNS1_17partition_subalgoE9EjjbEEZZNS1_14partition_implILS5_9ELb0ES3_jN6thrust23THRUST_200600_302600_NS6detail15normal_iteratorINS9_10device_ptrIjEEEESE_PNS0_10empty_typeENS0_5tupleIJNS9_16discard_iteratorINS9_11use_defaultEEESF_EEENSH_IJSK_SG_EEENS0_18inequality_wrapperINS9_8equal_toIjEEEEPmJSF_EEE10hipError_tPvRmT3_T4_T5_T6_T7_T9_mT8_P12ihipStream_tbDpT10_ENKUlT_T0_E_clISt17integral_constantIbLb0EES1A_IbLb1EEEEDaS16_S17_EUlS16_E_NS1_11comp_targetILNS1_3genE10ELNS1_11target_archE1200ELNS1_3gpuE4ELNS1_3repE0EEENS1_30default_config_static_selectorELNS0_4arch9wavefront6targetE0EEEvT1_,@function
_ZN7rocprim17ROCPRIM_400000_NS6detail17trampoline_kernelINS0_14default_configENS1_25partition_config_selectorILNS1_17partition_subalgoE9EjjbEEZZNS1_14partition_implILS5_9ELb0ES3_jN6thrust23THRUST_200600_302600_NS6detail15normal_iteratorINS9_10device_ptrIjEEEESE_PNS0_10empty_typeENS0_5tupleIJNS9_16discard_iteratorINS9_11use_defaultEEESF_EEENSH_IJSK_SG_EEENS0_18inequality_wrapperINS9_8equal_toIjEEEEPmJSF_EEE10hipError_tPvRmT3_T4_T5_T6_T7_T9_mT8_P12ihipStream_tbDpT10_ENKUlT_T0_E_clISt17integral_constantIbLb0EES1A_IbLb1EEEEDaS16_S17_EUlS16_E_NS1_11comp_targetILNS1_3genE10ELNS1_11target_archE1200ELNS1_3gpuE4ELNS1_3repE0EEENS1_30default_config_static_selectorELNS0_4arch9wavefront6targetE0EEEvT1_: ; @_ZN7rocprim17ROCPRIM_400000_NS6detail17trampoline_kernelINS0_14default_configENS1_25partition_config_selectorILNS1_17partition_subalgoE9EjjbEEZZNS1_14partition_implILS5_9ELb0ES3_jN6thrust23THRUST_200600_302600_NS6detail15normal_iteratorINS9_10device_ptrIjEEEESE_PNS0_10empty_typeENS0_5tupleIJNS9_16discard_iteratorINS9_11use_defaultEEESF_EEENSH_IJSK_SG_EEENS0_18inequality_wrapperINS9_8equal_toIjEEEEPmJSF_EEE10hipError_tPvRmT3_T4_T5_T6_T7_T9_mT8_P12ihipStream_tbDpT10_ENKUlT_T0_E_clISt17integral_constantIbLb0EES1A_IbLb1EEEEDaS16_S17_EUlS16_E_NS1_11comp_targetILNS1_3genE10ELNS1_11target_archE1200ELNS1_3gpuE4ELNS1_3repE0EEENS1_30default_config_static_selectorELNS0_4arch9wavefront6targetE0EEEvT1_
; %bb.0:
	.section	.rodata,"a",@progbits
	.p2align	6, 0x0
	.amdhsa_kernel _ZN7rocprim17ROCPRIM_400000_NS6detail17trampoline_kernelINS0_14default_configENS1_25partition_config_selectorILNS1_17partition_subalgoE9EjjbEEZZNS1_14partition_implILS5_9ELb0ES3_jN6thrust23THRUST_200600_302600_NS6detail15normal_iteratorINS9_10device_ptrIjEEEESE_PNS0_10empty_typeENS0_5tupleIJNS9_16discard_iteratorINS9_11use_defaultEEESF_EEENSH_IJSK_SG_EEENS0_18inequality_wrapperINS9_8equal_toIjEEEEPmJSF_EEE10hipError_tPvRmT3_T4_T5_T6_T7_T9_mT8_P12ihipStream_tbDpT10_ENKUlT_T0_E_clISt17integral_constantIbLb0EES1A_IbLb1EEEEDaS16_S17_EUlS16_E_NS1_11comp_targetILNS1_3genE10ELNS1_11target_archE1200ELNS1_3gpuE4ELNS1_3repE0EEENS1_30default_config_static_selectorELNS0_4arch9wavefront6targetE0EEEvT1_
		.amdhsa_group_segment_fixed_size 0
		.amdhsa_private_segment_fixed_size 0
		.amdhsa_kernarg_size 144
		.amdhsa_user_sgpr_count 15
		.amdhsa_user_sgpr_dispatch_ptr 0
		.amdhsa_user_sgpr_queue_ptr 0
		.amdhsa_user_sgpr_kernarg_segment_ptr 1
		.amdhsa_user_sgpr_dispatch_id 0
		.amdhsa_user_sgpr_private_segment_size 0
		.amdhsa_wavefront_size32 1
		.amdhsa_uses_dynamic_stack 0
		.amdhsa_enable_private_segment 0
		.amdhsa_system_sgpr_workgroup_id_x 1
		.amdhsa_system_sgpr_workgroup_id_y 0
		.amdhsa_system_sgpr_workgroup_id_z 0
		.amdhsa_system_sgpr_workgroup_info 0
		.amdhsa_system_vgpr_workitem_id 0
		.amdhsa_next_free_vgpr 1
		.amdhsa_next_free_sgpr 1
		.amdhsa_reserve_vcc 0
		.amdhsa_float_round_mode_32 0
		.amdhsa_float_round_mode_16_64 0
		.amdhsa_float_denorm_mode_32 3
		.amdhsa_float_denorm_mode_16_64 3
		.amdhsa_dx10_clamp 1
		.amdhsa_ieee_mode 1
		.amdhsa_fp16_overflow 0
		.amdhsa_workgroup_processor_mode 1
		.amdhsa_memory_ordered 1
		.amdhsa_forward_progress 0
		.amdhsa_shared_vgpr_count 0
		.amdhsa_exception_fp_ieee_invalid_op 0
		.amdhsa_exception_fp_denorm_src 0
		.amdhsa_exception_fp_ieee_div_zero 0
		.amdhsa_exception_fp_ieee_overflow 0
		.amdhsa_exception_fp_ieee_underflow 0
		.amdhsa_exception_fp_ieee_inexact 0
		.amdhsa_exception_int_div_zero 0
	.end_amdhsa_kernel
	.section	.text._ZN7rocprim17ROCPRIM_400000_NS6detail17trampoline_kernelINS0_14default_configENS1_25partition_config_selectorILNS1_17partition_subalgoE9EjjbEEZZNS1_14partition_implILS5_9ELb0ES3_jN6thrust23THRUST_200600_302600_NS6detail15normal_iteratorINS9_10device_ptrIjEEEESE_PNS0_10empty_typeENS0_5tupleIJNS9_16discard_iteratorINS9_11use_defaultEEESF_EEENSH_IJSK_SG_EEENS0_18inequality_wrapperINS9_8equal_toIjEEEEPmJSF_EEE10hipError_tPvRmT3_T4_T5_T6_T7_T9_mT8_P12ihipStream_tbDpT10_ENKUlT_T0_E_clISt17integral_constantIbLb0EES1A_IbLb1EEEEDaS16_S17_EUlS16_E_NS1_11comp_targetILNS1_3genE10ELNS1_11target_archE1200ELNS1_3gpuE4ELNS1_3repE0EEENS1_30default_config_static_selectorELNS0_4arch9wavefront6targetE0EEEvT1_,"axG",@progbits,_ZN7rocprim17ROCPRIM_400000_NS6detail17trampoline_kernelINS0_14default_configENS1_25partition_config_selectorILNS1_17partition_subalgoE9EjjbEEZZNS1_14partition_implILS5_9ELb0ES3_jN6thrust23THRUST_200600_302600_NS6detail15normal_iteratorINS9_10device_ptrIjEEEESE_PNS0_10empty_typeENS0_5tupleIJNS9_16discard_iteratorINS9_11use_defaultEEESF_EEENSH_IJSK_SG_EEENS0_18inequality_wrapperINS9_8equal_toIjEEEEPmJSF_EEE10hipError_tPvRmT3_T4_T5_T6_T7_T9_mT8_P12ihipStream_tbDpT10_ENKUlT_T0_E_clISt17integral_constantIbLb0EES1A_IbLb1EEEEDaS16_S17_EUlS16_E_NS1_11comp_targetILNS1_3genE10ELNS1_11target_archE1200ELNS1_3gpuE4ELNS1_3repE0EEENS1_30default_config_static_selectorELNS0_4arch9wavefront6targetE0EEEvT1_,comdat
.Lfunc_end818:
	.size	_ZN7rocprim17ROCPRIM_400000_NS6detail17trampoline_kernelINS0_14default_configENS1_25partition_config_selectorILNS1_17partition_subalgoE9EjjbEEZZNS1_14partition_implILS5_9ELb0ES3_jN6thrust23THRUST_200600_302600_NS6detail15normal_iteratorINS9_10device_ptrIjEEEESE_PNS0_10empty_typeENS0_5tupleIJNS9_16discard_iteratorINS9_11use_defaultEEESF_EEENSH_IJSK_SG_EEENS0_18inequality_wrapperINS9_8equal_toIjEEEEPmJSF_EEE10hipError_tPvRmT3_T4_T5_T6_T7_T9_mT8_P12ihipStream_tbDpT10_ENKUlT_T0_E_clISt17integral_constantIbLb0EES1A_IbLb1EEEEDaS16_S17_EUlS16_E_NS1_11comp_targetILNS1_3genE10ELNS1_11target_archE1200ELNS1_3gpuE4ELNS1_3repE0EEENS1_30default_config_static_selectorELNS0_4arch9wavefront6targetE0EEEvT1_, .Lfunc_end818-_ZN7rocprim17ROCPRIM_400000_NS6detail17trampoline_kernelINS0_14default_configENS1_25partition_config_selectorILNS1_17partition_subalgoE9EjjbEEZZNS1_14partition_implILS5_9ELb0ES3_jN6thrust23THRUST_200600_302600_NS6detail15normal_iteratorINS9_10device_ptrIjEEEESE_PNS0_10empty_typeENS0_5tupleIJNS9_16discard_iteratorINS9_11use_defaultEEESF_EEENSH_IJSK_SG_EEENS0_18inequality_wrapperINS9_8equal_toIjEEEEPmJSF_EEE10hipError_tPvRmT3_T4_T5_T6_T7_T9_mT8_P12ihipStream_tbDpT10_ENKUlT_T0_E_clISt17integral_constantIbLb0EES1A_IbLb1EEEEDaS16_S17_EUlS16_E_NS1_11comp_targetILNS1_3genE10ELNS1_11target_archE1200ELNS1_3gpuE4ELNS1_3repE0EEENS1_30default_config_static_selectorELNS0_4arch9wavefront6targetE0EEEvT1_
                                        ; -- End function
	.section	.AMDGPU.csdata,"",@progbits
; Kernel info:
; codeLenInByte = 0
; NumSgprs: 0
; NumVgprs: 0
; ScratchSize: 0
; MemoryBound: 0
; FloatMode: 240
; IeeeMode: 1
; LDSByteSize: 0 bytes/workgroup (compile time only)
; SGPRBlocks: 0
; VGPRBlocks: 0
; NumSGPRsForWavesPerEU: 1
; NumVGPRsForWavesPerEU: 1
; Occupancy: 15
; WaveLimiterHint : 0
; COMPUTE_PGM_RSRC2:SCRATCH_EN: 0
; COMPUTE_PGM_RSRC2:USER_SGPR: 15
; COMPUTE_PGM_RSRC2:TRAP_HANDLER: 0
; COMPUTE_PGM_RSRC2:TGID_X_EN: 1
; COMPUTE_PGM_RSRC2:TGID_Y_EN: 0
; COMPUTE_PGM_RSRC2:TGID_Z_EN: 0
; COMPUTE_PGM_RSRC2:TIDIG_COMP_CNT: 0
	.section	.text._ZN7rocprim17ROCPRIM_400000_NS6detail17trampoline_kernelINS0_14default_configENS1_25partition_config_selectorILNS1_17partition_subalgoE9EjjbEEZZNS1_14partition_implILS5_9ELb0ES3_jN6thrust23THRUST_200600_302600_NS6detail15normal_iteratorINS9_10device_ptrIjEEEESE_PNS0_10empty_typeENS0_5tupleIJNS9_16discard_iteratorINS9_11use_defaultEEESF_EEENSH_IJSK_SG_EEENS0_18inequality_wrapperINS9_8equal_toIjEEEEPmJSF_EEE10hipError_tPvRmT3_T4_T5_T6_T7_T9_mT8_P12ihipStream_tbDpT10_ENKUlT_T0_E_clISt17integral_constantIbLb0EES1A_IbLb1EEEEDaS16_S17_EUlS16_E_NS1_11comp_targetILNS1_3genE9ELNS1_11target_archE1100ELNS1_3gpuE3ELNS1_3repE0EEENS1_30default_config_static_selectorELNS0_4arch9wavefront6targetE0EEEvT1_,"axG",@progbits,_ZN7rocprim17ROCPRIM_400000_NS6detail17trampoline_kernelINS0_14default_configENS1_25partition_config_selectorILNS1_17partition_subalgoE9EjjbEEZZNS1_14partition_implILS5_9ELb0ES3_jN6thrust23THRUST_200600_302600_NS6detail15normal_iteratorINS9_10device_ptrIjEEEESE_PNS0_10empty_typeENS0_5tupleIJNS9_16discard_iteratorINS9_11use_defaultEEESF_EEENSH_IJSK_SG_EEENS0_18inequality_wrapperINS9_8equal_toIjEEEEPmJSF_EEE10hipError_tPvRmT3_T4_T5_T6_T7_T9_mT8_P12ihipStream_tbDpT10_ENKUlT_T0_E_clISt17integral_constantIbLb0EES1A_IbLb1EEEEDaS16_S17_EUlS16_E_NS1_11comp_targetILNS1_3genE9ELNS1_11target_archE1100ELNS1_3gpuE3ELNS1_3repE0EEENS1_30default_config_static_selectorELNS0_4arch9wavefront6targetE0EEEvT1_,comdat
	.protected	_ZN7rocprim17ROCPRIM_400000_NS6detail17trampoline_kernelINS0_14default_configENS1_25partition_config_selectorILNS1_17partition_subalgoE9EjjbEEZZNS1_14partition_implILS5_9ELb0ES3_jN6thrust23THRUST_200600_302600_NS6detail15normal_iteratorINS9_10device_ptrIjEEEESE_PNS0_10empty_typeENS0_5tupleIJNS9_16discard_iteratorINS9_11use_defaultEEESF_EEENSH_IJSK_SG_EEENS0_18inequality_wrapperINS9_8equal_toIjEEEEPmJSF_EEE10hipError_tPvRmT3_T4_T5_T6_T7_T9_mT8_P12ihipStream_tbDpT10_ENKUlT_T0_E_clISt17integral_constantIbLb0EES1A_IbLb1EEEEDaS16_S17_EUlS16_E_NS1_11comp_targetILNS1_3genE9ELNS1_11target_archE1100ELNS1_3gpuE3ELNS1_3repE0EEENS1_30default_config_static_selectorELNS0_4arch9wavefront6targetE0EEEvT1_ ; -- Begin function _ZN7rocprim17ROCPRIM_400000_NS6detail17trampoline_kernelINS0_14default_configENS1_25partition_config_selectorILNS1_17partition_subalgoE9EjjbEEZZNS1_14partition_implILS5_9ELb0ES3_jN6thrust23THRUST_200600_302600_NS6detail15normal_iteratorINS9_10device_ptrIjEEEESE_PNS0_10empty_typeENS0_5tupleIJNS9_16discard_iteratorINS9_11use_defaultEEESF_EEENSH_IJSK_SG_EEENS0_18inequality_wrapperINS9_8equal_toIjEEEEPmJSF_EEE10hipError_tPvRmT3_T4_T5_T6_T7_T9_mT8_P12ihipStream_tbDpT10_ENKUlT_T0_E_clISt17integral_constantIbLb0EES1A_IbLb1EEEEDaS16_S17_EUlS16_E_NS1_11comp_targetILNS1_3genE9ELNS1_11target_archE1100ELNS1_3gpuE3ELNS1_3repE0EEENS1_30default_config_static_selectorELNS0_4arch9wavefront6targetE0EEEvT1_
	.globl	_ZN7rocprim17ROCPRIM_400000_NS6detail17trampoline_kernelINS0_14default_configENS1_25partition_config_selectorILNS1_17partition_subalgoE9EjjbEEZZNS1_14partition_implILS5_9ELb0ES3_jN6thrust23THRUST_200600_302600_NS6detail15normal_iteratorINS9_10device_ptrIjEEEESE_PNS0_10empty_typeENS0_5tupleIJNS9_16discard_iteratorINS9_11use_defaultEEESF_EEENSH_IJSK_SG_EEENS0_18inequality_wrapperINS9_8equal_toIjEEEEPmJSF_EEE10hipError_tPvRmT3_T4_T5_T6_T7_T9_mT8_P12ihipStream_tbDpT10_ENKUlT_T0_E_clISt17integral_constantIbLb0EES1A_IbLb1EEEEDaS16_S17_EUlS16_E_NS1_11comp_targetILNS1_3genE9ELNS1_11target_archE1100ELNS1_3gpuE3ELNS1_3repE0EEENS1_30default_config_static_selectorELNS0_4arch9wavefront6targetE0EEEvT1_
	.p2align	8
	.type	_ZN7rocprim17ROCPRIM_400000_NS6detail17trampoline_kernelINS0_14default_configENS1_25partition_config_selectorILNS1_17partition_subalgoE9EjjbEEZZNS1_14partition_implILS5_9ELb0ES3_jN6thrust23THRUST_200600_302600_NS6detail15normal_iteratorINS9_10device_ptrIjEEEESE_PNS0_10empty_typeENS0_5tupleIJNS9_16discard_iteratorINS9_11use_defaultEEESF_EEENSH_IJSK_SG_EEENS0_18inequality_wrapperINS9_8equal_toIjEEEEPmJSF_EEE10hipError_tPvRmT3_T4_T5_T6_T7_T9_mT8_P12ihipStream_tbDpT10_ENKUlT_T0_E_clISt17integral_constantIbLb0EES1A_IbLb1EEEEDaS16_S17_EUlS16_E_NS1_11comp_targetILNS1_3genE9ELNS1_11target_archE1100ELNS1_3gpuE3ELNS1_3repE0EEENS1_30default_config_static_selectorELNS0_4arch9wavefront6targetE0EEEvT1_,@function
_ZN7rocprim17ROCPRIM_400000_NS6detail17trampoline_kernelINS0_14default_configENS1_25partition_config_selectorILNS1_17partition_subalgoE9EjjbEEZZNS1_14partition_implILS5_9ELb0ES3_jN6thrust23THRUST_200600_302600_NS6detail15normal_iteratorINS9_10device_ptrIjEEEESE_PNS0_10empty_typeENS0_5tupleIJNS9_16discard_iteratorINS9_11use_defaultEEESF_EEENSH_IJSK_SG_EEENS0_18inequality_wrapperINS9_8equal_toIjEEEEPmJSF_EEE10hipError_tPvRmT3_T4_T5_T6_T7_T9_mT8_P12ihipStream_tbDpT10_ENKUlT_T0_E_clISt17integral_constantIbLb0EES1A_IbLb1EEEEDaS16_S17_EUlS16_E_NS1_11comp_targetILNS1_3genE9ELNS1_11target_archE1100ELNS1_3gpuE3ELNS1_3repE0EEENS1_30default_config_static_selectorELNS0_4arch9wavefront6targetE0EEEvT1_: ; @_ZN7rocprim17ROCPRIM_400000_NS6detail17trampoline_kernelINS0_14default_configENS1_25partition_config_selectorILNS1_17partition_subalgoE9EjjbEEZZNS1_14partition_implILS5_9ELb0ES3_jN6thrust23THRUST_200600_302600_NS6detail15normal_iteratorINS9_10device_ptrIjEEEESE_PNS0_10empty_typeENS0_5tupleIJNS9_16discard_iteratorINS9_11use_defaultEEESF_EEENSH_IJSK_SG_EEENS0_18inequality_wrapperINS9_8equal_toIjEEEEPmJSF_EEE10hipError_tPvRmT3_T4_T5_T6_T7_T9_mT8_P12ihipStream_tbDpT10_ENKUlT_T0_E_clISt17integral_constantIbLb0EES1A_IbLb1EEEEDaS16_S17_EUlS16_E_NS1_11comp_targetILNS1_3genE9ELNS1_11target_archE1100ELNS1_3gpuE3ELNS1_3repE0EEENS1_30default_config_static_selectorELNS0_4arch9wavefront6targetE0EEEvT1_
; %bb.0:
	s_clause 0x4
	s_load_b128 s[4:7], s[0:1], 0x8
	s_load_b64 s[8:9], s[0:1], 0x18
	s_load_b64 s[16:17], s[0:1], 0x60
	s_load_b128 s[12:15], s[0:1], 0x50
	s_load_b64 s[10:11], s[0:1], 0x70
	v_cmp_ne_u32_e64 s3, 0, v0
	v_cmp_eq_u32_e64 s2, 0, v0
	s_delay_alu instid0(VALU_DEP_1)
	s_and_saveexec_b32 s18, s2
	s_cbranch_execz .LBB819_4
; %bb.1:
	s_mov_b32 s20, exec_lo
	s_mov_b32 s19, exec_lo
	v_mbcnt_lo_u32_b32 v1, s20, 0
                                        ; implicit-def: $vgpr2
	s_delay_alu instid0(VALU_DEP_1)
	v_cmpx_eq_u32_e32 0, v1
	s_cbranch_execz .LBB819_3
; %bb.2:
	s_load_b64 s[22:23], s[0:1], 0x80
	s_bcnt1_i32_b32 s20, s20
	s_delay_alu instid0(SALU_CYCLE_1)
	v_dual_mov_b32 v2, 0 :: v_dual_mov_b32 v3, s20
	s_waitcnt lgkmcnt(0)
	global_atomic_add_u32 v2, v2, v3, s[22:23] glc
.LBB819_3:
	s_or_b32 exec_lo, exec_lo, s19
	s_waitcnt vmcnt(0)
	v_readfirstlane_b32 s19, v2
	s_delay_alu instid0(VALU_DEP_1)
	v_dual_mov_b32 v2, 0 :: v_dual_add_nc_u32 v1, s19, v1
	ds_store_b32 v2, v1
.LBB819_4:
	s_or_b32 exec_lo, exec_lo, s18
	v_dual_mov_b32 v1, 0 :: v_dual_add_nc_u32 v18, 0x180, v0
	s_waitcnt lgkmcnt(0)
	s_barrier
	buffer_gl0_inv
	ds_load_b32 v2, v1
	s_waitcnt lgkmcnt(0)
	s_barrier
	buffer_gl0_inv
	global_load_b64 v[9:10], v1, s[14:15]
	s_load_b32 s0, s[0:1], 0x78
	s_lshl_b64 s[14:15], s[6:7], 2
	v_lshrrev_b32_e32 v16, 3, v0
	s_add_u32 s21, s4, s14
	s_addc_u32 s22, s5, s15
	v_add_nc_u32_e32 v17, 0x300, v0
	v_add_nc_u32_e32 v15, 0x480, v0
	v_or_b32_e32 v14, 0x600, v0
	v_add_nc_u32_e32 v13, 0x780, v0
	v_add_nc_u32_e32 v12, 0x900, v0
	v_add_nc_u32_e32 v11, 0xa80, v0
	v_readfirstlane_b32 s18, v2
	s_waitcnt lgkmcnt(0)
	s_mul_i32 s1, s0, 0xc00
	s_delay_alu instid0(SALU_CYCLE_1) | instskip(NEXT) | instid1(SALU_CYCLE_1)
	s_add_i32 s4, s1, s6
	s_sub_i32 s19, s16, s4
	s_add_i32 s4, s0, -1
	s_addk_i32 s19, 0xc00
	s_add_u32 s0, s6, s1
	s_addc_u32 s1, s7, 0
	s_cmp_eq_u32 s18, s4
	v_cmp_ge_u64_e64 s5, s[0:1], s[16:17]
	s_cselect_b32 s16, -1, 0
	s_mul_i32 s0, s18, 0xc00
	s_mov_b32 s1, 0
	s_delay_alu instid0(VALU_DEP_1)
	s_and_b32 s17, s5, s16
	s_lshl_b64 s[4:5], s[0:1], 2
	s_xor_b32 s20, s17, -1
	s_add_u32 s21, s21, s4
	s_addc_u32 s1, s22, s5
	s_and_b32 vcc_lo, exec_lo, s20
	s_mov_b32 s22, -1
	s_cbranch_vccz .LBB819_6
; %bb.5:
	v_lshlrev_b32_e32 v7, 2, v0
	v_lshrrev_b32_e32 v21, 3, v18
	v_lshrrev_b32_e32 v22, 3, v17
	;; [unrolled: 1-line block ×4, first 2 shown]
	v_add_co_u32 v1, s0, s21, v7
	s_delay_alu instid0(VALU_DEP_1) | instskip(SKIP_1) | instid1(VALU_DEP_3)
	v_add_co_ci_u32_e64 v2, null, s1, 0, s0
	v_lshrrev_b32_e32 v25, 3, v13
	v_add_co_u32 v3, vcc_lo, 0x1000, v1
	s_delay_alu instid0(VALU_DEP_3)
	v_add_co_ci_u32_e32 v4, vcc_lo, 0, v2, vcc_lo
	v_add_co_u32 v5, vcc_lo, 0x2000, v1
	v_add_co_ci_u32_e32 v6, vcc_lo, 0, v2, vcc_lo
	s_clause 0x7
	flat_load_b32 v8, v[1:2]
	flat_load_b32 v19, v[1:2] offset:1536
	flat_load_b32 v1, v[1:2] offset:3072
	;; [unrolled: 1-line block ×7, first 2 shown]
	v_and_b32_e32 v6, 60, v16
	v_lshrrev_b32_e32 v26, 3, v12
	v_lshrrev_b32_e32 v27, 3, v11
	v_and_b32_e32 v21, 0x7c, v21
	v_and_b32_e32 v22, 0xfc, v22
	;; [unrolled: 1-line block ×4, first 2 shown]
	v_add_nc_u32_e32 v6, v6, v7
	v_and_b32_e32 v25, 0x1fc, v25
	v_and_b32_e32 v26, 0x17c, v26
	;; [unrolled: 1-line block ×3, first 2 shown]
	v_add_nc_u32_e32 v21, v21, v7
	v_add_nc_u32_e32 v22, v22, v7
	;; [unrolled: 1-line block ×4, first 2 shown]
	s_mov_b32 s22, 0
	v_add_nc_u32_e32 v25, v25, v7
	v_add_nc_u32_e32 v26, v26, v7
	;; [unrolled: 1-line block ×3, first 2 shown]
	s_waitcnt vmcnt(7) lgkmcnt(7)
	ds_store_b32 v6, v8
	s_waitcnt vmcnt(6) lgkmcnt(7)
	ds_store_b32 v21, v19 offset:1536
	s_waitcnt vmcnt(5) lgkmcnt(7)
	ds_store_b32 v22, v1 offset:3072
	;; [unrolled: 2-line block ×7, first 2 shown]
	s_waitcnt lgkmcnt(0)
	s_barrier
.LBB819_6:
	v_cmp_gt_u32_e64 s0, s19, v0
	s_and_not1_b32 vcc_lo, exec_lo, s22
	s_cbranch_vccnz .LBB819_24
; %bb.7:
                                        ; implicit-def: $vgpr1_vgpr2_vgpr3_vgpr4_vgpr5_vgpr6_vgpr7_vgpr8
	s_delay_alu instid0(VALU_DEP_1)
	s_and_saveexec_b32 s22, s0
	s_cbranch_execz .LBB819_15
; %bb.8:
	v_lshlrev_b32_e32 v1, 2, v0
	s_delay_alu instid0(VALU_DEP_1) | instskip(NEXT) | instid1(VALU_DEP_1)
	v_add_co_u32 v1, s0, s21, v1
	v_add_co_ci_u32_e64 v2, null, s1, 0, s0
	flat_load_b32 v1, v[1:2]
	s_or_b32 exec_lo, exec_lo, s22
	s_delay_alu instid0(SALU_CYCLE_1)
	s_mov_b32 s0, exec_lo
	v_cmpx_gt_u32_e64 s19, v18
	s_cbranch_execnz .LBB819_16
.LBB819_9:
	s_or_b32 exec_lo, exec_lo, s0
	s_delay_alu instid0(SALU_CYCLE_1)
	s_mov_b32 s0, exec_lo
	v_cmpx_gt_u32_e64 s19, v17
	s_cbranch_execz .LBB819_17
.LBB819_10:
	v_lshlrev_b32_e32 v3, 2, v0
	s_delay_alu instid0(VALU_DEP_1) | instskip(NEXT) | instid1(VALU_DEP_1)
	v_add_co_u32 v19, s22, s21, v3
	v_add_co_ci_u32_e64 v20, null, s1, 0, s22
	flat_load_b32 v3, v[19:20] offset:3072
	s_or_b32 exec_lo, exec_lo, s0
	s_delay_alu instid0(SALU_CYCLE_1)
	s_mov_b32 s0, exec_lo
	v_cmpx_gt_u32_e64 s19, v15
	s_cbranch_execnz .LBB819_18
.LBB819_11:
	s_or_b32 exec_lo, exec_lo, s0
	s_delay_alu instid0(SALU_CYCLE_1)
	s_mov_b32 s0, exec_lo
	v_cmpx_gt_u32_e64 s19, v14
	s_cbranch_execz .LBB819_19
.LBB819_12:
	v_lshlrev_b32_e32 v5, 2, v14
	s_delay_alu instid0(VALU_DEP_1) | instskip(NEXT) | instid1(VALU_DEP_1)
	v_add_co_u32 v19, s22, s21, v5
	v_add_co_ci_u32_e64 v20, null, s1, 0, s22
	flat_load_b32 v5, v[19:20]
	s_or_b32 exec_lo, exec_lo, s0
	s_delay_alu instid0(SALU_CYCLE_1)
	s_mov_b32 s0, exec_lo
	v_cmpx_gt_u32_e64 s19, v13
	s_cbranch_execnz .LBB819_20
.LBB819_13:
	s_or_b32 exec_lo, exec_lo, s0
	s_delay_alu instid0(SALU_CYCLE_1)
	s_mov_b32 s0, exec_lo
	v_cmpx_gt_u32_e64 s19, v12
	s_cbranch_execz .LBB819_21
.LBB819_14:
	v_lshlrev_b32_e32 v7, 2, v12
	s_delay_alu instid0(VALU_DEP_1) | instskip(NEXT) | instid1(VALU_DEP_1)
	v_add_co_u32 v19, s22, s21, v7
	v_add_co_ci_u32_e64 v20, null, s1, 0, s22
	flat_load_b32 v7, v[19:20]
	s_or_b32 exec_lo, exec_lo, s0
	s_delay_alu instid0(SALU_CYCLE_1)
	s_mov_b32 s0, exec_lo
	v_cmpx_gt_u32_e64 s19, v11
	s_cbranch_execnz .LBB819_22
	s_branch .LBB819_23
.LBB819_15:
	s_or_b32 exec_lo, exec_lo, s22
	s_delay_alu instid0(SALU_CYCLE_1)
	s_mov_b32 s0, exec_lo
	v_cmpx_gt_u32_e64 s19, v18
	s_cbranch_execz .LBB819_9
.LBB819_16:
	v_lshlrev_b32_e32 v2, 2, v0
	s_delay_alu instid0(VALU_DEP_1) | instskip(NEXT) | instid1(VALU_DEP_1)
	v_add_co_u32 v19, s22, s21, v2
	v_add_co_ci_u32_e64 v20, null, s1, 0, s22
	flat_load_b32 v2, v[19:20] offset:1536
	s_or_b32 exec_lo, exec_lo, s0
	s_delay_alu instid0(SALU_CYCLE_1)
	s_mov_b32 s0, exec_lo
	v_cmpx_gt_u32_e64 s19, v17
	s_cbranch_execnz .LBB819_10
.LBB819_17:
	s_or_b32 exec_lo, exec_lo, s0
	s_delay_alu instid0(SALU_CYCLE_1)
	s_mov_b32 s0, exec_lo
	v_cmpx_gt_u32_e64 s19, v15
	s_cbranch_execz .LBB819_11
.LBB819_18:
	v_lshlrev_b32_e32 v4, 2, v15
	s_delay_alu instid0(VALU_DEP_1) | instskip(NEXT) | instid1(VALU_DEP_1)
	v_add_co_u32 v19, s22, s21, v4
	v_add_co_ci_u32_e64 v20, null, s1, 0, s22
	flat_load_b32 v4, v[19:20]
	s_or_b32 exec_lo, exec_lo, s0
	s_delay_alu instid0(SALU_CYCLE_1)
	s_mov_b32 s0, exec_lo
	v_cmpx_gt_u32_e64 s19, v14
	s_cbranch_execnz .LBB819_12
.LBB819_19:
	s_or_b32 exec_lo, exec_lo, s0
	s_delay_alu instid0(SALU_CYCLE_1)
	s_mov_b32 s0, exec_lo
	v_cmpx_gt_u32_e64 s19, v13
	s_cbranch_execz .LBB819_13
.LBB819_20:
	v_lshlrev_b32_e32 v6, 2, v13
	s_delay_alu instid0(VALU_DEP_1) | instskip(NEXT) | instid1(VALU_DEP_1)
	v_add_co_u32 v19, s22, s21, v6
	v_add_co_ci_u32_e64 v20, null, s1, 0, s22
	flat_load_b32 v6, v[19:20]
	s_or_b32 exec_lo, exec_lo, s0
	s_delay_alu instid0(SALU_CYCLE_1)
	s_mov_b32 s0, exec_lo
	v_cmpx_gt_u32_e64 s19, v12
	s_cbranch_execnz .LBB819_14
.LBB819_21:
	s_or_b32 exec_lo, exec_lo, s0
	s_delay_alu instid0(SALU_CYCLE_1)
	s_mov_b32 s0, exec_lo
	v_cmpx_gt_u32_e64 s19, v11
	s_cbranch_execz .LBB819_23
.LBB819_22:
	v_lshlrev_b32_e32 v8, 2, v11
	s_delay_alu instid0(VALU_DEP_1) | instskip(NEXT) | instid1(VALU_DEP_1)
	v_add_co_u32 v19, s22, s21, v8
	v_add_co_ci_u32_e64 v20, null, s1, 0, s22
	flat_load_b32 v8, v[19:20]
.LBB819_23:
	s_or_b32 exec_lo, exec_lo, s0
	v_lshrrev_b32_e32 v19, 3, v18
	v_lshrrev_b32_e32 v20, 3, v17
	;; [unrolled: 1-line block ×4, first 2 shown]
	v_and_b32_e32 v21, 60, v16
	v_lshlrev_b32_e32 v22, 2, v0
	v_lshrrev_b32_e32 v25, 3, v13
	v_lshrrev_b32_e32 v26, 3, v12
	;; [unrolled: 1-line block ×3, first 2 shown]
	v_and_b32_e32 v19, 0x7c, v19
	v_and_b32_e32 v20, 0xfc, v20
	;; [unrolled: 1-line block ×4, first 2 shown]
	v_add_nc_u32_e32 v21, v21, v22
	v_and_b32_e32 v25, 0x1fc, v25
	v_and_b32_e32 v26, 0x1fc, v26
	;; [unrolled: 1-line block ×3, first 2 shown]
	v_add_nc_u32_e32 v19, v19, v22
	v_add_nc_u32_e32 v20, v20, v22
	;; [unrolled: 1-line block ×7, first 2 shown]
	s_waitcnt vmcnt(0) lgkmcnt(0)
	ds_store_b32 v21, v1
	ds_store_b32 v19, v2 offset:1536
	ds_store_b32 v20, v3 offset:3072
	ds_store_b32 v23, v4 offset:4608
	ds_store_b32 v24, v5 offset:6144
	ds_store_b32 v25, v6 offset:7680
	ds_store_b32 v26, v7 offset:9216
	ds_store_b32 v22, v8 offset:10752
	s_waitcnt lgkmcnt(0)
	s_barrier
.LBB819_24:
	v_lshlrev_b32_e32 v21, 3, v0
	v_lshrrev_b32_e32 v1, 2, v0
	s_waitcnt vmcnt(0)
	buffer_gl0_inv
	s_add_u32 s0, s8, s14
	s_addc_u32 s8, s9, s15
	s_add_u32 s0, s0, s4
	v_add_lshl_u32 v19, v1, v21, 2
	s_addc_u32 s4, s8, s5
	s_and_b32 vcc_lo, exec_lo, s20
	s_mov_b32 s5, -1
	ds_load_2addr_b32 v[7:8], v19 offset1:1
	ds_load_2addr_b32 v[5:6], v19 offset0:2 offset1:3
	ds_load_2addr_b32 v[3:4], v19 offset0:4 offset1:5
	;; [unrolled: 1-line block ×3, first 2 shown]
	s_waitcnt lgkmcnt(0)
	s_barrier
	buffer_gl0_inv
	s_cbranch_vccz .LBB819_26
; %bb.25:
	v_lshlrev_b32_e32 v20, 2, v0
	v_lshrrev_b32_e32 v31, 3, v18
	v_lshrrev_b32_e32 v32, 3, v17
	;; [unrolled: 1-line block ×4, first 2 shown]
	v_add_co_u32 v22, s5, s0, v20
	s_delay_alu instid0(VALU_DEP_1) | instskip(SKIP_1) | instid1(VALU_DEP_3)
	v_add_co_ci_u32_e64 v23, null, s4, 0, s5
	v_lshrrev_b32_e32 v35, 3, v13
	v_add_co_u32 v24, vcc_lo, 0x1000, v22
	s_delay_alu instid0(VALU_DEP_3)
	v_add_co_ci_u32_e32 v25, vcc_lo, 0, v23, vcc_lo
	v_add_co_u32 v26, vcc_lo, 0x2000, v22
	v_add_co_ci_u32_e32 v27, vcc_lo, 0, v23, vcc_lo
	s_clause 0x7
	flat_load_b32 v28, v[22:23]
	flat_load_b32 v29, v[22:23] offset:1536
	flat_load_b32 v22, v[22:23] offset:3072
	;; [unrolled: 1-line block ×7, first 2 shown]
	v_and_b32_e32 v27, 60, v16
	v_lshrrev_b32_e32 v36, 3, v12
	v_lshrrev_b32_e32 v37, 3, v11
	v_and_b32_e32 v31, 0x7c, v31
	v_and_b32_e32 v32, 0xfc, v32
	;; [unrolled: 1-line block ×4, first 2 shown]
	v_add_nc_u32_e32 v27, v27, v20
	v_and_b32_e32 v35, 0x1fc, v35
	v_and_b32_e32 v36, 0x17c, v36
	v_and_b32_e32 v37, 0x1fc, v37
	v_add_nc_u32_e32 v31, v31, v20
	v_add_nc_u32_e32 v32, v32, v20
	;; [unrolled: 1-line block ×4, first 2 shown]
	s_mov_b32 s5, 0
	v_add_nc_u32_e32 v35, v35, v20
	v_add_nc_u32_e32 v36, v36, v20
	;; [unrolled: 1-line block ×3, first 2 shown]
	s_waitcnt vmcnt(7) lgkmcnt(7)
	ds_store_b32 v27, v28
	s_waitcnt vmcnt(6) lgkmcnt(7)
	ds_store_b32 v31, v29 offset:1536
	s_waitcnt vmcnt(5) lgkmcnt(7)
	ds_store_b32 v32, v22 offset:3072
	;; [unrolled: 2-line block ×7, first 2 shown]
	s_waitcnt lgkmcnt(0)
	s_barrier
.LBB819_26:
	s_and_not1_b32 vcc_lo, exec_lo, s5
	s_cbranch_vccnz .LBB819_44
; %bb.27:
	s_mov_b32 s5, exec_lo
                                        ; implicit-def: $vgpr20
	v_cmpx_gt_u32_e64 s19, v0
	s_cbranch_execz .LBB819_29
; %bb.28:
	v_lshlrev_b32_e32 v20, 2, v0
	s_delay_alu instid0(VALU_DEP_1) | instskip(NEXT) | instid1(VALU_DEP_1)
	v_add_co_u32 v22, s8, s0, v20
	v_add_co_ci_u32_e64 v23, null, s4, 0, s8
	flat_load_b32 v20, v[22:23]
.LBB819_29:
	s_or_b32 exec_lo, exec_lo, s5
	s_delay_alu instid0(SALU_CYCLE_1)
	s_mov_b32 s5, exec_lo
                                        ; implicit-def: $vgpr22
	v_cmpx_gt_u32_e64 s19, v18
	s_cbranch_execz .LBB819_31
; %bb.30:
	v_lshlrev_b32_e32 v22, 2, v0
	s_delay_alu instid0(VALU_DEP_1) | instskip(NEXT) | instid1(VALU_DEP_1)
	v_add_co_u32 v22, s8, s0, v22
	v_add_co_ci_u32_e64 v23, null, s4, 0, s8
	flat_load_b32 v22, v[22:23] offset:1536
.LBB819_31:
	s_or_b32 exec_lo, exec_lo, s5
	s_delay_alu instid0(SALU_CYCLE_1)
	s_mov_b32 s5, exec_lo
                                        ; implicit-def: $vgpr23
	v_cmpx_gt_u32_e64 s19, v17
	s_cbranch_execz .LBB819_33
; %bb.32:
	v_lshlrev_b32_e32 v23, 2, v0
	s_delay_alu instid0(VALU_DEP_1) | instskip(NEXT) | instid1(VALU_DEP_1)
	v_add_co_u32 v23, s8, s0, v23
	v_add_co_ci_u32_e64 v24, null, s4, 0, s8
	flat_load_b32 v23, v[23:24] offset:3072
.LBB819_33:
	s_or_b32 exec_lo, exec_lo, s5
	s_delay_alu instid0(SALU_CYCLE_1)
	s_mov_b32 s5, exec_lo
                                        ; implicit-def: $vgpr24
	v_cmpx_gt_u32_e64 s19, v15
	s_cbranch_execz .LBB819_35
; %bb.34:
	v_lshlrev_b32_e32 v24, 2, v15
	s_delay_alu instid0(VALU_DEP_1) | instskip(NEXT) | instid1(VALU_DEP_1)
	v_add_co_u32 v24, s8, s0, v24
	v_add_co_ci_u32_e64 v25, null, s4, 0, s8
	flat_load_b32 v24, v[24:25]
.LBB819_35:
	s_or_b32 exec_lo, exec_lo, s5
	s_delay_alu instid0(SALU_CYCLE_1)
	s_mov_b32 s5, exec_lo
                                        ; implicit-def: $vgpr25
	v_cmpx_gt_u32_e64 s19, v14
	s_cbranch_execz .LBB819_37
; %bb.36:
	v_lshlrev_b32_e32 v25, 2, v14
	s_delay_alu instid0(VALU_DEP_1) | instskip(NEXT) | instid1(VALU_DEP_1)
	v_add_co_u32 v25, s8, s0, v25
	v_add_co_ci_u32_e64 v26, null, s4, 0, s8
	flat_load_b32 v25, v[25:26]
.LBB819_37:
	s_or_b32 exec_lo, exec_lo, s5
	s_delay_alu instid0(SALU_CYCLE_1)
	s_mov_b32 s5, exec_lo
                                        ; implicit-def: $vgpr26
	v_cmpx_gt_u32_e64 s19, v13
	s_cbranch_execz .LBB819_39
; %bb.38:
	v_lshlrev_b32_e32 v26, 2, v13
	s_delay_alu instid0(VALU_DEP_1) | instskip(NEXT) | instid1(VALU_DEP_1)
	v_add_co_u32 v26, s8, s0, v26
	v_add_co_ci_u32_e64 v27, null, s4, 0, s8
	flat_load_b32 v26, v[26:27]
.LBB819_39:
	s_or_b32 exec_lo, exec_lo, s5
	s_delay_alu instid0(SALU_CYCLE_1)
	s_mov_b32 s5, exec_lo
                                        ; implicit-def: $vgpr27
	v_cmpx_gt_u32_e64 s19, v12
	s_cbranch_execz .LBB819_41
; %bb.40:
	v_lshlrev_b32_e32 v27, 2, v12
	s_delay_alu instid0(VALU_DEP_1) | instskip(NEXT) | instid1(VALU_DEP_1)
	v_add_co_u32 v27, s8, s0, v27
	v_add_co_ci_u32_e64 v28, null, s4, 0, s8
	flat_load_b32 v27, v[27:28]
.LBB819_41:
	s_or_b32 exec_lo, exec_lo, s5
	s_delay_alu instid0(SALU_CYCLE_1)
	s_mov_b32 s5, exec_lo
                                        ; implicit-def: $vgpr28
	v_cmpx_gt_u32_e64 s19, v11
	s_cbranch_execz .LBB819_43
; %bb.42:
	v_lshlrev_b32_e32 v28, 2, v11
	s_delay_alu instid0(VALU_DEP_1) | instskip(NEXT) | instid1(VALU_DEP_1)
	v_add_co_u32 v28, s0, s0, v28
	v_add_co_ci_u32_e64 v29, null, s4, 0, s0
	flat_load_b32 v28, v[28:29]
.LBB819_43:
	s_or_b32 exec_lo, exec_lo, s5
	v_lshrrev_b32_e32 v18, 3, v18
	v_lshrrev_b32_e32 v17, 3, v17
	;; [unrolled: 1-line block ×4, first 2 shown]
	v_and_b32_e32 v16, 60, v16
	v_lshlrev_b32_e32 v29, 2, v0
	v_lshrrev_b32_e32 v13, 3, v13
	v_lshrrev_b32_e32 v12, 3, v12
	;; [unrolled: 1-line block ×3, first 2 shown]
	v_and_b32_e32 v18, 0x7c, v18
	v_and_b32_e32 v17, 0xfc, v17
	;; [unrolled: 1-line block ×4, first 2 shown]
	v_add_nc_u32_e32 v16, v16, v29
	v_and_b32_e32 v13, 0x1fc, v13
	v_and_b32_e32 v12, 0x1fc, v12
	;; [unrolled: 1-line block ×3, first 2 shown]
	v_add_nc_u32_e32 v18, v18, v29
	v_add_nc_u32_e32 v17, v17, v29
	;; [unrolled: 1-line block ×7, first 2 shown]
	s_waitcnt vmcnt(0) lgkmcnt(0)
	ds_store_b32 v16, v20
	ds_store_b32 v18, v22 offset:1536
	ds_store_b32 v17, v23 offset:3072
	;; [unrolled: 1-line block ×7, first 2 shown]
	s_waitcnt lgkmcnt(0)
	s_barrier
.LBB819_44:
	buffer_gl0_inv
	ds_load_2addr_b32 v[17:18], v19 offset1:1
	ds_load_2addr_b32 v[15:16], v19 offset0:2 offset1:3
	ds_load_2addr_b32 v[13:14], v19 offset0:4 offset1:5
	;; [unrolled: 1-line block ×3, first 2 shown]
	s_cmp_lg_u32 s18, 0
	s_mov_b32 s14, 0
	s_cselect_b32 s9, -1, 0
	s_cmp_lg_u64 s[6:7], 0
	s_waitcnt lgkmcnt(0)
	s_cselect_b32 s0, -1, 0
	s_barrier
	s_or_b32 s0, s0, s9
	buffer_gl0_inv
	s_and_b32 vcc_lo, exec_lo, s0
	s_cbranch_vccz .LBB819_49
; %bb.45:
	v_add_co_u32 v19, s0, -4, s21
	s_delay_alu instid0(VALU_DEP_1)
	v_add_co_ci_u32_e64 v20, null, -1, s1, s0
	v_lshlrev_b32_e32 v23, 2, v0
	s_mov_b32 s1, -1
	s_and_b32 vcc_lo, exec_lo, s20
	flat_load_b32 v22, v[19:20]
	ds_store_b32 v23, v2
	s_cbranch_vccz .LBB819_50
; %bb.46:
	s_waitcnt vmcnt(0) lgkmcnt(1)
	v_mov_b32_e32 v19, v22
	s_waitcnt lgkmcnt(0)
	s_barrier
	buffer_gl0_inv
	s_and_saveexec_b32 s0, s3
	s_cbranch_execz .LBB819_48
; %bb.47:
	v_add_nc_u32_e32 v19, -4, v23
	ds_load_b32 v19, v19
.LBB819_48:
	s_or_b32 exec_lo, exec_lo, s0
	v_cmp_ne_u32_e32 vcc_lo, v1, v2
	s_waitcnt lgkmcnt(0)
	v_cmp_ne_u32_e64 s0, v19, v7
	v_cndmask_b32_e64 v20, 0, 1, vcc_lo
	v_cmp_ne_u32_e32 vcc_lo, v4, v1
	s_delay_alu instid0(VALU_DEP_2) | instskip(SKIP_2) | instid1(VALU_DEP_2)
	v_lshlrev_b16 v20, 8, v20
	v_cndmask_b32_e64 v24, 0, 1, vcc_lo
	v_cmp_ne_u32_e32 vcc_lo, v3, v4
	v_or_b32_e32 v20, v24, v20
	v_cndmask_b32_e64 v25, 0, 1, vcc_lo
	v_cmp_ne_u32_e32 vcc_lo, v5, v6
	s_delay_alu instid0(VALU_DEP_3) | instskip(NEXT) | instid1(VALU_DEP_3)
	v_lshlrev_b32_e32 v20, 16, v20
	v_lshlrev_b16 v25, 8, v25
	v_cndmask_b32_e64 v26, 0, 1, vcc_lo
	v_cmp_ne_u32_e32 vcc_lo, v6, v3
	s_delay_alu instid0(VALU_DEP_2) | instskip(SKIP_2) | instid1(VALU_DEP_2)
	v_lshlrev_b16 v26, 8, v26
	v_cndmask_b32_e64 v27, 0, 1, vcc_lo
	v_cmp_ne_u32_e32 vcc_lo, v8, v5
	v_or_b32_e32 v25, v27, v25
	v_cndmask_b32_e64 v28, 0, 1, vcc_lo
	v_cmp_ne_u32_e32 vcc_lo, v7, v8
	s_delay_alu instid0(VALU_DEP_3) | instskip(NEXT) | instid1(VALU_DEP_3)
	v_and_b32_e32 v25, 0xffff, v25
	v_or_b32_e32 v26, v28, v26
	v_cndmask_b32_e64 v29, 0, 1, vcc_lo
	s_delay_alu instid0(VALU_DEP_3) | instskip(NEXT) | instid1(VALU_DEP_3)
	v_or_b32_e32 v20, v25, v20
	v_lshlrev_b32_e32 v24, 16, v26
	s_delay_alu instid0(VALU_DEP_3) | instskip(NEXT) | instid1(VALU_DEP_1)
	v_lshlrev_b16 v28, 8, v29
	v_and_b32_e32 v26, 0xffff, v28
	s_delay_alu instid0(VALU_DEP_1)
	v_or_b32_e32 v19, v26, v24
	s_branch .LBB819_54
.LBB819_49:
                                        ; implicit-def: $sgpr0
                                        ; implicit-def: $vgpr20
	s_branch .LBB819_55
.LBB819_50:
                                        ; implicit-def: $sgpr0
                                        ; implicit-def: $vgpr20
	s_and_b32 vcc_lo, exec_lo, s1
	s_cbranch_vccz .LBB819_54
; %bb.51:
	s_waitcnt vmcnt(0) lgkmcnt(0)
	s_barrier
	buffer_gl0_inv
	s_and_saveexec_b32 s0, s3
	s_cbranch_execz .LBB819_53
; %bb.52:
	v_add_nc_u32_e32 v19, -4, v23
	ds_load_b32 v22, v19
.LBB819_53:
	s_or_b32 exec_lo, exec_lo, s0
	v_or_b32_e32 v19, 7, v21
	v_or_b32_e32 v20, 6, v21
	;; [unrolled: 1-line block ×3, first 2 shown]
	v_cmp_ne_u32_e32 vcc_lo, v1, v2
	v_cmp_ne_u32_e64 s1, v4, v1
	v_cmp_gt_u32_e64 s0, s19, v19
	v_cmp_gt_u32_e64 s5, s19, v20
	v_cmp_ne_u32_e64 s4, v3, v4
	v_cmp_gt_u32_e64 s6, s19, v23
	v_or_b32_e32 v20, 3, v21
	s_and_b32 s0, s0, vcc_lo
	v_or_b32_e32 v24, 4, v21
	v_cndmask_b32_e64 v19, 0, 1, s0
	s_and_b32 s0, s5, s1
	v_cmp_gt_u32_e32 vcc_lo, s19, v20
	v_cndmask_b32_e64 v23, 0, 1, s0
	s_and_b32 s0, s6, s4
	v_or_b32_e32 v20, 2, v21
	v_cndmask_b32_e64 v25, 0, 1, s0
	v_cmp_ne_u32_e64 s0, v5, v6
	v_cmp_gt_u32_e64 s1, s19, v24
	v_or_b32_e32 v24, 1, v21
	v_cmp_ne_u32_e64 s4, v6, v3
	v_cmp_ne_u32_e64 s6, v7, v8
	s_and_b32 s0, vcc_lo, s0
	v_cmp_gt_u32_e32 vcc_lo, s19, v20
	v_cndmask_b32_e64 v26, 0, 1, s0
	v_cmp_ne_u32_e64 s0, v8, v5
	v_cmp_gt_u32_e64 s5, s19, v24
	s_and_b32 s1, s1, s4
	v_lshlrev_b16 v25, 8, v25
	v_cndmask_b32_e64 v20, 0, 1, s1
	s_and_b32 s0, vcc_lo, s0
	v_lshlrev_b16 v26, 8, v26
	v_cndmask_b32_e64 v24, 0, 1, s0
	s_and_b32 s0, s5, s6
	v_lshlrev_b16 v19, 8, v19
	v_cndmask_b32_e64 v27, 0, 1, s0
	v_or_b32_e32 v20, v20, v25
	v_or_b32_e32 v24, v24, v26
	v_cmp_gt_u32_e32 vcc_lo, s19, v21
	v_or_b32_e32 v19, v23, v19
	v_lshlrev_b16 v26, 8, v27
	v_and_b32_e32 v20, 0xffff, v20
	v_lshlrev_b32_e32 v23, 16, v24
	s_waitcnt lgkmcnt(0)
	v_cmp_ne_u32_e64 s0, v22, v7
	v_lshlrev_b32_e32 v25, 16, v19
	v_and_b32_e32 v24, 0xffff, v26
	s_delay_alu instid0(VALU_DEP_3) | instskip(NEXT) | instid1(VALU_DEP_2)
	s_and_b32 s0, vcc_lo, s0
	v_or_b32_e32 v20, v20, v25
	s_delay_alu instid0(VALU_DEP_2)
	v_or_b32_e32 v19, v24, v23
.LBB819_54:
	s_mov_b32 s14, -1
	s_cbranch_execnz .LBB819_63
.LBB819_55:
	s_waitcnt vmcnt(0) lgkmcnt(1)
	v_lshlrev_b32_e32 v22, 2, v0
	v_cmp_ne_u32_e64 s1, v1, v2
	v_cmp_ne_u32_e64 s4, v4, v1
	;; [unrolled: 1-line block ×7, first 2 shown]
	s_and_b32 vcc_lo, exec_lo, s20
	ds_store_b32 v22, v2
	s_cbranch_vccz .LBB819_59
; %bb.56:
	v_cndmask_b32_e64 v19, 0, 1, s1
	v_cndmask_b32_e64 v23, 0, 1, s5
	;; [unrolled: 1-line block ×7, first 2 shown]
	v_lshlrev_b16 v23, 8, v23
	v_lshlrev_b16 v19, 8, v19
	;; [unrolled: 1-line block ×4, first 2 shown]
	s_waitcnt lgkmcnt(0)
	v_or_b32_e32 v23, v24, v23
	v_or_b32_e32 v19, v20, v19
	;; [unrolled: 1-line block ×4, first 2 shown]
	s_barrier
	v_and_b32_e32 v23, 0xffff, v23
	v_lshlrev_b32_e32 v19, 16, v19
	v_lshlrev_b32_e32 v25, 16, v20
	v_and_b32_e32 v24, 0xffff, v24
	buffer_gl0_inv
                                        ; implicit-def: $sgpr0
	v_or_b32_e32 v20, v23, v19
	v_or_b32_e32 v19, v24, v25
	s_and_saveexec_b32 s1, s3
	s_delay_alu instid0(SALU_CYCLE_1)
	s_xor_b32 s1, exec_lo, s1
	s_cbranch_execz .LBB819_58
; %bb.57:
	v_add_nc_u32_e32 v23, -4, v22
	s_or_b32 s14, s14, exec_lo
	ds_load_b32 v23, v23
	s_waitcnt lgkmcnt(0)
	v_cmp_ne_u32_e32 vcc_lo, v23, v7
	s_and_b32 s0, vcc_lo, exec_lo
.LBB819_58:
	s_or_b32 exec_lo, exec_lo, s1
	s_branch .LBB819_63
.LBB819_59:
                                        ; implicit-def: $sgpr0
                                        ; implicit-def: $vgpr20
	s_cbranch_execz .LBB819_63
; %bb.60:
	v_or_b32_e32 v19, 7, v21
	v_or_b32_e32 v20, 6, v21
	v_cmp_ne_u32_e32 vcc_lo, v1, v2
	v_cmp_ne_u32_e64 s1, v4, v1
	v_or_b32_e32 v23, 5, v21
	v_cmp_gt_u32_e64 s0, s19, v19
	v_cmp_gt_u32_e64 s4, s19, v20
	v_or_b32_e32 v19, 4, v21
	v_or_b32_e32 v24, 3, v21
	v_cmp_gt_u32_e64 s5, s19, v23
	s_and_b32 s0, s0, vcc_lo
	v_cmp_ne_u32_e32 vcc_lo, v3, v4
	v_cndmask_b32_e64 v20, 0, 1, s0
	s_and_b32 s0, s4, s1
	v_cmp_ne_u32_e64 s1, v6, v3
	v_cndmask_b32_e64 v23, 0, 1, s0
	v_cmp_gt_u32_e64 s0, s19, v19
	v_or_b32_e32 v25, 1, v21
	s_and_b32 s4, s5, vcc_lo
	v_cmp_gt_u32_e32 vcc_lo, s19, v24
	v_cndmask_b32_e64 v19, 0, 1, s4
	s_and_b32 s0, s0, s1
	v_or_b32_e32 v27, 2, v21
	v_cndmask_b32_e64 v26, 0, 1, s0
	v_cmp_ne_u32_e64 s0, v5, v6
	v_cmp_gt_u32_e64 s1, s19, v25
	v_cmp_ne_u32_e64 s4, v7, v8
	v_cmp_gt_u32_e64 s5, s19, v27
	v_cmp_ne_u32_e64 s6, v8, v5
	s_and_b32 s0, vcc_lo, s0
	v_lshlrev_b16 v19, 8, v19
	v_cndmask_b32_e64 v24, 0, 1, s0
	s_and_b32 s0, s1, s4
	v_lshlrev_b16 v20, 8, v20
	v_cndmask_b32_e64 v25, 0, 1, s0
	s_and_b32 s0, s5, s6
	v_lshlrev_b16 v24, 8, v24
	v_cndmask_b32_e64 v27, 0, 1, s0
	v_or_b32_e32 v19, v26, v19
	v_lshlrev_b16 v25, 8, v25
	v_or_b32_e32 v20, v23, v20
	s_waitcnt lgkmcnt(0)
	v_or_b32_e32 v23, v27, v24
	v_and_b32_e32 v19, 0xffff, v19
	v_or_b32_e32 v24, 1, v25
	v_lshlrev_b32_e32 v20, 16, v20
	s_barrier
	v_lshlrev_b32_e32 v23, 16, v23
	buffer_gl0_inv
	v_and_b32_e32 v24, 0xffff, v24
	v_or_b32_e32 v20, v19, v20
                                        ; implicit-def: $sgpr0
	s_delay_alu instid0(VALU_DEP_2)
	v_or_b32_e32 v19, v24, v23
	s_and_saveexec_b32 s1, s3
	s_cbranch_execz .LBB819_62
; %bb.61:
	v_add_nc_u32_e32 v22, -4, v22
	v_cmp_gt_u32_e32 vcc_lo, s19, v21
	s_or_b32 s14, s14, exec_lo
	ds_load_b32 v22, v22
	s_waitcnt lgkmcnt(0)
	v_cmp_ne_u32_e64 s0, v22, v7
	s_delay_alu instid0(VALU_DEP_1) | instskip(NEXT) | instid1(SALU_CYCLE_1)
	s_and_b32 s0, vcc_lo, s0
	s_and_b32 s0, s0, exec_lo
.LBB819_62:
	s_or_b32 exec_lo, exec_lo, s1
.LBB819_63:
	s_and_saveexec_b32 s1, s14
	s_cbranch_execz .LBB819_65
; %bb.64:
	s_waitcnt vmcnt(0) lgkmcnt(1)
	v_and_b32_e32 v22, 0xffffff00, v19
	v_cndmask_b32_e64 v23, 0, 1, s0
	s_delay_alu instid0(VALU_DEP_1) | instskip(NEXT) | instid1(VALU_DEP_1)
	v_or_b32_e32 v22, v23, v22
	v_and_b32_e32 v22, 0xffff, v22
	s_delay_alu instid0(VALU_DEP_1)
	v_and_or_b32 v19, 0xffff0000, v19, v22
.LBB819_65:
	s_or_b32 exec_lo, exec_lo, s1
	s_delay_alu instid0(SALU_CYCLE_1)
	s_and_not1_b32 vcc_lo, exec_lo, s17
	s_cbranch_vccnz .LBB819_67
; %bb.66:
	v_cmp_gt_u32_e32 vcc_lo, s19, v21
	v_or_b32_e32 v23, 1, v21
	v_and_b32_e32 v24, 0xffffff00, v20
	v_or_b32_e32 v25, 2, v21
	s_waitcnt vmcnt(0) lgkmcnt(1)
	v_cndmask_b32_e32 v22, 0, v19, vcc_lo
	v_cmp_gt_u32_e32 vcc_lo, s19, v23
	v_or_b32_e32 v23, 4, v21
	v_cmp_gt_u32_e64 s0, s19, v25
	v_or_b32_e32 v25, 3, v21
	v_and_b32_e32 v22, 0xff, v22
	s_delay_alu instid0(VALU_DEP_2) | instskip(NEXT) | instid1(VALU_DEP_2)
	v_cmp_gt_u32_e64 s1, s19, v25
	v_cndmask_b32_e32 v22, v22, v19, vcc_lo
	v_cmp_gt_u32_e32 vcc_lo, s19, v23
	s_delay_alu instid0(VALU_DEP_2) | instskip(SKIP_1) | instid1(VALU_DEP_2)
	v_dual_cndmask_b32 v23, v24, v20 :: v_dual_and_b32 v22, 0xffff, v22
	v_or_b32_e32 v24, 5, v21
	v_cndmask_b32_e64 v22, v22, v19, s0
	s_delay_alu instid0(VALU_DEP_3) | instskip(NEXT) | instid1(VALU_DEP_3)
	v_and_b32_e32 v23, 0xffff00ff, v23
	v_cmp_gt_u32_e64 s0, s19, v24
	v_or_b32_e32 v24, 6, v21
	v_or_b32_e32 v21, 7, v21
	v_and_b32_e32 v22, 0xffffff, v22
	s_delay_alu instid0(VALU_DEP_4) | instskip(NEXT) | instid1(VALU_DEP_2)
	v_cndmask_b32_e64 v23, v23, v20, s0
	v_cndmask_b32_e64 v22, v22, v19, s1
	s_delay_alu instid0(VALU_DEP_2) | instskip(NEXT) | instid1(VALU_DEP_2)
	v_and_b32_e32 v23, 0xff00ffff, v23
	v_cndmask_b32_e32 v22, v22, v19, vcc_lo
	v_cmp_gt_u32_e32 vcc_lo, s19, v24
	s_delay_alu instid0(VALU_DEP_2) | instskip(NEXT) | instid1(VALU_DEP_1)
	v_cndmask_b32_e64 v22, v22, v19, s0
	v_dual_cndmask_b32 v23, v23, v20 :: v_dual_cndmask_b32 v22, v22, v19
	s_delay_alu instid0(VALU_DEP_1) | instskip(SKIP_1) | instid1(VALU_DEP_2)
	v_and_b32_e32 v23, 0xffffff, v23
	v_cmp_gt_u32_e32 vcc_lo, s19, v21
	v_dual_cndmask_b32 v20, v23, v20 :: v_dual_cndmask_b32 v19, v22, v19
.LBB819_67:
	s_delay_alu instid0(VALU_DEP_1) | instskip(NEXT) | instid1(VALU_DEP_2)
	v_and_b32_e32 v30, 0xff, v19
	v_alignbit_b32 v21, v20, v19, 24
	v_bfe_u32 v31, v19, 8, 8
	v_bfe_u32 v32, v19, 16, 8
	v_and_b32_e32 v34, 0xff, v20
	v_bfe_u32 v35, v20, 8, 8
	v_and_b32_e32 v33, 0xff, v21
	v_add_nc_u32_e32 v21, v31, v30
	s_waitcnt vmcnt(0) lgkmcnt(1)
	v_and_b32_e32 v22, 0x1e0, v0
	v_mbcnt_lo_u32_b32 v37, -1, 0
	v_bfe_u32 v36, v20, 16, 8
	v_lshrrev_b32_e32 v29, 24, v20
	v_add3_u32 v21, v21, v32, v33
	v_min_u32_e32 v22, 0x160, v22
	v_and_b32_e32 v23, 15, v37
	v_lshrrev_b32_e32 v38, 5, v0
	s_and_b32 vcc_lo, exec_lo, s9
	v_add3_u32 v21, v21, v34, v35
	v_or_b32_e32 v22, 31, v22
	v_cmp_eq_u32_e64 s3, 0, v23
	v_cmp_lt_u32_e64 s4, 1, v23
	v_cmp_lt_u32_e64 s1, 3, v23
	v_add3_u32 v39, v21, v36, v29
	v_and_b32_e32 v21, 16, v37
	v_cmp_lt_u32_e64 s0, 7, v23
	v_cmp_eq_u32_e64 s5, v22, v0
	s_mov_b32 s7, -1
	s_waitcnt lgkmcnt(0)
	v_cmp_eq_u32_e64 s6, 0, v21
	s_barrier
	buffer_gl0_inv
	s_cbranch_vccz .LBB819_93
; %bb.68:
	v_mov_b32_dpp v21, v39 row_shr:1 row_mask:0xf bank_mask:0xf
	s_delay_alu instid0(VALU_DEP_1) | instskip(NEXT) | instid1(VALU_DEP_1)
	v_cndmask_b32_e64 v21, v21, 0, s3
	v_add_nc_u32_e32 v21, v21, v39
	s_delay_alu instid0(VALU_DEP_1) | instskip(NEXT) | instid1(VALU_DEP_1)
	v_mov_b32_dpp v22, v21 row_shr:2 row_mask:0xf bank_mask:0xf
	v_cndmask_b32_e64 v22, 0, v22, s4
	s_delay_alu instid0(VALU_DEP_1) | instskip(NEXT) | instid1(VALU_DEP_1)
	v_add_nc_u32_e32 v21, v21, v22
	v_mov_b32_dpp v22, v21 row_shr:4 row_mask:0xf bank_mask:0xf
	s_delay_alu instid0(VALU_DEP_1) | instskip(NEXT) | instid1(VALU_DEP_1)
	v_cndmask_b32_e64 v22, 0, v22, s1
	v_add_nc_u32_e32 v21, v21, v22
	s_delay_alu instid0(VALU_DEP_1) | instskip(NEXT) | instid1(VALU_DEP_1)
	v_mov_b32_dpp v22, v21 row_shr:8 row_mask:0xf bank_mask:0xf
	v_cndmask_b32_e64 v22, 0, v22, s0
	s_delay_alu instid0(VALU_DEP_1) | instskip(SKIP_3) | instid1(VALU_DEP_1)
	v_add_nc_u32_e32 v21, v21, v22
	ds_swizzle_b32 v22, v21 offset:swizzle(BROADCAST,32,15)
	s_waitcnt lgkmcnt(0)
	v_cndmask_b32_e64 v22, v22, 0, s6
	v_add_nc_u32_e32 v21, v21, v22
	s_and_saveexec_b32 s7, s5
	s_cbranch_execz .LBB819_70
; %bb.69:
	v_lshlrev_b32_e32 v22, 2, v38
	ds_store_b32 v22, v21
.LBB819_70:
	s_or_b32 exec_lo, exec_lo, s7
	s_delay_alu instid0(SALU_CYCLE_1)
	s_mov_b32 s7, exec_lo
	s_waitcnt lgkmcnt(0)
	s_barrier
	buffer_gl0_inv
	v_cmpx_gt_u32_e32 12, v0
	s_cbranch_execz .LBB819_72
; %bb.71:
	v_lshlrev_b32_e32 v22, 2, v0
	ds_load_b32 v23, v22
	s_waitcnt lgkmcnt(0)
	v_mov_b32_dpp v24, v23 row_shr:1 row_mask:0xf bank_mask:0xf
	s_delay_alu instid0(VALU_DEP_1) | instskip(NEXT) | instid1(VALU_DEP_1)
	v_cndmask_b32_e64 v24, v24, 0, s3
	v_add_nc_u32_e32 v23, v24, v23
	s_delay_alu instid0(VALU_DEP_1) | instskip(NEXT) | instid1(VALU_DEP_1)
	v_mov_b32_dpp v24, v23 row_shr:2 row_mask:0xf bank_mask:0xf
	v_cndmask_b32_e64 v24, 0, v24, s4
	s_delay_alu instid0(VALU_DEP_1) | instskip(NEXT) | instid1(VALU_DEP_1)
	v_add_nc_u32_e32 v23, v23, v24
	v_mov_b32_dpp v24, v23 row_shr:4 row_mask:0xf bank_mask:0xf
	s_delay_alu instid0(VALU_DEP_1) | instskip(NEXT) | instid1(VALU_DEP_1)
	v_cndmask_b32_e64 v24, 0, v24, s1
	v_add_nc_u32_e32 v23, v23, v24
	s_delay_alu instid0(VALU_DEP_1) | instskip(NEXT) | instid1(VALU_DEP_1)
	v_mov_b32_dpp v24, v23 row_shr:8 row_mask:0xf bank_mask:0xf
	v_cndmask_b32_e64 v24, 0, v24, s0
	s_delay_alu instid0(VALU_DEP_1)
	v_add_nc_u32_e32 v23, v23, v24
	ds_store_b32 v22, v23
.LBB819_72:
	s_or_b32 exec_lo, exec_lo, s7
	v_cmp_gt_u32_e32 vcc_lo, 32, v0
	s_mov_b32 s8, exec_lo
	s_waitcnt lgkmcnt(0)
	s_barrier
	buffer_gl0_inv
                                        ; implicit-def: $vgpr40
	v_cmpx_lt_u32_e32 31, v0
	s_cbranch_execz .LBB819_74
; %bb.73:
	v_lshl_add_u32 v22, v38, 2, -4
	ds_load_b32 v40, v22
	s_waitcnt lgkmcnt(0)
	v_add_nc_u32_e32 v21, v40, v21
.LBB819_74:
	s_or_b32 exec_lo, exec_lo, s8
	v_add_nc_u32_e32 v22, -1, v37
	s_delay_alu instid0(VALU_DEP_1) | instskip(NEXT) | instid1(VALU_DEP_1)
	v_cmp_gt_i32_e64 s7, 0, v22
	v_cndmask_b32_e64 v22, v22, v37, s7
	v_cmp_eq_u32_e64 s7, 0, v37
	s_delay_alu instid0(VALU_DEP_2)
	v_lshlrev_b32_e32 v22, 2, v22
	ds_bpermute_b32 v41, v22, v21
	s_and_saveexec_b32 s8, vcc_lo
	s_cbranch_execz .LBB819_92
; %bb.75:
	v_mov_b32_e32 v25, 0
	ds_load_b32 v21, v25 offset:44
	s_and_saveexec_b32 s9, s7
	s_cbranch_execz .LBB819_77
; %bb.76:
	s_add_i32 s14, s18, 32
	s_mov_b32 s15, 0
	v_mov_b32_e32 v22, 1
	s_lshl_b64 s[14:15], s[14:15], 3
	s_delay_alu instid0(SALU_CYCLE_1)
	s_add_u32 s14, s10, s14
	s_addc_u32 s15, s11, s15
	s_waitcnt lgkmcnt(0)
	global_store_b64 v25, v[21:22], s[14:15]
.LBB819_77:
	s_or_b32 exec_lo, exec_lo, s9
	v_xad_u32 v23, v37, -1, s18
	s_mov_b32 s14, 0
	s_mov_b32 s9, exec_lo
	s_delay_alu instid0(VALU_DEP_1) | instskip(NEXT) | instid1(VALU_DEP_1)
	v_add_nc_u32_e32 v24, 32, v23
	v_lshlrev_b64 v[24:25], 3, v[24:25]
	s_delay_alu instid0(VALU_DEP_1) | instskip(NEXT) | instid1(VALU_DEP_2)
	v_add_co_u32 v27, vcc_lo, s10, v24
	v_add_co_ci_u32_e32 v28, vcc_lo, s11, v25, vcc_lo
	global_load_b64 v[25:26], v[27:28], off glc
	s_waitcnt vmcnt(0)
	v_and_b32_e32 v22, 0xff, v26
	s_delay_alu instid0(VALU_DEP_1)
	v_cmpx_eq_u16_e32 0, v22
	s_cbranch_execz .LBB819_80
.LBB819_78:                             ; =>This Inner Loop Header: Depth=1
	global_load_b64 v[25:26], v[27:28], off glc
	s_waitcnt vmcnt(0)
	v_and_b32_e32 v22, 0xff, v26
	s_delay_alu instid0(VALU_DEP_1) | instskip(SKIP_1) | instid1(SALU_CYCLE_1)
	v_cmp_ne_u16_e32 vcc_lo, 0, v22
	s_or_b32 s14, vcc_lo, s14
	s_and_not1_b32 exec_lo, exec_lo, s14
	s_cbranch_execnz .LBB819_78
; %bb.79:
	s_or_b32 exec_lo, exec_lo, s14
.LBB819_80:
	s_delay_alu instid0(SALU_CYCLE_1)
	s_or_b32 exec_lo, exec_lo, s9
	v_cmp_ne_u32_e32 vcc_lo, 31, v37
	v_lshlrev_b32_e64 v43, v37, -1
	v_add_nc_u32_e32 v45, 2, v37
	v_add_nc_u32_e32 v47, 4, v37
	;; [unrolled: 1-line block ×3, first 2 shown]
	v_add_co_ci_u32_e32 v22, vcc_lo, 0, v37, vcc_lo
	v_add_nc_u32_e32 v51, 16, v37
	s_delay_alu instid0(VALU_DEP_2)
	v_lshlrev_b32_e32 v42, 2, v22
	v_and_b32_e32 v22, 0xff, v26
	ds_bpermute_b32 v24, v42, v25
	v_cmp_eq_u16_e32 vcc_lo, 2, v22
	v_and_or_b32 v22, vcc_lo, v43, 0x80000000
	v_cmp_gt_u32_e32 vcc_lo, 30, v37
	s_delay_alu instid0(VALU_DEP_2) | instskip(SKIP_1) | instid1(VALU_DEP_2)
	v_ctz_i32_b32_e32 v22, v22
	v_cndmask_b32_e64 v27, 0, 1, vcc_lo
	v_cmp_lt_u32_e32 vcc_lo, v37, v22
	s_waitcnt lgkmcnt(0)
	s_delay_alu instid0(VALU_DEP_2) | instskip(NEXT) | instid1(VALU_DEP_1)
	v_dual_cndmask_b32 v24, 0, v24 :: v_dual_lshlrev_b32 v27, 1, v27
	v_add_lshl_u32 v44, v27, v37, 2
	v_cmp_gt_u32_e32 vcc_lo, 28, v37
	s_delay_alu instid0(VALU_DEP_3) | instskip(SKIP_4) | instid1(VALU_DEP_1)
	v_add_nc_u32_e32 v24, v24, v25
	v_cndmask_b32_e64 v27, 0, 1, vcc_lo
	v_cmp_le_u32_e32 vcc_lo, v45, v22
	ds_bpermute_b32 v25, v44, v24
	v_lshlrev_b32_e32 v27, 2, v27
	v_add_lshl_u32 v46, v27, v37, 2
	s_waitcnt lgkmcnt(0)
	v_cndmask_b32_e32 v25, 0, v25, vcc_lo
	v_cmp_gt_u32_e32 vcc_lo, 24, v37
	s_delay_alu instid0(VALU_DEP_2) | instskip(SKIP_4) | instid1(VALU_DEP_1)
	v_add_nc_u32_e32 v24, v24, v25
	v_cndmask_b32_e64 v27, 0, 1, vcc_lo
	v_cmp_le_u32_e32 vcc_lo, v47, v22
	ds_bpermute_b32 v25, v46, v24
	v_lshlrev_b32_e32 v27, 3, v27
	v_add_lshl_u32 v48, v27, v37, 2
	s_waitcnt lgkmcnt(0)
	v_cndmask_b32_e32 v25, 0, v25, vcc_lo
	v_cmp_gt_u32_e32 vcc_lo, 16, v37
	s_delay_alu instid0(VALU_DEP_2) | instskip(SKIP_4) | instid1(VALU_DEP_1)
	v_add_nc_u32_e32 v24, v24, v25
	v_cndmask_b32_e64 v27, 0, 1, vcc_lo
	v_cmp_le_u32_e32 vcc_lo, v49, v22
	ds_bpermute_b32 v25, v48, v24
	v_lshlrev_b32_e32 v27, 4, v27
	v_add_lshl_u32 v50, v27, v37, 2
	s_waitcnt lgkmcnt(0)
	v_cndmask_b32_e32 v25, 0, v25, vcc_lo
	v_cmp_le_u32_e32 vcc_lo, v51, v22
	s_delay_alu instid0(VALU_DEP_2) | instskip(SKIP_3) | instid1(VALU_DEP_1)
	v_add_nc_u32_e32 v24, v24, v25
	ds_bpermute_b32 v25, v50, v24
	s_waitcnt lgkmcnt(0)
	v_cndmask_b32_e32 v22, 0, v25, vcc_lo
	v_dual_mov_b32 v24, 0 :: v_dual_add_nc_u32 v25, v24, v22
	s_branch .LBB819_82
.LBB819_81:                             ;   in Loop: Header=BB819_82 Depth=1
	s_or_b32 exec_lo, exec_lo, s9
	ds_bpermute_b32 v28, v42, v25
	v_and_b32_e32 v27, 0xff, v26
	v_subrev_nc_u32_e32 v23, 32, v23
	s_delay_alu instid0(VALU_DEP_2) | instskip(SKIP_1) | instid1(VALU_DEP_1)
	v_cmp_eq_u16_e32 vcc_lo, 2, v27
	v_and_or_b32 v27, vcc_lo, v43, 0x80000000
	v_ctz_i32_b32_e32 v27, v27
	s_delay_alu instid0(VALU_DEP_1) | instskip(SKIP_3) | instid1(VALU_DEP_2)
	v_cmp_lt_u32_e32 vcc_lo, v37, v27
	s_waitcnt lgkmcnt(0)
	v_cndmask_b32_e32 v28, 0, v28, vcc_lo
	v_cmp_le_u32_e32 vcc_lo, v45, v27
	v_add_nc_u32_e32 v25, v28, v25
	ds_bpermute_b32 v28, v44, v25
	s_waitcnt lgkmcnt(0)
	v_cndmask_b32_e32 v28, 0, v28, vcc_lo
	v_cmp_le_u32_e32 vcc_lo, v47, v27
	s_delay_alu instid0(VALU_DEP_2) | instskip(SKIP_4) | instid1(VALU_DEP_2)
	v_add_nc_u32_e32 v25, v25, v28
	ds_bpermute_b32 v28, v46, v25
	s_waitcnt lgkmcnt(0)
	v_cndmask_b32_e32 v28, 0, v28, vcc_lo
	v_cmp_le_u32_e32 vcc_lo, v49, v27
	v_add_nc_u32_e32 v25, v25, v28
	ds_bpermute_b32 v28, v48, v25
	s_waitcnt lgkmcnt(0)
	v_cndmask_b32_e32 v28, 0, v28, vcc_lo
	v_cmp_le_u32_e32 vcc_lo, v51, v27
	s_delay_alu instid0(VALU_DEP_2) | instskip(SKIP_3) | instid1(VALU_DEP_1)
	v_add_nc_u32_e32 v25, v25, v28
	ds_bpermute_b32 v28, v50, v25
	s_waitcnt lgkmcnt(0)
	v_cndmask_b32_e32 v27, 0, v28, vcc_lo
	v_add3_u32 v25, v27, v22, v25
.LBB819_82:                             ; =>This Loop Header: Depth=1
                                        ;     Child Loop BB819_85 Depth 2
	v_and_b32_e32 v22, 0xff, v26
	s_delay_alu instid0(VALU_DEP_1) | instskip(SKIP_2) | instid1(VALU_DEP_1)
	v_cmp_ne_u16_e32 vcc_lo, 2, v22
	v_cndmask_b32_e64 v22, 0, 1, vcc_lo
	;;#ASMSTART
	;;#ASMEND
	v_cmp_ne_u32_e32 vcc_lo, 0, v22
	v_mov_b32_e32 v22, v25
	s_cmp_lg_u32 vcc_lo, exec_lo
	s_cbranch_scc1 .LBB819_87
; %bb.83:                               ;   in Loop: Header=BB819_82 Depth=1
	v_lshlrev_b64 v[25:26], 3, v[23:24]
	s_mov_b32 s9, exec_lo
	s_delay_alu instid0(VALU_DEP_1) | instskip(NEXT) | instid1(VALU_DEP_2)
	v_add_co_u32 v27, vcc_lo, s10, v25
	v_add_co_ci_u32_e32 v28, vcc_lo, s11, v26, vcc_lo
	global_load_b64 v[25:26], v[27:28], off glc
	s_waitcnt vmcnt(0)
	v_and_b32_e32 v52, 0xff, v26
	s_delay_alu instid0(VALU_DEP_1)
	v_cmpx_eq_u16_e32 0, v52
	s_cbranch_execz .LBB819_81
; %bb.84:                               ;   in Loop: Header=BB819_82 Depth=1
	s_mov_b32 s14, 0
.LBB819_85:                             ;   Parent Loop BB819_82 Depth=1
                                        ; =>  This Inner Loop Header: Depth=2
	global_load_b64 v[25:26], v[27:28], off glc
	s_waitcnt vmcnt(0)
	v_and_b32_e32 v52, 0xff, v26
	s_delay_alu instid0(VALU_DEP_1) | instskip(SKIP_1) | instid1(SALU_CYCLE_1)
	v_cmp_ne_u16_e32 vcc_lo, 0, v52
	s_or_b32 s14, vcc_lo, s14
	s_and_not1_b32 exec_lo, exec_lo, s14
	s_cbranch_execnz .LBB819_85
; %bb.86:                               ;   in Loop: Header=BB819_82 Depth=1
	s_or_b32 exec_lo, exec_lo, s14
	s_branch .LBB819_81
.LBB819_87:                             ;   in Loop: Header=BB819_82 Depth=1
                                        ; implicit-def: $vgpr25
                                        ; implicit-def: $vgpr26
	s_cbranch_execz .LBB819_82
; %bb.88:
	s_and_saveexec_b32 s9, s7
	s_cbranch_execz .LBB819_90
; %bb.89:
	s_add_i32 s14, s18, 32
	s_mov_b32 s15, 0
	v_dual_mov_b32 v24, 2 :: v_dual_add_nc_u32 v23, v22, v21
	s_lshl_b64 s[14:15], s[14:15], 3
	v_mov_b32_e32 v25, 0
	s_add_u32 s14, s10, s14
	s_addc_u32 s15, s11, s15
	global_store_b64 v25, v[23:24], s[14:15]
	ds_store_b64 v25, v[21:22] offset:12672
.LBB819_90:
	s_or_b32 exec_lo, exec_lo, s9
	s_delay_alu instid0(SALU_CYCLE_1)
	s_and_b32 exec_lo, exec_lo, s2
	s_cbranch_execz .LBB819_92
; %bb.91:
	v_mov_b32_e32 v21, 0
	ds_store_b32 v21, v22 offset:44
.LBB819_92:
	s_or_b32 exec_lo, exec_lo, s8
	v_mov_b32_e32 v21, 0
	s_waitcnt lgkmcnt(0)
	s_waitcnt_vscnt null, 0x0
	s_barrier
	buffer_gl0_inv
	v_cndmask_b32_e64 v23, v41, v40, s7
	ds_load_b32 v22, v21 offset:44
	s_waitcnt lgkmcnt(0)
	s_barrier
	buffer_gl0_inv
	v_cndmask_b32_e64 v23, v23, 0, s2
	s_delay_alu instid0(VALU_DEP_1) | instskip(NEXT) | instid1(VALU_DEP_1)
	v_add_nc_u32_e32 v43, v22, v23
	v_add_nc_u32_e32 v42, v43, v30
	ds_load_b64 v[21:22], v21 offset:12672
	v_add_nc_u32_e32 v41, v42, v31
	s_delay_alu instid0(VALU_DEP_1) | instskip(NEXT) | instid1(VALU_DEP_1)
	v_add_nc_u32_e32 v40, v41, v32
	v_add_nc_u32_e32 v28, v40, v33
	s_delay_alu instid0(VALU_DEP_1) | instskip(NEXT) | instid1(VALU_DEP_1)
	v_add_nc_u32_e32 v27, v28, v34
	v_add_nc_u32_e32 v26, v27, v35
	s_delay_alu instid0(VALU_DEP_1)
	v_add_nc_u32_e32 v25, v26, v36
	v_lshrrev_b64 v[23:24], 24, v[19:20]
	s_branch .LBB819_103
.LBB819_93:
                                        ; implicit-def: $vgpr25
                                        ; implicit-def: $vgpr26
                                        ; implicit-def: $vgpr27
                                        ; implicit-def: $vgpr28
                                        ; implicit-def: $vgpr40
                                        ; implicit-def: $vgpr41
                                        ; implicit-def: $vgpr42
                                        ; implicit-def: $vgpr43
                                        ; implicit-def: $vgpr22
	v_lshrrev_b64 v[23:24], 24, v[19:20]
	s_and_b32 vcc_lo, exec_lo, s7
	s_cbranch_vccz .LBB819_103
; %bb.94:
	s_waitcnt lgkmcnt(0)
	v_mov_b32_dpp v21, v39 row_shr:1 row_mask:0xf bank_mask:0xf
	s_delay_alu instid0(VALU_DEP_1) | instskip(NEXT) | instid1(VALU_DEP_1)
	v_cndmask_b32_e64 v21, v21, 0, s3
	v_add_nc_u32_e32 v21, v21, v39
	s_delay_alu instid0(VALU_DEP_1) | instskip(NEXT) | instid1(VALU_DEP_1)
	v_mov_b32_dpp v22, v21 row_shr:2 row_mask:0xf bank_mask:0xf
	v_cndmask_b32_e64 v22, 0, v22, s4
	s_delay_alu instid0(VALU_DEP_1) | instskip(NEXT) | instid1(VALU_DEP_1)
	v_add_nc_u32_e32 v21, v21, v22
	v_mov_b32_dpp v22, v21 row_shr:4 row_mask:0xf bank_mask:0xf
	s_delay_alu instid0(VALU_DEP_1) | instskip(NEXT) | instid1(VALU_DEP_1)
	v_cndmask_b32_e64 v22, 0, v22, s1
	v_add_nc_u32_e32 v21, v21, v22
	s_delay_alu instid0(VALU_DEP_1) | instskip(NEXT) | instid1(VALU_DEP_1)
	v_mov_b32_dpp v22, v21 row_shr:8 row_mask:0xf bank_mask:0xf
	v_cndmask_b32_e64 v22, 0, v22, s0
	s_delay_alu instid0(VALU_DEP_1) | instskip(SKIP_3) | instid1(VALU_DEP_1)
	v_add_nc_u32_e32 v21, v21, v22
	ds_swizzle_b32 v22, v21 offset:swizzle(BROADCAST,32,15)
	s_waitcnt lgkmcnt(0)
	v_cndmask_b32_e64 v22, v22, 0, s6
	v_add_nc_u32_e32 v21, v21, v22
	s_and_saveexec_b32 s6, s5
	s_cbranch_execz .LBB819_96
; %bb.95:
	v_lshlrev_b32_e32 v22, 2, v38
	ds_store_b32 v22, v21
.LBB819_96:
	s_or_b32 exec_lo, exec_lo, s6
	s_delay_alu instid0(SALU_CYCLE_1)
	s_mov_b32 s5, exec_lo
	s_waitcnt lgkmcnt(0)
	s_barrier
	buffer_gl0_inv
	v_cmpx_gt_u32_e32 12, v0
	s_cbranch_execz .LBB819_98
; %bb.97:
	v_lshlrev_b32_e32 v22, 2, v0
	ds_load_b32 v24, v22
	s_waitcnt lgkmcnt(0)
	v_mov_b32_dpp v25, v24 row_shr:1 row_mask:0xf bank_mask:0xf
	s_delay_alu instid0(VALU_DEP_1) | instskip(NEXT) | instid1(VALU_DEP_1)
	v_cndmask_b32_e64 v25, v25, 0, s3
	v_add_nc_u32_e32 v24, v25, v24
	s_delay_alu instid0(VALU_DEP_1) | instskip(NEXT) | instid1(VALU_DEP_1)
	v_mov_b32_dpp v25, v24 row_shr:2 row_mask:0xf bank_mask:0xf
	v_cndmask_b32_e64 v25, 0, v25, s4
	s_delay_alu instid0(VALU_DEP_1) | instskip(NEXT) | instid1(VALU_DEP_1)
	v_add_nc_u32_e32 v24, v24, v25
	v_mov_b32_dpp v25, v24 row_shr:4 row_mask:0xf bank_mask:0xf
	s_delay_alu instid0(VALU_DEP_1) | instskip(NEXT) | instid1(VALU_DEP_1)
	v_cndmask_b32_e64 v25, 0, v25, s1
	v_add_nc_u32_e32 v24, v24, v25
	s_delay_alu instid0(VALU_DEP_1) | instskip(NEXT) | instid1(VALU_DEP_1)
	v_mov_b32_dpp v25, v24 row_shr:8 row_mask:0xf bank_mask:0xf
	v_cndmask_b32_e64 v25, 0, v25, s0
	s_delay_alu instid0(VALU_DEP_1)
	v_add_nc_u32_e32 v24, v24, v25
	ds_store_b32 v22, v24
.LBB819_98:
	s_or_b32 exec_lo, exec_lo, s5
	v_cmp_lt_u32_e32 vcc_lo, 31, v0
	v_mov_b32_e32 v22, 0
	v_mov_b32_e32 v0, 0
	s_waitcnt lgkmcnt(0)
	s_barrier
	buffer_gl0_inv
	s_and_saveexec_b32 s0, vcc_lo
	s_cbranch_execz .LBB819_100
; %bb.99:
	v_lshl_add_u32 v0, v38, 2, -4
	ds_load_b32 v0, v0
.LBB819_100:
	s_or_b32 exec_lo, exec_lo, s0
	v_add_nc_u32_e32 v24, -1, v37
	s_waitcnt lgkmcnt(0)
	v_add_nc_u32_e32 v21, v0, v21
	s_delay_alu instid0(VALU_DEP_2) | instskip(SKIP_1) | instid1(VALU_DEP_1)
	v_cmp_gt_i32_e32 vcc_lo, 0, v24
	v_cndmask_b32_e32 v24, v24, v37, vcc_lo
	v_lshlrev_b32_e32 v24, 2, v24
	ds_bpermute_b32 v24, v24, v21
	ds_load_b32 v21, v22 offset:44
	s_and_saveexec_b32 s0, s2
	s_cbranch_execz .LBB819_102
; %bb.101:
	v_dual_mov_b32 v25, 0 :: v_dual_mov_b32 v22, 2
	s_waitcnt lgkmcnt(0)
	global_store_b64 v25, v[21:22], s[10:11] offset:256
.LBB819_102:
	s_or_b32 exec_lo, exec_lo, s0
	v_cmp_eq_u32_e32 vcc_lo, 0, v37
	s_waitcnt lgkmcnt(0)
	s_waitcnt_vscnt null, 0x0
	s_barrier
	buffer_gl0_inv
	v_mov_b32_e32 v22, 0
	v_cndmask_b32_e32 v0, v24, v0, vcc_lo
	s_delay_alu instid0(VALU_DEP_1) | instskip(NEXT) | instid1(VALU_DEP_1)
	v_cndmask_b32_e64 v43, v0, 0, s2
	v_add_nc_u32_e32 v42, v43, v30
	s_delay_alu instid0(VALU_DEP_1) | instskip(NEXT) | instid1(VALU_DEP_1)
	v_add_nc_u32_e32 v41, v42, v31
	v_add_nc_u32_e32 v40, v41, v32
	s_delay_alu instid0(VALU_DEP_1) | instskip(NEXT) | instid1(VALU_DEP_1)
	v_add_nc_u32_e32 v28, v40, v33
	v_add_nc_u32_e32 v27, v28, v34
	s_delay_alu instid0(VALU_DEP_1) | instskip(NEXT) | instid1(VALU_DEP_1)
	v_add_nc_u32_e32 v26, v27, v35
	v_add_nc_u32_e32 v25, v26, v36
.LBB819_103:
	v_lshrrev_b32_e32 v31, 8, v19
	v_lshrrev_b32_e32 v30, 16, v19
	v_and_b32_e32 v19, 1, v19
	s_waitcnt lgkmcnt(0)
	v_cmp_gt_u32_e32 vcc_lo, 0x181, v21
	v_lshrrev_b32_e32 v24, 8, v20
	v_lshrrev_b32_e32 v0, 16, v20
	v_cmp_lt_u32_e64 s0, 0x180, v21
	v_cmp_eq_u32_e64 s1, 1, v19
	s_cbranch_vccnz .LBB819_121
; %bb.104:
	s_delay_alu instid0(VALU_DEP_1)
	s_and_saveexec_b32 s3, s1
	s_cbranch_execz .LBB819_106
; %bb.105:
	v_sub_nc_u32_e32 v32, v43, v22
	s_delay_alu instid0(VALU_DEP_1)
	v_lshlrev_b32_e32 v32, 2, v32
	ds_store_b32 v32, v7
.LBB819_106:
	s_or_b32 exec_lo, exec_lo, s3
	v_and_b32_e32 v7, 1, v31
	s_mov_b32 s1, exec_lo
	s_delay_alu instid0(VALU_DEP_1)
	v_cmpx_eq_u32_e32 1, v7
	s_cbranch_execz .LBB819_108
; %bb.107:
	v_sub_nc_u32_e32 v7, v42, v22
	s_delay_alu instid0(VALU_DEP_1)
	v_lshlrev_b32_e32 v7, 2, v7
	ds_store_b32 v7, v8
.LBB819_108:
	s_or_b32 exec_lo, exec_lo, s1
	v_and_b32_e32 v7, 1, v30
	s_mov_b32 s1, exec_lo
	s_delay_alu instid0(VALU_DEP_1)
	v_cmpx_eq_u32_e32 1, v7
	;; [unrolled: 12-line block ×7, first 2 shown]
	s_cbranch_execz .LBB819_120
; %bb.119:
	v_sub_nc_u32_e32 v1, v25, v22
	s_delay_alu instid0(VALU_DEP_1)
	v_lshlrev_b32_e32 v1, 2, v1
	ds_store_b32 v1, v2
.LBB819_120:
	s_or_b32 exec_lo, exec_lo, s1
	s_waitcnt lgkmcnt(0)
	s_barrier
	buffer_gl0_inv
.LBB819_121:
	s_delay_alu instid0(VALU_DEP_2)
	s_and_not1_b32 vcc_lo, exec_lo, s0
	s_barrier
	buffer_gl0_inv
	s_cbranch_vccnz .LBB819_140
; %bb.122:
	s_mov_b32 s0, exec_lo
	v_cmpx_eq_u32_e32 1, v19
	s_cbranch_execz .LBB819_124
; %bb.123:
	v_sub_nc_u32_e32 v1, v43, v22
	s_delay_alu instid0(VALU_DEP_1)
	v_lshlrev_b32_e32 v1, 2, v1
	ds_store_b32 v1, v17
.LBB819_124:
	s_or_b32 exec_lo, exec_lo, s0
	v_and_b32_e32 v1, 1, v31
	s_mov_b32 s0, exec_lo
	s_delay_alu instid0(VALU_DEP_1)
	v_cmpx_eq_u32_e32 1, v1
	s_cbranch_execz .LBB819_126
; %bb.125:
	v_sub_nc_u32_e32 v1, v42, v22
	s_delay_alu instid0(VALU_DEP_1)
	v_lshlrev_b32_e32 v1, 2, v1
	ds_store_b32 v1, v18
.LBB819_126:
	s_or_b32 exec_lo, exec_lo, s0
	v_and_b32_e32 v1, 1, v30
	s_mov_b32 s0, exec_lo
	s_delay_alu instid0(VALU_DEP_1)
	;; [unrolled: 12-line block ×7, first 2 shown]
	v_cmpx_eq_u32_e32 1, v0
	s_cbranch_execz .LBB819_138
; %bb.137:
	v_sub_nc_u32_e32 v0, v25, v22
	s_delay_alu instid0(VALU_DEP_1)
	v_lshlrev_b32_e32 v0, 2, v0
	ds_store_b32 v0, v12
.LBB819_138:
	s_or_b32 exec_lo, exec_lo, s0
	s_waitcnt lgkmcnt(0)
	s_barrier
	buffer_gl0_inv
	s_and_b32 s0, s2, s16
	s_delay_alu instid0(SALU_CYCLE_1)
	s_and_saveexec_b32 s1, s0
	s_cbranch_execnz .LBB819_141
.LBB819_139:
	s_endpgm
.LBB819_140:
	s_and_b32 s0, s2, s16
	s_delay_alu instid0(SALU_CYCLE_1)
	s_and_saveexec_b32 s1, s0
	s_cbranch_execz .LBB819_139
.LBB819_141:
	v_add_co_u32 v0, vcc_lo, v9, v21
	v_add_co_ci_u32_e32 v1, vcc_lo, 0, v10, vcc_lo
	v_mov_b32_e32 v2, 0
	s_delay_alu instid0(VALU_DEP_3) | instskip(NEXT) | instid1(VALU_DEP_3)
	v_add_co_u32 v0, vcc_lo, v0, v22
	v_add_co_ci_u32_e32 v1, vcc_lo, 0, v1, vcc_lo
	global_store_b64 v2, v[0:1], s[12:13]
	s_nop 0
	s_sendmsg sendmsg(MSG_DEALLOC_VGPRS)
	s_endpgm
	.section	.rodata,"a",@progbits
	.p2align	6, 0x0
	.amdhsa_kernel _ZN7rocprim17ROCPRIM_400000_NS6detail17trampoline_kernelINS0_14default_configENS1_25partition_config_selectorILNS1_17partition_subalgoE9EjjbEEZZNS1_14partition_implILS5_9ELb0ES3_jN6thrust23THRUST_200600_302600_NS6detail15normal_iteratorINS9_10device_ptrIjEEEESE_PNS0_10empty_typeENS0_5tupleIJNS9_16discard_iteratorINS9_11use_defaultEEESF_EEENSH_IJSK_SG_EEENS0_18inequality_wrapperINS9_8equal_toIjEEEEPmJSF_EEE10hipError_tPvRmT3_T4_T5_T6_T7_T9_mT8_P12ihipStream_tbDpT10_ENKUlT_T0_E_clISt17integral_constantIbLb0EES1A_IbLb1EEEEDaS16_S17_EUlS16_E_NS1_11comp_targetILNS1_3genE9ELNS1_11target_archE1100ELNS1_3gpuE3ELNS1_3repE0EEENS1_30default_config_static_selectorELNS0_4arch9wavefront6targetE0EEEvT1_
		.amdhsa_group_segment_fixed_size 12680
		.amdhsa_private_segment_fixed_size 0
		.amdhsa_kernarg_size 144
		.amdhsa_user_sgpr_count 15
		.amdhsa_user_sgpr_dispatch_ptr 0
		.amdhsa_user_sgpr_queue_ptr 0
		.amdhsa_user_sgpr_kernarg_segment_ptr 1
		.amdhsa_user_sgpr_dispatch_id 0
		.amdhsa_user_sgpr_private_segment_size 0
		.amdhsa_wavefront_size32 1
		.amdhsa_uses_dynamic_stack 0
		.amdhsa_enable_private_segment 0
		.amdhsa_system_sgpr_workgroup_id_x 1
		.amdhsa_system_sgpr_workgroup_id_y 0
		.amdhsa_system_sgpr_workgroup_id_z 0
		.amdhsa_system_sgpr_workgroup_info 0
		.amdhsa_system_vgpr_workitem_id 0
		.amdhsa_next_free_vgpr 53
		.amdhsa_next_free_sgpr 24
		.amdhsa_reserve_vcc 1
		.amdhsa_float_round_mode_32 0
		.amdhsa_float_round_mode_16_64 0
		.amdhsa_float_denorm_mode_32 3
		.amdhsa_float_denorm_mode_16_64 3
		.amdhsa_dx10_clamp 1
		.amdhsa_ieee_mode 1
		.amdhsa_fp16_overflow 0
		.amdhsa_workgroup_processor_mode 1
		.amdhsa_memory_ordered 1
		.amdhsa_forward_progress 0
		.amdhsa_shared_vgpr_count 0
		.amdhsa_exception_fp_ieee_invalid_op 0
		.amdhsa_exception_fp_denorm_src 0
		.amdhsa_exception_fp_ieee_div_zero 0
		.amdhsa_exception_fp_ieee_overflow 0
		.amdhsa_exception_fp_ieee_underflow 0
		.amdhsa_exception_fp_ieee_inexact 0
		.amdhsa_exception_int_div_zero 0
	.end_amdhsa_kernel
	.section	.text._ZN7rocprim17ROCPRIM_400000_NS6detail17trampoline_kernelINS0_14default_configENS1_25partition_config_selectorILNS1_17partition_subalgoE9EjjbEEZZNS1_14partition_implILS5_9ELb0ES3_jN6thrust23THRUST_200600_302600_NS6detail15normal_iteratorINS9_10device_ptrIjEEEESE_PNS0_10empty_typeENS0_5tupleIJNS9_16discard_iteratorINS9_11use_defaultEEESF_EEENSH_IJSK_SG_EEENS0_18inequality_wrapperINS9_8equal_toIjEEEEPmJSF_EEE10hipError_tPvRmT3_T4_T5_T6_T7_T9_mT8_P12ihipStream_tbDpT10_ENKUlT_T0_E_clISt17integral_constantIbLb0EES1A_IbLb1EEEEDaS16_S17_EUlS16_E_NS1_11comp_targetILNS1_3genE9ELNS1_11target_archE1100ELNS1_3gpuE3ELNS1_3repE0EEENS1_30default_config_static_selectorELNS0_4arch9wavefront6targetE0EEEvT1_,"axG",@progbits,_ZN7rocprim17ROCPRIM_400000_NS6detail17trampoline_kernelINS0_14default_configENS1_25partition_config_selectorILNS1_17partition_subalgoE9EjjbEEZZNS1_14partition_implILS5_9ELb0ES3_jN6thrust23THRUST_200600_302600_NS6detail15normal_iteratorINS9_10device_ptrIjEEEESE_PNS0_10empty_typeENS0_5tupleIJNS9_16discard_iteratorINS9_11use_defaultEEESF_EEENSH_IJSK_SG_EEENS0_18inequality_wrapperINS9_8equal_toIjEEEEPmJSF_EEE10hipError_tPvRmT3_T4_T5_T6_T7_T9_mT8_P12ihipStream_tbDpT10_ENKUlT_T0_E_clISt17integral_constantIbLb0EES1A_IbLb1EEEEDaS16_S17_EUlS16_E_NS1_11comp_targetILNS1_3genE9ELNS1_11target_archE1100ELNS1_3gpuE3ELNS1_3repE0EEENS1_30default_config_static_selectorELNS0_4arch9wavefront6targetE0EEEvT1_,comdat
.Lfunc_end819:
	.size	_ZN7rocprim17ROCPRIM_400000_NS6detail17trampoline_kernelINS0_14default_configENS1_25partition_config_selectorILNS1_17partition_subalgoE9EjjbEEZZNS1_14partition_implILS5_9ELb0ES3_jN6thrust23THRUST_200600_302600_NS6detail15normal_iteratorINS9_10device_ptrIjEEEESE_PNS0_10empty_typeENS0_5tupleIJNS9_16discard_iteratorINS9_11use_defaultEEESF_EEENSH_IJSK_SG_EEENS0_18inequality_wrapperINS9_8equal_toIjEEEEPmJSF_EEE10hipError_tPvRmT3_T4_T5_T6_T7_T9_mT8_P12ihipStream_tbDpT10_ENKUlT_T0_E_clISt17integral_constantIbLb0EES1A_IbLb1EEEEDaS16_S17_EUlS16_E_NS1_11comp_targetILNS1_3genE9ELNS1_11target_archE1100ELNS1_3gpuE3ELNS1_3repE0EEENS1_30default_config_static_selectorELNS0_4arch9wavefront6targetE0EEEvT1_, .Lfunc_end819-_ZN7rocprim17ROCPRIM_400000_NS6detail17trampoline_kernelINS0_14default_configENS1_25partition_config_selectorILNS1_17partition_subalgoE9EjjbEEZZNS1_14partition_implILS5_9ELb0ES3_jN6thrust23THRUST_200600_302600_NS6detail15normal_iteratorINS9_10device_ptrIjEEEESE_PNS0_10empty_typeENS0_5tupleIJNS9_16discard_iteratorINS9_11use_defaultEEESF_EEENSH_IJSK_SG_EEENS0_18inequality_wrapperINS9_8equal_toIjEEEEPmJSF_EEE10hipError_tPvRmT3_T4_T5_T6_T7_T9_mT8_P12ihipStream_tbDpT10_ENKUlT_T0_E_clISt17integral_constantIbLb0EES1A_IbLb1EEEEDaS16_S17_EUlS16_E_NS1_11comp_targetILNS1_3genE9ELNS1_11target_archE1100ELNS1_3gpuE3ELNS1_3repE0EEENS1_30default_config_static_selectorELNS0_4arch9wavefront6targetE0EEEvT1_
                                        ; -- End function
	.section	.AMDGPU.csdata,"",@progbits
; Kernel info:
; codeLenInByte = 7588
; NumSgprs: 26
; NumVgprs: 53
; ScratchSize: 0
; MemoryBound: 0
; FloatMode: 240
; IeeeMode: 1
; LDSByteSize: 12680 bytes/workgroup (compile time only)
; SGPRBlocks: 3
; VGPRBlocks: 6
; NumSGPRsForWavesPerEU: 26
; NumVGPRsForWavesPerEU: 53
; Occupancy: 15
; WaveLimiterHint : 1
; COMPUTE_PGM_RSRC2:SCRATCH_EN: 0
; COMPUTE_PGM_RSRC2:USER_SGPR: 15
; COMPUTE_PGM_RSRC2:TRAP_HANDLER: 0
; COMPUTE_PGM_RSRC2:TGID_X_EN: 1
; COMPUTE_PGM_RSRC2:TGID_Y_EN: 0
; COMPUTE_PGM_RSRC2:TGID_Z_EN: 0
; COMPUTE_PGM_RSRC2:TIDIG_COMP_CNT: 0
	.section	.text._ZN7rocprim17ROCPRIM_400000_NS6detail17trampoline_kernelINS0_14default_configENS1_25partition_config_selectorILNS1_17partition_subalgoE9EjjbEEZZNS1_14partition_implILS5_9ELb0ES3_jN6thrust23THRUST_200600_302600_NS6detail15normal_iteratorINS9_10device_ptrIjEEEESE_PNS0_10empty_typeENS0_5tupleIJNS9_16discard_iteratorINS9_11use_defaultEEESF_EEENSH_IJSK_SG_EEENS0_18inequality_wrapperINS9_8equal_toIjEEEEPmJSF_EEE10hipError_tPvRmT3_T4_T5_T6_T7_T9_mT8_P12ihipStream_tbDpT10_ENKUlT_T0_E_clISt17integral_constantIbLb0EES1A_IbLb1EEEEDaS16_S17_EUlS16_E_NS1_11comp_targetILNS1_3genE8ELNS1_11target_archE1030ELNS1_3gpuE2ELNS1_3repE0EEENS1_30default_config_static_selectorELNS0_4arch9wavefront6targetE0EEEvT1_,"axG",@progbits,_ZN7rocprim17ROCPRIM_400000_NS6detail17trampoline_kernelINS0_14default_configENS1_25partition_config_selectorILNS1_17partition_subalgoE9EjjbEEZZNS1_14partition_implILS5_9ELb0ES3_jN6thrust23THRUST_200600_302600_NS6detail15normal_iteratorINS9_10device_ptrIjEEEESE_PNS0_10empty_typeENS0_5tupleIJNS9_16discard_iteratorINS9_11use_defaultEEESF_EEENSH_IJSK_SG_EEENS0_18inequality_wrapperINS9_8equal_toIjEEEEPmJSF_EEE10hipError_tPvRmT3_T4_T5_T6_T7_T9_mT8_P12ihipStream_tbDpT10_ENKUlT_T0_E_clISt17integral_constantIbLb0EES1A_IbLb1EEEEDaS16_S17_EUlS16_E_NS1_11comp_targetILNS1_3genE8ELNS1_11target_archE1030ELNS1_3gpuE2ELNS1_3repE0EEENS1_30default_config_static_selectorELNS0_4arch9wavefront6targetE0EEEvT1_,comdat
	.protected	_ZN7rocprim17ROCPRIM_400000_NS6detail17trampoline_kernelINS0_14default_configENS1_25partition_config_selectorILNS1_17partition_subalgoE9EjjbEEZZNS1_14partition_implILS5_9ELb0ES3_jN6thrust23THRUST_200600_302600_NS6detail15normal_iteratorINS9_10device_ptrIjEEEESE_PNS0_10empty_typeENS0_5tupleIJNS9_16discard_iteratorINS9_11use_defaultEEESF_EEENSH_IJSK_SG_EEENS0_18inequality_wrapperINS9_8equal_toIjEEEEPmJSF_EEE10hipError_tPvRmT3_T4_T5_T6_T7_T9_mT8_P12ihipStream_tbDpT10_ENKUlT_T0_E_clISt17integral_constantIbLb0EES1A_IbLb1EEEEDaS16_S17_EUlS16_E_NS1_11comp_targetILNS1_3genE8ELNS1_11target_archE1030ELNS1_3gpuE2ELNS1_3repE0EEENS1_30default_config_static_selectorELNS0_4arch9wavefront6targetE0EEEvT1_ ; -- Begin function _ZN7rocprim17ROCPRIM_400000_NS6detail17trampoline_kernelINS0_14default_configENS1_25partition_config_selectorILNS1_17partition_subalgoE9EjjbEEZZNS1_14partition_implILS5_9ELb0ES3_jN6thrust23THRUST_200600_302600_NS6detail15normal_iteratorINS9_10device_ptrIjEEEESE_PNS0_10empty_typeENS0_5tupleIJNS9_16discard_iteratorINS9_11use_defaultEEESF_EEENSH_IJSK_SG_EEENS0_18inequality_wrapperINS9_8equal_toIjEEEEPmJSF_EEE10hipError_tPvRmT3_T4_T5_T6_T7_T9_mT8_P12ihipStream_tbDpT10_ENKUlT_T0_E_clISt17integral_constantIbLb0EES1A_IbLb1EEEEDaS16_S17_EUlS16_E_NS1_11comp_targetILNS1_3genE8ELNS1_11target_archE1030ELNS1_3gpuE2ELNS1_3repE0EEENS1_30default_config_static_selectorELNS0_4arch9wavefront6targetE0EEEvT1_
	.globl	_ZN7rocprim17ROCPRIM_400000_NS6detail17trampoline_kernelINS0_14default_configENS1_25partition_config_selectorILNS1_17partition_subalgoE9EjjbEEZZNS1_14partition_implILS5_9ELb0ES3_jN6thrust23THRUST_200600_302600_NS6detail15normal_iteratorINS9_10device_ptrIjEEEESE_PNS0_10empty_typeENS0_5tupleIJNS9_16discard_iteratorINS9_11use_defaultEEESF_EEENSH_IJSK_SG_EEENS0_18inequality_wrapperINS9_8equal_toIjEEEEPmJSF_EEE10hipError_tPvRmT3_T4_T5_T6_T7_T9_mT8_P12ihipStream_tbDpT10_ENKUlT_T0_E_clISt17integral_constantIbLb0EES1A_IbLb1EEEEDaS16_S17_EUlS16_E_NS1_11comp_targetILNS1_3genE8ELNS1_11target_archE1030ELNS1_3gpuE2ELNS1_3repE0EEENS1_30default_config_static_selectorELNS0_4arch9wavefront6targetE0EEEvT1_
	.p2align	8
	.type	_ZN7rocprim17ROCPRIM_400000_NS6detail17trampoline_kernelINS0_14default_configENS1_25partition_config_selectorILNS1_17partition_subalgoE9EjjbEEZZNS1_14partition_implILS5_9ELb0ES3_jN6thrust23THRUST_200600_302600_NS6detail15normal_iteratorINS9_10device_ptrIjEEEESE_PNS0_10empty_typeENS0_5tupleIJNS9_16discard_iteratorINS9_11use_defaultEEESF_EEENSH_IJSK_SG_EEENS0_18inequality_wrapperINS9_8equal_toIjEEEEPmJSF_EEE10hipError_tPvRmT3_T4_T5_T6_T7_T9_mT8_P12ihipStream_tbDpT10_ENKUlT_T0_E_clISt17integral_constantIbLb0EES1A_IbLb1EEEEDaS16_S17_EUlS16_E_NS1_11comp_targetILNS1_3genE8ELNS1_11target_archE1030ELNS1_3gpuE2ELNS1_3repE0EEENS1_30default_config_static_selectorELNS0_4arch9wavefront6targetE0EEEvT1_,@function
_ZN7rocprim17ROCPRIM_400000_NS6detail17trampoline_kernelINS0_14default_configENS1_25partition_config_selectorILNS1_17partition_subalgoE9EjjbEEZZNS1_14partition_implILS5_9ELb0ES3_jN6thrust23THRUST_200600_302600_NS6detail15normal_iteratorINS9_10device_ptrIjEEEESE_PNS0_10empty_typeENS0_5tupleIJNS9_16discard_iteratorINS9_11use_defaultEEESF_EEENSH_IJSK_SG_EEENS0_18inequality_wrapperINS9_8equal_toIjEEEEPmJSF_EEE10hipError_tPvRmT3_T4_T5_T6_T7_T9_mT8_P12ihipStream_tbDpT10_ENKUlT_T0_E_clISt17integral_constantIbLb0EES1A_IbLb1EEEEDaS16_S17_EUlS16_E_NS1_11comp_targetILNS1_3genE8ELNS1_11target_archE1030ELNS1_3gpuE2ELNS1_3repE0EEENS1_30default_config_static_selectorELNS0_4arch9wavefront6targetE0EEEvT1_: ; @_ZN7rocprim17ROCPRIM_400000_NS6detail17trampoline_kernelINS0_14default_configENS1_25partition_config_selectorILNS1_17partition_subalgoE9EjjbEEZZNS1_14partition_implILS5_9ELb0ES3_jN6thrust23THRUST_200600_302600_NS6detail15normal_iteratorINS9_10device_ptrIjEEEESE_PNS0_10empty_typeENS0_5tupleIJNS9_16discard_iteratorINS9_11use_defaultEEESF_EEENSH_IJSK_SG_EEENS0_18inequality_wrapperINS9_8equal_toIjEEEEPmJSF_EEE10hipError_tPvRmT3_T4_T5_T6_T7_T9_mT8_P12ihipStream_tbDpT10_ENKUlT_T0_E_clISt17integral_constantIbLb0EES1A_IbLb1EEEEDaS16_S17_EUlS16_E_NS1_11comp_targetILNS1_3genE8ELNS1_11target_archE1030ELNS1_3gpuE2ELNS1_3repE0EEENS1_30default_config_static_selectorELNS0_4arch9wavefront6targetE0EEEvT1_
; %bb.0:
	.section	.rodata,"a",@progbits
	.p2align	6, 0x0
	.amdhsa_kernel _ZN7rocprim17ROCPRIM_400000_NS6detail17trampoline_kernelINS0_14default_configENS1_25partition_config_selectorILNS1_17partition_subalgoE9EjjbEEZZNS1_14partition_implILS5_9ELb0ES3_jN6thrust23THRUST_200600_302600_NS6detail15normal_iteratorINS9_10device_ptrIjEEEESE_PNS0_10empty_typeENS0_5tupleIJNS9_16discard_iteratorINS9_11use_defaultEEESF_EEENSH_IJSK_SG_EEENS0_18inequality_wrapperINS9_8equal_toIjEEEEPmJSF_EEE10hipError_tPvRmT3_T4_T5_T6_T7_T9_mT8_P12ihipStream_tbDpT10_ENKUlT_T0_E_clISt17integral_constantIbLb0EES1A_IbLb1EEEEDaS16_S17_EUlS16_E_NS1_11comp_targetILNS1_3genE8ELNS1_11target_archE1030ELNS1_3gpuE2ELNS1_3repE0EEENS1_30default_config_static_selectorELNS0_4arch9wavefront6targetE0EEEvT1_
		.amdhsa_group_segment_fixed_size 0
		.amdhsa_private_segment_fixed_size 0
		.amdhsa_kernarg_size 144
		.amdhsa_user_sgpr_count 15
		.amdhsa_user_sgpr_dispatch_ptr 0
		.amdhsa_user_sgpr_queue_ptr 0
		.amdhsa_user_sgpr_kernarg_segment_ptr 1
		.amdhsa_user_sgpr_dispatch_id 0
		.amdhsa_user_sgpr_private_segment_size 0
		.amdhsa_wavefront_size32 1
		.amdhsa_uses_dynamic_stack 0
		.amdhsa_enable_private_segment 0
		.amdhsa_system_sgpr_workgroup_id_x 1
		.amdhsa_system_sgpr_workgroup_id_y 0
		.amdhsa_system_sgpr_workgroup_id_z 0
		.amdhsa_system_sgpr_workgroup_info 0
		.amdhsa_system_vgpr_workitem_id 0
		.amdhsa_next_free_vgpr 1
		.amdhsa_next_free_sgpr 1
		.amdhsa_reserve_vcc 0
		.amdhsa_float_round_mode_32 0
		.amdhsa_float_round_mode_16_64 0
		.amdhsa_float_denorm_mode_32 3
		.amdhsa_float_denorm_mode_16_64 3
		.amdhsa_dx10_clamp 1
		.amdhsa_ieee_mode 1
		.amdhsa_fp16_overflow 0
		.amdhsa_workgroup_processor_mode 1
		.amdhsa_memory_ordered 1
		.amdhsa_forward_progress 0
		.amdhsa_shared_vgpr_count 0
		.amdhsa_exception_fp_ieee_invalid_op 0
		.amdhsa_exception_fp_denorm_src 0
		.amdhsa_exception_fp_ieee_div_zero 0
		.amdhsa_exception_fp_ieee_overflow 0
		.amdhsa_exception_fp_ieee_underflow 0
		.amdhsa_exception_fp_ieee_inexact 0
		.amdhsa_exception_int_div_zero 0
	.end_amdhsa_kernel
	.section	.text._ZN7rocprim17ROCPRIM_400000_NS6detail17trampoline_kernelINS0_14default_configENS1_25partition_config_selectorILNS1_17partition_subalgoE9EjjbEEZZNS1_14partition_implILS5_9ELb0ES3_jN6thrust23THRUST_200600_302600_NS6detail15normal_iteratorINS9_10device_ptrIjEEEESE_PNS0_10empty_typeENS0_5tupleIJNS9_16discard_iteratorINS9_11use_defaultEEESF_EEENSH_IJSK_SG_EEENS0_18inequality_wrapperINS9_8equal_toIjEEEEPmJSF_EEE10hipError_tPvRmT3_T4_T5_T6_T7_T9_mT8_P12ihipStream_tbDpT10_ENKUlT_T0_E_clISt17integral_constantIbLb0EES1A_IbLb1EEEEDaS16_S17_EUlS16_E_NS1_11comp_targetILNS1_3genE8ELNS1_11target_archE1030ELNS1_3gpuE2ELNS1_3repE0EEENS1_30default_config_static_selectorELNS0_4arch9wavefront6targetE0EEEvT1_,"axG",@progbits,_ZN7rocprim17ROCPRIM_400000_NS6detail17trampoline_kernelINS0_14default_configENS1_25partition_config_selectorILNS1_17partition_subalgoE9EjjbEEZZNS1_14partition_implILS5_9ELb0ES3_jN6thrust23THRUST_200600_302600_NS6detail15normal_iteratorINS9_10device_ptrIjEEEESE_PNS0_10empty_typeENS0_5tupleIJNS9_16discard_iteratorINS9_11use_defaultEEESF_EEENSH_IJSK_SG_EEENS0_18inequality_wrapperINS9_8equal_toIjEEEEPmJSF_EEE10hipError_tPvRmT3_T4_T5_T6_T7_T9_mT8_P12ihipStream_tbDpT10_ENKUlT_T0_E_clISt17integral_constantIbLb0EES1A_IbLb1EEEEDaS16_S17_EUlS16_E_NS1_11comp_targetILNS1_3genE8ELNS1_11target_archE1030ELNS1_3gpuE2ELNS1_3repE0EEENS1_30default_config_static_selectorELNS0_4arch9wavefront6targetE0EEEvT1_,comdat
.Lfunc_end820:
	.size	_ZN7rocprim17ROCPRIM_400000_NS6detail17trampoline_kernelINS0_14default_configENS1_25partition_config_selectorILNS1_17partition_subalgoE9EjjbEEZZNS1_14partition_implILS5_9ELb0ES3_jN6thrust23THRUST_200600_302600_NS6detail15normal_iteratorINS9_10device_ptrIjEEEESE_PNS0_10empty_typeENS0_5tupleIJNS9_16discard_iteratorINS9_11use_defaultEEESF_EEENSH_IJSK_SG_EEENS0_18inequality_wrapperINS9_8equal_toIjEEEEPmJSF_EEE10hipError_tPvRmT3_T4_T5_T6_T7_T9_mT8_P12ihipStream_tbDpT10_ENKUlT_T0_E_clISt17integral_constantIbLb0EES1A_IbLb1EEEEDaS16_S17_EUlS16_E_NS1_11comp_targetILNS1_3genE8ELNS1_11target_archE1030ELNS1_3gpuE2ELNS1_3repE0EEENS1_30default_config_static_selectorELNS0_4arch9wavefront6targetE0EEEvT1_, .Lfunc_end820-_ZN7rocprim17ROCPRIM_400000_NS6detail17trampoline_kernelINS0_14default_configENS1_25partition_config_selectorILNS1_17partition_subalgoE9EjjbEEZZNS1_14partition_implILS5_9ELb0ES3_jN6thrust23THRUST_200600_302600_NS6detail15normal_iteratorINS9_10device_ptrIjEEEESE_PNS0_10empty_typeENS0_5tupleIJNS9_16discard_iteratorINS9_11use_defaultEEESF_EEENSH_IJSK_SG_EEENS0_18inequality_wrapperINS9_8equal_toIjEEEEPmJSF_EEE10hipError_tPvRmT3_T4_T5_T6_T7_T9_mT8_P12ihipStream_tbDpT10_ENKUlT_T0_E_clISt17integral_constantIbLb0EES1A_IbLb1EEEEDaS16_S17_EUlS16_E_NS1_11comp_targetILNS1_3genE8ELNS1_11target_archE1030ELNS1_3gpuE2ELNS1_3repE0EEENS1_30default_config_static_selectorELNS0_4arch9wavefront6targetE0EEEvT1_
                                        ; -- End function
	.section	.AMDGPU.csdata,"",@progbits
; Kernel info:
; codeLenInByte = 0
; NumSgprs: 0
; NumVgprs: 0
; ScratchSize: 0
; MemoryBound: 0
; FloatMode: 240
; IeeeMode: 1
; LDSByteSize: 0 bytes/workgroup (compile time only)
; SGPRBlocks: 0
; VGPRBlocks: 0
; NumSGPRsForWavesPerEU: 1
; NumVGPRsForWavesPerEU: 1
; Occupancy: 16
; WaveLimiterHint : 0
; COMPUTE_PGM_RSRC2:SCRATCH_EN: 0
; COMPUTE_PGM_RSRC2:USER_SGPR: 15
; COMPUTE_PGM_RSRC2:TRAP_HANDLER: 0
; COMPUTE_PGM_RSRC2:TGID_X_EN: 1
; COMPUTE_PGM_RSRC2:TGID_Y_EN: 0
; COMPUTE_PGM_RSRC2:TGID_Z_EN: 0
; COMPUTE_PGM_RSRC2:TIDIG_COMP_CNT: 0
	.section	.text._ZN7rocprim17ROCPRIM_400000_NS6detail17trampoline_kernelINS0_14default_configENS1_25partition_config_selectorILNS1_17partition_subalgoE9EjjbEEZZNS1_14partition_implILS5_9ELb0ES3_jN6thrust23THRUST_200600_302600_NS6detail15normal_iteratorINS9_10device_ptrIjEEEESE_PNS0_10empty_typeENS0_5tupleIJSE_SF_EEENSH_IJNS9_16discard_iteratorINS9_11use_defaultEEESG_EEENS0_18inequality_wrapperINS9_8equal_toIjEEEEPmJSF_EEE10hipError_tPvRmT3_T4_T5_T6_T7_T9_mT8_P12ihipStream_tbDpT10_ENKUlT_T0_E_clISt17integral_constantIbLb0EES1B_EEDaS16_S17_EUlS16_E_NS1_11comp_targetILNS1_3genE0ELNS1_11target_archE4294967295ELNS1_3gpuE0ELNS1_3repE0EEENS1_30default_config_static_selectorELNS0_4arch9wavefront6targetE0EEEvT1_,"axG",@progbits,_ZN7rocprim17ROCPRIM_400000_NS6detail17trampoline_kernelINS0_14default_configENS1_25partition_config_selectorILNS1_17partition_subalgoE9EjjbEEZZNS1_14partition_implILS5_9ELb0ES3_jN6thrust23THRUST_200600_302600_NS6detail15normal_iteratorINS9_10device_ptrIjEEEESE_PNS0_10empty_typeENS0_5tupleIJSE_SF_EEENSH_IJNS9_16discard_iteratorINS9_11use_defaultEEESG_EEENS0_18inequality_wrapperINS9_8equal_toIjEEEEPmJSF_EEE10hipError_tPvRmT3_T4_T5_T6_T7_T9_mT8_P12ihipStream_tbDpT10_ENKUlT_T0_E_clISt17integral_constantIbLb0EES1B_EEDaS16_S17_EUlS16_E_NS1_11comp_targetILNS1_3genE0ELNS1_11target_archE4294967295ELNS1_3gpuE0ELNS1_3repE0EEENS1_30default_config_static_selectorELNS0_4arch9wavefront6targetE0EEEvT1_,comdat
	.protected	_ZN7rocprim17ROCPRIM_400000_NS6detail17trampoline_kernelINS0_14default_configENS1_25partition_config_selectorILNS1_17partition_subalgoE9EjjbEEZZNS1_14partition_implILS5_9ELb0ES3_jN6thrust23THRUST_200600_302600_NS6detail15normal_iteratorINS9_10device_ptrIjEEEESE_PNS0_10empty_typeENS0_5tupleIJSE_SF_EEENSH_IJNS9_16discard_iteratorINS9_11use_defaultEEESG_EEENS0_18inequality_wrapperINS9_8equal_toIjEEEEPmJSF_EEE10hipError_tPvRmT3_T4_T5_T6_T7_T9_mT8_P12ihipStream_tbDpT10_ENKUlT_T0_E_clISt17integral_constantIbLb0EES1B_EEDaS16_S17_EUlS16_E_NS1_11comp_targetILNS1_3genE0ELNS1_11target_archE4294967295ELNS1_3gpuE0ELNS1_3repE0EEENS1_30default_config_static_selectorELNS0_4arch9wavefront6targetE0EEEvT1_ ; -- Begin function _ZN7rocprim17ROCPRIM_400000_NS6detail17trampoline_kernelINS0_14default_configENS1_25partition_config_selectorILNS1_17partition_subalgoE9EjjbEEZZNS1_14partition_implILS5_9ELb0ES3_jN6thrust23THRUST_200600_302600_NS6detail15normal_iteratorINS9_10device_ptrIjEEEESE_PNS0_10empty_typeENS0_5tupleIJSE_SF_EEENSH_IJNS9_16discard_iteratorINS9_11use_defaultEEESG_EEENS0_18inequality_wrapperINS9_8equal_toIjEEEEPmJSF_EEE10hipError_tPvRmT3_T4_T5_T6_T7_T9_mT8_P12ihipStream_tbDpT10_ENKUlT_T0_E_clISt17integral_constantIbLb0EES1B_EEDaS16_S17_EUlS16_E_NS1_11comp_targetILNS1_3genE0ELNS1_11target_archE4294967295ELNS1_3gpuE0ELNS1_3repE0EEENS1_30default_config_static_selectorELNS0_4arch9wavefront6targetE0EEEvT1_
	.globl	_ZN7rocprim17ROCPRIM_400000_NS6detail17trampoline_kernelINS0_14default_configENS1_25partition_config_selectorILNS1_17partition_subalgoE9EjjbEEZZNS1_14partition_implILS5_9ELb0ES3_jN6thrust23THRUST_200600_302600_NS6detail15normal_iteratorINS9_10device_ptrIjEEEESE_PNS0_10empty_typeENS0_5tupleIJSE_SF_EEENSH_IJNS9_16discard_iteratorINS9_11use_defaultEEESG_EEENS0_18inequality_wrapperINS9_8equal_toIjEEEEPmJSF_EEE10hipError_tPvRmT3_T4_T5_T6_T7_T9_mT8_P12ihipStream_tbDpT10_ENKUlT_T0_E_clISt17integral_constantIbLb0EES1B_EEDaS16_S17_EUlS16_E_NS1_11comp_targetILNS1_3genE0ELNS1_11target_archE4294967295ELNS1_3gpuE0ELNS1_3repE0EEENS1_30default_config_static_selectorELNS0_4arch9wavefront6targetE0EEEvT1_
	.p2align	8
	.type	_ZN7rocprim17ROCPRIM_400000_NS6detail17trampoline_kernelINS0_14default_configENS1_25partition_config_selectorILNS1_17partition_subalgoE9EjjbEEZZNS1_14partition_implILS5_9ELb0ES3_jN6thrust23THRUST_200600_302600_NS6detail15normal_iteratorINS9_10device_ptrIjEEEESE_PNS0_10empty_typeENS0_5tupleIJSE_SF_EEENSH_IJNS9_16discard_iteratorINS9_11use_defaultEEESG_EEENS0_18inequality_wrapperINS9_8equal_toIjEEEEPmJSF_EEE10hipError_tPvRmT3_T4_T5_T6_T7_T9_mT8_P12ihipStream_tbDpT10_ENKUlT_T0_E_clISt17integral_constantIbLb0EES1B_EEDaS16_S17_EUlS16_E_NS1_11comp_targetILNS1_3genE0ELNS1_11target_archE4294967295ELNS1_3gpuE0ELNS1_3repE0EEENS1_30default_config_static_selectorELNS0_4arch9wavefront6targetE0EEEvT1_,@function
_ZN7rocprim17ROCPRIM_400000_NS6detail17trampoline_kernelINS0_14default_configENS1_25partition_config_selectorILNS1_17partition_subalgoE9EjjbEEZZNS1_14partition_implILS5_9ELb0ES3_jN6thrust23THRUST_200600_302600_NS6detail15normal_iteratorINS9_10device_ptrIjEEEESE_PNS0_10empty_typeENS0_5tupleIJSE_SF_EEENSH_IJNS9_16discard_iteratorINS9_11use_defaultEEESG_EEENS0_18inequality_wrapperINS9_8equal_toIjEEEEPmJSF_EEE10hipError_tPvRmT3_T4_T5_T6_T7_T9_mT8_P12ihipStream_tbDpT10_ENKUlT_T0_E_clISt17integral_constantIbLb0EES1B_EEDaS16_S17_EUlS16_E_NS1_11comp_targetILNS1_3genE0ELNS1_11target_archE4294967295ELNS1_3gpuE0ELNS1_3repE0EEENS1_30default_config_static_selectorELNS0_4arch9wavefront6targetE0EEEvT1_: ; @_ZN7rocprim17ROCPRIM_400000_NS6detail17trampoline_kernelINS0_14default_configENS1_25partition_config_selectorILNS1_17partition_subalgoE9EjjbEEZZNS1_14partition_implILS5_9ELb0ES3_jN6thrust23THRUST_200600_302600_NS6detail15normal_iteratorINS9_10device_ptrIjEEEESE_PNS0_10empty_typeENS0_5tupleIJSE_SF_EEENSH_IJNS9_16discard_iteratorINS9_11use_defaultEEESG_EEENS0_18inequality_wrapperINS9_8equal_toIjEEEEPmJSF_EEE10hipError_tPvRmT3_T4_T5_T6_T7_T9_mT8_P12ihipStream_tbDpT10_ENKUlT_T0_E_clISt17integral_constantIbLb0EES1B_EEDaS16_S17_EUlS16_E_NS1_11comp_targetILNS1_3genE0ELNS1_11target_archE4294967295ELNS1_3gpuE0ELNS1_3repE0EEENS1_30default_config_static_selectorELNS0_4arch9wavefront6targetE0EEEvT1_
; %bb.0:
	.section	.rodata,"a",@progbits
	.p2align	6, 0x0
	.amdhsa_kernel _ZN7rocprim17ROCPRIM_400000_NS6detail17trampoline_kernelINS0_14default_configENS1_25partition_config_selectorILNS1_17partition_subalgoE9EjjbEEZZNS1_14partition_implILS5_9ELb0ES3_jN6thrust23THRUST_200600_302600_NS6detail15normal_iteratorINS9_10device_ptrIjEEEESE_PNS0_10empty_typeENS0_5tupleIJSE_SF_EEENSH_IJNS9_16discard_iteratorINS9_11use_defaultEEESG_EEENS0_18inequality_wrapperINS9_8equal_toIjEEEEPmJSF_EEE10hipError_tPvRmT3_T4_T5_T6_T7_T9_mT8_P12ihipStream_tbDpT10_ENKUlT_T0_E_clISt17integral_constantIbLb0EES1B_EEDaS16_S17_EUlS16_E_NS1_11comp_targetILNS1_3genE0ELNS1_11target_archE4294967295ELNS1_3gpuE0ELNS1_3repE0EEENS1_30default_config_static_selectorELNS0_4arch9wavefront6targetE0EEEvT1_
		.amdhsa_group_segment_fixed_size 0
		.amdhsa_private_segment_fixed_size 0
		.amdhsa_kernarg_size 120
		.amdhsa_user_sgpr_count 15
		.amdhsa_user_sgpr_dispatch_ptr 0
		.amdhsa_user_sgpr_queue_ptr 0
		.amdhsa_user_sgpr_kernarg_segment_ptr 1
		.amdhsa_user_sgpr_dispatch_id 0
		.amdhsa_user_sgpr_private_segment_size 0
		.amdhsa_wavefront_size32 1
		.amdhsa_uses_dynamic_stack 0
		.amdhsa_enable_private_segment 0
		.amdhsa_system_sgpr_workgroup_id_x 1
		.amdhsa_system_sgpr_workgroup_id_y 0
		.amdhsa_system_sgpr_workgroup_id_z 0
		.amdhsa_system_sgpr_workgroup_info 0
		.amdhsa_system_vgpr_workitem_id 0
		.amdhsa_next_free_vgpr 1
		.amdhsa_next_free_sgpr 1
		.amdhsa_reserve_vcc 0
		.amdhsa_float_round_mode_32 0
		.amdhsa_float_round_mode_16_64 0
		.amdhsa_float_denorm_mode_32 3
		.amdhsa_float_denorm_mode_16_64 3
		.amdhsa_dx10_clamp 1
		.amdhsa_ieee_mode 1
		.amdhsa_fp16_overflow 0
		.amdhsa_workgroup_processor_mode 1
		.amdhsa_memory_ordered 1
		.amdhsa_forward_progress 0
		.amdhsa_shared_vgpr_count 0
		.amdhsa_exception_fp_ieee_invalid_op 0
		.amdhsa_exception_fp_denorm_src 0
		.amdhsa_exception_fp_ieee_div_zero 0
		.amdhsa_exception_fp_ieee_overflow 0
		.amdhsa_exception_fp_ieee_underflow 0
		.amdhsa_exception_fp_ieee_inexact 0
		.amdhsa_exception_int_div_zero 0
	.end_amdhsa_kernel
	.section	.text._ZN7rocprim17ROCPRIM_400000_NS6detail17trampoline_kernelINS0_14default_configENS1_25partition_config_selectorILNS1_17partition_subalgoE9EjjbEEZZNS1_14partition_implILS5_9ELb0ES3_jN6thrust23THRUST_200600_302600_NS6detail15normal_iteratorINS9_10device_ptrIjEEEESE_PNS0_10empty_typeENS0_5tupleIJSE_SF_EEENSH_IJNS9_16discard_iteratorINS9_11use_defaultEEESG_EEENS0_18inequality_wrapperINS9_8equal_toIjEEEEPmJSF_EEE10hipError_tPvRmT3_T4_T5_T6_T7_T9_mT8_P12ihipStream_tbDpT10_ENKUlT_T0_E_clISt17integral_constantIbLb0EES1B_EEDaS16_S17_EUlS16_E_NS1_11comp_targetILNS1_3genE0ELNS1_11target_archE4294967295ELNS1_3gpuE0ELNS1_3repE0EEENS1_30default_config_static_selectorELNS0_4arch9wavefront6targetE0EEEvT1_,"axG",@progbits,_ZN7rocprim17ROCPRIM_400000_NS6detail17trampoline_kernelINS0_14default_configENS1_25partition_config_selectorILNS1_17partition_subalgoE9EjjbEEZZNS1_14partition_implILS5_9ELb0ES3_jN6thrust23THRUST_200600_302600_NS6detail15normal_iteratorINS9_10device_ptrIjEEEESE_PNS0_10empty_typeENS0_5tupleIJSE_SF_EEENSH_IJNS9_16discard_iteratorINS9_11use_defaultEEESG_EEENS0_18inequality_wrapperINS9_8equal_toIjEEEEPmJSF_EEE10hipError_tPvRmT3_T4_T5_T6_T7_T9_mT8_P12ihipStream_tbDpT10_ENKUlT_T0_E_clISt17integral_constantIbLb0EES1B_EEDaS16_S17_EUlS16_E_NS1_11comp_targetILNS1_3genE0ELNS1_11target_archE4294967295ELNS1_3gpuE0ELNS1_3repE0EEENS1_30default_config_static_selectorELNS0_4arch9wavefront6targetE0EEEvT1_,comdat
.Lfunc_end821:
	.size	_ZN7rocprim17ROCPRIM_400000_NS6detail17trampoline_kernelINS0_14default_configENS1_25partition_config_selectorILNS1_17partition_subalgoE9EjjbEEZZNS1_14partition_implILS5_9ELb0ES3_jN6thrust23THRUST_200600_302600_NS6detail15normal_iteratorINS9_10device_ptrIjEEEESE_PNS0_10empty_typeENS0_5tupleIJSE_SF_EEENSH_IJNS9_16discard_iteratorINS9_11use_defaultEEESG_EEENS0_18inequality_wrapperINS9_8equal_toIjEEEEPmJSF_EEE10hipError_tPvRmT3_T4_T5_T6_T7_T9_mT8_P12ihipStream_tbDpT10_ENKUlT_T0_E_clISt17integral_constantIbLb0EES1B_EEDaS16_S17_EUlS16_E_NS1_11comp_targetILNS1_3genE0ELNS1_11target_archE4294967295ELNS1_3gpuE0ELNS1_3repE0EEENS1_30default_config_static_selectorELNS0_4arch9wavefront6targetE0EEEvT1_, .Lfunc_end821-_ZN7rocprim17ROCPRIM_400000_NS6detail17trampoline_kernelINS0_14default_configENS1_25partition_config_selectorILNS1_17partition_subalgoE9EjjbEEZZNS1_14partition_implILS5_9ELb0ES3_jN6thrust23THRUST_200600_302600_NS6detail15normal_iteratorINS9_10device_ptrIjEEEESE_PNS0_10empty_typeENS0_5tupleIJSE_SF_EEENSH_IJNS9_16discard_iteratorINS9_11use_defaultEEESG_EEENS0_18inequality_wrapperINS9_8equal_toIjEEEEPmJSF_EEE10hipError_tPvRmT3_T4_T5_T6_T7_T9_mT8_P12ihipStream_tbDpT10_ENKUlT_T0_E_clISt17integral_constantIbLb0EES1B_EEDaS16_S17_EUlS16_E_NS1_11comp_targetILNS1_3genE0ELNS1_11target_archE4294967295ELNS1_3gpuE0ELNS1_3repE0EEENS1_30default_config_static_selectorELNS0_4arch9wavefront6targetE0EEEvT1_
                                        ; -- End function
	.section	.AMDGPU.csdata,"",@progbits
; Kernel info:
; codeLenInByte = 0
; NumSgprs: 0
; NumVgprs: 0
; ScratchSize: 0
; MemoryBound: 0
; FloatMode: 240
; IeeeMode: 1
; LDSByteSize: 0 bytes/workgroup (compile time only)
; SGPRBlocks: 0
; VGPRBlocks: 0
; NumSGPRsForWavesPerEU: 1
; NumVGPRsForWavesPerEU: 1
; Occupancy: 16
; WaveLimiterHint : 0
; COMPUTE_PGM_RSRC2:SCRATCH_EN: 0
; COMPUTE_PGM_RSRC2:USER_SGPR: 15
; COMPUTE_PGM_RSRC2:TRAP_HANDLER: 0
; COMPUTE_PGM_RSRC2:TGID_X_EN: 1
; COMPUTE_PGM_RSRC2:TGID_Y_EN: 0
; COMPUTE_PGM_RSRC2:TGID_Z_EN: 0
; COMPUTE_PGM_RSRC2:TIDIG_COMP_CNT: 0
	.section	.text._ZN7rocprim17ROCPRIM_400000_NS6detail17trampoline_kernelINS0_14default_configENS1_25partition_config_selectorILNS1_17partition_subalgoE9EjjbEEZZNS1_14partition_implILS5_9ELb0ES3_jN6thrust23THRUST_200600_302600_NS6detail15normal_iteratorINS9_10device_ptrIjEEEESE_PNS0_10empty_typeENS0_5tupleIJSE_SF_EEENSH_IJNS9_16discard_iteratorINS9_11use_defaultEEESG_EEENS0_18inequality_wrapperINS9_8equal_toIjEEEEPmJSF_EEE10hipError_tPvRmT3_T4_T5_T6_T7_T9_mT8_P12ihipStream_tbDpT10_ENKUlT_T0_E_clISt17integral_constantIbLb0EES1B_EEDaS16_S17_EUlS16_E_NS1_11comp_targetILNS1_3genE5ELNS1_11target_archE942ELNS1_3gpuE9ELNS1_3repE0EEENS1_30default_config_static_selectorELNS0_4arch9wavefront6targetE0EEEvT1_,"axG",@progbits,_ZN7rocprim17ROCPRIM_400000_NS6detail17trampoline_kernelINS0_14default_configENS1_25partition_config_selectorILNS1_17partition_subalgoE9EjjbEEZZNS1_14partition_implILS5_9ELb0ES3_jN6thrust23THRUST_200600_302600_NS6detail15normal_iteratorINS9_10device_ptrIjEEEESE_PNS0_10empty_typeENS0_5tupleIJSE_SF_EEENSH_IJNS9_16discard_iteratorINS9_11use_defaultEEESG_EEENS0_18inequality_wrapperINS9_8equal_toIjEEEEPmJSF_EEE10hipError_tPvRmT3_T4_T5_T6_T7_T9_mT8_P12ihipStream_tbDpT10_ENKUlT_T0_E_clISt17integral_constantIbLb0EES1B_EEDaS16_S17_EUlS16_E_NS1_11comp_targetILNS1_3genE5ELNS1_11target_archE942ELNS1_3gpuE9ELNS1_3repE0EEENS1_30default_config_static_selectorELNS0_4arch9wavefront6targetE0EEEvT1_,comdat
	.protected	_ZN7rocprim17ROCPRIM_400000_NS6detail17trampoline_kernelINS0_14default_configENS1_25partition_config_selectorILNS1_17partition_subalgoE9EjjbEEZZNS1_14partition_implILS5_9ELb0ES3_jN6thrust23THRUST_200600_302600_NS6detail15normal_iteratorINS9_10device_ptrIjEEEESE_PNS0_10empty_typeENS0_5tupleIJSE_SF_EEENSH_IJNS9_16discard_iteratorINS9_11use_defaultEEESG_EEENS0_18inequality_wrapperINS9_8equal_toIjEEEEPmJSF_EEE10hipError_tPvRmT3_T4_T5_T6_T7_T9_mT8_P12ihipStream_tbDpT10_ENKUlT_T0_E_clISt17integral_constantIbLb0EES1B_EEDaS16_S17_EUlS16_E_NS1_11comp_targetILNS1_3genE5ELNS1_11target_archE942ELNS1_3gpuE9ELNS1_3repE0EEENS1_30default_config_static_selectorELNS0_4arch9wavefront6targetE0EEEvT1_ ; -- Begin function _ZN7rocprim17ROCPRIM_400000_NS6detail17trampoline_kernelINS0_14default_configENS1_25partition_config_selectorILNS1_17partition_subalgoE9EjjbEEZZNS1_14partition_implILS5_9ELb0ES3_jN6thrust23THRUST_200600_302600_NS6detail15normal_iteratorINS9_10device_ptrIjEEEESE_PNS0_10empty_typeENS0_5tupleIJSE_SF_EEENSH_IJNS9_16discard_iteratorINS9_11use_defaultEEESG_EEENS0_18inequality_wrapperINS9_8equal_toIjEEEEPmJSF_EEE10hipError_tPvRmT3_T4_T5_T6_T7_T9_mT8_P12ihipStream_tbDpT10_ENKUlT_T0_E_clISt17integral_constantIbLb0EES1B_EEDaS16_S17_EUlS16_E_NS1_11comp_targetILNS1_3genE5ELNS1_11target_archE942ELNS1_3gpuE9ELNS1_3repE0EEENS1_30default_config_static_selectorELNS0_4arch9wavefront6targetE0EEEvT1_
	.globl	_ZN7rocprim17ROCPRIM_400000_NS6detail17trampoline_kernelINS0_14default_configENS1_25partition_config_selectorILNS1_17partition_subalgoE9EjjbEEZZNS1_14partition_implILS5_9ELb0ES3_jN6thrust23THRUST_200600_302600_NS6detail15normal_iteratorINS9_10device_ptrIjEEEESE_PNS0_10empty_typeENS0_5tupleIJSE_SF_EEENSH_IJNS9_16discard_iteratorINS9_11use_defaultEEESG_EEENS0_18inequality_wrapperINS9_8equal_toIjEEEEPmJSF_EEE10hipError_tPvRmT3_T4_T5_T6_T7_T9_mT8_P12ihipStream_tbDpT10_ENKUlT_T0_E_clISt17integral_constantIbLb0EES1B_EEDaS16_S17_EUlS16_E_NS1_11comp_targetILNS1_3genE5ELNS1_11target_archE942ELNS1_3gpuE9ELNS1_3repE0EEENS1_30default_config_static_selectorELNS0_4arch9wavefront6targetE0EEEvT1_
	.p2align	8
	.type	_ZN7rocprim17ROCPRIM_400000_NS6detail17trampoline_kernelINS0_14default_configENS1_25partition_config_selectorILNS1_17partition_subalgoE9EjjbEEZZNS1_14partition_implILS5_9ELb0ES3_jN6thrust23THRUST_200600_302600_NS6detail15normal_iteratorINS9_10device_ptrIjEEEESE_PNS0_10empty_typeENS0_5tupleIJSE_SF_EEENSH_IJNS9_16discard_iteratorINS9_11use_defaultEEESG_EEENS0_18inequality_wrapperINS9_8equal_toIjEEEEPmJSF_EEE10hipError_tPvRmT3_T4_T5_T6_T7_T9_mT8_P12ihipStream_tbDpT10_ENKUlT_T0_E_clISt17integral_constantIbLb0EES1B_EEDaS16_S17_EUlS16_E_NS1_11comp_targetILNS1_3genE5ELNS1_11target_archE942ELNS1_3gpuE9ELNS1_3repE0EEENS1_30default_config_static_selectorELNS0_4arch9wavefront6targetE0EEEvT1_,@function
_ZN7rocprim17ROCPRIM_400000_NS6detail17trampoline_kernelINS0_14default_configENS1_25partition_config_selectorILNS1_17partition_subalgoE9EjjbEEZZNS1_14partition_implILS5_9ELb0ES3_jN6thrust23THRUST_200600_302600_NS6detail15normal_iteratorINS9_10device_ptrIjEEEESE_PNS0_10empty_typeENS0_5tupleIJSE_SF_EEENSH_IJNS9_16discard_iteratorINS9_11use_defaultEEESG_EEENS0_18inequality_wrapperINS9_8equal_toIjEEEEPmJSF_EEE10hipError_tPvRmT3_T4_T5_T6_T7_T9_mT8_P12ihipStream_tbDpT10_ENKUlT_T0_E_clISt17integral_constantIbLb0EES1B_EEDaS16_S17_EUlS16_E_NS1_11comp_targetILNS1_3genE5ELNS1_11target_archE942ELNS1_3gpuE9ELNS1_3repE0EEENS1_30default_config_static_selectorELNS0_4arch9wavefront6targetE0EEEvT1_: ; @_ZN7rocprim17ROCPRIM_400000_NS6detail17trampoline_kernelINS0_14default_configENS1_25partition_config_selectorILNS1_17partition_subalgoE9EjjbEEZZNS1_14partition_implILS5_9ELb0ES3_jN6thrust23THRUST_200600_302600_NS6detail15normal_iteratorINS9_10device_ptrIjEEEESE_PNS0_10empty_typeENS0_5tupleIJSE_SF_EEENSH_IJNS9_16discard_iteratorINS9_11use_defaultEEESG_EEENS0_18inequality_wrapperINS9_8equal_toIjEEEEPmJSF_EEE10hipError_tPvRmT3_T4_T5_T6_T7_T9_mT8_P12ihipStream_tbDpT10_ENKUlT_T0_E_clISt17integral_constantIbLb0EES1B_EEDaS16_S17_EUlS16_E_NS1_11comp_targetILNS1_3genE5ELNS1_11target_archE942ELNS1_3gpuE9ELNS1_3repE0EEENS1_30default_config_static_selectorELNS0_4arch9wavefront6targetE0EEEvT1_
; %bb.0:
	.section	.rodata,"a",@progbits
	.p2align	6, 0x0
	.amdhsa_kernel _ZN7rocprim17ROCPRIM_400000_NS6detail17trampoline_kernelINS0_14default_configENS1_25partition_config_selectorILNS1_17partition_subalgoE9EjjbEEZZNS1_14partition_implILS5_9ELb0ES3_jN6thrust23THRUST_200600_302600_NS6detail15normal_iteratorINS9_10device_ptrIjEEEESE_PNS0_10empty_typeENS0_5tupleIJSE_SF_EEENSH_IJNS9_16discard_iteratorINS9_11use_defaultEEESG_EEENS0_18inequality_wrapperINS9_8equal_toIjEEEEPmJSF_EEE10hipError_tPvRmT3_T4_T5_T6_T7_T9_mT8_P12ihipStream_tbDpT10_ENKUlT_T0_E_clISt17integral_constantIbLb0EES1B_EEDaS16_S17_EUlS16_E_NS1_11comp_targetILNS1_3genE5ELNS1_11target_archE942ELNS1_3gpuE9ELNS1_3repE0EEENS1_30default_config_static_selectorELNS0_4arch9wavefront6targetE0EEEvT1_
		.amdhsa_group_segment_fixed_size 0
		.amdhsa_private_segment_fixed_size 0
		.amdhsa_kernarg_size 120
		.amdhsa_user_sgpr_count 15
		.amdhsa_user_sgpr_dispatch_ptr 0
		.amdhsa_user_sgpr_queue_ptr 0
		.amdhsa_user_sgpr_kernarg_segment_ptr 1
		.amdhsa_user_sgpr_dispatch_id 0
		.amdhsa_user_sgpr_private_segment_size 0
		.amdhsa_wavefront_size32 1
		.amdhsa_uses_dynamic_stack 0
		.amdhsa_enable_private_segment 0
		.amdhsa_system_sgpr_workgroup_id_x 1
		.amdhsa_system_sgpr_workgroup_id_y 0
		.amdhsa_system_sgpr_workgroup_id_z 0
		.amdhsa_system_sgpr_workgroup_info 0
		.amdhsa_system_vgpr_workitem_id 0
		.amdhsa_next_free_vgpr 1
		.amdhsa_next_free_sgpr 1
		.amdhsa_reserve_vcc 0
		.amdhsa_float_round_mode_32 0
		.amdhsa_float_round_mode_16_64 0
		.amdhsa_float_denorm_mode_32 3
		.amdhsa_float_denorm_mode_16_64 3
		.amdhsa_dx10_clamp 1
		.amdhsa_ieee_mode 1
		.amdhsa_fp16_overflow 0
		.amdhsa_workgroup_processor_mode 1
		.amdhsa_memory_ordered 1
		.amdhsa_forward_progress 0
		.amdhsa_shared_vgpr_count 0
		.amdhsa_exception_fp_ieee_invalid_op 0
		.amdhsa_exception_fp_denorm_src 0
		.amdhsa_exception_fp_ieee_div_zero 0
		.amdhsa_exception_fp_ieee_overflow 0
		.amdhsa_exception_fp_ieee_underflow 0
		.amdhsa_exception_fp_ieee_inexact 0
		.amdhsa_exception_int_div_zero 0
	.end_amdhsa_kernel
	.section	.text._ZN7rocprim17ROCPRIM_400000_NS6detail17trampoline_kernelINS0_14default_configENS1_25partition_config_selectorILNS1_17partition_subalgoE9EjjbEEZZNS1_14partition_implILS5_9ELb0ES3_jN6thrust23THRUST_200600_302600_NS6detail15normal_iteratorINS9_10device_ptrIjEEEESE_PNS0_10empty_typeENS0_5tupleIJSE_SF_EEENSH_IJNS9_16discard_iteratorINS9_11use_defaultEEESG_EEENS0_18inequality_wrapperINS9_8equal_toIjEEEEPmJSF_EEE10hipError_tPvRmT3_T4_T5_T6_T7_T9_mT8_P12ihipStream_tbDpT10_ENKUlT_T0_E_clISt17integral_constantIbLb0EES1B_EEDaS16_S17_EUlS16_E_NS1_11comp_targetILNS1_3genE5ELNS1_11target_archE942ELNS1_3gpuE9ELNS1_3repE0EEENS1_30default_config_static_selectorELNS0_4arch9wavefront6targetE0EEEvT1_,"axG",@progbits,_ZN7rocprim17ROCPRIM_400000_NS6detail17trampoline_kernelINS0_14default_configENS1_25partition_config_selectorILNS1_17partition_subalgoE9EjjbEEZZNS1_14partition_implILS5_9ELb0ES3_jN6thrust23THRUST_200600_302600_NS6detail15normal_iteratorINS9_10device_ptrIjEEEESE_PNS0_10empty_typeENS0_5tupleIJSE_SF_EEENSH_IJNS9_16discard_iteratorINS9_11use_defaultEEESG_EEENS0_18inequality_wrapperINS9_8equal_toIjEEEEPmJSF_EEE10hipError_tPvRmT3_T4_T5_T6_T7_T9_mT8_P12ihipStream_tbDpT10_ENKUlT_T0_E_clISt17integral_constantIbLb0EES1B_EEDaS16_S17_EUlS16_E_NS1_11comp_targetILNS1_3genE5ELNS1_11target_archE942ELNS1_3gpuE9ELNS1_3repE0EEENS1_30default_config_static_selectorELNS0_4arch9wavefront6targetE0EEEvT1_,comdat
.Lfunc_end822:
	.size	_ZN7rocprim17ROCPRIM_400000_NS6detail17trampoline_kernelINS0_14default_configENS1_25partition_config_selectorILNS1_17partition_subalgoE9EjjbEEZZNS1_14partition_implILS5_9ELb0ES3_jN6thrust23THRUST_200600_302600_NS6detail15normal_iteratorINS9_10device_ptrIjEEEESE_PNS0_10empty_typeENS0_5tupleIJSE_SF_EEENSH_IJNS9_16discard_iteratorINS9_11use_defaultEEESG_EEENS0_18inequality_wrapperINS9_8equal_toIjEEEEPmJSF_EEE10hipError_tPvRmT3_T4_T5_T6_T7_T9_mT8_P12ihipStream_tbDpT10_ENKUlT_T0_E_clISt17integral_constantIbLb0EES1B_EEDaS16_S17_EUlS16_E_NS1_11comp_targetILNS1_3genE5ELNS1_11target_archE942ELNS1_3gpuE9ELNS1_3repE0EEENS1_30default_config_static_selectorELNS0_4arch9wavefront6targetE0EEEvT1_, .Lfunc_end822-_ZN7rocprim17ROCPRIM_400000_NS6detail17trampoline_kernelINS0_14default_configENS1_25partition_config_selectorILNS1_17partition_subalgoE9EjjbEEZZNS1_14partition_implILS5_9ELb0ES3_jN6thrust23THRUST_200600_302600_NS6detail15normal_iteratorINS9_10device_ptrIjEEEESE_PNS0_10empty_typeENS0_5tupleIJSE_SF_EEENSH_IJNS9_16discard_iteratorINS9_11use_defaultEEESG_EEENS0_18inequality_wrapperINS9_8equal_toIjEEEEPmJSF_EEE10hipError_tPvRmT3_T4_T5_T6_T7_T9_mT8_P12ihipStream_tbDpT10_ENKUlT_T0_E_clISt17integral_constantIbLb0EES1B_EEDaS16_S17_EUlS16_E_NS1_11comp_targetILNS1_3genE5ELNS1_11target_archE942ELNS1_3gpuE9ELNS1_3repE0EEENS1_30default_config_static_selectorELNS0_4arch9wavefront6targetE0EEEvT1_
                                        ; -- End function
	.section	.AMDGPU.csdata,"",@progbits
; Kernel info:
; codeLenInByte = 0
; NumSgprs: 0
; NumVgprs: 0
; ScratchSize: 0
; MemoryBound: 0
; FloatMode: 240
; IeeeMode: 1
; LDSByteSize: 0 bytes/workgroup (compile time only)
; SGPRBlocks: 0
; VGPRBlocks: 0
; NumSGPRsForWavesPerEU: 1
; NumVGPRsForWavesPerEU: 1
; Occupancy: 16
; WaveLimiterHint : 0
; COMPUTE_PGM_RSRC2:SCRATCH_EN: 0
; COMPUTE_PGM_RSRC2:USER_SGPR: 15
; COMPUTE_PGM_RSRC2:TRAP_HANDLER: 0
; COMPUTE_PGM_RSRC2:TGID_X_EN: 1
; COMPUTE_PGM_RSRC2:TGID_Y_EN: 0
; COMPUTE_PGM_RSRC2:TGID_Z_EN: 0
; COMPUTE_PGM_RSRC2:TIDIG_COMP_CNT: 0
	.section	.text._ZN7rocprim17ROCPRIM_400000_NS6detail17trampoline_kernelINS0_14default_configENS1_25partition_config_selectorILNS1_17partition_subalgoE9EjjbEEZZNS1_14partition_implILS5_9ELb0ES3_jN6thrust23THRUST_200600_302600_NS6detail15normal_iteratorINS9_10device_ptrIjEEEESE_PNS0_10empty_typeENS0_5tupleIJSE_SF_EEENSH_IJNS9_16discard_iteratorINS9_11use_defaultEEESG_EEENS0_18inequality_wrapperINS9_8equal_toIjEEEEPmJSF_EEE10hipError_tPvRmT3_T4_T5_T6_T7_T9_mT8_P12ihipStream_tbDpT10_ENKUlT_T0_E_clISt17integral_constantIbLb0EES1B_EEDaS16_S17_EUlS16_E_NS1_11comp_targetILNS1_3genE4ELNS1_11target_archE910ELNS1_3gpuE8ELNS1_3repE0EEENS1_30default_config_static_selectorELNS0_4arch9wavefront6targetE0EEEvT1_,"axG",@progbits,_ZN7rocprim17ROCPRIM_400000_NS6detail17trampoline_kernelINS0_14default_configENS1_25partition_config_selectorILNS1_17partition_subalgoE9EjjbEEZZNS1_14partition_implILS5_9ELb0ES3_jN6thrust23THRUST_200600_302600_NS6detail15normal_iteratorINS9_10device_ptrIjEEEESE_PNS0_10empty_typeENS0_5tupleIJSE_SF_EEENSH_IJNS9_16discard_iteratorINS9_11use_defaultEEESG_EEENS0_18inequality_wrapperINS9_8equal_toIjEEEEPmJSF_EEE10hipError_tPvRmT3_T4_T5_T6_T7_T9_mT8_P12ihipStream_tbDpT10_ENKUlT_T0_E_clISt17integral_constantIbLb0EES1B_EEDaS16_S17_EUlS16_E_NS1_11comp_targetILNS1_3genE4ELNS1_11target_archE910ELNS1_3gpuE8ELNS1_3repE0EEENS1_30default_config_static_selectorELNS0_4arch9wavefront6targetE0EEEvT1_,comdat
	.protected	_ZN7rocprim17ROCPRIM_400000_NS6detail17trampoline_kernelINS0_14default_configENS1_25partition_config_selectorILNS1_17partition_subalgoE9EjjbEEZZNS1_14partition_implILS5_9ELb0ES3_jN6thrust23THRUST_200600_302600_NS6detail15normal_iteratorINS9_10device_ptrIjEEEESE_PNS0_10empty_typeENS0_5tupleIJSE_SF_EEENSH_IJNS9_16discard_iteratorINS9_11use_defaultEEESG_EEENS0_18inequality_wrapperINS9_8equal_toIjEEEEPmJSF_EEE10hipError_tPvRmT3_T4_T5_T6_T7_T9_mT8_P12ihipStream_tbDpT10_ENKUlT_T0_E_clISt17integral_constantIbLb0EES1B_EEDaS16_S17_EUlS16_E_NS1_11comp_targetILNS1_3genE4ELNS1_11target_archE910ELNS1_3gpuE8ELNS1_3repE0EEENS1_30default_config_static_selectorELNS0_4arch9wavefront6targetE0EEEvT1_ ; -- Begin function _ZN7rocprim17ROCPRIM_400000_NS6detail17trampoline_kernelINS0_14default_configENS1_25partition_config_selectorILNS1_17partition_subalgoE9EjjbEEZZNS1_14partition_implILS5_9ELb0ES3_jN6thrust23THRUST_200600_302600_NS6detail15normal_iteratorINS9_10device_ptrIjEEEESE_PNS0_10empty_typeENS0_5tupleIJSE_SF_EEENSH_IJNS9_16discard_iteratorINS9_11use_defaultEEESG_EEENS0_18inequality_wrapperINS9_8equal_toIjEEEEPmJSF_EEE10hipError_tPvRmT3_T4_T5_T6_T7_T9_mT8_P12ihipStream_tbDpT10_ENKUlT_T0_E_clISt17integral_constantIbLb0EES1B_EEDaS16_S17_EUlS16_E_NS1_11comp_targetILNS1_3genE4ELNS1_11target_archE910ELNS1_3gpuE8ELNS1_3repE0EEENS1_30default_config_static_selectorELNS0_4arch9wavefront6targetE0EEEvT1_
	.globl	_ZN7rocprim17ROCPRIM_400000_NS6detail17trampoline_kernelINS0_14default_configENS1_25partition_config_selectorILNS1_17partition_subalgoE9EjjbEEZZNS1_14partition_implILS5_9ELb0ES3_jN6thrust23THRUST_200600_302600_NS6detail15normal_iteratorINS9_10device_ptrIjEEEESE_PNS0_10empty_typeENS0_5tupleIJSE_SF_EEENSH_IJNS9_16discard_iteratorINS9_11use_defaultEEESG_EEENS0_18inequality_wrapperINS9_8equal_toIjEEEEPmJSF_EEE10hipError_tPvRmT3_T4_T5_T6_T7_T9_mT8_P12ihipStream_tbDpT10_ENKUlT_T0_E_clISt17integral_constantIbLb0EES1B_EEDaS16_S17_EUlS16_E_NS1_11comp_targetILNS1_3genE4ELNS1_11target_archE910ELNS1_3gpuE8ELNS1_3repE0EEENS1_30default_config_static_selectorELNS0_4arch9wavefront6targetE0EEEvT1_
	.p2align	8
	.type	_ZN7rocprim17ROCPRIM_400000_NS6detail17trampoline_kernelINS0_14default_configENS1_25partition_config_selectorILNS1_17partition_subalgoE9EjjbEEZZNS1_14partition_implILS5_9ELb0ES3_jN6thrust23THRUST_200600_302600_NS6detail15normal_iteratorINS9_10device_ptrIjEEEESE_PNS0_10empty_typeENS0_5tupleIJSE_SF_EEENSH_IJNS9_16discard_iteratorINS9_11use_defaultEEESG_EEENS0_18inequality_wrapperINS9_8equal_toIjEEEEPmJSF_EEE10hipError_tPvRmT3_T4_T5_T6_T7_T9_mT8_P12ihipStream_tbDpT10_ENKUlT_T0_E_clISt17integral_constantIbLb0EES1B_EEDaS16_S17_EUlS16_E_NS1_11comp_targetILNS1_3genE4ELNS1_11target_archE910ELNS1_3gpuE8ELNS1_3repE0EEENS1_30default_config_static_selectorELNS0_4arch9wavefront6targetE0EEEvT1_,@function
_ZN7rocprim17ROCPRIM_400000_NS6detail17trampoline_kernelINS0_14default_configENS1_25partition_config_selectorILNS1_17partition_subalgoE9EjjbEEZZNS1_14partition_implILS5_9ELb0ES3_jN6thrust23THRUST_200600_302600_NS6detail15normal_iteratorINS9_10device_ptrIjEEEESE_PNS0_10empty_typeENS0_5tupleIJSE_SF_EEENSH_IJNS9_16discard_iteratorINS9_11use_defaultEEESG_EEENS0_18inequality_wrapperINS9_8equal_toIjEEEEPmJSF_EEE10hipError_tPvRmT3_T4_T5_T6_T7_T9_mT8_P12ihipStream_tbDpT10_ENKUlT_T0_E_clISt17integral_constantIbLb0EES1B_EEDaS16_S17_EUlS16_E_NS1_11comp_targetILNS1_3genE4ELNS1_11target_archE910ELNS1_3gpuE8ELNS1_3repE0EEENS1_30default_config_static_selectorELNS0_4arch9wavefront6targetE0EEEvT1_: ; @_ZN7rocprim17ROCPRIM_400000_NS6detail17trampoline_kernelINS0_14default_configENS1_25partition_config_selectorILNS1_17partition_subalgoE9EjjbEEZZNS1_14partition_implILS5_9ELb0ES3_jN6thrust23THRUST_200600_302600_NS6detail15normal_iteratorINS9_10device_ptrIjEEEESE_PNS0_10empty_typeENS0_5tupleIJSE_SF_EEENSH_IJNS9_16discard_iteratorINS9_11use_defaultEEESG_EEENS0_18inequality_wrapperINS9_8equal_toIjEEEEPmJSF_EEE10hipError_tPvRmT3_T4_T5_T6_T7_T9_mT8_P12ihipStream_tbDpT10_ENKUlT_T0_E_clISt17integral_constantIbLb0EES1B_EEDaS16_S17_EUlS16_E_NS1_11comp_targetILNS1_3genE4ELNS1_11target_archE910ELNS1_3gpuE8ELNS1_3repE0EEENS1_30default_config_static_selectorELNS0_4arch9wavefront6targetE0EEEvT1_
; %bb.0:
	.section	.rodata,"a",@progbits
	.p2align	6, 0x0
	.amdhsa_kernel _ZN7rocprim17ROCPRIM_400000_NS6detail17trampoline_kernelINS0_14default_configENS1_25partition_config_selectorILNS1_17partition_subalgoE9EjjbEEZZNS1_14partition_implILS5_9ELb0ES3_jN6thrust23THRUST_200600_302600_NS6detail15normal_iteratorINS9_10device_ptrIjEEEESE_PNS0_10empty_typeENS0_5tupleIJSE_SF_EEENSH_IJNS9_16discard_iteratorINS9_11use_defaultEEESG_EEENS0_18inequality_wrapperINS9_8equal_toIjEEEEPmJSF_EEE10hipError_tPvRmT3_T4_T5_T6_T7_T9_mT8_P12ihipStream_tbDpT10_ENKUlT_T0_E_clISt17integral_constantIbLb0EES1B_EEDaS16_S17_EUlS16_E_NS1_11comp_targetILNS1_3genE4ELNS1_11target_archE910ELNS1_3gpuE8ELNS1_3repE0EEENS1_30default_config_static_selectorELNS0_4arch9wavefront6targetE0EEEvT1_
		.amdhsa_group_segment_fixed_size 0
		.amdhsa_private_segment_fixed_size 0
		.amdhsa_kernarg_size 120
		.amdhsa_user_sgpr_count 15
		.amdhsa_user_sgpr_dispatch_ptr 0
		.amdhsa_user_sgpr_queue_ptr 0
		.amdhsa_user_sgpr_kernarg_segment_ptr 1
		.amdhsa_user_sgpr_dispatch_id 0
		.amdhsa_user_sgpr_private_segment_size 0
		.amdhsa_wavefront_size32 1
		.amdhsa_uses_dynamic_stack 0
		.amdhsa_enable_private_segment 0
		.amdhsa_system_sgpr_workgroup_id_x 1
		.amdhsa_system_sgpr_workgroup_id_y 0
		.amdhsa_system_sgpr_workgroup_id_z 0
		.amdhsa_system_sgpr_workgroup_info 0
		.amdhsa_system_vgpr_workitem_id 0
		.amdhsa_next_free_vgpr 1
		.amdhsa_next_free_sgpr 1
		.amdhsa_reserve_vcc 0
		.amdhsa_float_round_mode_32 0
		.amdhsa_float_round_mode_16_64 0
		.amdhsa_float_denorm_mode_32 3
		.amdhsa_float_denorm_mode_16_64 3
		.amdhsa_dx10_clamp 1
		.amdhsa_ieee_mode 1
		.amdhsa_fp16_overflow 0
		.amdhsa_workgroup_processor_mode 1
		.amdhsa_memory_ordered 1
		.amdhsa_forward_progress 0
		.amdhsa_shared_vgpr_count 0
		.amdhsa_exception_fp_ieee_invalid_op 0
		.amdhsa_exception_fp_denorm_src 0
		.amdhsa_exception_fp_ieee_div_zero 0
		.amdhsa_exception_fp_ieee_overflow 0
		.amdhsa_exception_fp_ieee_underflow 0
		.amdhsa_exception_fp_ieee_inexact 0
		.amdhsa_exception_int_div_zero 0
	.end_amdhsa_kernel
	.section	.text._ZN7rocprim17ROCPRIM_400000_NS6detail17trampoline_kernelINS0_14default_configENS1_25partition_config_selectorILNS1_17partition_subalgoE9EjjbEEZZNS1_14partition_implILS5_9ELb0ES3_jN6thrust23THRUST_200600_302600_NS6detail15normal_iteratorINS9_10device_ptrIjEEEESE_PNS0_10empty_typeENS0_5tupleIJSE_SF_EEENSH_IJNS9_16discard_iteratorINS9_11use_defaultEEESG_EEENS0_18inequality_wrapperINS9_8equal_toIjEEEEPmJSF_EEE10hipError_tPvRmT3_T4_T5_T6_T7_T9_mT8_P12ihipStream_tbDpT10_ENKUlT_T0_E_clISt17integral_constantIbLb0EES1B_EEDaS16_S17_EUlS16_E_NS1_11comp_targetILNS1_3genE4ELNS1_11target_archE910ELNS1_3gpuE8ELNS1_3repE0EEENS1_30default_config_static_selectorELNS0_4arch9wavefront6targetE0EEEvT1_,"axG",@progbits,_ZN7rocprim17ROCPRIM_400000_NS6detail17trampoline_kernelINS0_14default_configENS1_25partition_config_selectorILNS1_17partition_subalgoE9EjjbEEZZNS1_14partition_implILS5_9ELb0ES3_jN6thrust23THRUST_200600_302600_NS6detail15normal_iteratorINS9_10device_ptrIjEEEESE_PNS0_10empty_typeENS0_5tupleIJSE_SF_EEENSH_IJNS9_16discard_iteratorINS9_11use_defaultEEESG_EEENS0_18inequality_wrapperINS9_8equal_toIjEEEEPmJSF_EEE10hipError_tPvRmT3_T4_T5_T6_T7_T9_mT8_P12ihipStream_tbDpT10_ENKUlT_T0_E_clISt17integral_constantIbLb0EES1B_EEDaS16_S17_EUlS16_E_NS1_11comp_targetILNS1_3genE4ELNS1_11target_archE910ELNS1_3gpuE8ELNS1_3repE0EEENS1_30default_config_static_selectorELNS0_4arch9wavefront6targetE0EEEvT1_,comdat
.Lfunc_end823:
	.size	_ZN7rocprim17ROCPRIM_400000_NS6detail17trampoline_kernelINS0_14default_configENS1_25partition_config_selectorILNS1_17partition_subalgoE9EjjbEEZZNS1_14partition_implILS5_9ELb0ES3_jN6thrust23THRUST_200600_302600_NS6detail15normal_iteratorINS9_10device_ptrIjEEEESE_PNS0_10empty_typeENS0_5tupleIJSE_SF_EEENSH_IJNS9_16discard_iteratorINS9_11use_defaultEEESG_EEENS0_18inequality_wrapperINS9_8equal_toIjEEEEPmJSF_EEE10hipError_tPvRmT3_T4_T5_T6_T7_T9_mT8_P12ihipStream_tbDpT10_ENKUlT_T0_E_clISt17integral_constantIbLb0EES1B_EEDaS16_S17_EUlS16_E_NS1_11comp_targetILNS1_3genE4ELNS1_11target_archE910ELNS1_3gpuE8ELNS1_3repE0EEENS1_30default_config_static_selectorELNS0_4arch9wavefront6targetE0EEEvT1_, .Lfunc_end823-_ZN7rocprim17ROCPRIM_400000_NS6detail17trampoline_kernelINS0_14default_configENS1_25partition_config_selectorILNS1_17partition_subalgoE9EjjbEEZZNS1_14partition_implILS5_9ELb0ES3_jN6thrust23THRUST_200600_302600_NS6detail15normal_iteratorINS9_10device_ptrIjEEEESE_PNS0_10empty_typeENS0_5tupleIJSE_SF_EEENSH_IJNS9_16discard_iteratorINS9_11use_defaultEEESG_EEENS0_18inequality_wrapperINS9_8equal_toIjEEEEPmJSF_EEE10hipError_tPvRmT3_T4_T5_T6_T7_T9_mT8_P12ihipStream_tbDpT10_ENKUlT_T0_E_clISt17integral_constantIbLb0EES1B_EEDaS16_S17_EUlS16_E_NS1_11comp_targetILNS1_3genE4ELNS1_11target_archE910ELNS1_3gpuE8ELNS1_3repE0EEENS1_30default_config_static_selectorELNS0_4arch9wavefront6targetE0EEEvT1_
                                        ; -- End function
	.section	.AMDGPU.csdata,"",@progbits
; Kernel info:
; codeLenInByte = 0
; NumSgprs: 0
; NumVgprs: 0
; ScratchSize: 0
; MemoryBound: 0
; FloatMode: 240
; IeeeMode: 1
; LDSByteSize: 0 bytes/workgroup (compile time only)
; SGPRBlocks: 0
; VGPRBlocks: 0
; NumSGPRsForWavesPerEU: 1
; NumVGPRsForWavesPerEU: 1
; Occupancy: 15
; WaveLimiterHint : 0
; COMPUTE_PGM_RSRC2:SCRATCH_EN: 0
; COMPUTE_PGM_RSRC2:USER_SGPR: 15
; COMPUTE_PGM_RSRC2:TRAP_HANDLER: 0
; COMPUTE_PGM_RSRC2:TGID_X_EN: 1
; COMPUTE_PGM_RSRC2:TGID_Y_EN: 0
; COMPUTE_PGM_RSRC2:TGID_Z_EN: 0
; COMPUTE_PGM_RSRC2:TIDIG_COMP_CNT: 0
	.section	.text._ZN7rocprim17ROCPRIM_400000_NS6detail17trampoline_kernelINS0_14default_configENS1_25partition_config_selectorILNS1_17partition_subalgoE9EjjbEEZZNS1_14partition_implILS5_9ELb0ES3_jN6thrust23THRUST_200600_302600_NS6detail15normal_iteratorINS9_10device_ptrIjEEEESE_PNS0_10empty_typeENS0_5tupleIJSE_SF_EEENSH_IJNS9_16discard_iteratorINS9_11use_defaultEEESG_EEENS0_18inequality_wrapperINS9_8equal_toIjEEEEPmJSF_EEE10hipError_tPvRmT3_T4_T5_T6_T7_T9_mT8_P12ihipStream_tbDpT10_ENKUlT_T0_E_clISt17integral_constantIbLb0EES1B_EEDaS16_S17_EUlS16_E_NS1_11comp_targetILNS1_3genE3ELNS1_11target_archE908ELNS1_3gpuE7ELNS1_3repE0EEENS1_30default_config_static_selectorELNS0_4arch9wavefront6targetE0EEEvT1_,"axG",@progbits,_ZN7rocprim17ROCPRIM_400000_NS6detail17trampoline_kernelINS0_14default_configENS1_25partition_config_selectorILNS1_17partition_subalgoE9EjjbEEZZNS1_14partition_implILS5_9ELb0ES3_jN6thrust23THRUST_200600_302600_NS6detail15normal_iteratorINS9_10device_ptrIjEEEESE_PNS0_10empty_typeENS0_5tupleIJSE_SF_EEENSH_IJNS9_16discard_iteratorINS9_11use_defaultEEESG_EEENS0_18inequality_wrapperINS9_8equal_toIjEEEEPmJSF_EEE10hipError_tPvRmT3_T4_T5_T6_T7_T9_mT8_P12ihipStream_tbDpT10_ENKUlT_T0_E_clISt17integral_constantIbLb0EES1B_EEDaS16_S17_EUlS16_E_NS1_11comp_targetILNS1_3genE3ELNS1_11target_archE908ELNS1_3gpuE7ELNS1_3repE0EEENS1_30default_config_static_selectorELNS0_4arch9wavefront6targetE0EEEvT1_,comdat
	.protected	_ZN7rocprim17ROCPRIM_400000_NS6detail17trampoline_kernelINS0_14default_configENS1_25partition_config_selectorILNS1_17partition_subalgoE9EjjbEEZZNS1_14partition_implILS5_9ELb0ES3_jN6thrust23THRUST_200600_302600_NS6detail15normal_iteratorINS9_10device_ptrIjEEEESE_PNS0_10empty_typeENS0_5tupleIJSE_SF_EEENSH_IJNS9_16discard_iteratorINS9_11use_defaultEEESG_EEENS0_18inequality_wrapperINS9_8equal_toIjEEEEPmJSF_EEE10hipError_tPvRmT3_T4_T5_T6_T7_T9_mT8_P12ihipStream_tbDpT10_ENKUlT_T0_E_clISt17integral_constantIbLb0EES1B_EEDaS16_S17_EUlS16_E_NS1_11comp_targetILNS1_3genE3ELNS1_11target_archE908ELNS1_3gpuE7ELNS1_3repE0EEENS1_30default_config_static_selectorELNS0_4arch9wavefront6targetE0EEEvT1_ ; -- Begin function _ZN7rocprim17ROCPRIM_400000_NS6detail17trampoline_kernelINS0_14default_configENS1_25partition_config_selectorILNS1_17partition_subalgoE9EjjbEEZZNS1_14partition_implILS5_9ELb0ES3_jN6thrust23THRUST_200600_302600_NS6detail15normal_iteratorINS9_10device_ptrIjEEEESE_PNS0_10empty_typeENS0_5tupleIJSE_SF_EEENSH_IJNS9_16discard_iteratorINS9_11use_defaultEEESG_EEENS0_18inequality_wrapperINS9_8equal_toIjEEEEPmJSF_EEE10hipError_tPvRmT3_T4_T5_T6_T7_T9_mT8_P12ihipStream_tbDpT10_ENKUlT_T0_E_clISt17integral_constantIbLb0EES1B_EEDaS16_S17_EUlS16_E_NS1_11comp_targetILNS1_3genE3ELNS1_11target_archE908ELNS1_3gpuE7ELNS1_3repE0EEENS1_30default_config_static_selectorELNS0_4arch9wavefront6targetE0EEEvT1_
	.globl	_ZN7rocprim17ROCPRIM_400000_NS6detail17trampoline_kernelINS0_14default_configENS1_25partition_config_selectorILNS1_17partition_subalgoE9EjjbEEZZNS1_14partition_implILS5_9ELb0ES3_jN6thrust23THRUST_200600_302600_NS6detail15normal_iteratorINS9_10device_ptrIjEEEESE_PNS0_10empty_typeENS0_5tupleIJSE_SF_EEENSH_IJNS9_16discard_iteratorINS9_11use_defaultEEESG_EEENS0_18inequality_wrapperINS9_8equal_toIjEEEEPmJSF_EEE10hipError_tPvRmT3_T4_T5_T6_T7_T9_mT8_P12ihipStream_tbDpT10_ENKUlT_T0_E_clISt17integral_constantIbLb0EES1B_EEDaS16_S17_EUlS16_E_NS1_11comp_targetILNS1_3genE3ELNS1_11target_archE908ELNS1_3gpuE7ELNS1_3repE0EEENS1_30default_config_static_selectorELNS0_4arch9wavefront6targetE0EEEvT1_
	.p2align	8
	.type	_ZN7rocprim17ROCPRIM_400000_NS6detail17trampoline_kernelINS0_14default_configENS1_25partition_config_selectorILNS1_17partition_subalgoE9EjjbEEZZNS1_14partition_implILS5_9ELb0ES3_jN6thrust23THRUST_200600_302600_NS6detail15normal_iteratorINS9_10device_ptrIjEEEESE_PNS0_10empty_typeENS0_5tupleIJSE_SF_EEENSH_IJNS9_16discard_iteratorINS9_11use_defaultEEESG_EEENS0_18inequality_wrapperINS9_8equal_toIjEEEEPmJSF_EEE10hipError_tPvRmT3_T4_T5_T6_T7_T9_mT8_P12ihipStream_tbDpT10_ENKUlT_T0_E_clISt17integral_constantIbLb0EES1B_EEDaS16_S17_EUlS16_E_NS1_11comp_targetILNS1_3genE3ELNS1_11target_archE908ELNS1_3gpuE7ELNS1_3repE0EEENS1_30default_config_static_selectorELNS0_4arch9wavefront6targetE0EEEvT1_,@function
_ZN7rocprim17ROCPRIM_400000_NS6detail17trampoline_kernelINS0_14default_configENS1_25partition_config_selectorILNS1_17partition_subalgoE9EjjbEEZZNS1_14partition_implILS5_9ELb0ES3_jN6thrust23THRUST_200600_302600_NS6detail15normal_iteratorINS9_10device_ptrIjEEEESE_PNS0_10empty_typeENS0_5tupleIJSE_SF_EEENSH_IJNS9_16discard_iteratorINS9_11use_defaultEEESG_EEENS0_18inequality_wrapperINS9_8equal_toIjEEEEPmJSF_EEE10hipError_tPvRmT3_T4_T5_T6_T7_T9_mT8_P12ihipStream_tbDpT10_ENKUlT_T0_E_clISt17integral_constantIbLb0EES1B_EEDaS16_S17_EUlS16_E_NS1_11comp_targetILNS1_3genE3ELNS1_11target_archE908ELNS1_3gpuE7ELNS1_3repE0EEENS1_30default_config_static_selectorELNS0_4arch9wavefront6targetE0EEEvT1_: ; @_ZN7rocprim17ROCPRIM_400000_NS6detail17trampoline_kernelINS0_14default_configENS1_25partition_config_selectorILNS1_17partition_subalgoE9EjjbEEZZNS1_14partition_implILS5_9ELb0ES3_jN6thrust23THRUST_200600_302600_NS6detail15normal_iteratorINS9_10device_ptrIjEEEESE_PNS0_10empty_typeENS0_5tupleIJSE_SF_EEENSH_IJNS9_16discard_iteratorINS9_11use_defaultEEESG_EEENS0_18inequality_wrapperINS9_8equal_toIjEEEEPmJSF_EEE10hipError_tPvRmT3_T4_T5_T6_T7_T9_mT8_P12ihipStream_tbDpT10_ENKUlT_T0_E_clISt17integral_constantIbLb0EES1B_EEDaS16_S17_EUlS16_E_NS1_11comp_targetILNS1_3genE3ELNS1_11target_archE908ELNS1_3gpuE7ELNS1_3repE0EEENS1_30default_config_static_selectorELNS0_4arch9wavefront6targetE0EEEvT1_
; %bb.0:
	.section	.rodata,"a",@progbits
	.p2align	6, 0x0
	.amdhsa_kernel _ZN7rocprim17ROCPRIM_400000_NS6detail17trampoline_kernelINS0_14default_configENS1_25partition_config_selectorILNS1_17partition_subalgoE9EjjbEEZZNS1_14partition_implILS5_9ELb0ES3_jN6thrust23THRUST_200600_302600_NS6detail15normal_iteratorINS9_10device_ptrIjEEEESE_PNS0_10empty_typeENS0_5tupleIJSE_SF_EEENSH_IJNS9_16discard_iteratorINS9_11use_defaultEEESG_EEENS0_18inequality_wrapperINS9_8equal_toIjEEEEPmJSF_EEE10hipError_tPvRmT3_T4_T5_T6_T7_T9_mT8_P12ihipStream_tbDpT10_ENKUlT_T0_E_clISt17integral_constantIbLb0EES1B_EEDaS16_S17_EUlS16_E_NS1_11comp_targetILNS1_3genE3ELNS1_11target_archE908ELNS1_3gpuE7ELNS1_3repE0EEENS1_30default_config_static_selectorELNS0_4arch9wavefront6targetE0EEEvT1_
		.amdhsa_group_segment_fixed_size 0
		.amdhsa_private_segment_fixed_size 0
		.amdhsa_kernarg_size 120
		.amdhsa_user_sgpr_count 15
		.amdhsa_user_sgpr_dispatch_ptr 0
		.amdhsa_user_sgpr_queue_ptr 0
		.amdhsa_user_sgpr_kernarg_segment_ptr 1
		.amdhsa_user_sgpr_dispatch_id 0
		.amdhsa_user_sgpr_private_segment_size 0
		.amdhsa_wavefront_size32 1
		.amdhsa_uses_dynamic_stack 0
		.amdhsa_enable_private_segment 0
		.amdhsa_system_sgpr_workgroup_id_x 1
		.amdhsa_system_sgpr_workgroup_id_y 0
		.amdhsa_system_sgpr_workgroup_id_z 0
		.amdhsa_system_sgpr_workgroup_info 0
		.amdhsa_system_vgpr_workitem_id 0
		.amdhsa_next_free_vgpr 1
		.amdhsa_next_free_sgpr 1
		.amdhsa_reserve_vcc 0
		.amdhsa_float_round_mode_32 0
		.amdhsa_float_round_mode_16_64 0
		.amdhsa_float_denorm_mode_32 3
		.amdhsa_float_denorm_mode_16_64 3
		.amdhsa_dx10_clamp 1
		.amdhsa_ieee_mode 1
		.amdhsa_fp16_overflow 0
		.amdhsa_workgroup_processor_mode 1
		.amdhsa_memory_ordered 1
		.amdhsa_forward_progress 0
		.amdhsa_shared_vgpr_count 0
		.amdhsa_exception_fp_ieee_invalid_op 0
		.amdhsa_exception_fp_denorm_src 0
		.amdhsa_exception_fp_ieee_div_zero 0
		.amdhsa_exception_fp_ieee_overflow 0
		.amdhsa_exception_fp_ieee_underflow 0
		.amdhsa_exception_fp_ieee_inexact 0
		.amdhsa_exception_int_div_zero 0
	.end_amdhsa_kernel
	.section	.text._ZN7rocprim17ROCPRIM_400000_NS6detail17trampoline_kernelINS0_14default_configENS1_25partition_config_selectorILNS1_17partition_subalgoE9EjjbEEZZNS1_14partition_implILS5_9ELb0ES3_jN6thrust23THRUST_200600_302600_NS6detail15normal_iteratorINS9_10device_ptrIjEEEESE_PNS0_10empty_typeENS0_5tupleIJSE_SF_EEENSH_IJNS9_16discard_iteratorINS9_11use_defaultEEESG_EEENS0_18inequality_wrapperINS9_8equal_toIjEEEEPmJSF_EEE10hipError_tPvRmT3_T4_T5_T6_T7_T9_mT8_P12ihipStream_tbDpT10_ENKUlT_T0_E_clISt17integral_constantIbLb0EES1B_EEDaS16_S17_EUlS16_E_NS1_11comp_targetILNS1_3genE3ELNS1_11target_archE908ELNS1_3gpuE7ELNS1_3repE0EEENS1_30default_config_static_selectorELNS0_4arch9wavefront6targetE0EEEvT1_,"axG",@progbits,_ZN7rocprim17ROCPRIM_400000_NS6detail17trampoline_kernelINS0_14default_configENS1_25partition_config_selectorILNS1_17partition_subalgoE9EjjbEEZZNS1_14partition_implILS5_9ELb0ES3_jN6thrust23THRUST_200600_302600_NS6detail15normal_iteratorINS9_10device_ptrIjEEEESE_PNS0_10empty_typeENS0_5tupleIJSE_SF_EEENSH_IJNS9_16discard_iteratorINS9_11use_defaultEEESG_EEENS0_18inequality_wrapperINS9_8equal_toIjEEEEPmJSF_EEE10hipError_tPvRmT3_T4_T5_T6_T7_T9_mT8_P12ihipStream_tbDpT10_ENKUlT_T0_E_clISt17integral_constantIbLb0EES1B_EEDaS16_S17_EUlS16_E_NS1_11comp_targetILNS1_3genE3ELNS1_11target_archE908ELNS1_3gpuE7ELNS1_3repE0EEENS1_30default_config_static_selectorELNS0_4arch9wavefront6targetE0EEEvT1_,comdat
.Lfunc_end824:
	.size	_ZN7rocprim17ROCPRIM_400000_NS6detail17trampoline_kernelINS0_14default_configENS1_25partition_config_selectorILNS1_17partition_subalgoE9EjjbEEZZNS1_14partition_implILS5_9ELb0ES3_jN6thrust23THRUST_200600_302600_NS6detail15normal_iteratorINS9_10device_ptrIjEEEESE_PNS0_10empty_typeENS0_5tupleIJSE_SF_EEENSH_IJNS9_16discard_iteratorINS9_11use_defaultEEESG_EEENS0_18inequality_wrapperINS9_8equal_toIjEEEEPmJSF_EEE10hipError_tPvRmT3_T4_T5_T6_T7_T9_mT8_P12ihipStream_tbDpT10_ENKUlT_T0_E_clISt17integral_constantIbLb0EES1B_EEDaS16_S17_EUlS16_E_NS1_11comp_targetILNS1_3genE3ELNS1_11target_archE908ELNS1_3gpuE7ELNS1_3repE0EEENS1_30default_config_static_selectorELNS0_4arch9wavefront6targetE0EEEvT1_, .Lfunc_end824-_ZN7rocprim17ROCPRIM_400000_NS6detail17trampoline_kernelINS0_14default_configENS1_25partition_config_selectorILNS1_17partition_subalgoE9EjjbEEZZNS1_14partition_implILS5_9ELb0ES3_jN6thrust23THRUST_200600_302600_NS6detail15normal_iteratorINS9_10device_ptrIjEEEESE_PNS0_10empty_typeENS0_5tupleIJSE_SF_EEENSH_IJNS9_16discard_iteratorINS9_11use_defaultEEESG_EEENS0_18inequality_wrapperINS9_8equal_toIjEEEEPmJSF_EEE10hipError_tPvRmT3_T4_T5_T6_T7_T9_mT8_P12ihipStream_tbDpT10_ENKUlT_T0_E_clISt17integral_constantIbLb0EES1B_EEDaS16_S17_EUlS16_E_NS1_11comp_targetILNS1_3genE3ELNS1_11target_archE908ELNS1_3gpuE7ELNS1_3repE0EEENS1_30default_config_static_selectorELNS0_4arch9wavefront6targetE0EEEvT1_
                                        ; -- End function
	.section	.AMDGPU.csdata,"",@progbits
; Kernel info:
; codeLenInByte = 0
; NumSgprs: 0
; NumVgprs: 0
; ScratchSize: 0
; MemoryBound: 0
; FloatMode: 240
; IeeeMode: 1
; LDSByteSize: 0 bytes/workgroup (compile time only)
; SGPRBlocks: 0
; VGPRBlocks: 0
; NumSGPRsForWavesPerEU: 1
; NumVGPRsForWavesPerEU: 1
; Occupancy: 16
; WaveLimiterHint : 0
; COMPUTE_PGM_RSRC2:SCRATCH_EN: 0
; COMPUTE_PGM_RSRC2:USER_SGPR: 15
; COMPUTE_PGM_RSRC2:TRAP_HANDLER: 0
; COMPUTE_PGM_RSRC2:TGID_X_EN: 1
; COMPUTE_PGM_RSRC2:TGID_Y_EN: 0
; COMPUTE_PGM_RSRC2:TGID_Z_EN: 0
; COMPUTE_PGM_RSRC2:TIDIG_COMP_CNT: 0
	.section	.text._ZN7rocprim17ROCPRIM_400000_NS6detail17trampoline_kernelINS0_14default_configENS1_25partition_config_selectorILNS1_17partition_subalgoE9EjjbEEZZNS1_14partition_implILS5_9ELb0ES3_jN6thrust23THRUST_200600_302600_NS6detail15normal_iteratorINS9_10device_ptrIjEEEESE_PNS0_10empty_typeENS0_5tupleIJSE_SF_EEENSH_IJNS9_16discard_iteratorINS9_11use_defaultEEESG_EEENS0_18inequality_wrapperINS9_8equal_toIjEEEEPmJSF_EEE10hipError_tPvRmT3_T4_T5_T6_T7_T9_mT8_P12ihipStream_tbDpT10_ENKUlT_T0_E_clISt17integral_constantIbLb0EES1B_EEDaS16_S17_EUlS16_E_NS1_11comp_targetILNS1_3genE2ELNS1_11target_archE906ELNS1_3gpuE6ELNS1_3repE0EEENS1_30default_config_static_selectorELNS0_4arch9wavefront6targetE0EEEvT1_,"axG",@progbits,_ZN7rocprim17ROCPRIM_400000_NS6detail17trampoline_kernelINS0_14default_configENS1_25partition_config_selectorILNS1_17partition_subalgoE9EjjbEEZZNS1_14partition_implILS5_9ELb0ES3_jN6thrust23THRUST_200600_302600_NS6detail15normal_iteratorINS9_10device_ptrIjEEEESE_PNS0_10empty_typeENS0_5tupleIJSE_SF_EEENSH_IJNS9_16discard_iteratorINS9_11use_defaultEEESG_EEENS0_18inequality_wrapperINS9_8equal_toIjEEEEPmJSF_EEE10hipError_tPvRmT3_T4_T5_T6_T7_T9_mT8_P12ihipStream_tbDpT10_ENKUlT_T0_E_clISt17integral_constantIbLb0EES1B_EEDaS16_S17_EUlS16_E_NS1_11comp_targetILNS1_3genE2ELNS1_11target_archE906ELNS1_3gpuE6ELNS1_3repE0EEENS1_30default_config_static_selectorELNS0_4arch9wavefront6targetE0EEEvT1_,comdat
	.protected	_ZN7rocprim17ROCPRIM_400000_NS6detail17trampoline_kernelINS0_14default_configENS1_25partition_config_selectorILNS1_17partition_subalgoE9EjjbEEZZNS1_14partition_implILS5_9ELb0ES3_jN6thrust23THRUST_200600_302600_NS6detail15normal_iteratorINS9_10device_ptrIjEEEESE_PNS0_10empty_typeENS0_5tupleIJSE_SF_EEENSH_IJNS9_16discard_iteratorINS9_11use_defaultEEESG_EEENS0_18inequality_wrapperINS9_8equal_toIjEEEEPmJSF_EEE10hipError_tPvRmT3_T4_T5_T6_T7_T9_mT8_P12ihipStream_tbDpT10_ENKUlT_T0_E_clISt17integral_constantIbLb0EES1B_EEDaS16_S17_EUlS16_E_NS1_11comp_targetILNS1_3genE2ELNS1_11target_archE906ELNS1_3gpuE6ELNS1_3repE0EEENS1_30default_config_static_selectorELNS0_4arch9wavefront6targetE0EEEvT1_ ; -- Begin function _ZN7rocprim17ROCPRIM_400000_NS6detail17trampoline_kernelINS0_14default_configENS1_25partition_config_selectorILNS1_17partition_subalgoE9EjjbEEZZNS1_14partition_implILS5_9ELb0ES3_jN6thrust23THRUST_200600_302600_NS6detail15normal_iteratorINS9_10device_ptrIjEEEESE_PNS0_10empty_typeENS0_5tupleIJSE_SF_EEENSH_IJNS9_16discard_iteratorINS9_11use_defaultEEESG_EEENS0_18inequality_wrapperINS9_8equal_toIjEEEEPmJSF_EEE10hipError_tPvRmT3_T4_T5_T6_T7_T9_mT8_P12ihipStream_tbDpT10_ENKUlT_T0_E_clISt17integral_constantIbLb0EES1B_EEDaS16_S17_EUlS16_E_NS1_11comp_targetILNS1_3genE2ELNS1_11target_archE906ELNS1_3gpuE6ELNS1_3repE0EEENS1_30default_config_static_selectorELNS0_4arch9wavefront6targetE0EEEvT1_
	.globl	_ZN7rocprim17ROCPRIM_400000_NS6detail17trampoline_kernelINS0_14default_configENS1_25partition_config_selectorILNS1_17partition_subalgoE9EjjbEEZZNS1_14partition_implILS5_9ELb0ES3_jN6thrust23THRUST_200600_302600_NS6detail15normal_iteratorINS9_10device_ptrIjEEEESE_PNS0_10empty_typeENS0_5tupleIJSE_SF_EEENSH_IJNS9_16discard_iteratorINS9_11use_defaultEEESG_EEENS0_18inequality_wrapperINS9_8equal_toIjEEEEPmJSF_EEE10hipError_tPvRmT3_T4_T5_T6_T7_T9_mT8_P12ihipStream_tbDpT10_ENKUlT_T0_E_clISt17integral_constantIbLb0EES1B_EEDaS16_S17_EUlS16_E_NS1_11comp_targetILNS1_3genE2ELNS1_11target_archE906ELNS1_3gpuE6ELNS1_3repE0EEENS1_30default_config_static_selectorELNS0_4arch9wavefront6targetE0EEEvT1_
	.p2align	8
	.type	_ZN7rocprim17ROCPRIM_400000_NS6detail17trampoline_kernelINS0_14default_configENS1_25partition_config_selectorILNS1_17partition_subalgoE9EjjbEEZZNS1_14partition_implILS5_9ELb0ES3_jN6thrust23THRUST_200600_302600_NS6detail15normal_iteratorINS9_10device_ptrIjEEEESE_PNS0_10empty_typeENS0_5tupleIJSE_SF_EEENSH_IJNS9_16discard_iteratorINS9_11use_defaultEEESG_EEENS0_18inequality_wrapperINS9_8equal_toIjEEEEPmJSF_EEE10hipError_tPvRmT3_T4_T5_T6_T7_T9_mT8_P12ihipStream_tbDpT10_ENKUlT_T0_E_clISt17integral_constantIbLb0EES1B_EEDaS16_S17_EUlS16_E_NS1_11comp_targetILNS1_3genE2ELNS1_11target_archE906ELNS1_3gpuE6ELNS1_3repE0EEENS1_30default_config_static_selectorELNS0_4arch9wavefront6targetE0EEEvT1_,@function
_ZN7rocprim17ROCPRIM_400000_NS6detail17trampoline_kernelINS0_14default_configENS1_25partition_config_selectorILNS1_17partition_subalgoE9EjjbEEZZNS1_14partition_implILS5_9ELb0ES3_jN6thrust23THRUST_200600_302600_NS6detail15normal_iteratorINS9_10device_ptrIjEEEESE_PNS0_10empty_typeENS0_5tupleIJSE_SF_EEENSH_IJNS9_16discard_iteratorINS9_11use_defaultEEESG_EEENS0_18inequality_wrapperINS9_8equal_toIjEEEEPmJSF_EEE10hipError_tPvRmT3_T4_T5_T6_T7_T9_mT8_P12ihipStream_tbDpT10_ENKUlT_T0_E_clISt17integral_constantIbLb0EES1B_EEDaS16_S17_EUlS16_E_NS1_11comp_targetILNS1_3genE2ELNS1_11target_archE906ELNS1_3gpuE6ELNS1_3repE0EEENS1_30default_config_static_selectorELNS0_4arch9wavefront6targetE0EEEvT1_: ; @_ZN7rocprim17ROCPRIM_400000_NS6detail17trampoline_kernelINS0_14default_configENS1_25partition_config_selectorILNS1_17partition_subalgoE9EjjbEEZZNS1_14partition_implILS5_9ELb0ES3_jN6thrust23THRUST_200600_302600_NS6detail15normal_iteratorINS9_10device_ptrIjEEEESE_PNS0_10empty_typeENS0_5tupleIJSE_SF_EEENSH_IJNS9_16discard_iteratorINS9_11use_defaultEEESG_EEENS0_18inequality_wrapperINS9_8equal_toIjEEEEPmJSF_EEE10hipError_tPvRmT3_T4_T5_T6_T7_T9_mT8_P12ihipStream_tbDpT10_ENKUlT_T0_E_clISt17integral_constantIbLb0EES1B_EEDaS16_S17_EUlS16_E_NS1_11comp_targetILNS1_3genE2ELNS1_11target_archE906ELNS1_3gpuE6ELNS1_3repE0EEENS1_30default_config_static_selectorELNS0_4arch9wavefront6targetE0EEEvT1_
; %bb.0:
	.section	.rodata,"a",@progbits
	.p2align	6, 0x0
	.amdhsa_kernel _ZN7rocprim17ROCPRIM_400000_NS6detail17trampoline_kernelINS0_14default_configENS1_25partition_config_selectorILNS1_17partition_subalgoE9EjjbEEZZNS1_14partition_implILS5_9ELb0ES3_jN6thrust23THRUST_200600_302600_NS6detail15normal_iteratorINS9_10device_ptrIjEEEESE_PNS0_10empty_typeENS0_5tupleIJSE_SF_EEENSH_IJNS9_16discard_iteratorINS9_11use_defaultEEESG_EEENS0_18inequality_wrapperINS9_8equal_toIjEEEEPmJSF_EEE10hipError_tPvRmT3_T4_T5_T6_T7_T9_mT8_P12ihipStream_tbDpT10_ENKUlT_T0_E_clISt17integral_constantIbLb0EES1B_EEDaS16_S17_EUlS16_E_NS1_11comp_targetILNS1_3genE2ELNS1_11target_archE906ELNS1_3gpuE6ELNS1_3repE0EEENS1_30default_config_static_selectorELNS0_4arch9wavefront6targetE0EEEvT1_
		.amdhsa_group_segment_fixed_size 0
		.amdhsa_private_segment_fixed_size 0
		.amdhsa_kernarg_size 120
		.amdhsa_user_sgpr_count 15
		.amdhsa_user_sgpr_dispatch_ptr 0
		.amdhsa_user_sgpr_queue_ptr 0
		.amdhsa_user_sgpr_kernarg_segment_ptr 1
		.amdhsa_user_sgpr_dispatch_id 0
		.amdhsa_user_sgpr_private_segment_size 0
		.amdhsa_wavefront_size32 1
		.amdhsa_uses_dynamic_stack 0
		.amdhsa_enable_private_segment 0
		.amdhsa_system_sgpr_workgroup_id_x 1
		.amdhsa_system_sgpr_workgroup_id_y 0
		.amdhsa_system_sgpr_workgroup_id_z 0
		.amdhsa_system_sgpr_workgroup_info 0
		.amdhsa_system_vgpr_workitem_id 0
		.amdhsa_next_free_vgpr 1
		.amdhsa_next_free_sgpr 1
		.amdhsa_reserve_vcc 0
		.amdhsa_float_round_mode_32 0
		.amdhsa_float_round_mode_16_64 0
		.amdhsa_float_denorm_mode_32 3
		.amdhsa_float_denorm_mode_16_64 3
		.amdhsa_dx10_clamp 1
		.amdhsa_ieee_mode 1
		.amdhsa_fp16_overflow 0
		.amdhsa_workgroup_processor_mode 1
		.amdhsa_memory_ordered 1
		.amdhsa_forward_progress 0
		.amdhsa_shared_vgpr_count 0
		.amdhsa_exception_fp_ieee_invalid_op 0
		.amdhsa_exception_fp_denorm_src 0
		.amdhsa_exception_fp_ieee_div_zero 0
		.amdhsa_exception_fp_ieee_overflow 0
		.amdhsa_exception_fp_ieee_underflow 0
		.amdhsa_exception_fp_ieee_inexact 0
		.amdhsa_exception_int_div_zero 0
	.end_amdhsa_kernel
	.section	.text._ZN7rocprim17ROCPRIM_400000_NS6detail17trampoline_kernelINS0_14default_configENS1_25partition_config_selectorILNS1_17partition_subalgoE9EjjbEEZZNS1_14partition_implILS5_9ELb0ES3_jN6thrust23THRUST_200600_302600_NS6detail15normal_iteratorINS9_10device_ptrIjEEEESE_PNS0_10empty_typeENS0_5tupleIJSE_SF_EEENSH_IJNS9_16discard_iteratorINS9_11use_defaultEEESG_EEENS0_18inequality_wrapperINS9_8equal_toIjEEEEPmJSF_EEE10hipError_tPvRmT3_T4_T5_T6_T7_T9_mT8_P12ihipStream_tbDpT10_ENKUlT_T0_E_clISt17integral_constantIbLb0EES1B_EEDaS16_S17_EUlS16_E_NS1_11comp_targetILNS1_3genE2ELNS1_11target_archE906ELNS1_3gpuE6ELNS1_3repE0EEENS1_30default_config_static_selectorELNS0_4arch9wavefront6targetE0EEEvT1_,"axG",@progbits,_ZN7rocprim17ROCPRIM_400000_NS6detail17trampoline_kernelINS0_14default_configENS1_25partition_config_selectorILNS1_17partition_subalgoE9EjjbEEZZNS1_14partition_implILS5_9ELb0ES3_jN6thrust23THRUST_200600_302600_NS6detail15normal_iteratorINS9_10device_ptrIjEEEESE_PNS0_10empty_typeENS0_5tupleIJSE_SF_EEENSH_IJNS9_16discard_iteratorINS9_11use_defaultEEESG_EEENS0_18inequality_wrapperINS9_8equal_toIjEEEEPmJSF_EEE10hipError_tPvRmT3_T4_T5_T6_T7_T9_mT8_P12ihipStream_tbDpT10_ENKUlT_T0_E_clISt17integral_constantIbLb0EES1B_EEDaS16_S17_EUlS16_E_NS1_11comp_targetILNS1_3genE2ELNS1_11target_archE906ELNS1_3gpuE6ELNS1_3repE0EEENS1_30default_config_static_selectorELNS0_4arch9wavefront6targetE0EEEvT1_,comdat
.Lfunc_end825:
	.size	_ZN7rocprim17ROCPRIM_400000_NS6detail17trampoline_kernelINS0_14default_configENS1_25partition_config_selectorILNS1_17partition_subalgoE9EjjbEEZZNS1_14partition_implILS5_9ELb0ES3_jN6thrust23THRUST_200600_302600_NS6detail15normal_iteratorINS9_10device_ptrIjEEEESE_PNS0_10empty_typeENS0_5tupleIJSE_SF_EEENSH_IJNS9_16discard_iteratorINS9_11use_defaultEEESG_EEENS0_18inequality_wrapperINS9_8equal_toIjEEEEPmJSF_EEE10hipError_tPvRmT3_T4_T5_T6_T7_T9_mT8_P12ihipStream_tbDpT10_ENKUlT_T0_E_clISt17integral_constantIbLb0EES1B_EEDaS16_S17_EUlS16_E_NS1_11comp_targetILNS1_3genE2ELNS1_11target_archE906ELNS1_3gpuE6ELNS1_3repE0EEENS1_30default_config_static_selectorELNS0_4arch9wavefront6targetE0EEEvT1_, .Lfunc_end825-_ZN7rocprim17ROCPRIM_400000_NS6detail17trampoline_kernelINS0_14default_configENS1_25partition_config_selectorILNS1_17partition_subalgoE9EjjbEEZZNS1_14partition_implILS5_9ELb0ES3_jN6thrust23THRUST_200600_302600_NS6detail15normal_iteratorINS9_10device_ptrIjEEEESE_PNS0_10empty_typeENS0_5tupleIJSE_SF_EEENSH_IJNS9_16discard_iteratorINS9_11use_defaultEEESG_EEENS0_18inequality_wrapperINS9_8equal_toIjEEEEPmJSF_EEE10hipError_tPvRmT3_T4_T5_T6_T7_T9_mT8_P12ihipStream_tbDpT10_ENKUlT_T0_E_clISt17integral_constantIbLb0EES1B_EEDaS16_S17_EUlS16_E_NS1_11comp_targetILNS1_3genE2ELNS1_11target_archE906ELNS1_3gpuE6ELNS1_3repE0EEENS1_30default_config_static_selectorELNS0_4arch9wavefront6targetE0EEEvT1_
                                        ; -- End function
	.section	.AMDGPU.csdata,"",@progbits
; Kernel info:
; codeLenInByte = 0
; NumSgprs: 0
; NumVgprs: 0
; ScratchSize: 0
; MemoryBound: 0
; FloatMode: 240
; IeeeMode: 1
; LDSByteSize: 0 bytes/workgroup (compile time only)
; SGPRBlocks: 0
; VGPRBlocks: 0
; NumSGPRsForWavesPerEU: 1
; NumVGPRsForWavesPerEU: 1
; Occupancy: 16
; WaveLimiterHint : 0
; COMPUTE_PGM_RSRC2:SCRATCH_EN: 0
; COMPUTE_PGM_RSRC2:USER_SGPR: 15
; COMPUTE_PGM_RSRC2:TRAP_HANDLER: 0
; COMPUTE_PGM_RSRC2:TGID_X_EN: 1
; COMPUTE_PGM_RSRC2:TGID_Y_EN: 0
; COMPUTE_PGM_RSRC2:TGID_Z_EN: 0
; COMPUTE_PGM_RSRC2:TIDIG_COMP_CNT: 0
	.section	.text._ZN7rocprim17ROCPRIM_400000_NS6detail17trampoline_kernelINS0_14default_configENS1_25partition_config_selectorILNS1_17partition_subalgoE9EjjbEEZZNS1_14partition_implILS5_9ELb0ES3_jN6thrust23THRUST_200600_302600_NS6detail15normal_iteratorINS9_10device_ptrIjEEEESE_PNS0_10empty_typeENS0_5tupleIJSE_SF_EEENSH_IJNS9_16discard_iteratorINS9_11use_defaultEEESG_EEENS0_18inequality_wrapperINS9_8equal_toIjEEEEPmJSF_EEE10hipError_tPvRmT3_T4_T5_T6_T7_T9_mT8_P12ihipStream_tbDpT10_ENKUlT_T0_E_clISt17integral_constantIbLb0EES1B_EEDaS16_S17_EUlS16_E_NS1_11comp_targetILNS1_3genE10ELNS1_11target_archE1200ELNS1_3gpuE4ELNS1_3repE0EEENS1_30default_config_static_selectorELNS0_4arch9wavefront6targetE0EEEvT1_,"axG",@progbits,_ZN7rocprim17ROCPRIM_400000_NS6detail17trampoline_kernelINS0_14default_configENS1_25partition_config_selectorILNS1_17partition_subalgoE9EjjbEEZZNS1_14partition_implILS5_9ELb0ES3_jN6thrust23THRUST_200600_302600_NS6detail15normal_iteratorINS9_10device_ptrIjEEEESE_PNS0_10empty_typeENS0_5tupleIJSE_SF_EEENSH_IJNS9_16discard_iteratorINS9_11use_defaultEEESG_EEENS0_18inequality_wrapperINS9_8equal_toIjEEEEPmJSF_EEE10hipError_tPvRmT3_T4_T5_T6_T7_T9_mT8_P12ihipStream_tbDpT10_ENKUlT_T0_E_clISt17integral_constantIbLb0EES1B_EEDaS16_S17_EUlS16_E_NS1_11comp_targetILNS1_3genE10ELNS1_11target_archE1200ELNS1_3gpuE4ELNS1_3repE0EEENS1_30default_config_static_selectorELNS0_4arch9wavefront6targetE0EEEvT1_,comdat
	.protected	_ZN7rocprim17ROCPRIM_400000_NS6detail17trampoline_kernelINS0_14default_configENS1_25partition_config_selectorILNS1_17partition_subalgoE9EjjbEEZZNS1_14partition_implILS5_9ELb0ES3_jN6thrust23THRUST_200600_302600_NS6detail15normal_iteratorINS9_10device_ptrIjEEEESE_PNS0_10empty_typeENS0_5tupleIJSE_SF_EEENSH_IJNS9_16discard_iteratorINS9_11use_defaultEEESG_EEENS0_18inequality_wrapperINS9_8equal_toIjEEEEPmJSF_EEE10hipError_tPvRmT3_T4_T5_T6_T7_T9_mT8_P12ihipStream_tbDpT10_ENKUlT_T0_E_clISt17integral_constantIbLb0EES1B_EEDaS16_S17_EUlS16_E_NS1_11comp_targetILNS1_3genE10ELNS1_11target_archE1200ELNS1_3gpuE4ELNS1_3repE0EEENS1_30default_config_static_selectorELNS0_4arch9wavefront6targetE0EEEvT1_ ; -- Begin function _ZN7rocprim17ROCPRIM_400000_NS6detail17trampoline_kernelINS0_14default_configENS1_25partition_config_selectorILNS1_17partition_subalgoE9EjjbEEZZNS1_14partition_implILS5_9ELb0ES3_jN6thrust23THRUST_200600_302600_NS6detail15normal_iteratorINS9_10device_ptrIjEEEESE_PNS0_10empty_typeENS0_5tupleIJSE_SF_EEENSH_IJNS9_16discard_iteratorINS9_11use_defaultEEESG_EEENS0_18inequality_wrapperINS9_8equal_toIjEEEEPmJSF_EEE10hipError_tPvRmT3_T4_T5_T6_T7_T9_mT8_P12ihipStream_tbDpT10_ENKUlT_T0_E_clISt17integral_constantIbLb0EES1B_EEDaS16_S17_EUlS16_E_NS1_11comp_targetILNS1_3genE10ELNS1_11target_archE1200ELNS1_3gpuE4ELNS1_3repE0EEENS1_30default_config_static_selectorELNS0_4arch9wavefront6targetE0EEEvT1_
	.globl	_ZN7rocprim17ROCPRIM_400000_NS6detail17trampoline_kernelINS0_14default_configENS1_25partition_config_selectorILNS1_17partition_subalgoE9EjjbEEZZNS1_14partition_implILS5_9ELb0ES3_jN6thrust23THRUST_200600_302600_NS6detail15normal_iteratorINS9_10device_ptrIjEEEESE_PNS0_10empty_typeENS0_5tupleIJSE_SF_EEENSH_IJNS9_16discard_iteratorINS9_11use_defaultEEESG_EEENS0_18inequality_wrapperINS9_8equal_toIjEEEEPmJSF_EEE10hipError_tPvRmT3_T4_T5_T6_T7_T9_mT8_P12ihipStream_tbDpT10_ENKUlT_T0_E_clISt17integral_constantIbLb0EES1B_EEDaS16_S17_EUlS16_E_NS1_11comp_targetILNS1_3genE10ELNS1_11target_archE1200ELNS1_3gpuE4ELNS1_3repE0EEENS1_30default_config_static_selectorELNS0_4arch9wavefront6targetE0EEEvT1_
	.p2align	8
	.type	_ZN7rocprim17ROCPRIM_400000_NS6detail17trampoline_kernelINS0_14default_configENS1_25partition_config_selectorILNS1_17partition_subalgoE9EjjbEEZZNS1_14partition_implILS5_9ELb0ES3_jN6thrust23THRUST_200600_302600_NS6detail15normal_iteratorINS9_10device_ptrIjEEEESE_PNS0_10empty_typeENS0_5tupleIJSE_SF_EEENSH_IJNS9_16discard_iteratorINS9_11use_defaultEEESG_EEENS0_18inequality_wrapperINS9_8equal_toIjEEEEPmJSF_EEE10hipError_tPvRmT3_T4_T5_T6_T7_T9_mT8_P12ihipStream_tbDpT10_ENKUlT_T0_E_clISt17integral_constantIbLb0EES1B_EEDaS16_S17_EUlS16_E_NS1_11comp_targetILNS1_3genE10ELNS1_11target_archE1200ELNS1_3gpuE4ELNS1_3repE0EEENS1_30default_config_static_selectorELNS0_4arch9wavefront6targetE0EEEvT1_,@function
_ZN7rocprim17ROCPRIM_400000_NS6detail17trampoline_kernelINS0_14default_configENS1_25partition_config_selectorILNS1_17partition_subalgoE9EjjbEEZZNS1_14partition_implILS5_9ELb0ES3_jN6thrust23THRUST_200600_302600_NS6detail15normal_iteratorINS9_10device_ptrIjEEEESE_PNS0_10empty_typeENS0_5tupleIJSE_SF_EEENSH_IJNS9_16discard_iteratorINS9_11use_defaultEEESG_EEENS0_18inequality_wrapperINS9_8equal_toIjEEEEPmJSF_EEE10hipError_tPvRmT3_T4_T5_T6_T7_T9_mT8_P12ihipStream_tbDpT10_ENKUlT_T0_E_clISt17integral_constantIbLb0EES1B_EEDaS16_S17_EUlS16_E_NS1_11comp_targetILNS1_3genE10ELNS1_11target_archE1200ELNS1_3gpuE4ELNS1_3repE0EEENS1_30default_config_static_selectorELNS0_4arch9wavefront6targetE0EEEvT1_: ; @_ZN7rocprim17ROCPRIM_400000_NS6detail17trampoline_kernelINS0_14default_configENS1_25partition_config_selectorILNS1_17partition_subalgoE9EjjbEEZZNS1_14partition_implILS5_9ELb0ES3_jN6thrust23THRUST_200600_302600_NS6detail15normal_iteratorINS9_10device_ptrIjEEEESE_PNS0_10empty_typeENS0_5tupleIJSE_SF_EEENSH_IJNS9_16discard_iteratorINS9_11use_defaultEEESG_EEENS0_18inequality_wrapperINS9_8equal_toIjEEEEPmJSF_EEE10hipError_tPvRmT3_T4_T5_T6_T7_T9_mT8_P12ihipStream_tbDpT10_ENKUlT_T0_E_clISt17integral_constantIbLb0EES1B_EEDaS16_S17_EUlS16_E_NS1_11comp_targetILNS1_3genE10ELNS1_11target_archE1200ELNS1_3gpuE4ELNS1_3repE0EEENS1_30default_config_static_selectorELNS0_4arch9wavefront6targetE0EEEvT1_
; %bb.0:
	.section	.rodata,"a",@progbits
	.p2align	6, 0x0
	.amdhsa_kernel _ZN7rocprim17ROCPRIM_400000_NS6detail17trampoline_kernelINS0_14default_configENS1_25partition_config_selectorILNS1_17partition_subalgoE9EjjbEEZZNS1_14partition_implILS5_9ELb0ES3_jN6thrust23THRUST_200600_302600_NS6detail15normal_iteratorINS9_10device_ptrIjEEEESE_PNS0_10empty_typeENS0_5tupleIJSE_SF_EEENSH_IJNS9_16discard_iteratorINS9_11use_defaultEEESG_EEENS0_18inequality_wrapperINS9_8equal_toIjEEEEPmJSF_EEE10hipError_tPvRmT3_T4_T5_T6_T7_T9_mT8_P12ihipStream_tbDpT10_ENKUlT_T0_E_clISt17integral_constantIbLb0EES1B_EEDaS16_S17_EUlS16_E_NS1_11comp_targetILNS1_3genE10ELNS1_11target_archE1200ELNS1_3gpuE4ELNS1_3repE0EEENS1_30default_config_static_selectorELNS0_4arch9wavefront6targetE0EEEvT1_
		.amdhsa_group_segment_fixed_size 0
		.amdhsa_private_segment_fixed_size 0
		.amdhsa_kernarg_size 120
		.amdhsa_user_sgpr_count 15
		.amdhsa_user_sgpr_dispatch_ptr 0
		.amdhsa_user_sgpr_queue_ptr 0
		.amdhsa_user_sgpr_kernarg_segment_ptr 1
		.amdhsa_user_sgpr_dispatch_id 0
		.amdhsa_user_sgpr_private_segment_size 0
		.amdhsa_wavefront_size32 1
		.amdhsa_uses_dynamic_stack 0
		.amdhsa_enable_private_segment 0
		.amdhsa_system_sgpr_workgroup_id_x 1
		.amdhsa_system_sgpr_workgroup_id_y 0
		.amdhsa_system_sgpr_workgroup_id_z 0
		.amdhsa_system_sgpr_workgroup_info 0
		.amdhsa_system_vgpr_workitem_id 0
		.amdhsa_next_free_vgpr 1
		.amdhsa_next_free_sgpr 1
		.amdhsa_reserve_vcc 0
		.amdhsa_float_round_mode_32 0
		.amdhsa_float_round_mode_16_64 0
		.amdhsa_float_denorm_mode_32 3
		.amdhsa_float_denorm_mode_16_64 3
		.amdhsa_dx10_clamp 1
		.amdhsa_ieee_mode 1
		.amdhsa_fp16_overflow 0
		.amdhsa_workgroup_processor_mode 1
		.amdhsa_memory_ordered 1
		.amdhsa_forward_progress 0
		.amdhsa_shared_vgpr_count 0
		.amdhsa_exception_fp_ieee_invalid_op 0
		.amdhsa_exception_fp_denorm_src 0
		.amdhsa_exception_fp_ieee_div_zero 0
		.amdhsa_exception_fp_ieee_overflow 0
		.amdhsa_exception_fp_ieee_underflow 0
		.amdhsa_exception_fp_ieee_inexact 0
		.amdhsa_exception_int_div_zero 0
	.end_amdhsa_kernel
	.section	.text._ZN7rocprim17ROCPRIM_400000_NS6detail17trampoline_kernelINS0_14default_configENS1_25partition_config_selectorILNS1_17partition_subalgoE9EjjbEEZZNS1_14partition_implILS5_9ELb0ES3_jN6thrust23THRUST_200600_302600_NS6detail15normal_iteratorINS9_10device_ptrIjEEEESE_PNS0_10empty_typeENS0_5tupleIJSE_SF_EEENSH_IJNS9_16discard_iteratorINS9_11use_defaultEEESG_EEENS0_18inequality_wrapperINS9_8equal_toIjEEEEPmJSF_EEE10hipError_tPvRmT3_T4_T5_T6_T7_T9_mT8_P12ihipStream_tbDpT10_ENKUlT_T0_E_clISt17integral_constantIbLb0EES1B_EEDaS16_S17_EUlS16_E_NS1_11comp_targetILNS1_3genE10ELNS1_11target_archE1200ELNS1_3gpuE4ELNS1_3repE0EEENS1_30default_config_static_selectorELNS0_4arch9wavefront6targetE0EEEvT1_,"axG",@progbits,_ZN7rocprim17ROCPRIM_400000_NS6detail17trampoline_kernelINS0_14default_configENS1_25partition_config_selectorILNS1_17partition_subalgoE9EjjbEEZZNS1_14partition_implILS5_9ELb0ES3_jN6thrust23THRUST_200600_302600_NS6detail15normal_iteratorINS9_10device_ptrIjEEEESE_PNS0_10empty_typeENS0_5tupleIJSE_SF_EEENSH_IJNS9_16discard_iteratorINS9_11use_defaultEEESG_EEENS0_18inequality_wrapperINS9_8equal_toIjEEEEPmJSF_EEE10hipError_tPvRmT3_T4_T5_T6_T7_T9_mT8_P12ihipStream_tbDpT10_ENKUlT_T0_E_clISt17integral_constantIbLb0EES1B_EEDaS16_S17_EUlS16_E_NS1_11comp_targetILNS1_3genE10ELNS1_11target_archE1200ELNS1_3gpuE4ELNS1_3repE0EEENS1_30default_config_static_selectorELNS0_4arch9wavefront6targetE0EEEvT1_,comdat
.Lfunc_end826:
	.size	_ZN7rocprim17ROCPRIM_400000_NS6detail17trampoline_kernelINS0_14default_configENS1_25partition_config_selectorILNS1_17partition_subalgoE9EjjbEEZZNS1_14partition_implILS5_9ELb0ES3_jN6thrust23THRUST_200600_302600_NS6detail15normal_iteratorINS9_10device_ptrIjEEEESE_PNS0_10empty_typeENS0_5tupleIJSE_SF_EEENSH_IJNS9_16discard_iteratorINS9_11use_defaultEEESG_EEENS0_18inequality_wrapperINS9_8equal_toIjEEEEPmJSF_EEE10hipError_tPvRmT3_T4_T5_T6_T7_T9_mT8_P12ihipStream_tbDpT10_ENKUlT_T0_E_clISt17integral_constantIbLb0EES1B_EEDaS16_S17_EUlS16_E_NS1_11comp_targetILNS1_3genE10ELNS1_11target_archE1200ELNS1_3gpuE4ELNS1_3repE0EEENS1_30default_config_static_selectorELNS0_4arch9wavefront6targetE0EEEvT1_, .Lfunc_end826-_ZN7rocprim17ROCPRIM_400000_NS6detail17trampoline_kernelINS0_14default_configENS1_25partition_config_selectorILNS1_17partition_subalgoE9EjjbEEZZNS1_14partition_implILS5_9ELb0ES3_jN6thrust23THRUST_200600_302600_NS6detail15normal_iteratorINS9_10device_ptrIjEEEESE_PNS0_10empty_typeENS0_5tupleIJSE_SF_EEENSH_IJNS9_16discard_iteratorINS9_11use_defaultEEESG_EEENS0_18inequality_wrapperINS9_8equal_toIjEEEEPmJSF_EEE10hipError_tPvRmT3_T4_T5_T6_T7_T9_mT8_P12ihipStream_tbDpT10_ENKUlT_T0_E_clISt17integral_constantIbLb0EES1B_EEDaS16_S17_EUlS16_E_NS1_11comp_targetILNS1_3genE10ELNS1_11target_archE1200ELNS1_3gpuE4ELNS1_3repE0EEENS1_30default_config_static_selectorELNS0_4arch9wavefront6targetE0EEEvT1_
                                        ; -- End function
	.section	.AMDGPU.csdata,"",@progbits
; Kernel info:
; codeLenInByte = 0
; NumSgprs: 0
; NumVgprs: 0
; ScratchSize: 0
; MemoryBound: 0
; FloatMode: 240
; IeeeMode: 1
; LDSByteSize: 0 bytes/workgroup (compile time only)
; SGPRBlocks: 0
; VGPRBlocks: 0
; NumSGPRsForWavesPerEU: 1
; NumVGPRsForWavesPerEU: 1
; Occupancy: 15
; WaveLimiterHint : 0
; COMPUTE_PGM_RSRC2:SCRATCH_EN: 0
; COMPUTE_PGM_RSRC2:USER_SGPR: 15
; COMPUTE_PGM_RSRC2:TRAP_HANDLER: 0
; COMPUTE_PGM_RSRC2:TGID_X_EN: 1
; COMPUTE_PGM_RSRC2:TGID_Y_EN: 0
; COMPUTE_PGM_RSRC2:TGID_Z_EN: 0
; COMPUTE_PGM_RSRC2:TIDIG_COMP_CNT: 0
	.section	.text._ZN7rocprim17ROCPRIM_400000_NS6detail17trampoline_kernelINS0_14default_configENS1_25partition_config_selectorILNS1_17partition_subalgoE9EjjbEEZZNS1_14partition_implILS5_9ELb0ES3_jN6thrust23THRUST_200600_302600_NS6detail15normal_iteratorINS9_10device_ptrIjEEEESE_PNS0_10empty_typeENS0_5tupleIJSE_SF_EEENSH_IJNS9_16discard_iteratorINS9_11use_defaultEEESG_EEENS0_18inequality_wrapperINS9_8equal_toIjEEEEPmJSF_EEE10hipError_tPvRmT3_T4_T5_T6_T7_T9_mT8_P12ihipStream_tbDpT10_ENKUlT_T0_E_clISt17integral_constantIbLb0EES1B_EEDaS16_S17_EUlS16_E_NS1_11comp_targetILNS1_3genE9ELNS1_11target_archE1100ELNS1_3gpuE3ELNS1_3repE0EEENS1_30default_config_static_selectorELNS0_4arch9wavefront6targetE0EEEvT1_,"axG",@progbits,_ZN7rocprim17ROCPRIM_400000_NS6detail17trampoline_kernelINS0_14default_configENS1_25partition_config_selectorILNS1_17partition_subalgoE9EjjbEEZZNS1_14partition_implILS5_9ELb0ES3_jN6thrust23THRUST_200600_302600_NS6detail15normal_iteratorINS9_10device_ptrIjEEEESE_PNS0_10empty_typeENS0_5tupleIJSE_SF_EEENSH_IJNS9_16discard_iteratorINS9_11use_defaultEEESG_EEENS0_18inequality_wrapperINS9_8equal_toIjEEEEPmJSF_EEE10hipError_tPvRmT3_T4_T5_T6_T7_T9_mT8_P12ihipStream_tbDpT10_ENKUlT_T0_E_clISt17integral_constantIbLb0EES1B_EEDaS16_S17_EUlS16_E_NS1_11comp_targetILNS1_3genE9ELNS1_11target_archE1100ELNS1_3gpuE3ELNS1_3repE0EEENS1_30default_config_static_selectorELNS0_4arch9wavefront6targetE0EEEvT1_,comdat
	.protected	_ZN7rocprim17ROCPRIM_400000_NS6detail17trampoline_kernelINS0_14default_configENS1_25partition_config_selectorILNS1_17partition_subalgoE9EjjbEEZZNS1_14partition_implILS5_9ELb0ES3_jN6thrust23THRUST_200600_302600_NS6detail15normal_iteratorINS9_10device_ptrIjEEEESE_PNS0_10empty_typeENS0_5tupleIJSE_SF_EEENSH_IJNS9_16discard_iteratorINS9_11use_defaultEEESG_EEENS0_18inequality_wrapperINS9_8equal_toIjEEEEPmJSF_EEE10hipError_tPvRmT3_T4_T5_T6_T7_T9_mT8_P12ihipStream_tbDpT10_ENKUlT_T0_E_clISt17integral_constantIbLb0EES1B_EEDaS16_S17_EUlS16_E_NS1_11comp_targetILNS1_3genE9ELNS1_11target_archE1100ELNS1_3gpuE3ELNS1_3repE0EEENS1_30default_config_static_selectorELNS0_4arch9wavefront6targetE0EEEvT1_ ; -- Begin function _ZN7rocprim17ROCPRIM_400000_NS6detail17trampoline_kernelINS0_14default_configENS1_25partition_config_selectorILNS1_17partition_subalgoE9EjjbEEZZNS1_14partition_implILS5_9ELb0ES3_jN6thrust23THRUST_200600_302600_NS6detail15normal_iteratorINS9_10device_ptrIjEEEESE_PNS0_10empty_typeENS0_5tupleIJSE_SF_EEENSH_IJNS9_16discard_iteratorINS9_11use_defaultEEESG_EEENS0_18inequality_wrapperINS9_8equal_toIjEEEEPmJSF_EEE10hipError_tPvRmT3_T4_T5_T6_T7_T9_mT8_P12ihipStream_tbDpT10_ENKUlT_T0_E_clISt17integral_constantIbLb0EES1B_EEDaS16_S17_EUlS16_E_NS1_11comp_targetILNS1_3genE9ELNS1_11target_archE1100ELNS1_3gpuE3ELNS1_3repE0EEENS1_30default_config_static_selectorELNS0_4arch9wavefront6targetE0EEEvT1_
	.globl	_ZN7rocprim17ROCPRIM_400000_NS6detail17trampoline_kernelINS0_14default_configENS1_25partition_config_selectorILNS1_17partition_subalgoE9EjjbEEZZNS1_14partition_implILS5_9ELb0ES3_jN6thrust23THRUST_200600_302600_NS6detail15normal_iteratorINS9_10device_ptrIjEEEESE_PNS0_10empty_typeENS0_5tupleIJSE_SF_EEENSH_IJNS9_16discard_iteratorINS9_11use_defaultEEESG_EEENS0_18inequality_wrapperINS9_8equal_toIjEEEEPmJSF_EEE10hipError_tPvRmT3_T4_T5_T6_T7_T9_mT8_P12ihipStream_tbDpT10_ENKUlT_T0_E_clISt17integral_constantIbLb0EES1B_EEDaS16_S17_EUlS16_E_NS1_11comp_targetILNS1_3genE9ELNS1_11target_archE1100ELNS1_3gpuE3ELNS1_3repE0EEENS1_30default_config_static_selectorELNS0_4arch9wavefront6targetE0EEEvT1_
	.p2align	8
	.type	_ZN7rocprim17ROCPRIM_400000_NS6detail17trampoline_kernelINS0_14default_configENS1_25partition_config_selectorILNS1_17partition_subalgoE9EjjbEEZZNS1_14partition_implILS5_9ELb0ES3_jN6thrust23THRUST_200600_302600_NS6detail15normal_iteratorINS9_10device_ptrIjEEEESE_PNS0_10empty_typeENS0_5tupleIJSE_SF_EEENSH_IJNS9_16discard_iteratorINS9_11use_defaultEEESG_EEENS0_18inequality_wrapperINS9_8equal_toIjEEEEPmJSF_EEE10hipError_tPvRmT3_T4_T5_T6_T7_T9_mT8_P12ihipStream_tbDpT10_ENKUlT_T0_E_clISt17integral_constantIbLb0EES1B_EEDaS16_S17_EUlS16_E_NS1_11comp_targetILNS1_3genE9ELNS1_11target_archE1100ELNS1_3gpuE3ELNS1_3repE0EEENS1_30default_config_static_selectorELNS0_4arch9wavefront6targetE0EEEvT1_,@function
_ZN7rocprim17ROCPRIM_400000_NS6detail17trampoline_kernelINS0_14default_configENS1_25partition_config_selectorILNS1_17partition_subalgoE9EjjbEEZZNS1_14partition_implILS5_9ELb0ES3_jN6thrust23THRUST_200600_302600_NS6detail15normal_iteratorINS9_10device_ptrIjEEEESE_PNS0_10empty_typeENS0_5tupleIJSE_SF_EEENSH_IJNS9_16discard_iteratorINS9_11use_defaultEEESG_EEENS0_18inequality_wrapperINS9_8equal_toIjEEEEPmJSF_EEE10hipError_tPvRmT3_T4_T5_T6_T7_T9_mT8_P12ihipStream_tbDpT10_ENKUlT_T0_E_clISt17integral_constantIbLb0EES1B_EEDaS16_S17_EUlS16_E_NS1_11comp_targetILNS1_3genE9ELNS1_11target_archE1100ELNS1_3gpuE3ELNS1_3repE0EEENS1_30default_config_static_selectorELNS0_4arch9wavefront6targetE0EEEvT1_: ; @_ZN7rocprim17ROCPRIM_400000_NS6detail17trampoline_kernelINS0_14default_configENS1_25partition_config_selectorILNS1_17partition_subalgoE9EjjbEEZZNS1_14partition_implILS5_9ELb0ES3_jN6thrust23THRUST_200600_302600_NS6detail15normal_iteratorINS9_10device_ptrIjEEEESE_PNS0_10empty_typeENS0_5tupleIJSE_SF_EEENSH_IJNS9_16discard_iteratorINS9_11use_defaultEEESG_EEENS0_18inequality_wrapperINS9_8equal_toIjEEEEPmJSF_EEE10hipError_tPvRmT3_T4_T5_T6_T7_T9_mT8_P12ihipStream_tbDpT10_ENKUlT_T0_E_clISt17integral_constantIbLb0EES1B_EEDaS16_S17_EUlS16_E_NS1_11comp_targetILNS1_3genE9ELNS1_11target_archE1100ELNS1_3gpuE3ELNS1_3repE0EEENS1_30default_config_static_selectorELNS0_4arch9wavefront6targetE0EEEvT1_
; %bb.0:
	s_clause 0x4
	s_load_b128 s[4:7], s[0:1], 0x8
	s_load_b32 s14, s[0:1], 0x70
	s_load_b128 s[16:19], s[0:1], 0x48
	s_load_b64 s[2:3], s[0:1], 0x58
	s_load_b64 s[8:9], s[0:1], 0x18
	s_mov_b32 s23, 0
	s_mul_i32 s22, s15, 0xc00
	v_lshrrev_b32_e32 v10, 3, v0
	v_add_nc_u32_e32 v14, 0x180, v0
	v_add_nc_u32_e32 v13, 0x300, v0
	v_add_nc_u32_e32 v16, 0x480, v0
	v_or_b32_e32 v15, 0x600, v0
	v_add_nc_u32_e32 v11, 0x780, v0
	v_add_nc_u32_e32 v9, 0x900, v0
	;; [unrolled: 1-line block ×3, first 2 shown]
	s_waitcnt lgkmcnt(0)
	s_lshl_b64 s[12:13], s[6:7], 2
	s_mul_i32 s20, s14, 0xc00
	s_add_u32 s21, s4, s12
	s_addc_u32 s24, s5, s13
	s_add_i32 s4, s20, s6
	s_load_b64 s[10:11], s[18:19], 0x0
	s_sub_i32 s19, s2, s4
	s_add_i32 s14, s14, -1
	s_addk_i32 s19, 0xc00
	s_add_u32 s4, s6, s20
	s_addc_u32 s5, s7, 0
	s_cmp_eq_u32 s15, s14
	v_cmp_ge_u64_e64 s2, s[4:5], s[2:3]
	s_cselect_b32 s14, -1, 0
	s_lshl_b64 s[4:5], s[22:23], 2
	s_mov_b32 s22, -1
	s_delay_alu instid0(VALU_DEP_1) | instskip(NEXT) | instid1(SALU_CYCLE_1)
	s_and_b32 s20, s14, s2
	s_xor_b32 s18, s20, -1
	s_add_u32 s21, s21, s4
	s_addc_u32 s3, s24, s5
	s_and_b32 vcc_lo, exec_lo, s18
	s_cbranch_vccz .LBB827_2
; %bb.1:
	v_lshlrev_b32_e32 v7, 2, v0
	v_lshrrev_b32_e32 v19, 3, v14
	v_lshrrev_b32_e32 v20, 3, v13
	;; [unrolled: 1-line block ×4, first 2 shown]
	v_add_co_u32 v1, s2, s21, v7
	s_delay_alu instid0(VALU_DEP_1) | instskip(SKIP_1) | instid1(VALU_DEP_3)
	v_add_co_ci_u32_e64 v2, null, s3, 0, s2
	v_lshrrev_b32_e32 v23, 3, v11
	v_add_co_u32 v3, vcc_lo, 0x1000, v1
	s_delay_alu instid0(VALU_DEP_3)
	v_add_co_ci_u32_e32 v4, vcc_lo, 0, v2, vcc_lo
	v_add_co_u32 v5, vcc_lo, 0x2000, v1
	v_add_co_ci_u32_e32 v6, vcc_lo, 0, v2, vcc_lo
	s_clause 0x7
	flat_load_b32 v8, v[1:2]
	flat_load_b32 v17, v[1:2] offset:1536
	flat_load_b32 v1, v[1:2] offset:3072
	;; [unrolled: 1-line block ×7, first 2 shown]
	v_and_b32_e32 v6, 60, v10
	v_lshrrev_b32_e32 v24, 3, v9
	v_lshrrev_b32_e32 v25, 3, v12
	v_and_b32_e32 v19, 0x7c, v19
	v_and_b32_e32 v20, 0xfc, v20
	;; [unrolled: 1-line block ×4, first 2 shown]
	v_add_nc_u32_e32 v6, v6, v7
	v_and_b32_e32 v23, 0x1fc, v23
	v_and_b32_e32 v24, 0x17c, v24
	;; [unrolled: 1-line block ×3, first 2 shown]
	v_add_nc_u32_e32 v19, v19, v7
	v_add_nc_u32_e32 v20, v20, v7
	;; [unrolled: 1-line block ×4, first 2 shown]
	s_mov_b32 s22, 0
	v_add_nc_u32_e32 v23, v23, v7
	v_add_nc_u32_e32 v24, v24, v7
	;; [unrolled: 1-line block ×3, first 2 shown]
	s_waitcnt vmcnt(7) lgkmcnt(0)
	ds_store_b32 v6, v8
	s_waitcnt vmcnt(6)
	ds_store_b32 v19, v17 offset:1536
	s_waitcnt vmcnt(5)
	ds_store_b32 v20, v1 offset:3072
	s_waitcnt vmcnt(4)
	ds_store_b32 v21, v2 offset:4608
	s_waitcnt vmcnt(3)
	ds_store_b32 v22, v18 offset:6144
	s_waitcnt vmcnt(2)
	ds_store_b32 v23, v3 offset:7680
	s_waitcnt vmcnt(1)
	ds_store_b32 v24, v4 offset:9216
	s_waitcnt vmcnt(0)
	ds_store_b32 v7, v5 offset:10752
	s_waitcnt lgkmcnt(0)
	s_barrier
.LBB827_2:
	v_cmp_gt_u32_e64 s2, s19, v0
	s_and_not1_b32 vcc_lo, exec_lo, s22
	s_cbranch_vccnz .LBB827_20
; %bb.3:
                                        ; implicit-def: $vgpr1_vgpr2_vgpr3_vgpr4_vgpr5_vgpr6_vgpr7_vgpr8
	s_delay_alu instid0(VALU_DEP_1)
	s_and_saveexec_b32 s22, s2
	s_cbranch_execz .LBB827_11
; %bb.4:
	v_lshlrev_b32_e32 v1, 2, v0
	s_delay_alu instid0(VALU_DEP_1) | instskip(NEXT) | instid1(VALU_DEP_1)
	v_add_co_u32 v1, s2, s21, v1
	v_add_co_ci_u32_e64 v2, null, s3, 0, s2
	flat_load_b32 v1, v[1:2]
	s_or_b32 exec_lo, exec_lo, s22
	s_delay_alu instid0(SALU_CYCLE_1)
	s_mov_b32 s2, exec_lo
	v_cmpx_gt_u32_e64 s19, v14
	s_cbranch_execnz .LBB827_12
.LBB827_5:
	s_or_b32 exec_lo, exec_lo, s2
	s_delay_alu instid0(SALU_CYCLE_1)
	s_mov_b32 s2, exec_lo
	v_cmpx_gt_u32_e64 s19, v13
	s_cbranch_execz .LBB827_13
.LBB827_6:
	v_lshlrev_b32_e32 v3, 2, v0
	s_delay_alu instid0(VALU_DEP_1) | instskip(NEXT) | instid1(VALU_DEP_1)
	v_add_co_u32 v17, s22, s21, v3
	v_add_co_ci_u32_e64 v18, null, s3, 0, s22
	flat_load_b32 v3, v[17:18] offset:3072
	s_or_b32 exec_lo, exec_lo, s2
	s_delay_alu instid0(SALU_CYCLE_1)
	s_mov_b32 s2, exec_lo
	v_cmpx_gt_u32_e64 s19, v16
	s_cbranch_execnz .LBB827_14
.LBB827_7:
	s_or_b32 exec_lo, exec_lo, s2
	s_delay_alu instid0(SALU_CYCLE_1)
	s_mov_b32 s2, exec_lo
	v_cmpx_gt_u32_e64 s19, v15
	s_cbranch_execz .LBB827_15
.LBB827_8:
	v_lshlrev_b32_e32 v5, 2, v15
	s_delay_alu instid0(VALU_DEP_1) | instskip(NEXT) | instid1(VALU_DEP_1)
	v_add_co_u32 v17, s22, s21, v5
	v_add_co_ci_u32_e64 v18, null, s3, 0, s22
	flat_load_b32 v5, v[17:18]
	s_or_b32 exec_lo, exec_lo, s2
	s_delay_alu instid0(SALU_CYCLE_1)
	s_mov_b32 s2, exec_lo
	v_cmpx_gt_u32_e64 s19, v11
	s_cbranch_execnz .LBB827_16
.LBB827_9:
	s_or_b32 exec_lo, exec_lo, s2
	s_delay_alu instid0(SALU_CYCLE_1)
	s_mov_b32 s2, exec_lo
	v_cmpx_gt_u32_e64 s19, v9
	s_cbranch_execz .LBB827_17
.LBB827_10:
	v_lshlrev_b32_e32 v7, 2, v9
	s_delay_alu instid0(VALU_DEP_1) | instskip(NEXT) | instid1(VALU_DEP_1)
	v_add_co_u32 v17, s22, s21, v7
	v_add_co_ci_u32_e64 v18, null, s3, 0, s22
	flat_load_b32 v7, v[17:18]
	s_or_b32 exec_lo, exec_lo, s2
	s_delay_alu instid0(SALU_CYCLE_1)
	s_mov_b32 s2, exec_lo
	v_cmpx_gt_u32_e64 s19, v12
	s_cbranch_execnz .LBB827_18
	s_branch .LBB827_19
.LBB827_11:
	s_or_b32 exec_lo, exec_lo, s22
	s_delay_alu instid0(SALU_CYCLE_1)
	s_mov_b32 s2, exec_lo
	v_cmpx_gt_u32_e64 s19, v14
	s_cbranch_execz .LBB827_5
.LBB827_12:
	v_lshlrev_b32_e32 v2, 2, v0
	s_delay_alu instid0(VALU_DEP_1) | instskip(NEXT) | instid1(VALU_DEP_1)
	v_add_co_u32 v17, s22, s21, v2
	v_add_co_ci_u32_e64 v18, null, s3, 0, s22
	flat_load_b32 v2, v[17:18] offset:1536
	s_or_b32 exec_lo, exec_lo, s2
	s_delay_alu instid0(SALU_CYCLE_1)
	s_mov_b32 s2, exec_lo
	v_cmpx_gt_u32_e64 s19, v13
	s_cbranch_execnz .LBB827_6
.LBB827_13:
	s_or_b32 exec_lo, exec_lo, s2
	s_delay_alu instid0(SALU_CYCLE_1)
	s_mov_b32 s2, exec_lo
	v_cmpx_gt_u32_e64 s19, v16
	s_cbranch_execz .LBB827_7
.LBB827_14:
	v_lshlrev_b32_e32 v4, 2, v16
	s_delay_alu instid0(VALU_DEP_1) | instskip(NEXT) | instid1(VALU_DEP_1)
	v_add_co_u32 v17, s22, s21, v4
	v_add_co_ci_u32_e64 v18, null, s3, 0, s22
	flat_load_b32 v4, v[17:18]
	s_or_b32 exec_lo, exec_lo, s2
	s_delay_alu instid0(SALU_CYCLE_1)
	s_mov_b32 s2, exec_lo
	v_cmpx_gt_u32_e64 s19, v15
	s_cbranch_execnz .LBB827_8
.LBB827_15:
	s_or_b32 exec_lo, exec_lo, s2
	s_delay_alu instid0(SALU_CYCLE_1)
	s_mov_b32 s2, exec_lo
	v_cmpx_gt_u32_e64 s19, v11
	s_cbranch_execz .LBB827_9
.LBB827_16:
	v_lshlrev_b32_e32 v6, 2, v11
	s_delay_alu instid0(VALU_DEP_1) | instskip(NEXT) | instid1(VALU_DEP_1)
	v_add_co_u32 v17, s22, s21, v6
	v_add_co_ci_u32_e64 v18, null, s3, 0, s22
	flat_load_b32 v6, v[17:18]
	s_or_b32 exec_lo, exec_lo, s2
	s_delay_alu instid0(SALU_CYCLE_1)
	s_mov_b32 s2, exec_lo
	v_cmpx_gt_u32_e64 s19, v9
	s_cbranch_execnz .LBB827_10
.LBB827_17:
	s_or_b32 exec_lo, exec_lo, s2
	s_delay_alu instid0(SALU_CYCLE_1)
	s_mov_b32 s2, exec_lo
	v_cmpx_gt_u32_e64 s19, v12
	s_cbranch_execz .LBB827_19
.LBB827_18:
	v_lshlrev_b32_e32 v8, 2, v12
	s_delay_alu instid0(VALU_DEP_1) | instskip(NEXT) | instid1(VALU_DEP_1)
	v_add_co_u32 v17, s22, s21, v8
	v_add_co_ci_u32_e64 v18, null, s3, 0, s22
	flat_load_b32 v8, v[17:18]
.LBB827_19:
	s_or_b32 exec_lo, exec_lo, s2
	v_lshrrev_b32_e32 v17, 3, v14
	v_lshrrev_b32_e32 v18, 3, v13
	;; [unrolled: 1-line block ×4, first 2 shown]
	v_and_b32_e32 v19, 60, v10
	v_lshlrev_b32_e32 v20, 2, v0
	v_lshrrev_b32_e32 v23, 3, v11
	v_lshrrev_b32_e32 v24, 3, v9
	;; [unrolled: 1-line block ×3, first 2 shown]
	v_and_b32_e32 v17, 0x7c, v17
	v_and_b32_e32 v18, 0xfc, v18
	;; [unrolled: 1-line block ×4, first 2 shown]
	v_add_nc_u32_e32 v19, v19, v20
	v_and_b32_e32 v23, 0x1fc, v23
	v_and_b32_e32 v24, 0x1fc, v24
	;; [unrolled: 1-line block ×3, first 2 shown]
	v_add_nc_u32_e32 v17, v17, v20
	v_add_nc_u32_e32 v18, v18, v20
	;; [unrolled: 1-line block ×7, first 2 shown]
	s_waitcnt vmcnt(0) lgkmcnt(0)
	ds_store_b32 v19, v1
	ds_store_b32 v17, v2 offset:1536
	ds_store_b32 v18, v3 offset:3072
	;; [unrolled: 1-line block ×7, first 2 shown]
	s_waitcnt lgkmcnt(0)
	s_barrier
.LBB827_20:
	v_lshlrev_b32_e32 v19, 3, v0
	v_lshrrev_b32_e32 v1, 2, v0
	s_waitcnt lgkmcnt(0)
	buffer_gl0_inv
	s_add_u32 s2, s8, s12
	s_addc_u32 s8, s9, s13
	s_add_u32 s2, s2, s4
	v_add_lshl_u32 v17, v1, v19, 2
	s_addc_u32 s4, s8, s5
	s_and_b32 vcc_lo, exec_lo, s18
	s_mov_b32 s5, -1
	ds_load_2addr_b32 v[7:8], v17 offset1:1
	ds_load_2addr_b32 v[5:6], v17 offset0:2 offset1:3
	ds_load_2addr_b32 v[3:4], v17 offset0:4 offset1:5
	;; [unrolled: 1-line block ×3, first 2 shown]
	s_waitcnt lgkmcnt(0)
	s_barrier
	buffer_gl0_inv
	s_cbranch_vccz .LBB827_22
; %bb.21:
	v_lshlrev_b32_e32 v18, 2, v0
	v_lshrrev_b32_e32 v29, 3, v14
	v_lshrrev_b32_e32 v30, 3, v13
	;; [unrolled: 1-line block ×4, first 2 shown]
	v_add_co_u32 v20, s5, s2, v18
	s_delay_alu instid0(VALU_DEP_1) | instskip(SKIP_1) | instid1(VALU_DEP_3)
	v_add_co_ci_u32_e64 v21, null, s4, 0, s5
	v_lshrrev_b32_e32 v33, 3, v11
	v_add_co_u32 v22, vcc_lo, 0x1000, v20
	s_delay_alu instid0(VALU_DEP_3)
	v_add_co_ci_u32_e32 v23, vcc_lo, 0, v21, vcc_lo
	v_add_co_u32 v24, vcc_lo, 0x2000, v20
	v_add_co_ci_u32_e32 v25, vcc_lo, 0, v21, vcc_lo
	s_clause 0x7
	flat_load_b32 v26, v[20:21]
	flat_load_b32 v27, v[20:21] offset:1536
	flat_load_b32 v20, v[20:21] offset:3072
	;; [unrolled: 1-line block ×7, first 2 shown]
	v_and_b32_e32 v25, 60, v10
	v_lshrrev_b32_e32 v34, 3, v9
	v_lshrrev_b32_e32 v35, 3, v12
	v_and_b32_e32 v29, 0x7c, v29
	v_and_b32_e32 v30, 0xfc, v30
	;; [unrolled: 1-line block ×4, first 2 shown]
	v_add_nc_u32_e32 v25, v25, v18
	v_and_b32_e32 v33, 0x1fc, v33
	v_and_b32_e32 v34, 0x17c, v34
	;; [unrolled: 1-line block ×3, first 2 shown]
	v_add_nc_u32_e32 v29, v29, v18
	v_add_nc_u32_e32 v30, v30, v18
	;; [unrolled: 1-line block ×4, first 2 shown]
	s_mov_b32 s5, 0
	v_add_nc_u32_e32 v33, v33, v18
	v_add_nc_u32_e32 v34, v34, v18
	;; [unrolled: 1-line block ×3, first 2 shown]
	s_waitcnt vmcnt(7) lgkmcnt(7)
	ds_store_b32 v25, v26
	s_waitcnt vmcnt(6) lgkmcnt(7)
	ds_store_b32 v29, v27 offset:1536
	s_waitcnt vmcnt(5) lgkmcnt(7)
	ds_store_b32 v30, v20 offset:3072
	;; [unrolled: 2-line block ×7, first 2 shown]
	s_waitcnt lgkmcnt(0)
	s_barrier
.LBB827_22:
	s_and_not1_b32 vcc_lo, exec_lo, s5
	s_cbranch_vccnz .LBB827_40
; %bb.23:
	s_mov_b32 s5, exec_lo
                                        ; implicit-def: $vgpr18
	v_cmpx_gt_u32_e64 s19, v0
	s_cbranch_execz .LBB827_25
; %bb.24:
	v_lshlrev_b32_e32 v18, 2, v0
	s_delay_alu instid0(VALU_DEP_1) | instskip(NEXT) | instid1(VALU_DEP_1)
	v_add_co_u32 v20, s8, s2, v18
	v_add_co_ci_u32_e64 v21, null, s4, 0, s8
	flat_load_b32 v18, v[20:21]
.LBB827_25:
	s_or_b32 exec_lo, exec_lo, s5
	s_delay_alu instid0(SALU_CYCLE_1)
	s_mov_b32 s5, exec_lo
                                        ; implicit-def: $vgpr20
	v_cmpx_gt_u32_e64 s19, v14
	s_cbranch_execz .LBB827_27
; %bb.26:
	v_lshlrev_b32_e32 v20, 2, v0
	s_delay_alu instid0(VALU_DEP_1) | instskip(NEXT) | instid1(VALU_DEP_1)
	v_add_co_u32 v20, s8, s2, v20
	v_add_co_ci_u32_e64 v21, null, s4, 0, s8
	flat_load_b32 v20, v[20:21] offset:1536
.LBB827_27:
	s_or_b32 exec_lo, exec_lo, s5
	s_delay_alu instid0(SALU_CYCLE_1)
	s_mov_b32 s5, exec_lo
                                        ; implicit-def: $vgpr21
	v_cmpx_gt_u32_e64 s19, v13
	s_cbranch_execz .LBB827_29
; %bb.28:
	v_lshlrev_b32_e32 v21, 2, v0
	s_delay_alu instid0(VALU_DEP_1) | instskip(NEXT) | instid1(VALU_DEP_1)
	v_add_co_u32 v21, s8, s2, v21
	v_add_co_ci_u32_e64 v22, null, s4, 0, s8
	flat_load_b32 v21, v[21:22] offset:3072
.LBB827_29:
	s_or_b32 exec_lo, exec_lo, s5
	s_delay_alu instid0(SALU_CYCLE_1)
	s_mov_b32 s5, exec_lo
                                        ; implicit-def: $vgpr22
	v_cmpx_gt_u32_e64 s19, v16
	s_cbranch_execz .LBB827_31
; %bb.30:
	v_lshlrev_b32_e32 v22, 2, v16
	s_delay_alu instid0(VALU_DEP_1) | instskip(NEXT) | instid1(VALU_DEP_1)
	v_add_co_u32 v22, s8, s2, v22
	v_add_co_ci_u32_e64 v23, null, s4, 0, s8
	flat_load_b32 v22, v[22:23]
.LBB827_31:
	s_or_b32 exec_lo, exec_lo, s5
	s_delay_alu instid0(SALU_CYCLE_1)
	s_mov_b32 s5, exec_lo
                                        ; implicit-def: $vgpr23
	v_cmpx_gt_u32_e64 s19, v15
	s_cbranch_execz .LBB827_33
; %bb.32:
	v_lshlrev_b32_e32 v23, 2, v15
	s_delay_alu instid0(VALU_DEP_1) | instskip(NEXT) | instid1(VALU_DEP_1)
	v_add_co_u32 v23, s8, s2, v23
	v_add_co_ci_u32_e64 v24, null, s4, 0, s8
	flat_load_b32 v23, v[23:24]
.LBB827_33:
	s_or_b32 exec_lo, exec_lo, s5
	s_delay_alu instid0(SALU_CYCLE_1)
	s_mov_b32 s5, exec_lo
                                        ; implicit-def: $vgpr24
	v_cmpx_gt_u32_e64 s19, v11
	s_cbranch_execz .LBB827_35
; %bb.34:
	v_lshlrev_b32_e32 v24, 2, v11
	s_delay_alu instid0(VALU_DEP_1) | instskip(NEXT) | instid1(VALU_DEP_1)
	v_add_co_u32 v24, s8, s2, v24
	v_add_co_ci_u32_e64 v25, null, s4, 0, s8
	flat_load_b32 v24, v[24:25]
.LBB827_35:
	s_or_b32 exec_lo, exec_lo, s5
	s_delay_alu instid0(SALU_CYCLE_1)
	s_mov_b32 s5, exec_lo
                                        ; implicit-def: $vgpr25
	v_cmpx_gt_u32_e64 s19, v9
	s_cbranch_execz .LBB827_37
; %bb.36:
	v_lshlrev_b32_e32 v25, 2, v9
	s_delay_alu instid0(VALU_DEP_1) | instskip(NEXT) | instid1(VALU_DEP_1)
	v_add_co_u32 v25, s8, s2, v25
	v_add_co_ci_u32_e64 v26, null, s4, 0, s8
	flat_load_b32 v25, v[25:26]
.LBB827_37:
	s_or_b32 exec_lo, exec_lo, s5
	s_delay_alu instid0(SALU_CYCLE_1)
	s_mov_b32 s5, exec_lo
                                        ; implicit-def: $vgpr26
	v_cmpx_gt_u32_e64 s19, v12
	s_cbranch_execz .LBB827_39
; %bb.38:
	v_lshlrev_b32_e32 v26, 2, v12
	s_delay_alu instid0(VALU_DEP_1) | instskip(NEXT) | instid1(VALU_DEP_1)
	v_add_co_u32 v26, s2, s2, v26
	v_add_co_ci_u32_e64 v27, null, s4, 0, s2
	flat_load_b32 v26, v[26:27]
.LBB827_39:
	s_or_b32 exec_lo, exec_lo, s5
	v_lshrrev_b32_e32 v14, 3, v14
	v_lshrrev_b32_e32 v13, 3, v13
	v_lshrrev_b32_e32 v16, 3, v16
	v_lshrrev_b32_e32 v15, 3, v15
	v_and_b32_e32 v10, 60, v10
	v_lshlrev_b32_e32 v27, 2, v0
	v_lshrrev_b32_e32 v11, 3, v11
	v_lshrrev_b32_e32 v9, 3, v9
	;; [unrolled: 1-line block ×3, first 2 shown]
	v_and_b32_e32 v14, 0x7c, v14
	v_and_b32_e32 v13, 0xfc, v13
	;; [unrolled: 1-line block ×4, first 2 shown]
	v_add_nc_u32_e32 v10, v10, v27
	v_and_b32_e32 v11, 0x1fc, v11
	v_and_b32_e32 v9, 0x1fc, v9
	;; [unrolled: 1-line block ×3, first 2 shown]
	v_add_nc_u32_e32 v14, v14, v27
	v_add_nc_u32_e32 v13, v13, v27
	;; [unrolled: 1-line block ×7, first 2 shown]
	s_waitcnt vmcnt(0) lgkmcnt(0)
	ds_store_b32 v10, v18
	ds_store_b32 v14, v20 offset:1536
	ds_store_b32 v13, v21 offset:3072
	;; [unrolled: 1-line block ×7, first 2 shown]
	s_waitcnt lgkmcnt(0)
	s_barrier
.LBB827_40:
	buffer_gl0_inv
	ds_load_2addr_b32 v[15:16], v17 offset1:1
	ds_load_2addr_b32 v[13:14], v17 offset0:2 offset1:3
	ds_load_2addr_b32 v[11:12], v17 offset0:4 offset1:5
	;; [unrolled: 1-line block ×3, first 2 shown]
	s_cmp_lg_u32 s15, 0
	s_mov_b32 s12, 0
	s_cselect_b32 s9, -1, 0
	s_cmp_lg_u64 s[6:7], 0
	s_waitcnt lgkmcnt(0)
	s_cselect_b32 s2, -1, 0
	s_barrier
	s_or_b32 s2, s9, s2
	buffer_gl0_inv
	s_and_b32 vcc_lo, exec_lo, s2
	s_cbranch_vccz .LBB827_45
; %bb.41:
	v_add_co_u32 v17, s2, -4, s21
	s_delay_alu instid0(VALU_DEP_1)
	v_add_co_ci_u32_e64 v18, null, -1, s3, s2
	v_lshlrev_b32_e32 v21, 2, v0
	s_mov_b32 s3, -1
	s_and_b32 vcc_lo, exec_lo, s18
	flat_load_b32 v20, v[17:18]
	ds_store_b32 v21, v2
	s_cbranch_vccz .LBB827_46
; %bb.42:
	s_waitcnt vmcnt(0) lgkmcnt(1)
	v_mov_b32_e32 v17, v20
	s_mov_b32 s3, 0
	s_mov_b32 s2, exec_lo
	s_waitcnt lgkmcnt(0)
	s_barrier
	buffer_gl0_inv
	v_cmpx_ne_u32_e32 0, v0
	s_cbranch_execz .LBB827_44
; %bb.43:
	v_add_nc_u32_e32 v17, -4, v21
	ds_load_b32 v17, v17
.LBB827_44:
	s_or_b32 exec_lo, exec_lo, s2
	v_cmp_ne_u32_e32 vcc_lo, v1, v2
	s_waitcnt lgkmcnt(0)
	v_cmp_ne_u32_e64 s2, v17, v7
	v_cndmask_b32_e64 v18, 0, 1, vcc_lo
	v_cmp_ne_u32_e32 vcc_lo, v4, v1
	s_delay_alu instid0(VALU_DEP_2) | instskip(SKIP_2) | instid1(VALU_DEP_2)
	v_lshlrev_b16 v18, 8, v18
	v_cndmask_b32_e64 v22, 0, 1, vcc_lo
	v_cmp_ne_u32_e32 vcc_lo, v3, v4
	v_or_b32_e32 v18, v22, v18
	v_cndmask_b32_e64 v23, 0, 1, vcc_lo
	v_cmp_ne_u32_e32 vcc_lo, v5, v6
	s_delay_alu instid0(VALU_DEP_3) | instskip(NEXT) | instid1(VALU_DEP_3)
	v_lshlrev_b32_e32 v18, 16, v18
	v_lshlrev_b16 v23, 8, v23
	v_cndmask_b32_e64 v24, 0, 1, vcc_lo
	v_cmp_ne_u32_e32 vcc_lo, v6, v3
	s_delay_alu instid0(VALU_DEP_2) | instskip(SKIP_2) | instid1(VALU_DEP_2)
	v_lshlrev_b16 v24, 8, v24
	v_cndmask_b32_e64 v25, 0, 1, vcc_lo
	v_cmp_ne_u32_e32 vcc_lo, v8, v5
	v_or_b32_e32 v23, v25, v23
	v_cndmask_b32_e64 v26, 0, 1, vcc_lo
	v_cmp_ne_u32_e32 vcc_lo, v7, v8
	s_delay_alu instid0(VALU_DEP_3) | instskip(NEXT) | instid1(VALU_DEP_3)
	v_and_b32_e32 v23, 0xffff, v23
	v_or_b32_e32 v24, v26, v24
	v_cndmask_b32_e64 v27, 0, 1, vcc_lo
	s_delay_alu instid0(VALU_DEP_3) | instskip(NEXT) | instid1(VALU_DEP_3)
	v_or_b32_e32 v18, v23, v18
	v_lshlrev_b32_e32 v22, 16, v24
	s_delay_alu instid0(VALU_DEP_3) | instskip(NEXT) | instid1(VALU_DEP_1)
	v_lshlrev_b16 v26, 8, v27
	v_and_b32_e32 v24, 0xffff, v26
	s_delay_alu instid0(VALU_DEP_1)
	v_or_b32_e32 v17, v24, v22
	s_and_b32 vcc_lo, exec_lo, s3
	s_cbranch_vccnz .LBB827_47
	s_branch .LBB827_50
.LBB827_45:
                                        ; implicit-def: $sgpr2
                                        ; implicit-def: $vgpr18
	s_branch .LBB827_51
.LBB827_46:
                                        ; implicit-def: $sgpr2
                                        ; implicit-def: $vgpr18
	s_and_b32 vcc_lo, exec_lo, s3
	s_cbranch_vccz .LBB827_50
.LBB827_47:
	s_mov_b32 s2, exec_lo
	s_waitcnt vmcnt(0) lgkmcnt(0)
	s_barrier
	buffer_gl0_inv
	v_cmpx_ne_u32_e32 0, v0
	s_cbranch_execz .LBB827_49
; %bb.48:
	v_add_nc_u32_e32 v17, -4, v21
	ds_load_b32 v20, v17
.LBB827_49:
	s_or_b32 exec_lo, exec_lo, s2
	v_or_b32_e32 v17, 7, v19
	v_or_b32_e32 v18, 6, v19
	;; [unrolled: 1-line block ×3, first 2 shown]
	v_cmp_ne_u32_e32 vcc_lo, v1, v2
	v_cmp_ne_u32_e64 s3, v4, v1
	v_cmp_gt_u32_e64 s2, s19, v17
	v_cmp_gt_u32_e64 s5, s19, v18
	v_cmp_ne_u32_e64 s4, v3, v4
	v_cmp_gt_u32_e64 s6, s19, v21
	v_or_b32_e32 v18, 3, v19
	s_and_b32 s2, s2, vcc_lo
	v_or_b32_e32 v22, 4, v19
	v_cndmask_b32_e64 v17, 0, 1, s2
	s_and_b32 s2, s5, s3
	v_cmp_gt_u32_e32 vcc_lo, s19, v18
	v_cndmask_b32_e64 v21, 0, 1, s2
	s_and_b32 s2, s6, s4
	v_or_b32_e32 v18, 2, v19
	v_cndmask_b32_e64 v23, 0, 1, s2
	v_cmp_ne_u32_e64 s2, v5, v6
	v_cmp_gt_u32_e64 s3, s19, v22
	v_or_b32_e32 v22, 1, v19
	v_cmp_ne_u32_e64 s4, v6, v3
	v_cmp_ne_u32_e64 s6, v7, v8
	s_and_b32 s2, vcc_lo, s2
	v_cmp_gt_u32_e32 vcc_lo, s19, v18
	v_cndmask_b32_e64 v24, 0, 1, s2
	v_cmp_ne_u32_e64 s2, v8, v5
	v_cmp_gt_u32_e64 s5, s19, v22
	s_and_b32 s3, s3, s4
	v_lshlrev_b16 v23, 8, v23
	v_cndmask_b32_e64 v18, 0, 1, s3
	s_and_b32 s2, vcc_lo, s2
	v_lshlrev_b16 v24, 8, v24
	v_cndmask_b32_e64 v22, 0, 1, s2
	s_and_b32 s2, s5, s6
	v_lshlrev_b16 v17, 8, v17
	v_cndmask_b32_e64 v25, 0, 1, s2
	v_or_b32_e32 v18, v18, v23
	v_or_b32_e32 v22, v22, v24
	v_cmp_gt_u32_e32 vcc_lo, s19, v19
	v_or_b32_e32 v17, v21, v17
	v_lshlrev_b16 v24, 8, v25
	v_and_b32_e32 v18, 0xffff, v18
	v_lshlrev_b32_e32 v21, 16, v22
	s_waitcnt lgkmcnt(0)
	v_cmp_ne_u32_e64 s2, v20, v7
	v_lshlrev_b32_e32 v23, 16, v17
	v_and_b32_e32 v22, 0xffff, v24
	s_delay_alu instid0(VALU_DEP_3) | instskip(NEXT) | instid1(VALU_DEP_2)
	s_and_b32 s2, vcc_lo, s2
	v_or_b32_e32 v18, v18, v23
	s_delay_alu instid0(VALU_DEP_2)
	v_or_b32_e32 v17, v22, v21
.LBB827_50:
	s_mov_b32 s12, -1
	s_cbranch_execnz .LBB827_59
.LBB827_51:
	s_waitcnt vmcnt(0) lgkmcnt(1)
	v_lshlrev_b32_e32 v20, 2, v0
	v_cmp_ne_u32_e64 s3, v1, v2
	v_cmp_ne_u32_e64 s4, v4, v1
	;; [unrolled: 1-line block ×7, first 2 shown]
	s_and_b32 vcc_lo, exec_lo, s18
	ds_store_b32 v20, v2
	s_cbranch_vccz .LBB827_55
; %bb.52:
	v_cndmask_b32_e64 v17, 0, 1, s3
	v_cndmask_b32_e64 v21, 0, 1, s5
	;; [unrolled: 1-line block ×7, first 2 shown]
	v_lshlrev_b16 v21, 8, v21
	v_lshlrev_b16 v17, 8, v17
	;; [unrolled: 1-line block ×4, first 2 shown]
	s_mov_b32 s3, 0
	v_or_b32_e32 v21, v22, v21
	v_or_b32_e32 v17, v18, v17
	;; [unrolled: 1-line block ×4, first 2 shown]
	s_mov_b32 s4, exec_lo
	v_and_b32_e32 v21, 0xffff, v21
	v_lshlrev_b32_e32 v17, 16, v17
	v_lshlrev_b32_e32 v23, 16, v18
	v_and_b32_e32 v22, 0xffff, v22
	s_waitcnt lgkmcnt(0)
	s_barrier
	v_or_b32_e32 v18, v21, v17
	buffer_gl0_inv
	v_or_b32_e32 v17, v22, v23
                                        ; implicit-def: $sgpr2
	v_cmpx_ne_u32_e32 0, v0
	s_xor_b32 s4, exec_lo, s4
	s_cbranch_execz .LBB827_54
; %bb.53:
	v_add_nc_u32_e32 v21, -4, v20
	s_or_b32 s12, s12, exec_lo
	ds_load_b32 v21, v21
	s_waitcnt lgkmcnt(0)
	v_cmp_ne_u32_e32 vcc_lo, v21, v7
	s_and_b32 s2, vcc_lo, exec_lo
.LBB827_54:
	s_or_b32 exec_lo, exec_lo, s4
	s_delay_alu instid0(SALU_CYCLE_1)
	s_and_b32 vcc_lo, exec_lo, s3
	s_cbranch_vccnz .LBB827_56
	s_branch .LBB827_59
.LBB827_55:
                                        ; implicit-def: $sgpr2
                                        ; implicit-def: $vgpr18
	s_cbranch_execz .LBB827_59
.LBB827_56:
	v_or_b32_e32 v17, 7, v19
	v_or_b32_e32 v18, 6, v19
	v_cmp_ne_u32_e32 vcc_lo, v1, v2
	v_cmp_ne_u32_e64 s3, v4, v1
	v_or_b32_e32 v21, 5, v19
	v_cmp_gt_u32_e64 s2, s19, v17
	v_cmp_gt_u32_e64 s4, s19, v18
	v_or_b32_e32 v17, 4, v19
	v_or_b32_e32 v22, 3, v19
	v_cmp_gt_u32_e64 s5, s19, v21
	s_and_b32 s2, s2, vcc_lo
	v_cmp_ne_u32_e32 vcc_lo, v3, v4
	v_cndmask_b32_e64 v18, 0, 1, s2
	s_and_b32 s2, s4, s3
	v_cmp_ne_u32_e64 s3, v6, v3
	v_cndmask_b32_e64 v21, 0, 1, s2
	v_cmp_gt_u32_e64 s2, s19, v17
	v_or_b32_e32 v23, 1, v19
	s_and_b32 s4, s5, vcc_lo
	v_cmp_gt_u32_e32 vcc_lo, s19, v22
	v_cndmask_b32_e64 v17, 0, 1, s4
	s_and_b32 s2, s2, s3
	v_or_b32_e32 v25, 2, v19
	v_cndmask_b32_e64 v24, 0, 1, s2
	v_cmp_ne_u32_e64 s2, v5, v6
	v_cmp_gt_u32_e64 s3, s19, v23
	v_cmp_ne_u32_e64 s4, v7, v8
	v_cmp_gt_u32_e64 s5, s19, v25
	v_cmp_ne_u32_e64 s6, v8, v5
	s_and_b32 s2, vcc_lo, s2
	v_lshlrev_b16 v17, 8, v17
	v_cndmask_b32_e64 v22, 0, 1, s2
	s_and_b32 s2, s3, s4
	v_lshlrev_b16 v18, 8, v18
	v_cndmask_b32_e64 v23, 0, 1, s2
	s_and_b32 s2, s5, s6
	v_lshlrev_b16 v22, 8, v22
	v_cndmask_b32_e64 v25, 0, 1, s2
	v_or_b32_e32 v17, v24, v17
	v_lshlrev_b16 v23, 8, v23
	v_or_b32_e32 v18, v21, v18
	s_mov_b32 s3, exec_lo
	v_or_b32_e32 v21, v25, v22
	v_and_b32_e32 v17, 0xffff, v17
	v_or_b32_e32 v22, 1, v23
	v_lshlrev_b32_e32 v18, 16, v18
	s_waitcnt lgkmcnt(0)
	v_lshlrev_b32_e32 v21, 16, v21
	s_barrier
	v_and_b32_e32 v22, 0xffff, v22
	v_or_b32_e32 v18, v17, v18
	buffer_gl0_inv
                                        ; implicit-def: $sgpr2
	v_or_b32_e32 v17, v22, v21
	v_cmpx_ne_u32_e32 0, v0
	s_cbranch_execz .LBB827_58
; %bb.57:
	v_add_nc_u32_e32 v20, -4, v20
	v_cmp_gt_u32_e32 vcc_lo, s19, v19
	s_or_b32 s12, s12, exec_lo
	ds_load_b32 v20, v20
	s_waitcnt lgkmcnt(0)
	v_cmp_ne_u32_e64 s2, v20, v7
	s_delay_alu instid0(VALU_DEP_1) | instskip(NEXT) | instid1(SALU_CYCLE_1)
	s_and_b32 s2, vcc_lo, s2
	s_and_b32 s2, s2, exec_lo
.LBB827_58:
	s_or_b32 exec_lo, exec_lo, s3
.LBB827_59:
	s_and_saveexec_b32 s3, s12
	s_cbranch_execz .LBB827_61
; %bb.60:
	s_waitcnt vmcnt(0) lgkmcnt(1)
	v_and_b32_e32 v20, 0xffffff00, v17
	v_cndmask_b32_e64 v21, 0, 1, s2
	s_delay_alu instid0(VALU_DEP_1) | instskip(NEXT) | instid1(VALU_DEP_1)
	v_or_b32_e32 v20, v21, v20
	v_and_b32_e32 v20, 0xffff, v20
	s_delay_alu instid0(VALU_DEP_1)
	v_and_or_b32 v17, 0xffff0000, v17, v20
.LBB827_61:
	s_or_b32 exec_lo, exec_lo, s3
	s_load_b64 s[12:13], s[0:1], 0x68
	s_and_not1_b32 vcc_lo, exec_lo, s20
	s_cbranch_vccnz .LBB827_63
; %bb.62:
	v_cmp_gt_u32_e32 vcc_lo, s19, v19
	v_or_b32_e32 v21, 1, v19
	v_and_b32_e32 v22, 0xffffff00, v18
	v_or_b32_e32 v23, 2, v19
	s_waitcnt vmcnt(0) lgkmcnt(0)
	v_cndmask_b32_e32 v20, 0, v17, vcc_lo
	v_cmp_gt_u32_e32 vcc_lo, s19, v21
	v_or_b32_e32 v21, 4, v19
	v_cmp_gt_u32_e64 s2, s19, v23
	v_or_b32_e32 v23, 3, v19
	v_and_b32_e32 v20, 0xff, v20
	s_delay_alu instid0(VALU_DEP_2) | instskip(NEXT) | instid1(VALU_DEP_2)
	v_cmp_gt_u32_e64 s3, s19, v23
	v_cndmask_b32_e32 v20, v20, v17, vcc_lo
	v_cmp_gt_u32_e32 vcc_lo, s19, v21
	s_delay_alu instid0(VALU_DEP_2) | instskip(SKIP_1) | instid1(VALU_DEP_2)
	v_dual_cndmask_b32 v21, v22, v18 :: v_dual_and_b32 v20, 0xffff, v20
	v_or_b32_e32 v22, 5, v19
	v_cndmask_b32_e64 v20, v20, v17, s2
	s_delay_alu instid0(VALU_DEP_3) | instskip(NEXT) | instid1(VALU_DEP_3)
	v_and_b32_e32 v21, 0xffff00ff, v21
	v_cmp_gt_u32_e64 s2, s19, v22
	v_or_b32_e32 v22, 6, v19
	v_or_b32_e32 v19, 7, v19
	v_and_b32_e32 v20, 0xffffff, v20
	s_delay_alu instid0(VALU_DEP_4) | instskip(NEXT) | instid1(VALU_DEP_2)
	v_cndmask_b32_e64 v21, v21, v18, s2
	v_cndmask_b32_e64 v20, v20, v17, s3
	s_delay_alu instid0(VALU_DEP_2) | instskip(NEXT) | instid1(VALU_DEP_2)
	v_and_b32_e32 v21, 0xff00ffff, v21
	v_cndmask_b32_e32 v20, v20, v17, vcc_lo
	v_cmp_gt_u32_e32 vcc_lo, s19, v22
	s_delay_alu instid0(VALU_DEP_2) | instskip(NEXT) | instid1(VALU_DEP_1)
	v_cndmask_b32_e64 v20, v20, v17, s2
	v_dual_cndmask_b32 v21, v21, v18 :: v_dual_cndmask_b32 v20, v20, v17
	s_delay_alu instid0(VALU_DEP_1) | instskip(SKIP_1) | instid1(VALU_DEP_2)
	v_and_b32_e32 v21, 0xffffff, v21
	v_cmp_gt_u32_e32 vcc_lo, s19, v19
	v_dual_cndmask_b32 v18, v21, v18 :: v_dual_cndmask_b32 v17, v20, v17
.LBB827_63:
	s_delay_alu instid0(VALU_DEP_1) | instskip(NEXT) | instid1(VALU_DEP_2)
	v_and_b32_e32 v28, 0xff, v17
	v_alignbit_b32 v19, v18, v17, 24
	v_bfe_u32 v30, v17, 8, 8
	v_bfe_u32 v32, v17, 16, 8
	v_and_b32_e32 v36, 0xff, v18
	v_bfe_u32 v38, v18, 8, 8
	v_and_b32_e32 v34, 0xff, v19
	v_add_nc_u32_e32 v19, v30, v28
	s_waitcnt vmcnt(0) lgkmcnt(0)
	v_and_b32_e32 v20, 0x1e0, v0
	v_mbcnt_lo_u32_b32 v41, -1, 0
	v_bfe_u32 v40, v18, 16, 8
	v_lshrrev_b32_e32 v39, 24, v18
	v_add3_u32 v19, v19, v32, v34
	v_min_u32_e32 v20, 0x160, v20
	v_and_b32_e32 v21, 15, v41
	v_lshrrev_b32_e32 v42, 5, v0
	s_and_b32 vcc_lo, exec_lo, s9
	v_add3_u32 v19, v19, v36, v38
	v_or_b32_e32 v20, 31, v20
	v_cmp_eq_u32_e64 s4, 0, v21
	v_cmp_lt_u32_e64 s5, 1, v21
	v_cmp_lt_u32_e64 s3, 3, v21
	v_add3_u32 v43, v19, v40, v39
	v_and_b32_e32 v19, 16, v41
	v_cmp_lt_u32_e64 s2, 7, v21
	v_cmp_eq_u32_e64 s6, v20, v0
	s_mov_b32 s19, -1
	s_delay_alu instid0(VALU_DEP_3)
	v_cmp_eq_u32_e64 s7, 0, v19
	s_barrier
	buffer_gl0_inv
	s_cbranch_vccz .LBB827_89
; %bb.64:
	v_mov_b32_dpp v19, v43 row_shr:1 row_mask:0xf bank_mask:0xf
	s_delay_alu instid0(VALU_DEP_1) | instskip(NEXT) | instid1(VALU_DEP_1)
	v_cndmask_b32_e64 v19, v19, 0, s4
	v_add_nc_u32_e32 v19, v19, v43
	s_delay_alu instid0(VALU_DEP_1) | instskip(NEXT) | instid1(VALU_DEP_1)
	v_mov_b32_dpp v20, v19 row_shr:2 row_mask:0xf bank_mask:0xf
	v_cndmask_b32_e64 v20, 0, v20, s5
	s_delay_alu instid0(VALU_DEP_1) | instskip(NEXT) | instid1(VALU_DEP_1)
	v_add_nc_u32_e32 v19, v19, v20
	v_mov_b32_dpp v20, v19 row_shr:4 row_mask:0xf bank_mask:0xf
	s_delay_alu instid0(VALU_DEP_1) | instskip(NEXT) | instid1(VALU_DEP_1)
	v_cndmask_b32_e64 v20, 0, v20, s3
	v_add_nc_u32_e32 v19, v19, v20
	s_delay_alu instid0(VALU_DEP_1) | instskip(NEXT) | instid1(VALU_DEP_1)
	v_mov_b32_dpp v20, v19 row_shr:8 row_mask:0xf bank_mask:0xf
	v_cndmask_b32_e64 v20, 0, v20, s2
	s_delay_alu instid0(VALU_DEP_1) | instskip(SKIP_3) | instid1(VALU_DEP_1)
	v_add_nc_u32_e32 v19, v19, v20
	ds_swizzle_b32 v20, v19 offset:swizzle(BROADCAST,32,15)
	s_waitcnt lgkmcnt(0)
	v_cndmask_b32_e64 v20, v20, 0, s7
	v_add_nc_u32_e32 v19, v19, v20
	s_and_saveexec_b32 s8, s6
	s_cbranch_execz .LBB827_66
; %bb.65:
	v_lshlrev_b32_e32 v20, 2, v42
	ds_store_b32 v20, v19
.LBB827_66:
	s_or_b32 exec_lo, exec_lo, s8
	s_delay_alu instid0(SALU_CYCLE_1)
	s_mov_b32 s8, exec_lo
	s_waitcnt lgkmcnt(0)
	s_barrier
	buffer_gl0_inv
	v_cmpx_gt_u32_e32 12, v0
	s_cbranch_execz .LBB827_68
; %bb.67:
	v_lshlrev_b32_e32 v20, 2, v0
	ds_load_b32 v21, v20
	s_waitcnt lgkmcnt(0)
	v_mov_b32_dpp v22, v21 row_shr:1 row_mask:0xf bank_mask:0xf
	s_delay_alu instid0(VALU_DEP_1) | instskip(NEXT) | instid1(VALU_DEP_1)
	v_cndmask_b32_e64 v22, v22, 0, s4
	v_add_nc_u32_e32 v21, v22, v21
	s_delay_alu instid0(VALU_DEP_1) | instskip(NEXT) | instid1(VALU_DEP_1)
	v_mov_b32_dpp v22, v21 row_shr:2 row_mask:0xf bank_mask:0xf
	v_cndmask_b32_e64 v22, 0, v22, s5
	s_delay_alu instid0(VALU_DEP_1) | instskip(NEXT) | instid1(VALU_DEP_1)
	v_add_nc_u32_e32 v21, v21, v22
	v_mov_b32_dpp v22, v21 row_shr:4 row_mask:0xf bank_mask:0xf
	s_delay_alu instid0(VALU_DEP_1) | instskip(NEXT) | instid1(VALU_DEP_1)
	v_cndmask_b32_e64 v22, 0, v22, s3
	v_add_nc_u32_e32 v21, v21, v22
	s_delay_alu instid0(VALU_DEP_1) | instskip(NEXT) | instid1(VALU_DEP_1)
	v_mov_b32_dpp v22, v21 row_shr:8 row_mask:0xf bank_mask:0xf
	v_cndmask_b32_e64 v22, 0, v22, s2
	s_delay_alu instid0(VALU_DEP_1)
	v_add_nc_u32_e32 v21, v21, v22
	ds_store_b32 v20, v21
.LBB827_68:
	s_or_b32 exec_lo, exec_lo, s8
	v_cmp_gt_u32_e32 vcc_lo, 32, v0
	s_mov_b32 s9, exec_lo
	s_waitcnt lgkmcnt(0)
	s_barrier
	buffer_gl0_inv
                                        ; implicit-def: $vgpr27
	v_cmpx_lt_u32_e32 31, v0
	s_cbranch_execz .LBB827_70
; %bb.69:
	v_lshl_add_u32 v20, v42, 2, -4
	ds_load_b32 v27, v20
	s_waitcnt lgkmcnt(0)
	v_add_nc_u32_e32 v19, v27, v19
.LBB827_70:
	s_or_b32 exec_lo, exec_lo, s9
	v_add_nc_u32_e32 v20, -1, v41
	s_delay_alu instid0(VALU_DEP_1) | instskip(NEXT) | instid1(VALU_DEP_1)
	v_cmp_gt_i32_e64 s8, 0, v20
	v_cndmask_b32_e64 v20, v20, v41, s8
	v_cmp_eq_u32_e64 s8, 0, v41
	s_delay_alu instid0(VALU_DEP_2)
	v_lshlrev_b32_e32 v20, 2, v20
	ds_bpermute_b32 v29, v20, v19
	s_and_saveexec_b32 s9, vcc_lo
	s_cbranch_execz .LBB827_88
; %bb.71:
	v_mov_b32_e32 v23, 0
	ds_load_b32 v19, v23 offset:44
	s_and_saveexec_b32 s19, s8
	s_cbranch_execz .LBB827_73
; %bb.72:
	s_add_i32 s20, s15, 32
	s_mov_b32 s21, 0
	v_mov_b32_e32 v20, 1
	s_lshl_b64 s[20:21], s[20:21], 3
	s_delay_alu instid0(SALU_CYCLE_1)
	s_add_u32 s20, s12, s20
	s_addc_u32 s21, s13, s21
	s_waitcnt lgkmcnt(0)
	global_store_b64 v23, v[19:20], s[20:21]
.LBB827_73:
	s_or_b32 exec_lo, exec_lo, s19
	v_xad_u32 v21, v41, -1, s15
	s_mov_b32 s20, 0
	s_mov_b32 s19, exec_lo
	s_delay_alu instid0(VALU_DEP_1) | instskip(NEXT) | instid1(VALU_DEP_1)
	v_add_nc_u32_e32 v22, 32, v21
	v_lshlrev_b64 v[22:23], 3, v[22:23]
	s_delay_alu instid0(VALU_DEP_1) | instskip(NEXT) | instid1(VALU_DEP_2)
	v_add_co_u32 v25, vcc_lo, s12, v22
	v_add_co_ci_u32_e32 v26, vcc_lo, s13, v23, vcc_lo
	global_load_b64 v[23:24], v[25:26], off glc
	s_waitcnt vmcnt(0)
	v_and_b32_e32 v20, 0xff, v24
	s_delay_alu instid0(VALU_DEP_1)
	v_cmpx_eq_u16_e32 0, v20
	s_cbranch_execz .LBB827_76
.LBB827_74:                             ; =>This Inner Loop Header: Depth=1
	global_load_b64 v[23:24], v[25:26], off glc
	s_waitcnt vmcnt(0)
	v_and_b32_e32 v20, 0xff, v24
	s_delay_alu instid0(VALU_DEP_1) | instskip(SKIP_1) | instid1(SALU_CYCLE_1)
	v_cmp_ne_u16_e32 vcc_lo, 0, v20
	s_or_b32 s20, vcc_lo, s20
	s_and_not1_b32 exec_lo, exec_lo, s20
	s_cbranch_execnz .LBB827_74
; %bb.75:
	s_or_b32 exec_lo, exec_lo, s20
.LBB827_76:
	s_delay_alu instid0(SALU_CYCLE_1)
	s_or_b32 exec_lo, exec_lo, s19
	v_cmp_ne_u32_e32 vcc_lo, 31, v41
	v_lshlrev_b32_e64 v33, v41, -1
	v_add_nc_u32_e32 v37, 2, v41
	v_add_nc_u32_e32 v45, 4, v41
	;; [unrolled: 1-line block ×3, first 2 shown]
	v_add_co_ci_u32_e32 v20, vcc_lo, 0, v41, vcc_lo
	v_add_nc_u32_e32 v49, 16, v41
	s_delay_alu instid0(VALU_DEP_2)
	v_lshlrev_b32_e32 v31, 2, v20
	v_and_b32_e32 v20, 0xff, v24
	ds_bpermute_b32 v22, v31, v23
	v_cmp_eq_u16_e32 vcc_lo, 2, v20
	v_and_or_b32 v20, vcc_lo, v33, 0x80000000
	v_cmp_gt_u32_e32 vcc_lo, 30, v41
	s_delay_alu instid0(VALU_DEP_2) | instskip(SKIP_1) | instid1(VALU_DEP_2)
	v_ctz_i32_b32_e32 v20, v20
	v_cndmask_b32_e64 v25, 0, 1, vcc_lo
	v_cmp_lt_u32_e32 vcc_lo, v41, v20
	s_waitcnt lgkmcnt(0)
	s_delay_alu instid0(VALU_DEP_2) | instskip(NEXT) | instid1(VALU_DEP_1)
	v_dual_cndmask_b32 v22, 0, v22 :: v_dual_lshlrev_b32 v25, 1, v25
	v_add_lshl_u32 v35, v25, v41, 2
	v_cmp_gt_u32_e32 vcc_lo, 28, v41
	s_delay_alu instid0(VALU_DEP_3) | instskip(SKIP_4) | instid1(VALU_DEP_1)
	v_add_nc_u32_e32 v22, v22, v23
	v_cndmask_b32_e64 v25, 0, 1, vcc_lo
	v_cmp_le_u32_e32 vcc_lo, v37, v20
	ds_bpermute_b32 v23, v35, v22
	v_lshlrev_b32_e32 v25, 2, v25
	v_add_lshl_u32 v44, v25, v41, 2
	s_waitcnt lgkmcnt(0)
	v_cndmask_b32_e32 v23, 0, v23, vcc_lo
	v_cmp_gt_u32_e32 vcc_lo, 24, v41
	s_delay_alu instid0(VALU_DEP_2) | instskip(SKIP_4) | instid1(VALU_DEP_1)
	v_add_nc_u32_e32 v22, v22, v23
	v_cndmask_b32_e64 v25, 0, 1, vcc_lo
	v_cmp_le_u32_e32 vcc_lo, v45, v20
	ds_bpermute_b32 v23, v44, v22
	v_lshlrev_b32_e32 v25, 3, v25
	v_add_lshl_u32 v46, v25, v41, 2
	s_waitcnt lgkmcnt(0)
	v_cndmask_b32_e32 v23, 0, v23, vcc_lo
	v_cmp_gt_u32_e32 vcc_lo, 16, v41
	s_delay_alu instid0(VALU_DEP_2) | instskip(SKIP_4) | instid1(VALU_DEP_1)
	v_add_nc_u32_e32 v22, v22, v23
	v_cndmask_b32_e64 v25, 0, 1, vcc_lo
	v_cmp_le_u32_e32 vcc_lo, v47, v20
	ds_bpermute_b32 v23, v46, v22
	v_lshlrev_b32_e32 v25, 4, v25
	v_add_lshl_u32 v48, v25, v41, 2
	s_waitcnt lgkmcnt(0)
	v_cndmask_b32_e32 v23, 0, v23, vcc_lo
	v_cmp_le_u32_e32 vcc_lo, v49, v20
	s_delay_alu instid0(VALU_DEP_2) | instskip(SKIP_3) | instid1(VALU_DEP_1)
	v_add_nc_u32_e32 v22, v22, v23
	ds_bpermute_b32 v23, v48, v22
	s_waitcnt lgkmcnt(0)
	v_cndmask_b32_e32 v20, 0, v23, vcc_lo
	v_dual_mov_b32 v22, 0 :: v_dual_add_nc_u32 v23, v22, v20
	s_branch .LBB827_78
.LBB827_77:                             ;   in Loop: Header=BB827_78 Depth=1
	s_or_b32 exec_lo, exec_lo, s19
	ds_bpermute_b32 v26, v31, v23
	v_and_b32_e32 v25, 0xff, v24
	v_subrev_nc_u32_e32 v21, 32, v21
	s_delay_alu instid0(VALU_DEP_2) | instskip(SKIP_1) | instid1(VALU_DEP_1)
	v_cmp_eq_u16_e32 vcc_lo, 2, v25
	v_and_or_b32 v25, vcc_lo, v33, 0x80000000
	v_ctz_i32_b32_e32 v25, v25
	s_delay_alu instid0(VALU_DEP_1) | instskip(SKIP_3) | instid1(VALU_DEP_2)
	v_cmp_lt_u32_e32 vcc_lo, v41, v25
	s_waitcnt lgkmcnt(0)
	v_cndmask_b32_e32 v26, 0, v26, vcc_lo
	v_cmp_le_u32_e32 vcc_lo, v37, v25
	v_add_nc_u32_e32 v23, v26, v23
	ds_bpermute_b32 v26, v35, v23
	s_waitcnt lgkmcnt(0)
	v_cndmask_b32_e32 v26, 0, v26, vcc_lo
	v_cmp_le_u32_e32 vcc_lo, v45, v25
	s_delay_alu instid0(VALU_DEP_2) | instskip(SKIP_4) | instid1(VALU_DEP_2)
	v_add_nc_u32_e32 v23, v23, v26
	ds_bpermute_b32 v26, v44, v23
	s_waitcnt lgkmcnt(0)
	v_cndmask_b32_e32 v26, 0, v26, vcc_lo
	v_cmp_le_u32_e32 vcc_lo, v47, v25
	v_add_nc_u32_e32 v23, v23, v26
	ds_bpermute_b32 v26, v46, v23
	s_waitcnt lgkmcnt(0)
	v_cndmask_b32_e32 v26, 0, v26, vcc_lo
	v_cmp_le_u32_e32 vcc_lo, v49, v25
	s_delay_alu instid0(VALU_DEP_2) | instskip(SKIP_3) | instid1(VALU_DEP_1)
	v_add_nc_u32_e32 v23, v23, v26
	ds_bpermute_b32 v26, v48, v23
	s_waitcnt lgkmcnt(0)
	v_cndmask_b32_e32 v25, 0, v26, vcc_lo
	v_add3_u32 v23, v25, v20, v23
.LBB827_78:                             ; =>This Loop Header: Depth=1
                                        ;     Child Loop BB827_81 Depth 2
	v_and_b32_e32 v20, 0xff, v24
	s_delay_alu instid0(VALU_DEP_1) | instskip(SKIP_2) | instid1(VALU_DEP_1)
	v_cmp_ne_u16_e32 vcc_lo, 2, v20
	v_cndmask_b32_e64 v20, 0, 1, vcc_lo
	;;#ASMSTART
	;;#ASMEND
	v_cmp_ne_u32_e32 vcc_lo, 0, v20
	v_mov_b32_e32 v20, v23
	s_cmp_lg_u32 vcc_lo, exec_lo
	s_cbranch_scc1 .LBB827_83
; %bb.79:                               ;   in Loop: Header=BB827_78 Depth=1
	v_lshlrev_b64 v[23:24], 3, v[21:22]
	s_mov_b32 s19, exec_lo
	s_delay_alu instid0(VALU_DEP_1) | instskip(NEXT) | instid1(VALU_DEP_2)
	v_add_co_u32 v25, vcc_lo, s12, v23
	v_add_co_ci_u32_e32 v26, vcc_lo, s13, v24, vcc_lo
	global_load_b64 v[23:24], v[25:26], off glc
	s_waitcnt vmcnt(0)
	v_and_b32_e32 v50, 0xff, v24
	s_delay_alu instid0(VALU_DEP_1)
	v_cmpx_eq_u16_e32 0, v50
	s_cbranch_execz .LBB827_77
; %bb.80:                               ;   in Loop: Header=BB827_78 Depth=1
	s_mov_b32 s20, 0
.LBB827_81:                             ;   Parent Loop BB827_78 Depth=1
                                        ; =>  This Inner Loop Header: Depth=2
	global_load_b64 v[23:24], v[25:26], off glc
	s_waitcnt vmcnt(0)
	v_and_b32_e32 v50, 0xff, v24
	s_delay_alu instid0(VALU_DEP_1) | instskip(SKIP_1) | instid1(SALU_CYCLE_1)
	v_cmp_ne_u16_e32 vcc_lo, 0, v50
	s_or_b32 s20, vcc_lo, s20
	s_and_not1_b32 exec_lo, exec_lo, s20
	s_cbranch_execnz .LBB827_81
; %bb.82:                               ;   in Loop: Header=BB827_78 Depth=1
	s_or_b32 exec_lo, exec_lo, s20
	s_branch .LBB827_77
.LBB827_83:                             ;   in Loop: Header=BB827_78 Depth=1
                                        ; implicit-def: $vgpr23
                                        ; implicit-def: $vgpr24
	s_cbranch_execz .LBB827_78
; %bb.84:
	s_and_saveexec_b32 s19, s8
	s_cbranch_execz .LBB827_86
; %bb.85:
	s_add_i32 s20, s15, 32
	s_mov_b32 s21, 0
	v_dual_mov_b32 v22, 2 :: v_dual_add_nc_u32 v21, v20, v19
	s_lshl_b64 s[20:21], s[20:21], 3
	v_mov_b32_e32 v23, 0
	s_add_u32 s20, s12, s20
	s_addc_u32 s21, s13, s21
	global_store_b64 v23, v[21:22], s[20:21]
	ds_store_b64 v23, v[19:20] offset:12672
.LBB827_86:
	s_or_b32 exec_lo, exec_lo, s19
	v_cmp_eq_u32_e32 vcc_lo, 0, v0
	s_and_b32 exec_lo, exec_lo, vcc_lo
	s_cbranch_execz .LBB827_88
; %bb.87:
	v_mov_b32_e32 v19, 0
	ds_store_b32 v19, v20 offset:44
.LBB827_88:
	s_or_b32 exec_lo, exec_lo, s9
	v_mov_b32_e32 v19, 0
	s_waitcnt lgkmcnt(0)
	s_waitcnt_vscnt null, 0x0
	s_barrier
	buffer_gl0_inv
	v_cndmask_b32_e64 v21, v29, v27, s8
	ds_load_b32 v20, v19 offset:44
	v_cmp_ne_u32_e32 vcc_lo, 0, v0
	s_waitcnt lgkmcnt(0)
	s_barrier
	buffer_gl0_inv
	v_cndmask_b32_e32 v21, 0, v21, vcc_lo
	s_delay_alu instid0(VALU_DEP_1) | instskip(SKIP_2) | instid1(VALU_DEP_1)
	v_add_nc_u32_e32 v37, v20, v21
	ds_load_b64 v[19:20], v19 offset:12672
	v_add_nc_u32_e32 v35, v37, v28
	v_add_nc_u32_e32 v33, v35, v30
	s_delay_alu instid0(VALU_DEP_1) | instskip(NEXT) | instid1(VALU_DEP_1)
	v_add_nc_u32_e32 v31, v33, v32
	v_add_nc_u32_e32 v29, v31, v34
	s_delay_alu instid0(VALU_DEP_1) | instskip(NEXT) | instid1(VALU_DEP_1)
	v_add_nc_u32_e32 v27, v29, v36
	v_add_nc_u32_e32 v25, v27, v38
	s_delay_alu instid0(VALU_DEP_1)
	v_add_nc_u32_e32 v23, v25, v40
	s_load_b64 s[8:9], s[0:1], 0x28
	v_lshrrev_b64 v[21:22], 24, v[17:18]
	s_branch .LBB827_99
.LBB827_89:
                                        ; implicit-def: $vgpr23
                                        ; implicit-def: $vgpr25
                                        ; implicit-def: $vgpr27
                                        ; implicit-def: $vgpr29
                                        ; implicit-def: $vgpr31
                                        ; implicit-def: $vgpr33
                                        ; implicit-def: $vgpr35
                                        ; implicit-def: $vgpr37
                                        ; implicit-def: $vgpr20
	s_load_b64 s[8:9], s[0:1], 0x28
	v_lshrrev_b64 v[21:22], 24, v[17:18]
	s_and_b32 vcc_lo, exec_lo, s19
	s_cbranch_vccz .LBB827_99
; %bb.90:
	s_waitcnt lgkmcnt(0)
	v_mov_b32_dpp v19, v43 row_shr:1 row_mask:0xf bank_mask:0xf
	s_delay_alu instid0(VALU_DEP_1) | instskip(NEXT) | instid1(VALU_DEP_1)
	v_cndmask_b32_e64 v19, v19, 0, s4
	v_add_nc_u32_e32 v19, v19, v43
	s_delay_alu instid0(VALU_DEP_1) | instskip(NEXT) | instid1(VALU_DEP_1)
	v_mov_b32_dpp v20, v19 row_shr:2 row_mask:0xf bank_mask:0xf
	v_cndmask_b32_e64 v20, 0, v20, s5
	s_delay_alu instid0(VALU_DEP_1) | instskip(NEXT) | instid1(VALU_DEP_1)
	v_add_nc_u32_e32 v19, v19, v20
	v_mov_b32_dpp v20, v19 row_shr:4 row_mask:0xf bank_mask:0xf
	s_delay_alu instid0(VALU_DEP_1) | instskip(NEXT) | instid1(VALU_DEP_1)
	v_cndmask_b32_e64 v20, 0, v20, s3
	v_add_nc_u32_e32 v19, v19, v20
	s_delay_alu instid0(VALU_DEP_1) | instskip(NEXT) | instid1(VALU_DEP_1)
	v_mov_b32_dpp v20, v19 row_shr:8 row_mask:0xf bank_mask:0xf
	v_cndmask_b32_e64 v20, 0, v20, s2
	s_delay_alu instid0(VALU_DEP_1) | instskip(SKIP_3) | instid1(VALU_DEP_1)
	v_add_nc_u32_e32 v19, v19, v20
	ds_swizzle_b32 v20, v19 offset:swizzle(BROADCAST,32,15)
	s_waitcnt lgkmcnt(0)
	v_cndmask_b32_e64 v20, v20, 0, s7
	v_add_nc_u32_e32 v19, v19, v20
	s_and_saveexec_b32 s0, s6
	s_cbranch_execz .LBB827_92
; %bb.91:
	v_lshlrev_b32_e32 v20, 2, v42
	ds_store_b32 v20, v19
.LBB827_92:
	s_or_b32 exec_lo, exec_lo, s0
	s_delay_alu instid0(SALU_CYCLE_1)
	s_mov_b32 s0, exec_lo
	s_waitcnt lgkmcnt(0)
	s_barrier
	buffer_gl0_inv
	v_cmpx_gt_u32_e32 12, v0
	s_cbranch_execz .LBB827_94
; %bb.93:
	v_lshlrev_b32_e32 v20, 2, v0
	ds_load_b32 v22, v20
	s_waitcnt lgkmcnt(0)
	v_mov_b32_dpp v23, v22 row_shr:1 row_mask:0xf bank_mask:0xf
	s_delay_alu instid0(VALU_DEP_1) | instskip(NEXT) | instid1(VALU_DEP_1)
	v_cndmask_b32_e64 v23, v23, 0, s4
	v_add_nc_u32_e32 v22, v23, v22
	s_delay_alu instid0(VALU_DEP_1) | instskip(NEXT) | instid1(VALU_DEP_1)
	v_mov_b32_dpp v23, v22 row_shr:2 row_mask:0xf bank_mask:0xf
	v_cndmask_b32_e64 v23, 0, v23, s5
	s_delay_alu instid0(VALU_DEP_1) | instskip(NEXT) | instid1(VALU_DEP_1)
	v_add_nc_u32_e32 v22, v22, v23
	v_mov_b32_dpp v23, v22 row_shr:4 row_mask:0xf bank_mask:0xf
	s_delay_alu instid0(VALU_DEP_1) | instskip(NEXT) | instid1(VALU_DEP_1)
	v_cndmask_b32_e64 v23, 0, v23, s3
	v_add_nc_u32_e32 v22, v22, v23
	s_delay_alu instid0(VALU_DEP_1) | instskip(NEXT) | instid1(VALU_DEP_1)
	v_mov_b32_dpp v23, v22 row_shr:8 row_mask:0xf bank_mask:0xf
	v_cndmask_b32_e64 v23, 0, v23, s2
	s_delay_alu instid0(VALU_DEP_1)
	v_add_nc_u32_e32 v22, v22, v23
	ds_store_b32 v20, v22
.LBB827_94:
	s_or_b32 exec_lo, exec_lo, s0
	v_mov_b32_e32 v20, 0
	v_mov_b32_e32 v22, 0
	s_mov_b32 s0, exec_lo
	s_waitcnt lgkmcnt(0)
	s_barrier
	buffer_gl0_inv
	v_cmpx_lt_u32_e32 31, v0
	s_cbranch_execz .LBB827_96
; %bb.95:
	v_lshl_add_u32 v22, v42, 2, -4
	ds_load_b32 v22, v22
.LBB827_96:
	s_or_b32 exec_lo, exec_lo, s0
	v_add_nc_u32_e32 v23, -1, v41
	s_waitcnt lgkmcnt(0)
	v_add_nc_u32_e32 v19, v22, v19
	s_delay_alu instid0(VALU_DEP_2) | instskip(SKIP_2) | instid1(VALU_DEP_2)
	v_cmp_gt_i32_e32 vcc_lo, 0, v23
	v_cndmask_b32_e32 v23, v23, v41, vcc_lo
	v_cmp_eq_u32_e32 vcc_lo, 0, v0
	v_lshlrev_b32_e32 v23, 2, v23
	ds_bpermute_b32 v23, v23, v19
	ds_load_b32 v19, v20 offset:44
	s_and_saveexec_b32 s0, vcc_lo
	s_cbranch_execz .LBB827_98
; %bb.97:
	v_mov_b32_e32 v24, 0
	v_mov_b32_e32 v20, 2
	s_waitcnt lgkmcnt(0)
	global_store_b64 v24, v[19:20], s[12:13] offset:256
.LBB827_98:
	s_or_b32 exec_lo, exec_lo, s0
	v_cmp_eq_u32_e64 s0, 0, v41
	s_waitcnt lgkmcnt(0)
	s_waitcnt_vscnt null, 0x0
	s_barrier
	buffer_gl0_inv
	v_cndmask_b32_e64 v20, v23, v22, s0
	s_delay_alu instid0(VALU_DEP_1) | instskip(NEXT) | instid1(VALU_DEP_1)
	v_cndmask_b32_e64 v37, v20, 0, vcc_lo
	v_dual_mov_b32 v20, 0 :: v_dual_add_nc_u32 v35, v37, v28
	s_delay_alu instid0(VALU_DEP_1) | instskip(NEXT) | instid1(VALU_DEP_1)
	v_add_nc_u32_e32 v33, v35, v30
	v_add_nc_u32_e32 v31, v33, v32
	s_delay_alu instid0(VALU_DEP_1) | instskip(NEXT) | instid1(VALU_DEP_1)
	v_add_nc_u32_e32 v29, v31, v34
	v_add_nc_u32_e32 v27, v29, v36
	;; [unrolled: 3-line block ×3, first 2 shown]
.LBB827_99:
	s_waitcnt lgkmcnt(0)
	v_cmp_gt_u32_e32 vcc_lo, 0x181, v19
	v_lshrrev_b32_e32 v42, 8, v17
	v_lshrrev_b32_e32 v41, 16, v17
	;; [unrolled: 1-line block ×4, first 2 shown]
	v_cmp_lt_u32_e64 s0, 0x180, v19
	s_mov_b32 s1, -1
	s_cbranch_vccz .LBB827_125
; %bb.100:
	v_add_nc_u32_e32 v24, v20, v19
	s_lshl_b64 s[2:3], s[10:11], 2
	s_delay_alu instid0(SALU_CYCLE_1) | instskip(SKIP_1) | instid1(VALU_DEP_1)
	s_add_u32 s1, s8, s2
	s_addc_u32 s2, s9, s3
	v_cmp_lt_u32_e32 vcc_lo, v37, v24
	s_or_b32 s4, s18, vcc_lo
	s_delay_alu instid0(SALU_CYCLE_1)
	s_and_saveexec_b32 s3, s4
	s_cbranch_execz .LBB827_103
; %bb.101:
	v_and_b32_e32 v26, 1, v17
	s_delay_alu instid0(VALU_DEP_1)
	v_cmp_eq_u32_e32 vcc_lo, 1, v26
	s_and_b32 exec_lo, exec_lo, vcc_lo
	s_cbranch_execz .LBB827_103
; %bb.102:
	v_mov_b32_e32 v38, 0
	s_delay_alu instid0(VALU_DEP_1) | instskip(NEXT) | instid1(VALU_DEP_1)
	v_lshlrev_b64 v[43:44], 2, v[37:38]
	v_add_co_u32 v43, vcc_lo, s1, v43
	s_delay_alu instid0(VALU_DEP_2)
	v_add_co_ci_u32_e32 v44, vcc_lo, s2, v44, vcc_lo
	global_store_b32 v[43:44], v7, off
.LBB827_103:
	s_or_b32 exec_lo, exec_lo, s3
	v_cmp_lt_u32_e32 vcc_lo, v35, v24
	s_or_b32 s4, s18, vcc_lo
	s_delay_alu instid0(SALU_CYCLE_1)
	s_and_saveexec_b32 s3, s4
	s_cbranch_execz .LBB827_106
; %bb.104:
	v_and_b32_e32 v26, 1, v42
	s_delay_alu instid0(VALU_DEP_1)
	v_cmp_eq_u32_e32 vcc_lo, 1, v26
	s_and_b32 exec_lo, exec_lo, vcc_lo
	s_cbranch_execz .LBB827_106
; %bb.105:
	v_mov_b32_e32 v36, 0
	s_delay_alu instid0(VALU_DEP_1) | instskip(NEXT) | instid1(VALU_DEP_1)
	v_lshlrev_b64 v[43:44], 2, v[35:36]
	v_add_co_u32 v43, vcc_lo, s1, v43
	s_delay_alu instid0(VALU_DEP_2)
	v_add_co_ci_u32_e32 v44, vcc_lo, s2, v44, vcc_lo
	global_store_b32 v[43:44], v8, off
.LBB827_106:
	s_or_b32 exec_lo, exec_lo, s3
	;; [unrolled: 21-line block ×8, first 2 shown]
	s_mov_b32 s1, 0
.LBB827_125:
	v_and_b32_e32 v17, 1, v17
	s_and_b32 vcc_lo, exec_lo, s1
	s_delay_alu instid0(VALU_DEP_1)
	v_cmp_eq_u32_e64 s1, 1, v17
	s_cbranch_vccz .LBB827_146
; %bb.126:
	s_delay_alu instid0(VALU_DEP_1)
	s_and_saveexec_b32 s2, s1
	s_cbranch_execz .LBB827_128
; %bb.127:
	v_sub_nc_u32_e32 v24, v37, v20
	s_delay_alu instid0(VALU_DEP_1)
	v_lshlrev_b32_e32 v24, 2, v24
	ds_store_b32 v24, v7
.LBB827_128:
	s_or_b32 exec_lo, exec_lo, s2
	v_and_b32_e32 v7, 1, v42
	s_mov_b32 s1, exec_lo
	s_delay_alu instid0(VALU_DEP_1)
	v_cmpx_eq_u32_e32 1, v7
	s_cbranch_execz .LBB827_130
; %bb.129:
	v_sub_nc_u32_e32 v7, v35, v20
	s_delay_alu instid0(VALU_DEP_1)
	v_lshlrev_b32_e32 v7, 2, v7
	ds_store_b32 v7, v8
.LBB827_130:
	s_or_b32 exec_lo, exec_lo, s1
	v_and_b32_e32 v7, 1, v41
	s_mov_b32 s1, exec_lo
	s_delay_alu instid0(VALU_DEP_1)
	v_cmpx_eq_u32_e32 1, v7
	;; [unrolled: 12-line block ×7, first 2 shown]
	s_cbranch_execz .LBB827_142
; %bb.141:
	v_sub_nc_u32_e32 v1, v23, v20
	s_delay_alu instid0(VALU_DEP_1)
	v_lshlrev_b32_e32 v1, 2, v1
	ds_store_b32 v1, v2
.LBB827_142:
	s_or_b32 exec_lo, exec_lo, s1
	s_delay_alu instid0(SALU_CYCLE_1)
	s_mov_b32 s2, exec_lo
	s_waitcnt lgkmcnt(0)
	s_waitcnt_vscnt null, 0x0
	s_barrier
	buffer_gl0_inv
	v_cmpx_lt_u32_e64 v0, v19
	s_cbranch_execz .LBB827_145
; %bb.143:
	v_dual_mov_b32 v2, 0 :: v_dual_mov_b32 v1, v20
	s_lshl_b64 s[4:5], s[10:11], 2
	v_lshlrev_b32_e32 v3, 2, v0
	s_add_u32 s1, s8, s4
	s_addc_u32 s3, s9, s5
	v_lshlrev_b64 v[4:5], 2, v[1:2]
	v_mov_b32_e32 v1, v0
	s_delay_alu instid0(VALU_DEP_2) | instskip(NEXT) | instid1(VALU_DEP_3)
	v_add_co_u32 v4, vcc_lo, s1, v4
	v_add_co_ci_u32_e32 v5, vcc_lo, s3, v5, vcc_lo
	s_mov_b32 s3, 0
	.p2align	6
.LBB827_144:                            ; =>This Inner Loop Header: Depth=1
	ds_load_b32 v8, v3
	v_lshlrev_b64 v[6:7], 2, v[1:2]
	v_add_nc_u32_e32 v1, 0x180, v1
	v_add_nc_u32_e32 v3, 0x600, v3
	s_delay_alu instid0(VALU_DEP_2) | instskip(NEXT) | instid1(VALU_DEP_4)
	v_cmp_ge_u32_e32 vcc_lo, v1, v19
	v_add_co_u32 v6, s1, v4, v6
	s_delay_alu instid0(VALU_DEP_1)
	v_add_co_ci_u32_e64 v7, s1, v5, v7, s1
	s_or_b32 s3, vcc_lo, s3
	s_waitcnt lgkmcnt(0)
	global_store_b32 v[6:7], v8, off
	s_and_not1_b32 exec_lo, exec_lo, s3
	s_cbranch_execnz .LBB827_144
.LBB827_145:
	s_or_b32 exec_lo, exec_lo, s2
.LBB827_146:
	s_delay_alu instid0(SALU_CYCLE_1)
	s_and_not1_b32 vcc_lo, exec_lo, s0
	s_waitcnt_vscnt null, 0x0
	s_barrier
	buffer_gl0_inv
	s_cbranch_vccnz .LBB827_165
; %bb.147:
	s_mov_b32 s0, exec_lo
	v_cmpx_eq_u32_e32 1, v17
	s_cbranch_execz .LBB827_149
; %bb.148:
	v_sub_nc_u32_e32 v1, v37, v20
	s_delay_alu instid0(VALU_DEP_1)
	v_lshlrev_b32_e32 v1, 2, v1
	ds_store_b32 v1, v15
.LBB827_149:
	s_or_b32 exec_lo, exec_lo, s0
	v_and_b32_e32 v1, 1, v42
	s_mov_b32 s0, exec_lo
	s_delay_alu instid0(VALU_DEP_1)
	v_cmpx_eq_u32_e32 1, v1
	s_cbranch_execz .LBB827_151
; %bb.150:
	v_sub_nc_u32_e32 v1, v35, v20
	s_delay_alu instid0(VALU_DEP_1)
	v_lshlrev_b32_e32 v1, 2, v1
	ds_store_b32 v1, v16
.LBB827_151:
	s_or_b32 exec_lo, exec_lo, s0
	v_and_b32_e32 v1, 1, v41
	s_mov_b32 s0, exec_lo
	s_delay_alu instid0(VALU_DEP_1)
	;; [unrolled: 12-line block ×7, first 2 shown]
	v_cmpx_eq_u32_e32 1, v1
	s_cbranch_execz .LBB827_163
; %bb.162:
	v_sub_nc_u32_e32 v1, v23, v20
	s_delay_alu instid0(VALU_DEP_1)
	v_lshlrev_b32_e32 v1, 2, v1
	ds_store_b32 v1, v10
.LBB827_163:
	s_or_b32 exec_lo, exec_lo, s0
	s_waitcnt lgkmcnt(0)
	s_barrier
	buffer_gl0_inv
	v_cmp_eq_u32_e32 vcc_lo, 0, v0
	s_and_b32 s0, vcc_lo, s14
	s_delay_alu instid0(SALU_CYCLE_1)
	s_and_saveexec_b32 s1, s0
	s_cbranch_execnz .LBB827_166
.LBB827_164:
	s_endpgm
.LBB827_165:
	v_cmp_eq_u32_e32 vcc_lo, 0, v0
	s_and_b32 s0, vcc_lo, s14
	s_delay_alu instid0(SALU_CYCLE_1)
	s_and_saveexec_b32 s1, s0
	s_cbranch_execz .LBB827_164
.LBB827_166:
	v_add_co_u32 v0, s0, s10, v19
	s_delay_alu instid0(VALU_DEP_1) | instskip(SKIP_1) | instid1(VALU_DEP_3)
	v_add_co_ci_u32_e64 v1, null, s11, 0, s0
	v_mov_b32_e32 v2, 0
	v_add_co_u32 v0, vcc_lo, v0, v20
	s_delay_alu instid0(VALU_DEP_3)
	v_add_co_ci_u32_e32 v1, vcc_lo, 0, v1, vcc_lo
	global_store_b64 v2, v[0:1], s[16:17]
	s_nop 0
	s_sendmsg sendmsg(MSG_DEALLOC_VGPRS)
	s_endpgm
	.section	.rodata,"a",@progbits
	.p2align	6, 0x0
	.amdhsa_kernel _ZN7rocprim17ROCPRIM_400000_NS6detail17trampoline_kernelINS0_14default_configENS1_25partition_config_selectorILNS1_17partition_subalgoE9EjjbEEZZNS1_14partition_implILS5_9ELb0ES3_jN6thrust23THRUST_200600_302600_NS6detail15normal_iteratorINS9_10device_ptrIjEEEESE_PNS0_10empty_typeENS0_5tupleIJSE_SF_EEENSH_IJNS9_16discard_iteratorINS9_11use_defaultEEESG_EEENS0_18inequality_wrapperINS9_8equal_toIjEEEEPmJSF_EEE10hipError_tPvRmT3_T4_T5_T6_T7_T9_mT8_P12ihipStream_tbDpT10_ENKUlT_T0_E_clISt17integral_constantIbLb0EES1B_EEDaS16_S17_EUlS16_E_NS1_11comp_targetILNS1_3genE9ELNS1_11target_archE1100ELNS1_3gpuE3ELNS1_3repE0EEENS1_30default_config_static_selectorELNS0_4arch9wavefront6targetE0EEEvT1_
		.amdhsa_group_segment_fixed_size 12680
		.amdhsa_private_segment_fixed_size 0
		.amdhsa_kernarg_size 120
		.amdhsa_user_sgpr_count 15
		.amdhsa_user_sgpr_dispatch_ptr 0
		.amdhsa_user_sgpr_queue_ptr 0
		.amdhsa_user_sgpr_kernarg_segment_ptr 1
		.amdhsa_user_sgpr_dispatch_id 0
		.amdhsa_user_sgpr_private_segment_size 0
		.amdhsa_wavefront_size32 1
		.amdhsa_uses_dynamic_stack 0
		.amdhsa_enable_private_segment 0
		.amdhsa_system_sgpr_workgroup_id_x 1
		.amdhsa_system_sgpr_workgroup_id_y 0
		.amdhsa_system_sgpr_workgroup_id_z 0
		.amdhsa_system_sgpr_workgroup_info 0
		.amdhsa_system_vgpr_workitem_id 0
		.amdhsa_next_free_vgpr 51
		.amdhsa_next_free_sgpr 25
		.amdhsa_reserve_vcc 1
		.amdhsa_float_round_mode_32 0
		.amdhsa_float_round_mode_16_64 0
		.amdhsa_float_denorm_mode_32 3
		.amdhsa_float_denorm_mode_16_64 3
		.amdhsa_dx10_clamp 1
		.amdhsa_ieee_mode 1
		.amdhsa_fp16_overflow 0
		.amdhsa_workgroup_processor_mode 1
		.amdhsa_memory_ordered 1
		.amdhsa_forward_progress 0
		.amdhsa_shared_vgpr_count 0
		.amdhsa_exception_fp_ieee_invalid_op 0
		.amdhsa_exception_fp_denorm_src 0
		.amdhsa_exception_fp_ieee_div_zero 0
		.amdhsa_exception_fp_ieee_overflow 0
		.amdhsa_exception_fp_ieee_underflow 0
		.amdhsa_exception_fp_ieee_inexact 0
		.amdhsa_exception_int_div_zero 0
	.end_amdhsa_kernel
	.section	.text._ZN7rocprim17ROCPRIM_400000_NS6detail17trampoline_kernelINS0_14default_configENS1_25partition_config_selectorILNS1_17partition_subalgoE9EjjbEEZZNS1_14partition_implILS5_9ELb0ES3_jN6thrust23THRUST_200600_302600_NS6detail15normal_iteratorINS9_10device_ptrIjEEEESE_PNS0_10empty_typeENS0_5tupleIJSE_SF_EEENSH_IJNS9_16discard_iteratorINS9_11use_defaultEEESG_EEENS0_18inequality_wrapperINS9_8equal_toIjEEEEPmJSF_EEE10hipError_tPvRmT3_T4_T5_T6_T7_T9_mT8_P12ihipStream_tbDpT10_ENKUlT_T0_E_clISt17integral_constantIbLb0EES1B_EEDaS16_S17_EUlS16_E_NS1_11comp_targetILNS1_3genE9ELNS1_11target_archE1100ELNS1_3gpuE3ELNS1_3repE0EEENS1_30default_config_static_selectorELNS0_4arch9wavefront6targetE0EEEvT1_,"axG",@progbits,_ZN7rocprim17ROCPRIM_400000_NS6detail17trampoline_kernelINS0_14default_configENS1_25partition_config_selectorILNS1_17partition_subalgoE9EjjbEEZZNS1_14partition_implILS5_9ELb0ES3_jN6thrust23THRUST_200600_302600_NS6detail15normal_iteratorINS9_10device_ptrIjEEEESE_PNS0_10empty_typeENS0_5tupleIJSE_SF_EEENSH_IJNS9_16discard_iteratorINS9_11use_defaultEEESG_EEENS0_18inequality_wrapperINS9_8equal_toIjEEEEPmJSF_EEE10hipError_tPvRmT3_T4_T5_T6_T7_T9_mT8_P12ihipStream_tbDpT10_ENKUlT_T0_E_clISt17integral_constantIbLb0EES1B_EEDaS16_S17_EUlS16_E_NS1_11comp_targetILNS1_3genE9ELNS1_11target_archE1100ELNS1_3gpuE3ELNS1_3repE0EEENS1_30default_config_static_selectorELNS0_4arch9wavefront6targetE0EEEvT1_,comdat
.Lfunc_end827:
	.size	_ZN7rocprim17ROCPRIM_400000_NS6detail17trampoline_kernelINS0_14default_configENS1_25partition_config_selectorILNS1_17partition_subalgoE9EjjbEEZZNS1_14partition_implILS5_9ELb0ES3_jN6thrust23THRUST_200600_302600_NS6detail15normal_iteratorINS9_10device_ptrIjEEEESE_PNS0_10empty_typeENS0_5tupleIJSE_SF_EEENSH_IJNS9_16discard_iteratorINS9_11use_defaultEEESG_EEENS0_18inequality_wrapperINS9_8equal_toIjEEEEPmJSF_EEE10hipError_tPvRmT3_T4_T5_T6_T7_T9_mT8_P12ihipStream_tbDpT10_ENKUlT_T0_E_clISt17integral_constantIbLb0EES1B_EEDaS16_S17_EUlS16_E_NS1_11comp_targetILNS1_3genE9ELNS1_11target_archE1100ELNS1_3gpuE3ELNS1_3repE0EEENS1_30default_config_static_selectorELNS0_4arch9wavefront6targetE0EEEvT1_, .Lfunc_end827-_ZN7rocprim17ROCPRIM_400000_NS6detail17trampoline_kernelINS0_14default_configENS1_25partition_config_selectorILNS1_17partition_subalgoE9EjjbEEZZNS1_14partition_implILS5_9ELb0ES3_jN6thrust23THRUST_200600_302600_NS6detail15normal_iteratorINS9_10device_ptrIjEEEESE_PNS0_10empty_typeENS0_5tupleIJSE_SF_EEENSH_IJNS9_16discard_iteratorINS9_11use_defaultEEESG_EEENS0_18inequality_wrapperINS9_8equal_toIjEEEEPmJSF_EEE10hipError_tPvRmT3_T4_T5_T6_T7_T9_mT8_P12ihipStream_tbDpT10_ENKUlT_T0_E_clISt17integral_constantIbLb0EES1B_EEDaS16_S17_EUlS16_E_NS1_11comp_targetILNS1_3genE9ELNS1_11target_archE1100ELNS1_3gpuE3ELNS1_3repE0EEENS1_30default_config_static_selectorELNS0_4arch9wavefront6targetE0EEEvT1_
                                        ; -- End function
	.section	.AMDGPU.csdata,"",@progbits
; Kernel info:
; codeLenInByte = 8368
; NumSgprs: 27
; NumVgprs: 51
; ScratchSize: 0
; MemoryBound: 0
; FloatMode: 240
; IeeeMode: 1
; LDSByteSize: 12680 bytes/workgroup (compile time only)
; SGPRBlocks: 3
; VGPRBlocks: 6
; NumSGPRsForWavesPerEU: 27
; NumVGPRsForWavesPerEU: 51
; Occupancy: 15
; WaveLimiterHint : 1
; COMPUTE_PGM_RSRC2:SCRATCH_EN: 0
; COMPUTE_PGM_RSRC2:USER_SGPR: 15
; COMPUTE_PGM_RSRC2:TRAP_HANDLER: 0
; COMPUTE_PGM_RSRC2:TGID_X_EN: 1
; COMPUTE_PGM_RSRC2:TGID_Y_EN: 0
; COMPUTE_PGM_RSRC2:TGID_Z_EN: 0
; COMPUTE_PGM_RSRC2:TIDIG_COMP_CNT: 0
	.section	.text._ZN7rocprim17ROCPRIM_400000_NS6detail17trampoline_kernelINS0_14default_configENS1_25partition_config_selectorILNS1_17partition_subalgoE9EjjbEEZZNS1_14partition_implILS5_9ELb0ES3_jN6thrust23THRUST_200600_302600_NS6detail15normal_iteratorINS9_10device_ptrIjEEEESE_PNS0_10empty_typeENS0_5tupleIJSE_SF_EEENSH_IJNS9_16discard_iteratorINS9_11use_defaultEEESG_EEENS0_18inequality_wrapperINS9_8equal_toIjEEEEPmJSF_EEE10hipError_tPvRmT3_T4_T5_T6_T7_T9_mT8_P12ihipStream_tbDpT10_ENKUlT_T0_E_clISt17integral_constantIbLb0EES1B_EEDaS16_S17_EUlS16_E_NS1_11comp_targetILNS1_3genE8ELNS1_11target_archE1030ELNS1_3gpuE2ELNS1_3repE0EEENS1_30default_config_static_selectorELNS0_4arch9wavefront6targetE0EEEvT1_,"axG",@progbits,_ZN7rocprim17ROCPRIM_400000_NS6detail17trampoline_kernelINS0_14default_configENS1_25partition_config_selectorILNS1_17partition_subalgoE9EjjbEEZZNS1_14partition_implILS5_9ELb0ES3_jN6thrust23THRUST_200600_302600_NS6detail15normal_iteratorINS9_10device_ptrIjEEEESE_PNS0_10empty_typeENS0_5tupleIJSE_SF_EEENSH_IJNS9_16discard_iteratorINS9_11use_defaultEEESG_EEENS0_18inequality_wrapperINS9_8equal_toIjEEEEPmJSF_EEE10hipError_tPvRmT3_T4_T5_T6_T7_T9_mT8_P12ihipStream_tbDpT10_ENKUlT_T0_E_clISt17integral_constantIbLb0EES1B_EEDaS16_S17_EUlS16_E_NS1_11comp_targetILNS1_3genE8ELNS1_11target_archE1030ELNS1_3gpuE2ELNS1_3repE0EEENS1_30default_config_static_selectorELNS0_4arch9wavefront6targetE0EEEvT1_,comdat
	.protected	_ZN7rocprim17ROCPRIM_400000_NS6detail17trampoline_kernelINS0_14default_configENS1_25partition_config_selectorILNS1_17partition_subalgoE9EjjbEEZZNS1_14partition_implILS5_9ELb0ES3_jN6thrust23THRUST_200600_302600_NS6detail15normal_iteratorINS9_10device_ptrIjEEEESE_PNS0_10empty_typeENS0_5tupleIJSE_SF_EEENSH_IJNS9_16discard_iteratorINS9_11use_defaultEEESG_EEENS0_18inequality_wrapperINS9_8equal_toIjEEEEPmJSF_EEE10hipError_tPvRmT3_T4_T5_T6_T7_T9_mT8_P12ihipStream_tbDpT10_ENKUlT_T0_E_clISt17integral_constantIbLb0EES1B_EEDaS16_S17_EUlS16_E_NS1_11comp_targetILNS1_3genE8ELNS1_11target_archE1030ELNS1_3gpuE2ELNS1_3repE0EEENS1_30default_config_static_selectorELNS0_4arch9wavefront6targetE0EEEvT1_ ; -- Begin function _ZN7rocprim17ROCPRIM_400000_NS6detail17trampoline_kernelINS0_14default_configENS1_25partition_config_selectorILNS1_17partition_subalgoE9EjjbEEZZNS1_14partition_implILS5_9ELb0ES3_jN6thrust23THRUST_200600_302600_NS6detail15normal_iteratorINS9_10device_ptrIjEEEESE_PNS0_10empty_typeENS0_5tupleIJSE_SF_EEENSH_IJNS9_16discard_iteratorINS9_11use_defaultEEESG_EEENS0_18inequality_wrapperINS9_8equal_toIjEEEEPmJSF_EEE10hipError_tPvRmT3_T4_T5_T6_T7_T9_mT8_P12ihipStream_tbDpT10_ENKUlT_T0_E_clISt17integral_constantIbLb0EES1B_EEDaS16_S17_EUlS16_E_NS1_11comp_targetILNS1_3genE8ELNS1_11target_archE1030ELNS1_3gpuE2ELNS1_3repE0EEENS1_30default_config_static_selectorELNS0_4arch9wavefront6targetE0EEEvT1_
	.globl	_ZN7rocprim17ROCPRIM_400000_NS6detail17trampoline_kernelINS0_14default_configENS1_25partition_config_selectorILNS1_17partition_subalgoE9EjjbEEZZNS1_14partition_implILS5_9ELb0ES3_jN6thrust23THRUST_200600_302600_NS6detail15normal_iteratorINS9_10device_ptrIjEEEESE_PNS0_10empty_typeENS0_5tupleIJSE_SF_EEENSH_IJNS9_16discard_iteratorINS9_11use_defaultEEESG_EEENS0_18inequality_wrapperINS9_8equal_toIjEEEEPmJSF_EEE10hipError_tPvRmT3_T4_T5_T6_T7_T9_mT8_P12ihipStream_tbDpT10_ENKUlT_T0_E_clISt17integral_constantIbLb0EES1B_EEDaS16_S17_EUlS16_E_NS1_11comp_targetILNS1_3genE8ELNS1_11target_archE1030ELNS1_3gpuE2ELNS1_3repE0EEENS1_30default_config_static_selectorELNS0_4arch9wavefront6targetE0EEEvT1_
	.p2align	8
	.type	_ZN7rocprim17ROCPRIM_400000_NS6detail17trampoline_kernelINS0_14default_configENS1_25partition_config_selectorILNS1_17partition_subalgoE9EjjbEEZZNS1_14partition_implILS5_9ELb0ES3_jN6thrust23THRUST_200600_302600_NS6detail15normal_iteratorINS9_10device_ptrIjEEEESE_PNS0_10empty_typeENS0_5tupleIJSE_SF_EEENSH_IJNS9_16discard_iteratorINS9_11use_defaultEEESG_EEENS0_18inequality_wrapperINS9_8equal_toIjEEEEPmJSF_EEE10hipError_tPvRmT3_T4_T5_T6_T7_T9_mT8_P12ihipStream_tbDpT10_ENKUlT_T0_E_clISt17integral_constantIbLb0EES1B_EEDaS16_S17_EUlS16_E_NS1_11comp_targetILNS1_3genE8ELNS1_11target_archE1030ELNS1_3gpuE2ELNS1_3repE0EEENS1_30default_config_static_selectorELNS0_4arch9wavefront6targetE0EEEvT1_,@function
_ZN7rocprim17ROCPRIM_400000_NS6detail17trampoline_kernelINS0_14default_configENS1_25partition_config_selectorILNS1_17partition_subalgoE9EjjbEEZZNS1_14partition_implILS5_9ELb0ES3_jN6thrust23THRUST_200600_302600_NS6detail15normal_iteratorINS9_10device_ptrIjEEEESE_PNS0_10empty_typeENS0_5tupleIJSE_SF_EEENSH_IJNS9_16discard_iteratorINS9_11use_defaultEEESG_EEENS0_18inequality_wrapperINS9_8equal_toIjEEEEPmJSF_EEE10hipError_tPvRmT3_T4_T5_T6_T7_T9_mT8_P12ihipStream_tbDpT10_ENKUlT_T0_E_clISt17integral_constantIbLb0EES1B_EEDaS16_S17_EUlS16_E_NS1_11comp_targetILNS1_3genE8ELNS1_11target_archE1030ELNS1_3gpuE2ELNS1_3repE0EEENS1_30default_config_static_selectorELNS0_4arch9wavefront6targetE0EEEvT1_: ; @_ZN7rocprim17ROCPRIM_400000_NS6detail17trampoline_kernelINS0_14default_configENS1_25partition_config_selectorILNS1_17partition_subalgoE9EjjbEEZZNS1_14partition_implILS5_9ELb0ES3_jN6thrust23THRUST_200600_302600_NS6detail15normal_iteratorINS9_10device_ptrIjEEEESE_PNS0_10empty_typeENS0_5tupleIJSE_SF_EEENSH_IJNS9_16discard_iteratorINS9_11use_defaultEEESG_EEENS0_18inequality_wrapperINS9_8equal_toIjEEEEPmJSF_EEE10hipError_tPvRmT3_T4_T5_T6_T7_T9_mT8_P12ihipStream_tbDpT10_ENKUlT_T0_E_clISt17integral_constantIbLb0EES1B_EEDaS16_S17_EUlS16_E_NS1_11comp_targetILNS1_3genE8ELNS1_11target_archE1030ELNS1_3gpuE2ELNS1_3repE0EEENS1_30default_config_static_selectorELNS0_4arch9wavefront6targetE0EEEvT1_
; %bb.0:
	.section	.rodata,"a",@progbits
	.p2align	6, 0x0
	.amdhsa_kernel _ZN7rocprim17ROCPRIM_400000_NS6detail17trampoline_kernelINS0_14default_configENS1_25partition_config_selectorILNS1_17partition_subalgoE9EjjbEEZZNS1_14partition_implILS5_9ELb0ES3_jN6thrust23THRUST_200600_302600_NS6detail15normal_iteratorINS9_10device_ptrIjEEEESE_PNS0_10empty_typeENS0_5tupleIJSE_SF_EEENSH_IJNS9_16discard_iteratorINS9_11use_defaultEEESG_EEENS0_18inequality_wrapperINS9_8equal_toIjEEEEPmJSF_EEE10hipError_tPvRmT3_T4_T5_T6_T7_T9_mT8_P12ihipStream_tbDpT10_ENKUlT_T0_E_clISt17integral_constantIbLb0EES1B_EEDaS16_S17_EUlS16_E_NS1_11comp_targetILNS1_3genE8ELNS1_11target_archE1030ELNS1_3gpuE2ELNS1_3repE0EEENS1_30default_config_static_selectorELNS0_4arch9wavefront6targetE0EEEvT1_
		.amdhsa_group_segment_fixed_size 0
		.amdhsa_private_segment_fixed_size 0
		.amdhsa_kernarg_size 120
		.amdhsa_user_sgpr_count 15
		.amdhsa_user_sgpr_dispatch_ptr 0
		.amdhsa_user_sgpr_queue_ptr 0
		.amdhsa_user_sgpr_kernarg_segment_ptr 1
		.amdhsa_user_sgpr_dispatch_id 0
		.amdhsa_user_sgpr_private_segment_size 0
		.amdhsa_wavefront_size32 1
		.amdhsa_uses_dynamic_stack 0
		.amdhsa_enable_private_segment 0
		.amdhsa_system_sgpr_workgroup_id_x 1
		.amdhsa_system_sgpr_workgroup_id_y 0
		.amdhsa_system_sgpr_workgroup_id_z 0
		.amdhsa_system_sgpr_workgroup_info 0
		.amdhsa_system_vgpr_workitem_id 0
		.amdhsa_next_free_vgpr 1
		.amdhsa_next_free_sgpr 1
		.amdhsa_reserve_vcc 0
		.amdhsa_float_round_mode_32 0
		.amdhsa_float_round_mode_16_64 0
		.amdhsa_float_denorm_mode_32 3
		.amdhsa_float_denorm_mode_16_64 3
		.amdhsa_dx10_clamp 1
		.amdhsa_ieee_mode 1
		.amdhsa_fp16_overflow 0
		.amdhsa_workgroup_processor_mode 1
		.amdhsa_memory_ordered 1
		.amdhsa_forward_progress 0
		.amdhsa_shared_vgpr_count 0
		.amdhsa_exception_fp_ieee_invalid_op 0
		.amdhsa_exception_fp_denorm_src 0
		.amdhsa_exception_fp_ieee_div_zero 0
		.amdhsa_exception_fp_ieee_overflow 0
		.amdhsa_exception_fp_ieee_underflow 0
		.amdhsa_exception_fp_ieee_inexact 0
		.amdhsa_exception_int_div_zero 0
	.end_amdhsa_kernel
	.section	.text._ZN7rocprim17ROCPRIM_400000_NS6detail17trampoline_kernelINS0_14default_configENS1_25partition_config_selectorILNS1_17partition_subalgoE9EjjbEEZZNS1_14partition_implILS5_9ELb0ES3_jN6thrust23THRUST_200600_302600_NS6detail15normal_iteratorINS9_10device_ptrIjEEEESE_PNS0_10empty_typeENS0_5tupleIJSE_SF_EEENSH_IJNS9_16discard_iteratorINS9_11use_defaultEEESG_EEENS0_18inequality_wrapperINS9_8equal_toIjEEEEPmJSF_EEE10hipError_tPvRmT3_T4_T5_T6_T7_T9_mT8_P12ihipStream_tbDpT10_ENKUlT_T0_E_clISt17integral_constantIbLb0EES1B_EEDaS16_S17_EUlS16_E_NS1_11comp_targetILNS1_3genE8ELNS1_11target_archE1030ELNS1_3gpuE2ELNS1_3repE0EEENS1_30default_config_static_selectorELNS0_4arch9wavefront6targetE0EEEvT1_,"axG",@progbits,_ZN7rocprim17ROCPRIM_400000_NS6detail17trampoline_kernelINS0_14default_configENS1_25partition_config_selectorILNS1_17partition_subalgoE9EjjbEEZZNS1_14partition_implILS5_9ELb0ES3_jN6thrust23THRUST_200600_302600_NS6detail15normal_iteratorINS9_10device_ptrIjEEEESE_PNS0_10empty_typeENS0_5tupleIJSE_SF_EEENSH_IJNS9_16discard_iteratorINS9_11use_defaultEEESG_EEENS0_18inequality_wrapperINS9_8equal_toIjEEEEPmJSF_EEE10hipError_tPvRmT3_T4_T5_T6_T7_T9_mT8_P12ihipStream_tbDpT10_ENKUlT_T0_E_clISt17integral_constantIbLb0EES1B_EEDaS16_S17_EUlS16_E_NS1_11comp_targetILNS1_3genE8ELNS1_11target_archE1030ELNS1_3gpuE2ELNS1_3repE0EEENS1_30default_config_static_selectorELNS0_4arch9wavefront6targetE0EEEvT1_,comdat
.Lfunc_end828:
	.size	_ZN7rocprim17ROCPRIM_400000_NS6detail17trampoline_kernelINS0_14default_configENS1_25partition_config_selectorILNS1_17partition_subalgoE9EjjbEEZZNS1_14partition_implILS5_9ELb0ES3_jN6thrust23THRUST_200600_302600_NS6detail15normal_iteratorINS9_10device_ptrIjEEEESE_PNS0_10empty_typeENS0_5tupleIJSE_SF_EEENSH_IJNS9_16discard_iteratorINS9_11use_defaultEEESG_EEENS0_18inequality_wrapperINS9_8equal_toIjEEEEPmJSF_EEE10hipError_tPvRmT3_T4_T5_T6_T7_T9_mT8_P12ihipStream_tbDpT10_ENKUlT_T0_E_clISt17integral_constantIbLb0EES1B_EEDaS16_S17_EUlS16_E_NS1_11comp_targetILNS1_3genE8ELNS1_11target_archE1030ELNS1_3gpuE2ELNS1_3repE0EEENS1_30default_config_static_selectorELNS0_4arch9wavefront6targetE0EEEvT1_, .Lfunc_end828-_ZN7rocprim17ROCPRIM_400000_NS6detail17trampoline_kernelINS0_14default_configENS1_25partition_config_selectorILNS1_17partition_subalgoE9EjjbEEZZNS1_14partition_implILS5_9ELb0ES3_jN6thrust23THRUST_200600_302600_NS6detail15normal_iteratorINS9_10device_ptrIjEEEESE_PNS0_10empty_typeENS0_5tupleIJSE_SF_EEENSH_IJNS9_16discard_iteratorINS9_11use_defaultEEESG_EEENS0_18inequality_wrapperINS9_8equal_toIjEEEEPmJSF_EEE10hipError_tPvRmT3_T4_T5_T6_T7_T9_mT8_P12ihipStream_tbDpT10_ENKUlT_T0_E_clISt17integral_constantIbLb0EES1B_EEDaS16_S17_EUlS16_E_NS1_11comp_targetILNS1_3genE8ELNS1_11target_archE1030ELNS1_3gpuE2ELNS1_3repE0EEENS1_30default_config_static_selectorELNS0_4arch9wavefront6targetE0EEEvT1_
                                        ; -- End function
	.section	.AMDGPU.csdata,"",@progbits
; Kernel info:
; codeLenInByte = 0
; NumSgprs: 0
; NumVgprs: 0
; ScratchSize: 0
; MemoryBound: 0
; FloatMode: 240
; IeeeMode: 1
; LDSByteSize: 0 bytes/workgroup (compile time only)
; SGPRBlocks: 0
; VGPRBlocks: 0
; NumSGPRsForWavesPerEU: 1
; NumVGPRsForWavesPerEU: 1
; Occupancy: 16
; WaveLimiterHint : 0
; COMPUTE_PGM_RSRC2:SCRATCH_EN: 0
; COMPUTE_PGM_RSRC2:USER_SGPR: 15
; COMPUTE_PGM_RSRC2:TRAP_HANDLER: 0
; COMPUTE_PGM_RSRC2:TGID_X_EN: 1
; COMPUTE_PGM_RSRC2:TGID_Y_EN: 0
; COMPUTE_PGM_RSRC2:TGID_Z_EN: 0
; COMPUTE_PGM_RSRC2:TIDIG_COMP_CNT: 0
	.section	.text._ZN7rocprim17ROCPRIM_400000_NS6detail17trampoline_kernelINS0_14default_configENS1_25partition_config_selectorILNS1_17partition_subalgoE9EjjbEEZZNS1_14partition_implILS5_9ELb0ES3_jN6thrust23THRUST_200600_302600_NS6detail15normal_iteratorINS9_10device_ptrIjEEEESE_PNS0_10empty_typeENS0_5tupleIJSE_SF_EEENSH_IJNS9_16discard_iteratorINS9_11use_defaultEEESG_EEENS0_18inequality_wrapperINS9_8equal_toIjEEEEPmJSF_EEE10hipError_tPvRmT3_T4_T5_T6_T7_T9_mT8_P12ihipStream_tbDpT10_ENKUlT_T0_E_clISt17integral_constantIbLb1EES1B_EEDaS16_S17_EUlS16_E_NS1_11comp_targetILNS1_3genE0ELNS1_11target_archE4294967295ELNS1_3gpuE0ELNS1_3repE0EEENS1_30default_config_static_selectorELNS0_4arch9wavefront6targetE0EEEvT1_,"axG",@progbits,_ZN7rocprim17ROCPRIM_400000_NS6detail17trampoline_kernelINS0_14default_configENS1_25partition_config_selectorILNS1_17partition_subalgoE9EjjbEEZZNS1_14partition_implILS5_9ELb0ES3_jN6thrust23THRUST_200600_302600_NS6detail15normal_iteratorINS9_10device_ptrIjEEEESE_PNS0_10empty_typeENS0_5tupleIJSE_SF_EEENSH_IJNS9_16discard_iteratorINS9_11use_defaultEEESG_EEENS0_18inequality_wrapperINS9_8equal_toIjEEEEPmJSF_EEE10hipError_tPvRmT3_T4_T5_T6_T7_T9_mT8_P12ihipStream_tbDpT10_ENKUlT_T0_E_clISt17integral_constantIbLb1EES1B_EEDaS16_S17_EUlS16_E_NS1_11comp_targetILNS1_3genE0ELNS1_11target_archE4294967295ELNS1_3gpuE0ELNS1_3repE0EEENS1_30default_config_static_selectorELNS0_4arch9wavefront6targetE0EEEvT1_,comdat
	.protected	_ZN7rocprim17ROCPRIM_400000_NS6detail17trampoline_kernelINS0_14default_configENS1_25partition_config_selectorILNS1_17partition_subalgoE9EjjbEEZZNS1_14partition_implILS5_9ELb0ES3_jN6thrust23THRUST_200600_302600_NS6detail15normal_iteratorINS9_10device_ptrIjEEEESE_PNS0_10empty_typeENS0_5tupleIJSE_SF_EEENSH_IJNS9_16discard_iteratorINS9_11use_defaultEEESG_EEENS0_18inequality_wrapperINS9_8equal_toIjEEEEPmJSF_EEE10hipError_tPvRmT3_T4_T5_T6_T7_T9_mT8_P12ihipStream_tbDpT10_ENKUlT_T0_E_clISt17integral_constantIbLb1EES1B_EEDaS16_S17_EUlS16_E_NS1_11comp_targetILNS1_3genE0ELNS1_11target_archE4294967295ELNS1_3gpuE0ELNS1_3repE0EEENS1_30default_config_static_selectorELNS0_4arch9wavefront6targetE0EEEvT1_ ; -- Begin function _ZN7rocprim17ROCPRIM_400000_NS6detail17trampoline_kernelINS0_14default_configENS1_25partition_config_selectorILNS1_17partition_subalgoE9EjjbEEZZNS1_14partition_implILS5_9ELb0ES3_jN6thrust23THRUST_200600_302600_NS6detail15normal_iteratorINS9_10device_ptrIjEEEESE_PNS0_10empty_typeENS0_5tupleIJSE_SF_EEENSH_IJNS9_16discard_iteratorINS9_11use_defaultEEESG_EEENS0_18inequality_wrapperINS9_8equal_toIjEEEEPmJSF_EEE10hipError_tPvRmT3_T4_T5_T6_T7_T9_mT8_P12ihipStream_tbDpT10_ENKUlT_T0_E_clISt17integral_constantIbLb1EES1B_EEDaS16_S17_EUlS16_E_NS1_11comp_targetILNS1_3genE0ELNS1_11target_archE4294967295ELNS1_3gpuE0ELNS1_3repE0EEENS1_30default_config_static_selectorELNS0_4arch9wavefront6targetE0EEEvT1_
	.globl	_ZN7rocprim17ROCPRIM_400000_NS6detail17trampoline_kernelINS0_14default_configENS1_25partition_config_selectorILNS1_17partition_subalgoE9EjjbEEZZNS1_14partition_implILS5_9ELb0ES3_jN6thrust23THRUST_200600_302600_NS6detail15normal_iteratorINS9_10device_ptrIjEEEESE_PNS0_10empty_typeENS0_5tupleIJSE_SF_EEENSH_IJNS9_16discard_iteratorINS9_11use_defaultEEESG_EEENS0_18inequality_wrapperINS9_8equal_toIjEEEEPmJSF_EEE10hipError_tPvRmT3_T4_T5_T6_T7_T9_mT8_P12ihipStream_tbDpT10_ENKUlT_T0_E_clISt17integral_constantIbLb1EES1B_EEDaS16_S17_EUlS16_E_NS1_11comp_targetILNS1_3genE0ELNS1_11target_archE4294967295ELNS1_3gpuE0ELNS1_3repE0EEENS1_30default_config_static_selectorELNS0_4arch9wavefront6targetE0EEEvT1_
	.p2align	8
	.type	_ZN7rocprim17ROCPRIM_400000_NS6detail17trampoline_kernelINS0_14default_configENS1_25partition_config_selectorILNS1_17partition_subalgoE9EjjbEEZZNS1_14partition_implILS5_9ELb0ES3_jN6thrust23THRUST_200600_302600_NS6detail15normal_iteratorINS9_10device_ptrIjEEEESE_PNS0_10empty_typeENS0_5tupleIJSE_SF_EEENSH_IJNS9_16discard_iteratorINS9_11use_defaultEEESG_EEENS0_18inequality_wrapperINS9_8equal_toIjEEEEPmJSF_EEE10hipError_tPvRmT3_T4_T5_T6_T7_T9_mT8_P12ihipStream_tbDpT10_ENKUlT_T0_E_clISt17integral_constantIbLb1EES1B_EEDaS16_S17_EUlS16_E_NS1_11comp_targetILNS1_3genE0ELNS1_11target_archE4294967295ELNS1_3gpuE0ELNS1_3repE0EEENS1_30default_config_static_selectorELNS0_4arch9wavefront6targetE0EEEvT1_,@function
_ZN7rocprim17ROCPRIM_400000_NS6detail17trampoline_kernelINS0_14default_configENS1_25partition_config_selectorILNS1_17partition_subalgoE9EjjbEEZZNS1_14partition_implILS5_9ELb0ES3_jN6thrust23THRUST_200600_302600_NS6detail15normal_iteratorINS9_10device_ptrIjEEEESE_PNS0_10empty_typeENS0_5tupleIJSE_SF_EEENSH_IJNS9_16discard_iteratorINS9_11use_defaultEEESG_EEENS0_18inequality_wrapperINS9_8equal_toIjEEEEPmJSF_EEE10hipError_tPvRmT3_T4_T5_T6_T7_T9_mT8_P12ihipStream_tbDpT10_ENKUlT_T0_E_clISt17integral_constantIbLb1EES1B_EEDaS16_S17_EUlS16_E_NS1_11comp_targetILNS1_3genE0ELNS1_11target_archE4294967295ELNS1_3gpuE0ELNS1_3repE0EEENS1_30default_config_static_selectorELNS0_4arch9wavefront6targetE0EEEvT1_: ; @_ZN7rocprim17ROCPRIM_400000_NS6detail17trampoline_kernelINS0_14default_configENS1_25partition_config_selectorILNS1_17partition_subalgoE9EjjbEEZZNS1_14partition_implILS5_9ELb0ES3_jN6thrust23THRUST_200600_302600_NS6detail15normal_iteratorINS9_10device_ptrIjEEEESE_PNS0_10empty_typeENS0_5tupleIJSE_SF_EEENSH_IJNS9_16discard_iteratorINS9_11use_defaultEEESG_EEENS0_18inequality_wrapperINS9_8equal_toIjEEEEPmJSF_EEE10hipError_tPvRmT3_T4_T5_T6_T7_T9_mT8_P12ihipStream_tbDpT10_ENKUlT_T0_E_clISt17integral_constantIbLb1EES1B_EEDaS16_S17_EUlS16_E_NS1_11comp_targetILNS1_3genE0ELNS1_11target_archE4294967295ELNS1_3gpuE0ELNS1_3repE0EEENS1_30default_config_static_selectorELNS0_4arch9wavefront6targetE0EEEvT1_
; %bb.0:
	.section	.rodata,"a",@progbits
	.p2align	6, 0x0
	.amdhsa_kernel _ZN7rocprim17ROCPRIM_400000_NS6detail17trampoline_kernelINS0_14default_configENS1_25partition_config_selectorILNS1_17partition_subalgoE9EjjbEEZZNS1_14partition_implILS5_9ELb0ES3_jN6thrust23THRUST_200600_302600_NS6detail15normal_iteratorINS9_10device_ptrIjEEEESE_PNS0_10empty_typeENS0_5tupleIJSE_SF_EEENSH_IJNS9_16discard_iteratorINS9_11use_defaultEEESG_EEENS0_18inequality_wrapperINS9_8equal_toIjEEEEPmJSF_EEE10hipError_tPvRmT3_T4_T5_T6_T7_T9_mT8_P12ihipStream_tbDpT10_ENKUlT_T0_E_clISt17integral_constantIbLb1EES1B_EEDaS16_S17_EUlS16_E_NS1_11comp_targetILNS1_3genE0ELNS1_11target_archE4294967295ELNS1_3gpuE0ELNS1_3repE0EEENS1_30default_config_static_selectorELNS0_4arch9wavefront6targetE0EEEvT1_
		.amdhsa_group_segment_fixed_size 0
		.amdhsa_private_segment_fixed_size 0
		.amdhsa_kernarg_size 136
		.amdhsa_user_sgpr_count 15
		.amdhsa_user_sgpr_dispatch_ptr 0
		.amdhsa_user_sgpr_queue_ptr 0
		.amdhsa_user_sgpr_kernarg_segment_ptr 1
		.amdhsa_user_sgpr_dispatch_id 0
		.amdhsa_user_sgpr_private_segment_size 0
		.amdhsa_wavefront_size32 1
		.amdhsa_uses_dynamic_stack 0
		.amdhsa_enable_private_segment 0
		.amdhsa_system_sgpr_workgroup_id_x 1
		.amdhsa_system_sgpr_workgroup_id_y 0
		.amdhsa_system_sgpr_workgroup_id_z 0
		.amdhsa_system_sgpr_workgroup_info 0
		.amdhsa_system_vgpr_workitem_id 0
		.amdhsa_next_free_vgpr 1
		.amdhsa_next_free_sgpr 1
		.amdhsa_reserve_vcc 0
		.amdhsa_float_round_mode_32 0
		.amdhsa_float_round_mode_16_64 0
		.amdhsa_float_denorm_mode_32 3
		.amdhsa_float_denorm_mode_16_64 3
		.amdhsa_dx10_clamp 1
		.amdhsa_ieee_mode 1
		.amdhsa_fp16_overflow 0
		.amdhsa_workgroup_processor_mode 1
		.amdhsa_memory_ordered 1
		.amdhsa_forward_progress 0
		.amdhsa_shared_vgpr_count 0
		.amdhsa_exception_fp_ieee_invalid_op 0
		.amdhsa_exception_fp_denorm_src 0
		.amdhsa_exception_fp_ieee_div_zero 0
		.amdhsa_exception_fp_ieee_overflow 0
		.amdhsa_exception_fp_ieee_underflow 0
		.amdhsa_exception_fp_ieee_inexact 0
		.amdhsa_exception_int_div_zero 0
	.end_amdhsa_kernel
	.section	.text._ZN7rocprim17ROCPRIM_400000_NS6detail17trampoline_kernelINS0_14default_configENS1_25partition_config_selectorILNS1_17partition_subalgoE9EjjbEEZZNS1_14partition_implILS5_9ELb0ES3_jN6thrust23THRUST_200600_302600_NS6detail15normal_iteratorINS9_10device_ptrIjEEEESE_PNS0_10empty_typeENS0_5tupleIJSE_SF_EEENSH_IJNS9_16discard_iteratorINS9_11use_defaultEEESG_EEENS0_18inequality_wrapperINS9_8equal_toIjEEEEPmJSF_EEE10hipError_tPvRmT3_T4_T5_T6_T7_T9_mT8_P12ihipStream_tbDpT10_ENKUlT_T0_E_clISt17integral_constantIbLb1EES1B_EEDaS16_S17_EUlS16_E_NS1_11comp_targetILNS1_3genE0ELNS1_11target_archE4294967295ELNS1_3gpuE0ELNS1_3repE0EEENS1_30default_config_static_selectorELNS0_4arch9wavefront6targetE0EEEvT1_,"axG",@progbits,_ZN7rocprim17ROCPRIM_400000_NS6detail17trampoline_kernelINS0_14default_configENS1_25partition_config_selectorILNS1_17partition_subalgoE9EjjbEEZZNS1_14partition_implILS5_9ELb0ES3_jN6thrust23THRUST_200600_302600_NS6detail15normal_iteratorINS9_10device_ptrIjEEEESE_PNS0_10empty_typeENS0_5tupleIJSE_SF_EEENSH_IJNS9_16discard_iteratorINS9_11use_defaultEEESG_EEENS0_18inequality_wrapperINS9_8equal_toIjEEEEPmJSF_EEE10hipError_tPvRmT3_T4_T5_T6_T7_T9_mT8_P12ihipStream_tbDpT10_ENKUlT_T0_E_clISt17integral_constantIbLb1EES1B_EEDaS16_S17_EUlS16_E_NS1_11comp_targetILNS1_3genE0ELNS1_11target_archE4294967295ELNS1_3gpuE0ELNS1_3repE0EEENS1_30default_config_static_selectorELNS0_4arch9wavefront6targetE0EEEvT1_,comdat
.Lfunc_end829:
	.size	_ZN7rocprim17ROCPRIM_400000_NS6detail17trampoline_kernelINS0_14default_configENS1_25partition_config_selectorILNS1_17partition_subalgoE9EjjbEEZZNS1_14partition_implILS5_9ELb0ES3_jN6thrust23THRUST_200600_302600_NS6detail15normal_iteratorINS9_10device_ptrIjEEEESE_PNS0_10empty_typeENS0_5tupleIJSE_SF_EEENSH_IJNS9_16discard_iteratorINS9_11use_defaultEEESG_EEENS0_18inequality_wrapperINS9_8equal_toIjEEEEPmJSF_EEE10hipError_tPvRmT3_T4_T5_T6_T7_T9_mT8_P12ihipStream_tbDpT10_ENKUlT_T0_E_clISt17integral_constantIbLb1EES1B_EEDaS16_S17_EUlS16_E_NS1_11comp_targetILNS1_3genE0ELNS1_11target_archE4294967295ELNS1_3gpuE0ELNS1_3repE0EEENS1_30default_config_static_selectorELNS0_4arch9wavefront6targetE0EEEvT1_, .Lfunc_end829-_ZN7rocprim17ROCPRIM_400000_NS6detail17trampoline_kernelINS0_14default_configENS1_25partition_config_selectorILNS1_17partition_subalgoE9EjjbEEZZNS1_14partition_implILS5_9ELb0ES3_jN6thrust23THRUST_200600_302600_NS6detail15normal_iteratorINS9_10device_ptrIjEEEESE_PNS0_10empty_typeENS0_5tupleIJSE_SF_EEENSH_IJNS9_16discard_iteratorINS9_11use_defaultEEESG_EEENS0_18inequality_wrapperINS9_8equal_toIjEEEEPmJSF_EEE10hipError_tPvRmT3_T4_T5_T6_T7_T9_mT8_P12ihipStream_tbDpT10_ENKUlT_T0_E_clISt17integral_constantIbLb1EES1B_EEDaS16_S17_EUlS16_E_NS1_11comp_targetILNS1_3genE0ELNS1_11target_archE4294967295ELNS1_3gpuE0ELNS1_3repE0EEENS1_30default_config_static_selectorELNS0_4arch9wavefront6targetE0EEEvT1_
                                        ; -- End function
	.section	.AMDGPU.csdata,"",@progbits
; Kernel info:
; codeLenInByte = 0
; NumSgprs: 0
; NumVgprs: 0
; ScratchSize: 0
; MemoryBound: 0
; FloatMode: 240
; IeeeMode: 1
; LDSByteSize: 0 bytes/workgroup (compile time only)
; SGPRBlocks: 0
; VGPRBlocks: 0
; NumSGPRsForWavesPerEU: 1
; NumVGPRsForWavesPerEU: 1
; Occupancy: 16
; WaveLimiterHint : 0
; COMPUTE_PGM_RSRC2:SCRATCH_EN: 0
; COMPUTE_PGM_RSRC2:USER_SGPR: 15
; COMPUTE_PGM_RSRC2:TRAP_HANDLER: 0
; COMPUTE_PGM_RSRC2:TGID_X_EN: 1
; COMPUTE_PGM_RSRC2:TGID_Y_EN: 0
; COMPUTE_PGM_RSRC2:TGID_Z_EN: 0
; COMPUTE_PGM_RSRC2:TIDIG_COMP_CNT: 0
	.section	.text._ZN7rocprim17ROCPRIM_400000_NS6detail17trampoline_kernelINS0_14default_configENS1_25partition_config_selectorILNS1_17partition_subalgoE9EjjbEEZZNS1_14partition_implILS5_9ELb0ES3_jN6thrust23THRUST_200600_302600_NS6detail15normal_iteratorINS9_10device_ptrIjEEEESE_PNS0_10empty_typeENS0_5tupleIJSE_SF_EEENSH_IJNS9_16discard_iteratorINS9_11use_defaultEEESG_EEENS0_18inequality_wrapperINS9_8equal_toIjEEEEPmJSF_EEE10hipError_tPvRmT3_T4_T5_T6_T7_T9_mT8_P12ihipStream_tbDpT10_ENKUlT_T0_E_clISt17integral_constantIbLb1EES1B_EEDaS16_S17_EUlS16_E_NS1_11comp_targetILNS1_3genE5ELNS1_11target_archE942ELNS1_3gpuE9ELNS1_3repE0EEENS1_30default_config_static_selectorELNS0_4arch9wavefront6targetE0EEEvT1_,"axG",@progbits,_ZN7rocprim17ROCPRIM_400000_NS6detail17trampoline_kernelINS0_14default_configENS1_25partition_config_selectorILNS1_17partition_subalgoE9EjjbEEZZNS1_14partition_implILS5_9ELb0ES3_jN6thrust23THRUST_200600_302600_NS6detail15normal_iteratorINS9_10device_ptrIjEEEESE_PNS0_10empty_typeENS0_5tupleIJSE_SF_EEENSH_IJNS9_16discard_iteratorINS9_11use_defaultEEESG_EEENS0_18inequality_wrapperINS9_8equal_toIjEEEEPmJSF_EEE10hipError_tPvRmT3_T4_T5_T6_T7_T9_mT8_P12ihipStream_tbDpT10_ENKUlT_T0_E_clISt17integral_constantIbLb1EES1B_EEDaS16_S17_EUlS16_E_NS1_11comp_targetILNS1_3genE5ELNS1_11target_archE942ELNS1_3gpuE9ELNS1_3repE0EEENS1_30default_config_static_selectorELNS0_4arch9wavefront6targetE0EEEvT1_,comdat
	.protected	_ZN7rocprim17ROCPRIM_400000_NS6detail17trampoline_kernelINS0_14default_configENS1_25partition_config_selectorILNS1_17partition_subalgoE9EjjbEEZZNS1_14partition_implILS5_9ELb0ES3_jN6thrust23THRUST_200600_302600_NS6detail15normal_iteratorINS9_10device_ptrIjEEEESE_PNS0_10empty_typeENS0_5tupleIJSE_SF_EEENSH_IJNS9_16discard_iteratorINS9_11use_defaultEEESG_EEENS0_18inequality_wrapperINS9_8equal_toIjEEEEPmJSF_EEE10hipError_tPvRmT3_T4_T5_T6_T7_T9_mT8_P12ihipStream_tbDpT10_ENKUlT_T0_E_clISt17integral_constantIbLb1EES1B_EEDaS16_S17_EUlS16_E_NS1_11comp_targetILNS1_3genE5ELNS1_11target_archE942ELNS1_3gpuE9ELNS1_3repE0EEENS1_30default_config_static_selectorELNS0_4arch9wavefront6targetE0EEEvT1_ ; -- Begin function _ZN7rocprim17ROCPRIM_400000_NS6detail17trampoline_kernelINS0_14default_configENS1_25partition_config_selectorILNS1_17partition_subalgoE9EjjbEEZZNS1_14partition_implILS5_9ELb0ES3_jN6thrust23THRUST_200600_302600_NS6detail15normal_iteratorINS9_10device_ptrIjEEEESE_PNS0_10empty_typeENS0_5tupleIJSE_SF_EEENSH_IJNS9_16discard_iteratorINS9_11use_defaultEEESG_EEENS0_18inequality_wrapperINS9_8equal_toIjEEEEPmJSF_EEE10hipError_tPvRmT3_T4_T5_T6_T7_T9_mT8_P12ihipStream_tbDpT10_ENKUlT_T0_E_clISt17integral_constantIbLb1EES1B_EEDaS16_S17_EUlS16_E_NS1_11comp_targetILNS1_3genE5ELNS1_11target_archE942ELNS1_3gpuE9ELNS1_3repE0EEENS1_30default_config_static_selectorELNS0_4arch9wavefront6targetE0EEEvT1_
	.globl	_ZN7rocprim17ROCPRIM_400000_NS6detail17trampoline_kernelINS0_14default_configENS1_25partition_config_selectorILNS1_17partition_subalgoE9EjjbEEZZNS1_14partition_implILS5_9ELb0ES3_jN6thrust23THRUST_200600_302600_NS6detail15normal_iteratorINS9_10device_ptrIjEEEESE_PNS0_10empty_typeENS0_5tupleIJSE_SF_EEENSH_IJNS9_16discard_iteratorINS9_11use_defaultEEESG_EEENS0_18inequality_wrapperINS9_8equal_toIjEEEEPmJSF_EEE10hipError_tPvRmT3_T4_T5_T6_T7_T9_mT8_P12ihipStream_tbDpT10_ENKUlT_T0_E_clISt17integral_constantIbLb1EES1B_EEDaS16_S17_EUlS16_E_NS1_11comp_targetILNS1_3genE5ELNS1_11target_archE942ELNS1_3gpuE9ELNS1_3repE0EEENS1_30default_config_static_selectorELNS0_4arch9wavefront6targetE0EEEvT1_
	.p2align	8
	.type	_ZN7rocprim17ROCPRIM_400000_NS6detail17trampoline_kernelINS0_14default_configENS1_25partition_config_selectorILNS1_17partition_subalgoE9EjjbEEZZNS1_14partition_implILS5_9ELb0ES3_jN6thrust23THRUST_200600_302600_NS6detail15normal_iteratorINS9_10device_ptrIjEEEESE_PNS0_10empty_typeENS0_5tupleIJSE_SF_EEENSH_IJNS9_16discard_iteratorINS9_11use_defaultEEESG_EEENS0_18inequality_wrapperINS9_8equal_toIjEEEEPmJSF_EEE10hipError_tPvRmT3_T4_T5_T6_T7_T9_mT8_P12ihipStream_tbDpT10_ENKUlT_T0_E_clISt17integral_constantIbLb1EES1B_EEDaS16_S17_EUlS16_E_NS1_11comp_targetILNS1_3genE5ELNS1_11target_archE942ELNS1_3gpuE9ELNS1_3repE0EEENS1_30default_config_static_selectorELNS0_4arch9wavefront6targetE0EEEvT1_,@function
_ZN7rocprim17ROCPRIM_400000_NS6detail17trampoline_kernelINS0_14default_configENS1_25partition_config_selectorILNS1_17partition_subalgoE9EjjbEEZZNS1_14partition_implILS5_9ELb0ES3_jN6thrust23THRUST_200600_302600_NS6detail15normal_iteratorINS9_10device_ptrIjEEEESE_PNS0_10empty_typeENS0_5tupleIJSE_SF_EEENSH_IJNS9_16discard_iteratorINS9_11use_defaultEEESG_EEENS0_18inequality_wrapperINS9_8equal_toIjEEEEPmJSF_EEE10hipError_tPvRmT3_T4_T5_T6_T7_T9_mT8_P12ihipStream_tbDpT10_ENKUlT_T0_E_clISt17integral_constantIbLb1EES1B_EEDaS16_S17_EUlS16_E_NS1_11comp_targetILNS1_3genE5ELNS1_11target_archE942ELNS1_3gpuE9ELNS1_3repE0EEENS1_30default_config_static_selectorELNS0_4arch9wavefront6targetE0EEEvT1_: ; @_ZN7rocprim17ROCPRIM_400000_NS6detail17trampoline_kernelINS0_14default_configENS1_25partition_config_selectorILNS1_17partition_subalgoE9EjjbEEZZNS1_14partition_implILS5_9ELb0ES3_jN6thrust23THRUST_200600_302600_NS6detail15normal_iteratorINS9_10device_ptrIjEEEESE_PNS0_10empty_typeENS0_5tupleIJSE_SF_EEENSH_IJNS9_16discard_iteratorINS9_11use_defaultEEESG_EEENS0_18inequality_wrapperINS9_8equal_toIjEEEEPmJSF_EEE10hipError_tPvRmT3_T4_T5_T6_T7_T9_mT8_P12ihipStream_tbDpT10_ENKUlT_T0_E_clISt17integral_constantIbLb1EES1B_EEDaS16_S17_EUlS16_E_NS1_11comp_targetILNS1_3genE5ELNS1_11target_archE942ELNS1_3gpuE9ELNS1_3repE0EEENS1_30default_config_static_selectorELNS0_4arch9wavefront6targetE0EEEvT1_
; %bb.0:
	.section	.rodata,"a",@progbits
	.p2align	6, 0x0
	.amdhsa_kernel _ZN7rocprim17ROCPRIM_400000_NS6detail17trampoline_kernelINS0_14default_configENS1_25partition_config_selectorILNS1_17partition_subalgoE9EjjbEEZZNS1_14partition_implILS5_9ELb0ES3_jN6thrust23THRUST_200600_302600_NS6detail15normal_iteratorINS9_10device_ptrIjEEEESE_PNS0_10empty_typeENS0_5tupleIJSE_SF_EEENSH_IJNS9_16discard_iteratorINS9_11use_defaultEEESG_EEENS0_18inequality_wrapperINS9_8equal_toIjEEEEPmJSF_EEE10hipError_tPvRmT3_T4_T5_T6_T7_T9_mT8_P12ihipStream_tbDpT10_ENKUlT_T0_E_clISt17integral_constantIbLb1EES1B_EEDaS16_S17_EUlS16_E_NS1_11comp_targetILNS1_3genE5ELNS1_11target_archE942ELNS1_3gpuE9ELNS1_3repE0EEENS1_30default_config_static_selectorELNS0_4arch9wavefront6targetE0EEEvT1_
		.amdhsa_group_segment_fixed_size 0
		.amdhsa_private_segment_fixed_size 0
		.amdhsa_kernarg_size 136
		.amdhsa_user_sgpr_count 15
		.amdhsa_user_sgpr_dispatch_ptr 0
		.amdhsa_user_sgpr_queue_ptr 0
		.amdhsa_user_sgpr_kernarg_segment_ptr 1
		.amdhsa_user_sgpr_dispatch_id 0
		.amdhsa_user_sgpr_private_segment_size 0
		.amdhsa_wavefront_size32 1
		.amdhsa_uses_dynamic_stack 0
		.amdhsa_enable_private_segment 0
		.amdhsa_system_sgpr_workgroup_id_x 1
		.amdhsa_system_sgpr_workgroup_id_y 0
		.amdhsa_system_sgpr_workgroup_id_z 0
		.amdhsa_system_sgpr_workgroup_info 0
		.amdhsa_system_vgpr_workitem_id 0
		.amdhsa_next_free_vgpr 1
		.amdhsa_next_free_sgpr 1
		.amdhsa_reserve_vcc 0
		.amdhsa_float_round_mode_32 0
		.amdhsa_float_round_mode_16_64 0
		.amdhsa_float_denorm_mode_32 3
		.amdhsa_float_denorm_mode_16_64 3
		.amdhsa_dx10_clamp 1
		.amdhsa_ieee_mode 1
		.amdhsa_fp16_overflow 0
		.amdhsa_workgroup_processor_mode 1
		.amdhsa_memory_ordered 1
		.amdhsa_forward_progress 0
		.amdhsa_shared_vgpr_count 0
		.amdhsa_exception_fp_ieee_invalid_op 0
		.amdhsa_exception_fp_denorm_src 0
		.amdhsa_exception_fp_ieee_div_zero 0
		.amdhsa_exception_fp_ieee_overflow 0
		.amdhsa_exception_fp_ieee_underflow 0
		.amdhsa_exception_fp_ieee_inexact 0
		.amdhsa_exception_int_div_zero 0
	.end_amdhsa_kernel
	.section	.text._ZN7rocprim17ROCPRIM_400000_NS6detail17trampoline_kernelINS0_14default_configENS1_25partition_config_selectorILNS1_17partition_subalgoE9EjjbEEZZNS1_14partition_implILS5_9ELb0ES3_jN6thrust23THRUST_200600_302600_NS6detail15normal_iteratorINS9_10device_ptrIjEEEESE_PNS0_10empty_typeENS0_5tupleIJSE_SF_EEENSH_IJNS9_16discard_iteratorINS9_11use_defaultEEESG_EEENS0_18inequality_wrapperINS9_8equal_toIjEEEEPmJSF_EEE10hipError_tPvRmT3_T4_T5_T6_T7_T9_mT8_P12ihipStream_tbDpT10_ENKUlT_T0_E_clISt17integral_constantIbLb1EES1B_EEDaS16_S17_EUlS16_E_NS1_11comp_targetILNS1_3genE5ELNS1_11target_archE942ELNS1_3gpuE9ELNS1_3repE0EEENS1_30default_config_static_selectorELNS0_4arch9wavefront6targetE0EEEvT1_,"axG",@progbits,_ZN7rocprim17ROCPRIM_400000_NS6detail17trampoline_kernelINS0_14default_configENS1_25partition_config_selectorILNS1_17partition_subalgoE9EjjbEEZZNS1_14partition_implILS5_9ELb0ES3_jN6thrust23THRUST_200600_302600_NS6detail15normal_iteratorINS9_10device_ptrIjEEEESE_PNS0_10empty_typeENS0_5tupleIJSE_SF_EEENSH_IJNS9_16discard_iteratorINS9_11use_defaultEEESG_EEENS0_18inequality_wrapperINS9_8equal_toIjEEEEPmJSF_EEE10hipError_tPvRmT3_T4_T5_T6_T7_T9_mT8_P12ihipStream_tbDpT10_ENKUlT_T0_E_clISt17integral_constantIbLb1EES1B_EEDaS16_S17_EUlS16_E_NS1_11comp_targetILNS1_3genE5ELNS1_11target_archE942ELNS1_3gpuE9ELNS1_3repE0EEENS1_30default_config_static_selectorELNS0_4arch9wavefront6targetE0EEEvT1_,comdat
.Lfunc_end830:
	.size	_ZN7rocprim17ROCPRIM_400000_NS6detail17trampoline_kernelINS0_14default_configENS1_25partition_config_selectorILNS1_17partition_subalgoE9EjjbEEZZNS1_14partition_implILS5_9ELb0ES3_jN6thrust23THRUST_200600_302600_NS6detail15normal_iteratorINS9_10device_ptrIjEEEESE_PNS0_10empty_typeENS0_5tupleIJSE_SF_EEENSH_IJNS9_16discard_iteratorINS9_11use_defaultEEESG_EEENS0_18inequality_wrapperINS9_8equal_toIjEEEEPmJSF_EEE10hipError_tPvRmT3_T4_T5_T6_T7_T9_mT8_P12ihipStream_tbDpT10_ENKUlT_T0_E_clISt17integral_constantIbLb1EES1B_EEDaS16_S17_EUlS16_E_NS1_11comp_targetILNS1_3genE5ELNS1_11target_archE942ELNS1_3gpuE9ELNS1_3repE0EEENS1_30default_config_static_selectorELNS0_4arch9wavefront6targetE0EEEvT1_, .Lfunc_end830-_ZN7rocprim17ROCPRIM_400000_NS6detail17trampoline_kernelINS0_14default_configENS1_25partition_config_selectorILNS1_17partition_subalgoE9EjjbEEZZNS1_14partition_implILS5_9ELb0ES3_jN6thrust23THRUST_200600_302600_NS6detail15normal_iteratorINS9_10device_ptrIjEEEESE_PNS0_10empty_typeENS0_5tupleIJSE_SF_EEENSH_IJNS9_16discard_iteratorINS9_11use_defaultEEESG_EEENS0_18inequality_wrapperINS9_8equal_toIjEEEEPmJSF_EEE10hipError_tPvRmT3_T4_T5_T6_T7_T9_mT8_P12ihipStream_tbDpT10_ENKUlT_T0_E_clISt17integral_constantIbLb1EES1B_EEDaS16_S17_EUlS16_E_NS1_11comp_targetILNS1_3genE5ELNS1_11target_archE942ELNS1_3gpuE9ELNS1_3repE0EEENS1_30default_config_static_selectorELNS0_4arch9wavefront6targetE0EEEvT1_
                                        ; -- End function
	.section	.AMDGPU.csdata,"",@progbits
; Kernel info:
; codeLenInByte = 0
; NumSgprs: 0
; NumVgprs: 0
; ScratchSize: 0
; MemoryBound: 0
; FloatMode: 240
; IeeeMode: 1
; LDSByteSize: 0 bytes/workgroup (compile time only)
; SGPRBlocks: 0
; VGPRBlocks: 0
; NumSGPRsForWavesPerEU: 1
; NumVGPRsForWavesPerEU: 1
; Occupancy: 16
; WaveLimiterHint : 0
; COMPUTE_PGM_RSRC2:SCRATCH_EN: 0
; COMPUTE_PGM_RSRC2:USER_SGPR: 15
; COMPUTE_PGM_RSRC2:TRAP_HANDLER: 0
; COMPUTE_PGM_RSRC2:TGID_X_EN: 1
; COMPUTE_PGM_RSRC2:TGID_Y_EN: 0
; COMPUTE_PGM_RSRC2:TGID_Z_EN: 0
; COMPUTE_PGM_RSRC2:TIDIG_COMP_CNT: 0
	.section	.text._ZN7rocprim17ROCPRIM_400000_NS6detail17trampoline_kernelINS0_14default_configENS1_25partition_config_selectorILNS1_17partition_subalgoE9EjjbEEZZNS1_14partition_implILS5_9ELb0ES3_jN6thrust23THRUST_200600_302600_NS6detail15normal_iteratorINS9_10device_ptrIjEEEESE_PNS0_10empty_typeENS0_5tupleIJSE_SF_EEENSH_IJNS9_16discard_iteratorINS9_11use_defaultEEESG_EEENS0_18inequality_wrapperINS9_8equal_toIjEEEEPmJSF_EEE10hipError_tPvRmT3_T4_T5_T6_T7_T9_mT8_P12ihipStream_tbDpT10_ENKUlT_T0_E_clISt17integral_constantIbLb1EES1B_EEDaS16_S17_EUlS16_E_NS1_11comp_targetILNS1_3genE4ELNS1_11target_archE910ELNS1_3gpuE8ELNS1_3repE0EEENS1_30default_config_static_selectorELNS0_4arch9wavefront6targetE0EEEvT1_,"axG",@progbits,_ZN7rocprim17ROCPRIM_400000_NS6detail17trampoline_kernelINS0_14default_configENS1_25partition_config_selectorILNS1_17partition_subalgoE9EjjbEEZZNS1_14partition_implILS5_9ELb0ES3_jN6thrust23THRUST_200600_302600_NS6detail15normal_iteratorINS9_10device_ptrIjEEEESE_PNS0_10empty_typeENS0_5tupleIJSE_SF_EEENSH_IJNS9_16discard_iteratorINS9_11use_defaultEEESG_EEENS0_18inequality_wrapperINS9_8equal_toIjEEEEPmJSF_EEE10hipError_tPvRmT3_T4_T5_T6_T7_T9_mT8_P12ihipStream_tbDpT10_ENKUlT_T0_E_clISt17integral_constantIbLb1EES1B_EEDaS16_S17_EUlS16_E_NS1_11comp_targetILNS1_3genE4ELNS1_11target_archE910ELNS1_3gpuE8ELNS1_3repE0EEENS1_30default_config_static_selectorELNS0_4arch9wavefront6targetE0EEEvT1_,comdat
	.protected	_ZN7rocprim17ROCPRIM_400000_NS6detail17trampoline_kernelINS0_14default_configENS1_25partition_config_selectorILNS1_17partition_subalgoE9EjjbEEZZNS1_14partition_implILS5_9ELb0ES3_jN6thrust23THRUST_200600_302600_NS6detail15normal_iteratorINS9_10device_ptrIjEEEESE_PNS0_10empty_typeENS0_5tupleIJSE_SF_EEENSH_IJNS9_16discard_iteratorINS9_11use_defaultEEESG_EEENS0_18inequality_wrapperINS9_8equal_toIjEEEEPmJSF_EEE10hipError_tPvRmT3_T4_T5_T6_T7_T9_mT8_P12ihipStream_tbDpT10_ENKUlT_T0_E_clISt17integral_constantIbLb1EES1B_EEDaS16_S17_EUlS16_E_NS1_11comp_targetILNS1_3genE4ELNS1_11target_archE910ELNS1_3gpuE8ELNS1_3repE0EEENS1_30default_config_static_selectorELNS0_4arch9wavefront6targetE0EEEvT1_ ; -- Begin function _ZN7rocprim17ROCPRIM_400000_NS6detail17trampoline_kernelINS0_14default_configENS1_25partition_config_selectorILNS1_17partition_subalgoE9EjjbEEZZNS1_14partition_implILS5_9ELb0ES3_jN6thrust23THRUST_200600_302600_NS6detail15normal_iteratorINS9_10device_ptrIjEEEESE_PNS0_10empty_typeENS0_5tupleIJSE_SF_EEENSH_IJNS9_16discard_iteratorINS9_11use_defaultEEESG_EEENS0_18inequality_wrapperINS9_8equal_toIjEEEEPmJSF_EEE10hipError_tPvRmT3_T4_T5_T6_T7_T9_mT8_P12ihipStream_tbDpT10_ENKUlT_T0_E_clISt17integral_constantIbLb1EES1B_EEDaS16_S17_EUlS16_E_NS1_11comp_targetILNS1_3genE4ELNS1_11target_archE910ELNS1_3gpuE8ELNS1_3repE0EEENS1_30default_config_static_selectorELNS0_4arch9wavefront6targetE0EEEvT1_
	.globl	_ZN7rocprim17ROCPRIM_400000_NS6detail17trampoline_kernelINS0_14default_configENS1_25partition_config_selectorILNS1_17partition_subalgoE9EjjbEEZZNS1_14partition_implILS5_9ELb0ES3_jN6thrust23THRUST_200600_302600_NS6detail15normal_iteratorINS9_10device_ptrIjEEEESE_PNS0_10empty_typeENS0_5tupleIJSE_SF_EEENSH_IJNS9_16discard_iteratorINS9_11use_defaultEEESG_EEENS0_18inequality_wrapperINS9_8equal_toIjEEEEPmJSF_EEE10hipError_tPvRmT3_T4_T5_T6_T7_T9_mT8_P12ihipStream_tbDpT10_ENKUlT_T0_E_clISt17integral_constantIbLb1EES1B_EEDaS16_S17_EUlS16_E_NS1_11comp_targetILNS1_3genE4ELNS1_11target_archE910ELNS1_3gpuE8ELNS1_3repE0EEENS1_30default_config_static_selectorELNS0_4arch9wavefront6targetE0EEEvT1_
	.p2align	8
	.type	_ZN7rocprim17ROCPRIM_400000_NS6detail17trampoline_kernelINS0_14default_configENS1_25partition_config_selectorILNS1_17partition_subalgoE9EjjbEEZZNS1_14partition_implILS5_9ELb0ES3_jN6thrust23THRUST_200600_302600_NS6detail15normal_iteratorINS9_10device_ptrIjEEEESE_PNS0_10empty_typeENS0_5tupleIJSE_SF_EEENSH_IJNS9_16discard_iteratorINS9_11use_defaultEEESG_EEENS0_18inequality_wrapperINS9_8equal_toIjEEEEPmJSF_EEE10hipError_tPvRmT3_T4_T5_T6_T7_T9_mT8_P12ihipStream_tbDpT10_ENKUlT_T0_E_clISt17integral_constantIbLb1EES1B_EEDaS16_S17_EUlS16_E_NS1_11comp_targetILNS1_3genE4ELNS1_11target_archE910ELNS1_3gpuE8ELNS1_3repE0EEENS1_30default_config_static_selectorELNS0_4arch9wavefront6targetE0EEEvT1_,@function
_ZN7rocprim17ROCPRIM_400000_NS6detail17trampoline_kernelINS0_14default_configENS1_25partition_config_selectorILNS1_17partition_subalgoE9EjjbEEZZNS1_14partition_implILS5_9ELb0ES3_jN6thrust23THRUST_200600_302600_NS6detail15normal_iteratorINS9_10device_ptrIjEEEESE_PNS0_10empty_typeENS0_5tupleIJSE_SF_EEENSH_IJNS9_16discard_iteratorINS9_11use_defaultEEESG_EEENS0_18inequality_wrapperINS9_8equal_toIjEEEEPmJSF_EEE10hipError_tPvRmT3_T4_T5_T6_T7_T9_mT8_P12ihipStream_tbDpT10_ENKUlT_T0_E_clISt17integral_constantIbLb1EES1B_EEDaS16_S17_EUlS16_E_NS1_11comp_targetILNS1_3genE4ELNS1_11target_archE910ELNS1_3gpuE8ELNS1_3repE0EEENS1_30default_config_static_selectorELNS0_4arch9wavefront6targetE0EEEvT1_: ; @_ZN7rocprim17ROCPRIM_400000_NS6detail17trampoline_kernelINS0_14default_configENS1_25partition_config_selectorILNS1_17partition_subalgoE9EjjbEEZZNS1_14partition_implILS5_9ELb0ES3_jN6thrust23THRUST_200600_302600_NS6detail15normal_iteratorINS9_10device_ptrIjEEEESE_PNS0_10empty_typeENS0_5tupleIJSE_SF_EEENSH_IJNS9_16discard_iteratorINS9_11use_defaultEEESG_EEENS0_18inequality_wrapperINS9_8equal_toIjEEEEPmJSF_EEE10hipError_tPvRmT3_T4_T5_T6_T7_T9_mT8_P12ihipStream_tbDpT10_ENKUlT_T0_E_clISt17integral_constantIbLb1EES1B_EEDaS16_S17_EUlS16_E_NS1_11comp_targetILNS1_3genE4ELNS1_11target_archE910ELNS1_3gpuE8ELNS1_3repE0EEENS1_30default_config_static_selectorELNS0_4arch9wavefront6targetE0EEEvT1_
; %bb.0:
	.section	.rodata,"a",@progbits
	.p2align	6, 0x0
	.amdhsa_kernel _ZN7rocprim17ROCPRIM_400000_NS6detail17trampoline_kernelINS0_14default_configENS1_25partition_config_selectorILNS1_17partition_subalgoE9EjjbEEZZNS1_14partition_implILS5_9ELb0ES3_jN6thrust23THRUST_200600_302600_NS6detail15normal_iteratorINS9_10device_ptrIjEEEESE_PNS0_10empty_typeENS0_5tupleIJSE_SF_EEENSH_IJNS9_16discard_iteratorINS9_11use_defaultEEESG_EEENS0_18inequality_wrapperINS9_8equal_toIjEEEEPmJSF_EEE10hipError_tPvRmT3_T4_T5_T6_T7_T9_mT8_P12ihipStream_tbDpT10_ENKUlT_T0_E_clISt17integral_constantIbLb1EES1B_EEDaS16_S17_EUlS16_E_NS1_11comp_targetILNS1_3genE4ELNS1_11target_archE910ELNS1_3gpuE8ELNS1_3repE0EEENS1_30default_config_static_selectorELNS0_4arch9wavefront6targetE0EEEvT1_
		.amdhsa_group_segment_fixed_size 0
		.amdhsa_private_segment_fixed_size 0
		.amdhsa_kernarg_size 136
		.amdhsa_user_sgpr_count 15
		.amdhsa_user_sgpr_dispatch_ptr 0
		.amdhsa_user_sgpr_queue_ptr 0
		.amdhsa_user_sgpr_kernarg_segment_ptr 1
		.amdhsa_user_sgpr_dispatch_id 0
		.amdhsa_user_sgpr_private_segment_size 0
		.amdhsa_wavefront_size32 1
		.amdhsa_uses_dynamic_stack 0
		.amdhsa_enable_private_segment 0
		.amdhsa_system_sgpr_workgroup_id_x 1
		.amdhsa_system_sgpr_workgroup_id_y 0
		.amdhsa_system_sgpr_workgroup_id_z 0
		.amdhsa_system_sgpr_workgroup_info 0
		.amdhsa_system_vgpr_workitem_id 0
		.amdhsa_next_free_vgpr 1
		.amdhsa_next_free_sgpr 1
		.amdhsa_reserve_vcc 0
		.amdhsa_float_round_mode_32 0
		.amdhsa_float_round_mode_16_64 0
		.amdhsa_float_denorm_mode_32 3
		.amdhsa_float_denorm_mode_16_64 3
		.amdhsa_dx10_clamp 1
		.amdhsa_ieee_mode 1
		.amdhsa_fp16_overflow 0
		.amdhsa_workgroup_processor_mode 1
		.amdhsa_memory_ordered 1
		.amdhsa_forward_progress 0
		.amdhsa_shared_vgpr_count 0
		.amdhsa_exception_fp_ieee_invalid_op 0
		.amdhsa_exception_fp_denorm_src 0
		.amdhsa_exception_fp_ieee_div_zero 0
		.amdhsa_exception_fp_ieee_overflow 0
		.amdhsa_exception_fp_ieee_underflow 0
		.amdhsa_exception_fp_ieee_inexact 0
		.amdhsa_exception_int_div_zero 0
	.end_amdhsa_kernel
	.section	.text._ZN7rocprim17ROCPRIM_400000_NS6detail17trampoline_kernelINS0_14default_configENS1_25partition_config_selectorILNS1_17partition_subalgoE9EjjbEEZZNS1_14partition_implILS5_9ELb0ES3_jN6thrust23THRUST_200600_302600_NS6detail15normal_iteratorINS9_10device_ptrIjEEEESE_PNS0_10empty_typeENS0_5tupleIJSE_SF_EEENSH_IJNS9_16discard_iteratorINS9_11use_defaultEEESG_EEENS0_18inequality_wrapperINS9_8equal_toIjEEEEPmJSF_EEE10hipError_tPvRmT3_T4_T5_T6_T7_T9_mT8_P12ihipStream_tbDpT10_ENKUlT_T0_E_clISt17integral_constantIbLb1EES1B_EEDaS16_S17_EUlS16_E_NS1_11comp_targetILNS1_3genE4ELNS1_11target_archE910ELNS1_3gpuE8ELNS1_3repE0EEENS1_30default_config_static_selectorELNS0_4arch9wavefront6targetE0EEEvT1_,"axG",@progbits,_ZN7rocprim17ROCPRIM_400000_NS6detail17trampoline_kernelINS0_14default_configENS1_25partition_config_selectorILNS1_17partition_subalgoE9EjjbEEZZNS1_14partition_implILS5_9ELb0ES3_jN6thrust23THRUST_200600_302600_NS6detail15normal_iteratorINS9_10device_ptrIjEEEESE_PNS0_10empty_typeENS0_5tupleIJSE_SF_EEENSH_IJNS9_16discard_iteratorINS9_11use_defaultEEESG_EEENS0_18inequality_wrapperINS9_8equal_toIjEEEEPmJSF_EEE10hipError_tPvRmT3_T4_T5_T6_T7_T9_mT8_P12ihipStream_tbDpT10_ENKUlT_T0_E_clISt17integral_constantIbLb1EES1B_EEDaS16_S17_EUlS16_E_NS1_11comp_targetILNS1_3genE4ELNS1_11target_archE910ELNS1_3gpuE8ELNS1_3repE0EEENS1_30default_config_static_selectorELNS0_4arch9wavefront6targetE0EEEvT1_,comdat
.Lfunc_end831:
	.size	_ZN7rocprim17ROCPRIM_400000_NS6detail17trampoline_kernelINS0_14default_configENS1_25partition_config_selectorILNS1_17partition_subalgoE9EjjbEEZZNS1_14partition_implILS5_9ELb0ES3_jN6thrust23THRUST_200600_302600_NS6detail15normal_iteratorINS9_10device_ptrIjEEEESE_PNS0_10empty_typeENS0_5tupleIJSE_SF_EEENSH_IJNS9_16discard_iteratorINS9_11use_defaultEEESG_EEENS0_18inequality_wrapperINS9_8equal_toIjEEEEPmJSF_EEE10hipError_tPvRmT3_T4_T5_T6_T7_T9_mT8_P12ihipStream_tbDpT10_ENKUlT_T0_E_clISt17integral_constantIbLb1EES1B_EEDaS16_S17_EUlS16_E_NS1_11comp_targetILNS1_3genE4ELNS1_11target_archE910ELNS1_3gpuE8ELNS1_3repE0EEENS1_30default_config_static_selectorELNS0_4arch9wavefront6targetE0EEEvT1_, .Lfunc_end831-_ZN7rocprim17ROCPRIM_400000_NS6detail17trampoline_kernelINS0_14default_configENS1_25partition_config_selectorILNS1_17partition_subalgoE9EjjbEEZZNS1_14partition_implILS5_9ELb0ES3_jN6thrust23THRUST_200600_302600_NS6detail15normal_iteratorINS9_10device_ptrIjEEEESE_PNS0_10empty_typeENS0_5tupleIJSE_SF_EEENSH_IJNS9_16discard_iteratorINS9_11use_defaultEEESG_EEENS0_18inequality_wrapperINS9_8equal_toIjEEEEPmJSF_EEE10hipError_tPvRmT3_T4_T5_T6_T7_T9_mT8_P12ihipStream_tbDpT10_ENKUlT_T0_E_clISt17integral_constantIbLb1EES1B_EEDaS16_S17_EUlS16_E_NS1_11comp_targetILNS1_3genE4ELNS1_11target_archE910ELNS1_3gpuE8ELNS1_3repE0EEENS1_30default_config_static_selectorELNS0_4arch9wavefront6targetE0EEEvT1_
                                        ; -- End function
	.section	.AMDGPU.csdata,"",@progbits
; Kernel info:
; codeLenInByte = 0
; NumSgprs: 0
; NumVgprs: 0
; ScratchSize: 0
; MemoryBound: 0
; FloatMode: 240
; IeeeMode: 1
; LDSByteSize: 0 bytes/workgroup (compile time only)
; SGPRBlocks: 0
; VGPRBlocks: 0
; NumSGPRsForWavesPerEU: 1
; NumVGPRsForWavesPerEU: 1
; Occupancy: 15
; WaveLimiterHint : 0
; COMPUTE_PGM_RSRC2:SCRATCH_EN: 0
; COMPUTE_PGM_RSRC2:USER_SGPR: 15
; COMPUTE_PGM_RSRC2:TRAP_HANDLER: 0
; COMPUTE_PGM_RSRC2:TGID_X_EN: 1
; COMPUTE_PGM_RSRC2:TGID_Y_EN: 0
; COMPUTE_PGM_RSRC2:TGID_Z_EN: 0
; COMPUTE_PGM_RSRC2:TIDIG_COMP_CNT: 0
	.section	.text._ZN7rocprim17ROCPRIM_400000_NS6detail17trampoline_kernelINS0_14default_configENS1_25partition_config_selectorILNS1_17partition_subalgoE9EjjbEEZZNS1_14partition_implILS5_9ELb0ES3_jN6thrust23THRUST_200600_302600_NS6detail15normal_iteratorINS9_10device_ptrIjEEEESE_PNS0_10empty_typeENS0_5tupleIJSE_SF_EEENSH_IJNS9_16discard_iteratorINS9_11use_defaultEEESG_EEENS0_18inequality_wrapperINS9_8equal_toIjEEEEPmJSF_EEE10hipError_tPvRmT3_T4_T5_T6_T7_T9_mT8_P12ihipStream_tbDpT10_ENKUlT_T0_E_clISt17integral_constantIbLb1EES1B_EEDaS16_S17_EUlS16_E_NS1_11comp_targetILNS1_3genE3ELNS1_11target_archE908ELNS1_3gpuE7ELNS1_3repE0EEENS1_30default_config_static_selectorELNS0_4arch9wavefront6targetE0EEEvT1_,"axG",@progbits,_ZN7rocprim17ROCPRIM_400000_NS6detail17trampoline_kernelINS0_14default_configENS1_25partition_config_selectorILNS1_17partition_subalgoE9EjjbEEZZNS1_14partition_implILS5_9ELb0ES3_jN6thrust23THRUST_200600_302600_NS6detail15normal_iteratorINS9_10device_ptrIjEEEESE_PNS0_10empty_typeENS0_5tupleIJSE_SF_EEENSH_IJNS9_16discard_iteratorINS9_11use_defaultEEESG_EEENS0_18inequality_wrapperINS9_8equal_toIjEEEEPmJSF_EEE10hipError_tPvRmT3_T4_T5_T6_T7_T9_mT8_P12ihipStream_tbDpT10_ENKUlT_T0_E_clISt17integral_constantIbLb1EES1B_EEDaS16_S17_EUlS16_E_NS1_11comp_targetILNS1_3genE3ELNS1_11target_archE908ELNS1_3gpuE7ELNS1_3repE0EEENS1_30default_config_static_selectorELNS0_4arch9wavefront6targetE0EEEvT1_,comdat
	.protected	_ZN7rocprim17ROCPRIM_400000_NS6detail17trampoline_kernelINS0_14default_configENS1_25partition_config_selectorILNS1_17partition_subalgoE9EjjbEEZZNS1_14partition_implILS5_9ELb0ES3_jN6thrust23THRUST_200600_302600_NS6detail15normal_iteratorINS9_10device_ptrIjEEEESE_PNS0_10empty_typeENS0_5tupleIJSE_SF_EEENSH_IJNS9_16discard_iteratorINS9_11use_defaultEEESG_EEENS0_18inequality_wrapperINS9_8equal_toIjEEEEPmJSF_EEE10hipError_tPvRmT3_T4_T5_T6_T7_T9_mT8_P12ihipStream_tbDpT10_ENKUlT_T0_E_clISt17integral_constantIbLb1EES1B_EEDaS16_S17_EUlS16_E_NS1_11comp_targetILNS1_3genE3ELNS1_11target_archE908ELNS1_3gpuE7ELNS1_3repE0EEENS1_30default_config_static_selectorELNS0_4arch9wavefront6targetE0EEEvT1_ ; -- Begin function _ZN7rocprim17ROCPRIM_400000_NS6detail17trampoline_kernelINS0_14default_configENS1_25partition_config_selectorILNS1_17partition_subalgoE9EjjbEEZZNS1_14partition_implILS5_9ELb0ES3_jN6thrust23THRUST_200600_302600_NS6detail15normal_iteratorINS9_10device_ptrIjEEEESE_PNS0_10empty_typeENS0_5tupleIJSE_SF_EEENSH_IJNS9_16discard_iteratorINS9_11use_defaultEEESG_EEENS0_18inequality_wrapperINS9_8equal_toIjEEEEPmJSF_EEE10hipError_tPvRmT3_T4_T5_T6_T7_T9_mT8_P12ihipStream_tbDpT10_ENKUlT_T0_E_clISt17integral_constantIbLb1EES1B_EEDaS16_S17_EUlS16_E_NS1_11comp_targetILNS1_3genE3ELNS1_11target_archE908ELNS1_3gpuE7ELNS1_3repE0EEENS1_30default_config_static_selectorELNS0_4arch9wavefront6targetE0EEEvT1_
	.globl	_ZN7rocprim17ROCPRIM_400000_NS6detail17trampoline_kernelINS0_14default_configENS1_25partition_config_selectorILNS1_17partition_subalgoE9EjjbEEZZNS1_14partition_implILS5_9ELb0ES3_jN6thrust23THRUST_200600_302600_NS6detail15normal_iteratorINS9_10device_ptrIjEEEESE_PNS0_10empty_typeENS0_5tupleIJSE_SF_EEENSH_IJNS9_16discard_iteratorINS9_11use_defaultEEESG_EEENS0_18inequality_wrapperINS9_8equal_toIjEEEEPmJSF_EEE10hipError_tPvRmT3_T4_T5_T6_T7_T9_mT8_P12ihipStream_tbDpT10_ENKUlT_T0_E_clISt17integral_constantIbLb1EES1B_EEDaS16_S17_EUlS16_E_NS1_11comp_targetILNS1_3genE3ELNS1_11target_archE908ELNS1_3gpuE7ELNS1_3repE0EEENS1_30default_config_static_selectorELNS0_4arch9wavefront6targetE0EEEvT1_
	.p2align	8
	.type	_ZN7rocprim17ROCPRIM_400000_NS6detail17trampoline_kernelINS0_14default_configENS1_25partition_config_selectorILNS1_17partition_subalgoE9EjjbEEZZNS1_14partition_implILS5_9ELb0ES3_jN6thrust23THRUST_200600_302600_NS6detail15normal_iteratorINS9_10device_ptrIjEEEESE_PNS0_10empty_typeENS0_5tupleIJSE_SF_EEENSH_IJNS9_16discard_iteratorINS9_11use_defaultEEESG_EEENS0_18inequality_wrapperINS9_8equal_toIjEEEEPmJSF_EEE10hipError_tPvRmT3_T4_T5_T6_T7_T9_mT8_P12ihipStream_tbDpT10_ENKUlT_T0_E_clISt17integral_constantIbLb1EES1B_EEDaS16_S17_EUlS16_E_NS1_11comp_targetILNS1_3genE3ELNS1_11target_archE908ELNS1_3gpuE7ELNS1_3repE0EEENS1_30default_config_static_selectorELNS0_4arch9wavefront6targetE0EEEvT1_,@function
_ZN7rocprim17ROCPRIM_400000_NS6detail17trampoline_kernelINS0_14default_configENS1_25partition_config_selectorILNS1_17partition_subalgoE9EjjbEEZZNS1_14partition_implILS5_9ELb0ES3_jN6thrust23THRUST_200600_302600_NS6detail15normal_iteratorINS9_10device_ptrIjEEEESE_PNS0_10empty_typeENS0_5tupleIJSE_SF_EEENSH_IJNS9_16discard_iteratorINS9_11use_defaultEEESG_EEENS0_18inequality_wrapperINS9_8equal_toIjEEEEPmJSF_EEE10hipError_tPvRmT3_T4_T5_T6_T7_T9_mT8_P12ihipStream_tbDpT10_ENKUlT_T0_E_clISt17integral_constantIbLb1EES1B_EEDaS16_S17_EUlS16_E_NS1_11comp_targetILNS1_3genE3ELNS1_11target_archE908ELNS1_3gpuE7ELNS1_3repE0EEENS1_30default_config_static_selectorELNS0_4arch9wavefront6targetE0EEEvT1_: ; @_ZN7rocprim17ROCPRIM_400000_NS6detail17trampoline_kernelINS0_14default_configENS1_25partition_config_selectorILNS1_17partition_subalgoE9EjjbEEZZNS1_14partition_implILS5_9ELb0ES3_jN6thrust23THRUST_200600_302600_NS6detail15normal_iteratorINS9_10device_ptrIjEEEESE_PNS0_10empty_typeENS0_5tupleIJSE_SF_EEENSH_IJNS9_16discard_iteratorINS9_11use_defaultEEESG_EEENS0_18inequality_wrapperINS9_8equal_toIjEEEEPmJSF_EEE10hipError_tPvRmT3_T4_T5_T6_T7_T9_mT8_P12ihipStream_tbDpT10_ENKUlT_T0_E_clISt17integral_constantIbLb1EES1B_EEDaS16_S17_EUlS16_E_NS1_11comp_targetILNS1_3genE3ELNS1_11target_archE908ELNS1_3gpuE7ELNS1_3repE0EEENS1_30default_config_static_selectorELNS0_4arch9wavefront6targetE0EEEvT1_
; %bb.0:
	.section	.rodata,"a",@progbits
	.p2align	6, 0x0
	.amdhsa_kernel _ZN7rocprim17ROCPRIM_400000_NS6detail17trampoline_kernelINS0_14default_configENS1_25partition_config_selectorILNS1_17partition_subalgoE9EjjbEEZZNS1_14partition_implILS5_9ELb0ES3_jN6thrust23THRUST_200600_302600_NS6detail15normal_iteratorINS9_10device_ptrIjEEEESE_PNS0_10empty_typeENS0_5tupleIJSE_SF_EEENSH_IJNS9_16discard_iteratorINS9_11use_defaultEEESG_EEENS0_18inequality_wrapperINS9_8equal_toIjEEEEPmJSF_EEE10hipError_tPvRmT3_T4_T5_T6_T7_T9_mT8_P12ihipStream_tbDpT10_ENKUlT_T0_E_clISt17integral_constantIbLb1EES1B_EEDaS16_S17_EUlS16_E_NS1_11comp_targetILNS1_3genE3ELNS1_11target_archE908ELNS1_3gpuE7ELNS1_3repE0EEENS1_30default_config_static_selectorELNS0_4arch9wavefront6targetE0EEEvT1_
		.amdhsa_group_segment_fixed_size 0
		.amdhsa_private_segment_fixed_size 0
		.amdhsa_kernarg_size 136
		.amdhsa_user_sgpr_count 15
		.amdhsa_user_sgpr_dispatch_ptr 0
		.amdhsa_user_sgpr_queue_ptr 0
		.amdhsa_user_sgpr_kernarg_segment_ptr 1
		.amdhsa_user_sgpr_dispatch_id 0
		.amdhsa_user_sgpr_private_segment_size 0
		.amdhsa_wavefront_size32 1
		.amdhsa_uses_dynamic_stack 0
		.amdhsa_enable_private_segment 0
		.amdhsa_system_sgpr_workgroup_id_x 1
		.amdhsa_system_sgpr_workgroup_id_y 0
		.amdhsa_system_sgpr_workgroup_id_z 0
		.amdhsa_system_sgpr_workgroup_info 0
		.amdhsa_system_vgpr_workitem_id 0
		.amdhsa_next_free_vgpr 1
		.amdhsa_next_free_sgpr 1
		.amdhsa_reserve_vcc 0
		.amdhsa_float_round_mode_32 0
		.amdhsa_float_round_mode_16_64 0
		.amdhsa_float_denorm_mode_32 3
		.amdhsa_float_denorm_mode_16_64 3
		.amdhsa_dx10_clamp 1
		.amdhsa_ieee_mode 1
		.amdhsa_fp16_overflow 0
		.amdhsa_workgroup_processor_mode 1
		.amdhsa_memory_ordered 1
		.amdhsa_forward_progress 0
		.amdhsa_shared_vgpr_count 0
		.amdhsa_exception_fp_ieee_invalid_op 0
		.amdhsa_exception_fp_denorm_src 0
		.amdhsa_exception_fp_ieee_div_zero 0
		.amdhsa_exception_fp_ieee_overflow 0
		.amdhsa_exception_fp_ieee_underflow 0
		.amdhsa_exception_fp_ieee_inexact 0
		.amdhsa_exception_int_div_zero 0
	.end_amdhsa_kernel
	.section	.text._ZN7rocprim17ROCPRIM_400000_NS6detail17trampoline_kernelINS0_14default_configENS1_25partition_config_selectorILNS1_17partition_subalgoE9EjjbEEZZNS1_14partition_implILS5_9ELb0ES3_jN6thrust23THRUST_200600_302600_NS6detail15normal_iteratorINS9_10device_ptrIjEEEESE_PNS0_10empty_typeENS0_5tupleIJSE_SF_EEENSH_IJNS9_16discard_iteratorINS9_11use_defaultEEESG_EEENS0_18inequality_wrapperINS9_8equal_toIjEEEEPmJSF_EEE10hipError_tPvRmT3_T4_T5_T6_T7_T9_mT8_P12ihipStream_tbDpT10_ENKUlT_T0_E_clISt17integral_constantIbLb1EES1B_EEDaS16_S17_EUlS16_E_NS1_11comp_targetILNS1_3genE3ELNS1_11target_archE908ELNS1_3gpuE7ELNS1_3repE0EEENS1_30default_config_static_selectorELNS0_4arch9wavefront6targetE0EEEvT1_,"axG",@progbits,_ZN7rocprim17ROCPRIM_400000_NS6detail17trampoline_kernelINS0_14default_configENS1_25partition_config_selectorILNS1_17partition_subalgoE9EjjbEEZZNS1_14partition_implILS5_9ELb0ES3_jN6thrust23THRUST_200600_302600_NS6detail15normal_iteratorINS9_10device_ptrIjEEEESE_PNS0_10empty_typeENS0_5tupleIJSE_SF_EEENSH_IJNS9_16discard_iteratorINS9_11use_defaultEEESG_EEENS0_18inequality_wrapperINS9_8equal_toIjEEEEPmJSF_EEE10hipError_tPvRmT3_T4_T5_T6_T7_T9_mT8_P12ihipStream_tbDpT10_ENKUlT_T0_E_clISt17integral_constantIbLb1EES1B_EEDaS16_S17_EUlS16_E_NS1_11comp_targetILNS1_3genE3ELNS1_11target_archE908ELNS1_3gpuE7ELNS1_3repE0EEENS1_30default_config_static_selectorELNS0_4arch9wavefront6targetE0EEEvT1_,comdat
.Lfunc_end832:
	.size	_ZN7rocprim17ROCPRIM_400000_NS6detail17trampoline_kernelINS0_14default_configENS1_25partition_config_selectorILNS1_17partition_subalgoE9EjjbEEZZNS1_14partition_implILS5_9ELb0ES3_jN6thrust23THRUST_200600_302600_NS6detail15normal_iteratorINS9_10device_ptrIjEEEESE_PNS0_10empty_typeENS0_5tupleIJSE_SF_EEENSH_IJNS9_16discard_iteratorINS9_11use_defaultEEESG_EEENS0_18inequality_wrapperINS9_8equal_toIjEEEEPmJSF_EEE10hipError_tPvRmT3_T4_T5_T6_T7_T9_mT8_P12ihipStream_tbDpT10_ENKUlT_T0_E_clISt17integral_constantIbLb1EES1B_EEDaS16_S17_EUlS16_E_NS1_11comp_targetILNS1_3genE3ELNS1_11target_archE908ELNS1_3gpuE7ELNS1_3repE0EEENS1_30default_config_static_selectorELNS0_4arch9wavefront6targetE0EEEvT1_, .Lfunc_end832-_ZN7rocprim17ROCPRIM_400000_NS6detail17trampoline_kernelINS0_14default_configENS1_25partition_config_selectorILNS1_17partition_subalgoE9EjjbEEZZNS1_14partition_implILS5_9ELb0ES3_jN6thrust23THRUST_200600_302600_NS6detail15normal_iteratorINS9_10device_ptrIjEEEESE_PNS0_10empty_typeENS0_5tupleIJSE_SF_EEENSH_IJNS9_16discard_iteratorINS9_11use_defaultEEESG_EEENS0_18inequality_wrapperINS9_8equal_toIjEEEEPmJSF_EEE10hipError_tPvRmT3_T4_T5_T6_T7_T9_mT8_P12ihipStream_tbDpT10_ENKUlT_T0_E_clISt17integral_constantIbLb1EES1B_EEDaS16_S17_EUlS16_E_NS1_11comp_targetILNS1_3genE3ELNS1_11target_archE908ELNS1_3gpuE7ELNS1_3repE0EEENS1_30default_config_static_selectorELNS0_4arch9wavefront6targetE0EEEvT1_
                                        ; -- End function
	.section	.AMDGPU.csdata,"",@progbits
; Kernel info:
; codeLenInByte = 0
; NumSgprs: 0
; NumVgprs: 0
; ScratchSize: 0
; MemoryBound: 0
; FloatMode: 240
; IeeeMode: 1
; LDSByteSize: 0 bytes/workgroup (compile time only)
; SGPRBlocks: 0
; VGPRBlocks: 0
; NumSGPRsForWavesPerEU: 1
; NumVGPRsForWavesPerEU: 1
; Occupancy: 16
; WaveLimiterHint : 0
; COMPUTE_PGM_RSRC2:SCRATCH_EN: 0
; COMPUTE_PGM_RSRC2:USER_SGPR: 15
; COMPUTE_PGM_RSRC2:TRAP_HANDLER: 0
; COMPUTE_PGM_RSRC2:TGID_X_EN: 1
; COMPUTE_PGM_RSRC2:TGID_Y_EN: 0
; COMPUTE_PGM_RSRC2:TGID_Z_EN: 0
; COMPUTE_PGM_RSRC2:TIDIG_COMP_CNT: 0
	.section	.text._ZN7rocprim17ROCPRIM_400000_NS6detail17trampoline_kernelINS0_14default_configENS1_25partition_config_selectorILNS1_17partition_subalgoE9EjjbEEZZNS1_14partition_implILS5_9ELb0ES3_jN6thrust23THRUST_200600_302600_NS6detail15normal_iteratorINS9_10device_ptrIjEEEESE_PNS0_10empty_typeENS0_5tupleIJSE_SF_EEENSH_IJNS9_16discard_iteratorINS9_11use_defaultEEESG_EEENS0_18inequality_wrapperINS9_8equal_toIjEEEEPmJSF_EEE10hipError_tPvRmT3_T4_T5_T6_T7_T9_mT8_P12ihipStream_tbDpT10_ENKUlT_T0_E_clISt17integral_constantIbLb1EES1B_EEDaS16_S17_EUlS16_E_NS1_11comp_targetILNS1_3genE2ELNS1_11target_archE906ELNS1_3gpuE6ELNS1_3repE0EEENS1_30default_config_static_selectorELNS0_4arch9wavefront6targetE0EEEvT1_,"axG",@progbits,_ZN7rocprim17ROCPRIM_400000_NS6detail17trampoline_kernelINS0_14default_configENS1_25partition_config_selectorILNS1_17partition_subalgoE9EjjbEEZZNS1_14partition_implILS5_9ELb0ES3_jN6thrust23THRUST_200600_302600_NS6detail15normal_iteratorINS9_10device_ptrIjEEEESE_PNS0_10empty_typeENS0_5tupleIJSE_SF_EEENSH_IJNS9_16discard_iteratorINS9_11use_defaultEEESG_EEENS0_18inequality_wrapperINS9_8equal_toIjEEEEPmJSF_EEE10hipError_tPvRmT3_T4_T5_T6_T7_T9_mT8_P12ihipStream_tbDpT10_ENKUlT_T0_E_clISt17integral_constantIbLb1EES1B_EEDaS16_S17_EUlS16_E_NS1_11comp_targetILNS1_3genE2ELNS1_11target_archE906ELNS1_3gpuE6ELNS1_3repE0EEENS1_30default_config_static_selectorELNS0_4arch9wavefront6targetE0EEEvT1_,comdat
	.protected	_ZN7rocprim17ROCPRIM_400000_NS6detail17trampoline_kernelINS0_14default_configENS1_25partition_config_selectorILNS1_17partition_subalgoE9EjjbEEZZNS1_14partition_implILS5_9ELb0ES3_jN6thrust23THRUST_200600_302600_NS6detail15normal_iteratorINS9_10device_ptrIjEEEESE_PNS0_10empty_typeENS0_5tupleIJSE_SF_EEENSH_IJNS9_16discard_iteratorINS9_11use_defaultEEESG_EEENS0_18inequality_wrapperINS9_8equal_toIjEEEEPmJSF_EEE10hipError_tPvRmT3_T4_T5_T6_T7_T9_mT8_P12ihipStream_tbDpT10_ENKUlT_T0_E_clISt17integral_constantIbLb1EES1B_EEDaS16_S17_EUlS16_E_NS1_11comp_targetILNS1_3genE2ELNS1_11target_archE906ELNS1_3gpuE6ELNS1_3repE0EEENS1_30default_config_static_selectorELNS0_4arch9wavefront6targetE0EEEvT1_ ; -- Begin function _ZN7rocprim17ROCPRIM_400000_NS6detail17trampoline_kernelINS0_14default_configENS1_25partition_config_selectorILNS1_17partition_subalgoE9EjjbEEZZNS1_14partition_implILS5_9ELb0ES3_jN6thrust23THRUST_200600_302600_NS6detail15normal_iteratorINS9_10device_ptrIjEEEESE_PNS0_10empty_typeENS0_5tupleIJSE_SF_EEENSH_IJNS9_16discard_iteratorINS9_11use_defaultEEESG_EEENS0_18inequality_wrapperINS9_8equal_toIjEEEEPmJSF_EEE10hipError_tPvRmT3_T4_T5_T6_T7_T9_mT8_P12ihipStream_tbDpT10_ENKUlT_T0_E_clISt17integral_constantIbLb1EES1B_EEDaS16_S17_EUlS16_E_NS1_11comp_targetILNS1_3genE2ELNS1_11target_archE906ELNS1_3gpuE6ELNS1_3repE0EEENS1_30default_config_static_selectorELNS0_4arch9wavefront6targetE0EEEvT1_
	.globl	_ZN7rocprim17ROCPRIM_400000_NS6detail17trampoline_kernelINS0_14default_configENS1_25partition_config_selectorILNS1_17partition_subalgoE9EjjbEEZZNS1_14partition_implILS5_9ELb0ES3_jN6thrust23THRUST_200600_302600_NS6detail15normal_iteratorINS9_10device_ptrIjEEEESE_PNS0_10empty_typeENS0_5tupleIJSE_SF_EEENSH_IJNS9_16discard_iteratorINS9_11use_defaultEEESG_EEENS0_18inequality_wrapperINS9_8equal_toIjEEEEPmJSF_EEE10hipError_tPvRmT3_T4_T5_T6_T7_T9_mT8_P12ihipStream_tbDpT10_ENKUlT_T0_E_clISt17integral_constantIbLb1EES1B_EEDaS16_S17_EUlS16_E_NS1_11comp_targetILNS1_3genE2ELNS1_11target_archE906ELNS1_3gpuE6ELNS1_3repE0EEENS1_30default_config_static_selectorELNS0_4arch9wavefront6targetE0EEEvT1_
	.p2align	8
	.type	_ZN7rocprim17ROCPRIM_400000_NS6detail17trampoline_kernelINS0_14default_configENS1_25partition_config_selectorILNS1_17partition_subalgoE9EjjbEEZZNS1_14partition_implILS5_9ELb0ES3_jN6thrust23THRUST_200600_302600_NS6detail15normal_iteratorINS9_10device_ptrIjEEEESE_PNS0_10empty_typeENS0_5tupleIJSE_SF_EEENSH_IJNS9_16discard_iteratorINS9_11use_defaultEEESG_EEENS0_18inequality_wrapperINS9_8equal_toIjEEEEPmJSF_EEE10hipError_tPvRmT3_T4_T5_T6_T7_T9_mT8_P12ihipStream_tbDpT10_ENKUlT_T0_E_clISt17integral_constantIbLb1EES1B_EEDaS16_S17_EUlS16_E_NS1_11comp_targetILNS1_3genE2ELNS1_11target_archE906ELNS1_3gpuE6ELNS1_3repE0EEENS1_30default_config_static_selectorELNS0_4arch9wavefront6targetE0EEEvT1_,@function
_ZN7rocprim17ROCPRIM_400000_NS6detail17trampoline_kernelINS0_14default_configENS1_25partition_config_selectorILNS1_17partition_subalgoE9EjjbEEZZNS1_14partition_implILS5_9ELb0ES3_jN6thrust23THRUST_200600_302600_NS6detail15normal_iteratorINS9_10device_ptrIjEEEESE_PNS0_10empty_typeENS0_5tupleIJSE_SF_EEENSH_IJNS9_16discard_iteratorINS9_11use_defaultEEESG_EEENS0_18inequality_wrapperINS9_8equal_toIjEEEEPmJSF_EEE10hipError_tPvRmT3_T4_T5_T6_T7_T9_mT8_P12ihipStream_tbDpT10_ENKUlT_T0_E_clISt17integral_constantIbLb1EES1B_EEDaS16_S17_EUlS16_E_NS1_11comp_targetILNS1_3genE2ELNS1_11target_archE906ELNS1_3gpuE6ELNS1_3repE0EEENS1_30default_config_static_selectorELNS0_4arch9wavefront6targetE0EEEvT1_: ; @_ZN7rocprim17ROCPRIM_400000_NS6detail17trampoline_kernelINS0_14default_configENS1_25partition_config_selectorILNS1_17partition_subalgoE9EjjbEEZZNS1_14partition_implILS5_9ELb0ES3_jN6thrust23THRUST_200600_302600_NS6detail15normal_iteratorINS9_10device_ptrIjEEEESE_PNS0_10empty_typeENS0_5tupleIJSE_SF_EEENSH_IJNS9_16discard_iteratorINS9_11use_defaultEEESG_EEENS0_18inequality_wrapperINS9_8equal_toIjEEEEPmJSF_EEE10hipError_tPvRmT3_T4_T5_T6_T7_T9_mT8_P12ihipStream_tbDpT10_ENKUlT_T0_E_clISt17integral_constantIbLb1EES1B_EEDaS16_S17_EUlS16_E_NS1_11comp_targetILNS1_3genE2ELNS1_11target_archE906ELNS1_3gpuE6ELNS1_3repE0EEENS1_30default_config_static_selectorELNS0_4arch9wavefront6targetE0EEEvT1_
; %bb.0:
	.section	.rodata,"a",@progbits
	.p2align	6, 0x0
	.amdhsa_kernel _ZN7rocprim17ROCPRIM_400000_NS6detail17trampoline_kernelINS0_14default_configENS1_25partition_config_selectorILNS1_17partition_subalgoE9EjjbEEZZNS1_14partition_implILS5_9ELb0ES3_jN6thrust23THRUST_200600_302600_NS6detail15normal_iteratorINS9_10device_ptrIjEEEESE_PNS0_10empty_typeENS0_5tupleIJSE_SF_EEENSH_IJNS9_16discard_iteratorINS9_11use_defaultEEESG_EEENS0_18inequality_wrapperINS9_8equal_toIjEEEEPmJSF_EEE10hipError_tPvRmT3_T4_T5_T6_T7_T9_mT8_P12ihipStream_tbDpT10_ENKUlT_T0_E_clISt17integral_constantIbLb1EES1B_EEDaS16_S17_EUlS16_E_NS1_11comp_targetILNS1_3genE2ELNS1_11target_archE906ELNS1_3gpuE6ELNS1_3repE0EEENS1_30default_config_static_selectorELNS0_4arch9wavefront6targetE0EEEvT1_
		.amdhsa_group_segment_fixed_size 0
		.amdhsa_private_segment_fixed_size 0
		.amdhsa_kernarg_size 136
		.amdhsa_user_sgpr_count 15
		.amdhsa_user_sgpr_dispatch_ptr 0
		.amdhsa_user_sgpr_queue_ptr 0
		.amdhsa_user_sgpr_kernarg_segment_ptr 1
		.amdhsa_user_sgpr_dispatch_id 0
		.amdhsa_user_sgpr_private_segment_size 0
		.amdhsa_wavefront_size32 1
		.amdhsa_uses_dynamic_stack 0
		.amdhsa_enable_private_segment 0
		.amdhsa_system_sgpr_workgroup_id_x 1
		.amdhsa_system_sgpr_workgroup_id_y 0
		.amdhsa_system_sgpr_workgroup_id_z 0
		.amdhsa_system_sgpr_workgroup_info 0
		.amdhsa_system_vgpr_workitem_id 0
		.amdhsa_next_free_vgpr 1
		.amdhsa_next_free_sgpr 1
		.amdhsa_reserve_vcc 0
		.amdhsa_float_round_mode_32 0
		.amdhsa_float_round_mode_16_64 0
		.amdhsa_float_denorm_mode_32 3
		.amdhsa_float_denorm_mode_16_64 3
		.amdhsa_dx10_clamp 1
		.amdhsa_ieee_mode 1
		.amdhsa_fp16_overflow 0
		.amdhsa_workgroup_processor_mode 1
		.amdhsa_memory_ordered 1
		.amdhsa_forward_progress 0
		.amdhsa_shared_vgpr_count 0
		.amdhsa_exception_fp_ieee_invalid_op 0
		.amdhsa_exception_fp_denorm_src 0
		.amdhsa_exception_fp_ieee_div_zero 0
		.amdhsa_exception_fp_ieee_overflow 0
		.amdhsa_exception_fp_ieee_underflow 0
		.amdhsa_exception_fp_ieee_inexact 0
		.amdhsa_exception_int_div_zero 0
	.end_amdhsa_kernel
	.section	.text._ZN7rocprim17ROCPRIM_400000_NS6detail17trampoline_kernelINS0_14default_configENS1_25partition_config_selectorILNS1_17partition_subalgoE9EjjbEEZZNS1_14partition_implILS5_9ELb0ES3_jN6thrust23THRUST_200600_302600_NS6detail15normal_iteratorINS9_10device_ptrIjEEEESE_PNS0_10empty_typeENS0_5tupleIJSE_SF_EEENSH_IJNS9_16discard_iteratorINS9_11use_defaultEEESG_EEENS0_18inequality_wrapperINS9_8equal_toIjEEEEPmJSF_EEE10hipError_tPvRmT3_T4_T5_T6_T7_T9_mT8_P12ihipStream_tbDpT10_ENKUlT_T0_E_clISt17integral_constantIbLb1EES1B_EEDaS16_S17_EUlS16_E_NS1_11comp_targetILNS1_3genE2ELNS1_11target_archE906ELNS1_3gpuE6ELNS1_3repE0EEENS1_30default_config_static_selectorELNS0_4arch9wavefront6targetE0EEEvT1_,"axG",@progbits,_ZN7rocprim17ROCPRIM_400000_NS6detail17trampoline_kernelINS0_14default_configENS1_25partition_config_selectorILNS1_17partition_subalgoE9EjjbEEZZNS1_14partition_implILS5_9ELb0ES3_jN6thrust23THRUST_200600_302600_NS6detail15normal_iteratorINS9_10device_ptrIjEEEESE_PNS0_10empty_typeENS0_5tupleIJSE_SF_EEENSH_IJNS9_16discard_iteratorINS9_11use_defaultEEESG_EEENS0_18inequality_wrapperINS9_8equal_toIjEEEEPmJSF_EEE10hipError_tPvRmT3_T4_T5_T6_T7_T9_mT8_P12ihipStream_tbDpT10_ENKUlT_T0_E_clISt17integral_constantIbLb1EES1B_EEDaS16_S17_EUlS16_E_NS1_11comp_targetILNS1_3genE2ELNS1_11target_archE906ELNS1_3gpuE6ELNS1_3repE0EEENS1_30default_config_static_selectorELNS0_4arch9wavefront6targetE0EEEvT1_,comdat
.Lfunc_end833:
	.size	_ZN7rocprim17ROCPRIM_400000_NS6detail17trampoline_kernelINS0_14default_configENS1_25partition_config_selectorILNS1_17partition_subalgoE9EjjbEEZZNS1_14partition_implILS5_9ELb0ES3_jN6thrust23THRUST_200600_302600_NS6detail15normal_iteratorINS9_10device_ptrIjEEEESE_PNS0_10empty_typeENS0_5tupleIJSE_SF_EEENSH_IJNS9_16discard_iteratorINS9_11use_defaultEEESG_EEENS0_18inequality_wrapperINS9_8equal_toIjEEEEPmJSF_EEE10hipError_tPvRmT3_T4_T5_T6_T7_T9_mT8_P12ihipStream_tbDpT10_ENKUlT_T0_E_clISt17integral_constantIbLb1EES1B_EEDaS16_S17_EUlS16_E_NS1_11comp_targetILNS1_3genE2ELNS1_11target_archE906ELNS1_3gpuE6ELNS1_3repE0EEENS1_30default_config_static_selectorELNS0_4arch9wavefront6targetE0EEEvT1_, .Lfunc_end833-_ZN7rocprim17ROCPRIM_400000_NS6detail17trampoline_kernelINS0_14default_configENS1_25partition_config_selectorILNS1_17partition_subalgoE9EjjbEEZZNS1_14partition_implILS5_9ELb0ES3_jN6thrust23THRUST_200600_302600_NS6detail15normal_iteratorINS9_10device_ptrIjEEEESE_PNS0_10empty_typeENS0_5tupleIJSE_SF_EEENSH_IJNS9_16discard_iteratorINS9_11use_defaultEEESG_EEENS0_18inequality_wrapperINS9_8equal_toIjEEEEPmJSF_EEE10hipError_tPvRmT3_T4_T5_T6_T7_T9_mT8_P12ihipStream_tbDpT10_ENKUlT_T0_E_clISt17integral_constantIbLb1EES1B_EEDaS16_S17_EUlS16_E_NS1_11comp_targetILNS1_3genE2ELNS1_11target_archE906ELNS1_3gpuE6ELNS1_3repE0EEENS1_30default_config_static_selectorELNS0_4arch9wavefront6targetE0EEEvT1_
                                        ; -- End function
	.section	.AMDGPU.csdata,"",@progbits
; Kernel info:
; codeLenInByte = 0
; NumSgprs: 0
; NumVgprs: 0
; ScratchSize: 0
; MemoryBound: 0
; FloatMode: 240
; IeeeMode: 1
; LDSByteSize: 0 bytes/workgroup (compile time only)
; SGPRBlocks: 0
; VGPRBlocks: 0
; NumSGPRsForWavesPerEU: 1
; NumVGPRsForWavesPerEU: 1
; Occupancy: 16
; WaveLimiterHint : 0
; COMPUTE_PGM_RSRC2:SCRATCH_EN: 0
; COMPUTE_PGM_RSRC2:USER_SGPR: 15
; COMPUTE_PGM_RSRC2:TRAP_HANDLER: 0
; COMPUTE_PGM_RSRC2:TGID_X_EN: 1
; COMPUTE_PGM_RSRC2:TGID_Y_EN: 0
; COMPUTE_PGM_RSRC2:TGID_Z_EN: 0
; COMPUTE_PGM_RSRC2:TIDIG_COMP_CNT: 0
	.section	.text._ZN7rocprim17ROCPRIM_400000_NS6detail17trampoline_kernelINS0_14default_configENS1_25partition_config_selectorILNS1_17partition_subalgoE9EjjbEEZZNS1_14partition_implILS5_9ELb0ES3_jN6thrust23THRUST_200600_302600_NS6detail15normal_iteratorINS9_10device_ptrIjEEEESE_PNS0_10empty_typeENS0_5tupleIJSE_SF_EEENSH_IJNS9_16discard_iteratorINS9_11use_defaultEEESG_EEENS0_18inequality_wrapperINS9_8equal_toIjEEEEPmJSF_EEE10hipError_tPvRmT3_T4_T5_T6_T7_T9_mT8_P12ihipStream_tbDpT10_ENKUlT_T0_E_clISt17integral_constantIbLb1EES1B_EEDaS16_S17_EUlS16_E_NS1_11comp_targetILNS1_3genE10ELNS1_11target_archE1200ELNS1_3gpuE4ELNS1_3repE0EEENS1_30default_config_static_selectorELNS0_4arch9wavefront6targetE0EEEvT1_,"axG",@progbits,_ZN7rocprim17ROCPRIM_400000_NS6detail17trampoline_kernelINS0_14default_configENS1_25partition_config_selectorILNS1_17partition_subalgoE9EjjbEEZZNS1_14partition_implILS5_9ELb0ES3_jN6thrust23THRUST_200600_302600_NS6detail15normal_iteratorINS9_10device_ptrIjEEEESE_PNS0_10empty_typeENS0_5tupleIJSE_SF_EEENSH_IJNS9_16discard_iteratorINS9_11use_defaultEEESG_EEENS0_18inequality_wrapperINS9_8equal_toIjEEEEPmJSF_EEE10hipError_tPvRmT3_T4_T5_T6_T7_T9_mT8_P12ihipStream_tbDpT10_ENKUlT_T0_E_clISt17integral_constantIbLb1EES1B_EEDaS16_S17_EUlS16_E_NS1_11comp_targetILNS1_3genE10ELNS1_11target_archE1200ELNS1_3gpuE4ELNS1_3repE0EEENS1_30default_config_static_selectorELNS0_4arch9wavefront6targetE0EEEvT1_,comdat
	.protected	_ZN7rocprim17ROCPRIM_400000_NS6detail17trampoline_kernelINS0_14default_configENS1_25partition_config_selectorILNS1_17partition_subalgoE9EjjbEEZZNS1_14partition_implILS5_9ELb0ES3_jN6thrust23THRUST_200600_302600_NS6detail15normal_iteratorINS9_10device_ptrIjEEEESE_PNS0_10empty_typeENS0_5tupleIJSE_SF_EEENSH_IJNS9_16discard_iteratorINS9_11use_defaultEEESG_EEENS0_18inequality_wrapperINS9_8equal_toIjEEEEPmJSF_EEE10hipError_tPvRmT3_T4_T5_T6_T7_T9_mT8_P12ihipStream_tbDpT10_ENKUlT_T0_E_clISt17integral_constantIbLb1EES1B_EEDaS16_S17_EUlS16_E_NS1_11comp_targetILNS1_3genE10ELNS1_11target_archE1200ELNS1_3gpuE4ELNS1_3repE0EEENS1_30default_config_static_selectorELNS0_4arch9wavefront6targetE0EEEvT1_ ; -- Begin function _ZN7rocprim17ROCPRIM_400000_NS6detail17trampoline_kernelINS0_14default_configENS1_25partition_config_selectorILNS1_17partition_subalgoE9EjjbEEZZNS1_14partition_implILS5_9ELb0ES3_jN6thrust23THRUST_200600_302600_NS6detail15normal_iteratorINS9_10device_ptrIjEEEESE_PNS0_10empty_typeENS0_5tupleIJSE_SF_EEENSH_IJNS9_16discard_iteratorINS9_11use_defaultEEESG_EEENS0_18inequality_wrapperINS9_8equal_toIjEEEEPmJSF_EEE10hipError_tPvRmT3_T4_T5_T6_T7_T9_mT8_P12ihipStream_tbDpT10_ENKUlT_T0_E_clISt17integral_constantIbLb1EES1B_EEDaS16_S17_EUlS16_E_NS1_11comp_targetILNS1_3genE10ELNS1_11target_archE1200ELNS1_3gpuE4ELNS1_3repE0EEENS1_30default_config_static_selectorELNS0_4arch9wavefront6targetE0EEEvT1_
	.globl	_ZN7rocprim17ROCPRIM_400000_NS6detail17trampoline_kernelINS0_14default_configENS1_25partition_config_selectorILNS1_17partition_subalgoE9EjjbEEZZNS1_14partition_implILS5_9ELb0ES3_jN6thrust23THRUST_200600_302600_NS6detail15normal_iteratorINS9_10device_ptrIjEEEESE_PNS0_10empty_typeENS0_5tupleIJSE_SF_EEENSH_IJNS9_16discard_iteratorINS9_11use_defaultEEESG_EEENS0_18inequality_wrapperINS9_8equal_toIjEEEEPmJSF_EEE10hipError_tPvRmT3_T4_T5_T6_T7_T9_mT8_P12ihipStream_tbDpT10_ENKUlT_T0_E_clISt17integral_constantIbLb1EES1B_EEDaS16_S17_EUlS16_E_NS1_11comp_targetILNS1_3genE10ELNS1_11target_archE1200ELNS1_3gpuE4ELNS1_3repE0EEENS1_30default_config_static_selectorELNS0_4arch9wavefront6targetE0EEEvT1_
	.p2align	8
	.type	_ZN7rocprim17ROCPRIM_400000_NS6detail17trampoline_kernelINS0_14default_configENS1_25partition_config_selectorILNS1_17partition_subalgoE9EjjbEEZZNS1_14partition_implILS5_9ELb0ES3_jN6thrust23THRUST_200600_302600_NS6detail15normal_iteratorINS9_10device_ptrIjEEEESE_PNS0_10empty_typeENS0_5tupleIJSE_SF_EEENSH_IJNS9_16discard_iteratorINS9_11use_defaultEEESG_EEENS0_18inequality_wrapperINS9_8equal_toIjEEEEPmJSF_EEE10hipError_tPvRmT3_T4_T5_T6_T7_T9_mT8_P12ihipStream_tbDpT10_ENKUlT_T0_E_clISt17integral_constantIbLb1EES1B_EEDaS16_S17_EUlS16_E_NS1_11comp_targetILNS1_3genE10ELNS1_11target_archE1200ELNS1_3gpuE4ELNS1_3repE0EEENS1_30default_config_static_selectorELNS0_4arch9wavefront6targetE0EEEvT1_,@function
_ZN7rocprim17ROCPRIM_400000_NS6detail17trampoline_kernelINS0_14default_configENS1_25partition_config_selectorILNS1_17partition_subalgoE9EjjbEEZZNS1_14partition_implILS5_9ELb0ES3_jN6thrust23THRUST_200600_302600_NS6detail15normal_iteratorINS9_10device_ptrIjEEEESE_PNS0_10empty_typeENS0_5tupleIJSE_SF_EEENSH_IJNS9_16discard_iteratorINS9_11use_defaultEEESG_EEENS0_18inequality_wrapperINS9_8equal_toIjEEEEPmJSF_EEE10hipError_tPvRmT3_T4_T5_T6_T7_T9_mT8_P12ihipStream_tbDpT10_ENKUlT_T0_E_clISt17integral_constantIbLb1EES1B_EEDaS16_S17_EUlS16_E_NS1_11comp_targetILNS1_3genE10ELNS1_11target_archE1200ELNS1_3gpuE4ELNS1_3repE0EEENS1_30default_config_static_selectorELNS0_4arch9wavefront6targetE0EEEvT1_: ; @_ZN7rocprim17ROCPRIM_400000_NS6detail17trampoline_kernelINS0_14default_configENS1_25partition_config_selectorILNS1_17partition_subalgoE9EjjbEEZZNS1_14partition_implILS5_9ELb0ES3_jN6thrust23THRUST_200600_302600_NS6detail15normal_iteratorINS9_10device_ptrIjEEEESE_PNS0_10empty_typeENS0_5tupleIJSE_SF_EEENSH_IJNS9_16discard_iteratorINS9_11use_defaultEEESG_EEENS0_18inequality_wrapperINS9_8equal_toIjEEEEPmJSF_EEE10hipError_tPvRmT3_T4_T5_T6_T7_T9_mT8_P12ihipStream_tbDpT10_ENKUlT_T0_E_clISt17integral_constantIbLb1EES1B_EEDaS16_S17_EUlS16_E_NS1_11comp_targetILNS1_3genE10ELNS1_11target_archE1200ELNS1_3gpuE4ELNS1_3repE0EEENS1_30default_config_static_selectorELNS0_4arch9wavefront6targetE0EEEvT1_
; %bb.0:
	.section	.rodata,"a",@progbits
	.p2align	6, 0x0
	.amdhsa_kernel _ZN7rocprim17ROCPRIM_400000_NS6detail17trampoline_kernelINS0_14default_configENS1_25partition_config_selectorILNS1_17partition_subalgoE9EjjbEEZZNS1_14partition_implILS5_9ELb0ES3_jN6thrust23THRUST_200600_302600_NS6detail15normal_iteratorINS9_10device_ptrIjEEEESE_PNS0_10empty_typeENS0_5tupleIJSE_SF_EEENSH_IJNS9_16discard_iteratorINS9_11use_defaultEEESG_EEENS0_18inequality_wrapperINS9_8equal_toIjEEEEPmJSF_EEE10hipError_tPvRmT3_T4_T5_T6_T7_T9_mT8_P12ihipStream_tbDpT10_ENKUlT_T0_E_clISt17integral_constantIbLb1EES1B_EEDaS16_S17_EUlS16_E_NS1_11comp_targetILNS1_3genE10ELNS1_11target_archE1200ELNS1_3gpuE4ELNS1_3repE0EEENS1_30default_config_static_selectorELNS0_4arch9wavefront6targetE0EEEvT1_
		.amdhsa_group_segment_fixed_size 0
		.amdhsa_private_segment_fixed_size 0
		.amdhsa_kernarg_size 136
		.amdhsa_user_sgpr_count 15
		.amdhsa_user_sgpr_dispatch_ptr 0
		.amdhsa_user_sgpr_queue_ptr 0
		.amdhsa_user_sgpr_kernarg_segment_ptr 1
		.amdhsa_user_sgpr_dispatch_id 0
		.amdhsa_user_sgpr_private_segment_size 0
		.amdhsa_wavefront_size32 1
		.amdhsa_uses_dynamic_stack 0
		.amdhsa_enable_private_segment 0
		.amdhsa_system_sgpr_workgroup_id_x 1
		.amdhsa_system_sgpr_workgroup_id_y 0
		.amdhsa_system_sgpr_workgroup_id_z 0
		.amdhsa_system_sgpr_workgroup_info 0
		.amdhsa_system_vgpr_workitem_id 0
		.amdhsa_next_free_vgpr 1
		.amdhsa_next_free_sgpr 1
		.amdhsa_reserve_vcc 0
		.amdhsa_float_round_mode_32 0
		.amdhsa_float_round_mode_16_64 0
		.amdhsa_float_denorm_mode_32 3
		.amdhsa_float_denorm_mode_16_64 3
		.amdhsa_dx10_clamp 1
		.amdhsa_ieee_mode 1
		.amdhsa_fp16_overflow 0
		.amdhsa_workgroup_processor_mode 1
		.amdhsa_memory_ordered 1
		.amdhsa_forward_progress 0
		.amdhsa_shared_vgpr_count 0
		.amdhsa_exception_fp_ieee_invalid_op 0
		.amdhsa_exception_fp_denorm_src 0
		.amdhsa_exception_fp_ieee_div_zero 0
		.amdhsa_exception_fp_ieee_overflow 0
		.amdhsa_exception_fp_ieee_underflow 0
		.amdhsa_exception_fp_ieee_inexact 0
		.amdhsa_exception_int_div_zero 0
	.end_amdhsa_kernel
	.section	.text._ZN7rocprim17ROCPRIM_400000_NS6detail17trampoline_kernelINS0_14default_configENS1_25partition_config_selectorILNS1_17partition_subalgoE9EjjbEEZZNS1_14partition_implILS5_9ELb0ES3_jN6thrust23THRUST_200600_302600_NS6detail15normal_iteratorINS9_10device_ptrIjEEEESE_PNS0_10empty_typeENS0_5tupleIJSE_SF_EEENSH_IJNS9_16discard_iteratorINS9_11use_defaultEEESG_EEENS0_18inequality_wrapperINS9_8equal_toIjEEEEPmJSF_EEE10hipError_tPvRmT3_T4_T5_T6_T7_T9_mT8_P12ihipStream_tbDpT10_ENKUlT_T0_E_clISt17integral_constantIbLb1EES1B_EEDaS16_S17_EUlS16_E_NS1_11comp_targetILNS1_3genE10ELNS1_11target_archE1200ELNS1_3gpuE4ELNS1_3repE0EEENS1_30default_config_static_selectorELNS0_4arch9wavefront6targetE0EEEvT1_,"axG",@progbits,_ZN7rocprim17ROCPRIM_400000_NS6detail17trampoline_kernelINS0_14default_configENS1_25partition_config_selectorILNS1_17partition_subalgoE9EjjbEEZZNS1_14partition_implILS5_9ELb0ES3_jN6thrust23THRUST_200600_302600_NS6detail15normal_iteratorINS9_10device_ptrIjEEEESE_PNS0_10empty_typeENS0_5tupleIJSE_SF_EEENSH_IJNS9_16discard_iteratorINS9_11use_defaultEEESG_EEENS0_18inequality_wrapperINS9_8equal_toIjEEEEPmJSF_EEE10hipError_tPvRmT3_T4_T5_T6_T7_T9_mT8_P12ihipStream_tbDpT10_ENKUlT_T0_E_clISt17integral_constantIbLb1EES1B_EEDaS16_S17_EUlS16_E_NS1_11comp_targetILNS1_3genE10ELNS1_11target_archE1200ELNS1_3gpuE4ELNS1_3repE0EEENS1_30default_config_static_selectorELNS0_4arch9wavefront6targetE0EEEvT1_,comdat
.Lfunc_end834:
	.size	_ZN7rocprim17ROCPRIM_400000_NS6detail17trampoline_kernelINS0_14default_configENS1_25partition_config_selectorILNS1_17partition_subalgoE9EjjbEEZZNS1_14partition_implILS5_9ELb0ES3_jN6thrust23THRUST_200600_302600_NS6detail15normal_iteratorINS9_10device_ptrIjEEEESE_PNS0_10empty_typeENS0_5tupleIJSE_SF_EEENSH_IJNS9_16discard_iteratorINS9_11use_defaultEEESG_EEENS0_18inequality_wrapperINS9_8equal_toIjEEEEPmJSF_EEE10hipError_tPvRmT3_T4_T5_T6_T7_T9_mT8_P12ihipStream_tbDpT10_ENKUlT_T0_E_clISt17integral_constantIbLb1EES1B_EEDaS16_S17_EUlS16_E_NS1_11comp_targetILNS1_3genE10ELNS1_11target_archE1200ELNS1_3gpuE4ELNS1_3repE0EEENS1_30default_config_static_selectorELNS0_4arch9wavefront6targetE0EEEvT1_, .Lfunc_end834-_ZN7rocprim17ROCPRIM_400000_NS6detail17trampoline_kernelINS0_14default_configENS1_25partition_config_selectorILNS1_17partition_subalgoE9EjjbEEZZNS1_14partition_implILS5_9ELb0ES3_jN6thrust23THRUST_200600_302600_NS6detail15normal_iteratorINS9_10device_ptrIjEEEESE_PNS0_10empty_typeENS0_5tupleIJSE_SF_EEENSH_IJNS9_16discard_iteratorINS9_11use_defaultEEESG_EEENS0_18inequality_wrapperINS9_8equal_toIjEEEEPmJSF_EEE10hipError_tPvRmT3_T4_T5_T6_T7_T9_mT8_P12ihipStream_tbDpT10_ENKUlT_T0_E_clISt17integral_constantIbLb1EES1B_EEDaS16_S17_EUlS16_E_NS1_11comp_targetILNS1_3genE10ELNS1_11target_archE1200ELNS1_3gpuE4ELNS1_3repE0EEENS1_30default_config_static_selectorELNS0_4arch9wavefront6targetE0EEEvT1_
                                        ; -- End function
	.section	.AMDGPU.csdata,"",@progbits
; Kernel info:
; codeLenInByte = 0
; NumSgprs: 0
; NumVgprs: 0
; ScratchSize: 0
; MemoryBound: 0
; FloatMode: 240
; IeeeMode: 1
; LDSByteSize: 0 bytes/workgroup (compile time only)
; SGPRBlocks: 0
; VGPRBlocks: 0
; NumSGPRsForWavesPerEU: 1
; NumVGPRsForWavesPerEU: 1
; Occupancy: 15
; WaveLimiterHint : 0
; COMPUTE_PGM_RSRC2:SCRATCH_EN: 0
; COMPUTE_PGM_RSRC2:USER_SGPR: 15
; COMPUTE_PGM_RSRC2:TRAP_HANDLER: 0
; COMPUTE_PGM_RSRC2:TGID_X_EN: 1
; COMPUTE_PGM_RSRC2:TGID_Y_EN: 0
; COMPUTE_PGM_RSRC2:TGID_Z_EN: 0
; COMPUTE_PGM_RSRC2:TIDIG_COMP_CNT: 0
	.section	.text._ZN7rocprim17ROCPRIM_400000_NS6detail17trampoline_kernelINS0_14default_configENS1_25partition_config_selectorILNS1_17partition_subalgoE9EjjbEEZZNS1_14partition_implILS5_9ELb0ES3_jN6thrust23THRUST_200600_302600_NS6detail15normal_iteratorINS9_10device_ptrIjEEEESE_PNS0_10empty_typeENS0_5tupleIJSE_SF_EEENSH_IJNS9_16discard_iteratorINS9_11use_defaultEEESG_EEENS0_18inequality_wrapperINS9_8equal_toIjEEEEPmJSF_EEE10hipError_tPvRmT3_T4_T5_T6_T7_T9_mT8_P12ihipStream_tbDpT10_ENKUlT_T0_E_clISt17integral_constantIbLb1EES1B_EEDaS16_S17_EUlS16_E_NS1_11comp_targetILNS1_3genE9ELNS1_11target_archE1100ELNS1_3gpuE3ELNS1_3repE0EEENS1_30default_config_static_selectorELNS0_4arch9wavefront6targetE0EEEvT1_,"axG",@progbits,_ZN7rocprim17ROCPRIM_400000_NS6detail17trampoline_kernelINS0_14default_configENS1_25partition_config_selectorILNS1_17partition_subalgoE9EjjbEEZZNS1_14partition_implILS5_9ELb0ES3_jN6thrust23THRUST_200600_302600_NS6detail15normal_iteratorINS9_10device_ptrIjEEEESE_PNS0_10empty_typeENS0_5tupleIJSE_SF_EEENSH_IJNS9_16discard_iteratorINS9_11use_defaultEEESG_EEENS0_18inequality_wrapperINS9_8equal_toIjEEEEPmJSF_EEE10hipError_tPvRmT3_T4_T5_T6_T7_T9_mT8_P12ihipStream_tbDpT10_ENKUlT_T0_E_clISt17integral_constantIbLb1EES1B_EEDaS16_S17_EUlS16_E_NS1_11comp_targetILNS1_3genE9ELNS1_11target_archE1100ELNS1_3gpuE3ELNS1_3repE0EEENS1_30default_config_static_selectorELNS0_4arch9wavefront6targetE0EEEvT1_,comdat
	.protected	_ZN7rocprim17ROCPRIM_400000_NS6detail17trampoline_kernelINS0_14default_configENS1_25partition_config_selectorILNS1_17partition_subalgoE9EjjbEEZZNS1_14partition_implILS5_9ELb0ES3_jN6thrust23THRUST_200600_302600_NS6detail15normal_iteratorINS9_10device_ptrIjEEEESE_PNS0_10empty_typeENS0_5tupleIJSE_SF_EEENSH_IJNS9_16discard_iteratorINS9_11use_defaultEEESG_EEENS0_18inequality_wrapperINS9_8equal_toIjEEEEPmJSF_EEE10hipError_tPvRmT3_T4_T5_T6_T7_T9_mT8_P12ihipStream_tbDpT10_ENKUlT_T0_E_clISt17integral_constantIbLb1EES1B_EEDaS16_S17_EUlS16_E_NS1_11comp_targetILNS1_3genE9ELNS1_11target_archE1100ELNS1_3gpuE3ELNS1_3repE0EEENS1_30default_config_static_selectorELNS0_4arch9wavefront6targetE0EEEvT1_ ; -- Begin function _ZN7rocprim17ROCPRIM_400000_NS6detail17trampoline_kernelINS0_14default_configENS1_25partition_config_selectorILNS1_17partition_subalgoE9EjjbEEZZNS1_14partition_implILS5_9ELb0ES3_jN6thrust23THRUST_200600_302600_NS6detail15normal_iteratorINS9_10device_ptrIjEEEESE_PNS0_10empty_typeENS0_5tupleIJSE_SF_EEENSH_IJNS9_16discard_iteratorINS9_11use_defaultEEESG_EEENS0_18inequality_wrapperINS9_8equal_toIjEEEEPmJSF_EEE10hipError_tPvRmT3_T4_T5_T6_T7_T9_mT8_P12ihipStream_tbDpT10_ENKUlT_T0_E_clISt17integral_constantIbLb1EES1B_EEDaS16_S17_EUlS16_E_NS1_11comp_targetILNS1_3genE9ELNS1_11target_archE1100ELNS1_3gpuE3ELNS1_3repE0EEENS1_30default_config_static_selectorELNS0_4arch9wavefront6targetE0EEEvT1_
	.globl	_ZN7rocprim17ROCPRIM_400000_NS6detail17trampoline_kernelINS0_14default_configENS1_25partition_config_selectorILNS1_17partition_subalgoE9EjjbEEZZNS1_14partition_implILS5_9ELb0ES3_jN6thrust23THRUST_200600_302600_NS6detail15normal_iteratorINS9_10device_ptrIjEEEESE_PNS0_10empty_typeENS0_5tupleIJSE_SF_EEENSH_IJNS9_16discard_iteratorINS9_11use_defaultEEESG_EEENS0_18inequality_wrapperINS9_8equal_toIjEEEEPmJSF_EEE10hipError_tPvRmT3_T4_T5_T6_T7_T9_mT8_P12ihipStream_tbDpT10_ENKUlT_T0_E_clISt17integral_constantIbLb1EES1B_EEDaS16_S17_EUlS16_E_NS1_11comp_targetILNS1_3genE9ELNS1_11target_archE1100ELNS1_3gpuE3ELNS1_3repE0EEENS1_30default_config_static_selectorELNS0_4arch9wavefront6targetE0EEEvT1_
	.p2align	8
	.type	_ZN7rocprim17ROCPRIM_400000_NS6detail17trampoline_kernelINS0_14default_configENS1_25partition_config_selectorILNS1_17partition_subalgoE9EjjbEEZZNS1_14partition_implILS5_9ELb0ES3_jN6thrust23THRUST_200600_302600_NS6detail15normal_iteratorINS9_10device_ptrIjEEEESE_PNS0_10empty_typeENS0_5tupleIJSE_SF_EEENSH_IJNS9_16discard_iteratorINS9_11use_defaultEEESG_EEENS0_18inequality_wrapperINS9_8equal_toIjEEEEPmJSF_EEE10hipError_tPvRmT3_T4_T5_T6_T7_T9_mT8_P12ihipStream_tbDpT10_ENKUlT_T0_E_clISt17integral_constantIbLb1EES1B_EEDaS16_S17_EUlS16_E_NS1_11comp_targetILNS1_3genE9ELNS1_11target_archE1100ELNS1_3gpuE3ELNS1_3repE0EEENS1_30default_config_static_selectorELNS0_4arch9wavefront6targetE0EEEvT1_,@function
_ZN7rocprim17ROCPRIM_400000_NS6detail17trampoline_kernelINS0_14default_configENS1_25partition_config_selectorILNS1_17partition_subalgoE9EjjbEEZZNS1_14partition_implILS5_9ELb0ES3_jN6thrust23THRUST_200600_302600_NS6detail15normal_iteratorINS9_10device_ptrIjEEEESE_PNS0_10empty_typeENS0_5tupleIJSE_SF_EEENSH_IJNS9_16discard_iteratorINS9_11use_defaultEEESG_EEENS0_18inequality_wrapperINS9_8equal_toIjEEEEPmJSF_EEE10hipError_tPvRmT3_T4_T5_T6_T7_T9_mT8_P12ihipStream_tbDpT10_ENKUlT_T0_E_clISt17integral_constantIbLb1EES1B_EEDaS16_S17_EUlS16_E_NS1_11comp_targetILNS1_3genE9ELNS1_11target_archE1100ELNS1_3gpuE3ELNS1_3repE0EEENS1_30default_config_static_selectorELNS0_4arch9wavefront6targetE0EEEvT1_: ; @_ZN7rocprim17ROCPRIM_400000_NS6detail17trampoline_kernelINS0_14default_configENS1_25partition_config_selectorILNS1_17partition_subalgoE9EjjbEEZZNS1_14partition_implILS5_9ELb0ES3_jN6thrust23THRUST_200600_302600_NS6detail15normal_iteratorINS9_10device_ptrIjEEEESE_PNS0_10empty_typeENS0_5tupleIJSE_SF_EEENSH_IJNS9_16discard_iteratorINS9_11use_defaultEEESG_EEENS0_18inequality_wrapperINS9_8equal_toIjEEEEPmJSF_EEE10hipError_tPvRmT3_T4_T5_T6_T7_T9_mT8_P12ihipStream_tbDpT10_ENKUlT_T0_E_clISt17integral_constantIbLb1EES1B_EEDaS16_S17_EUlS16_E_NS1_11comp_targetILNS1_3genE9ELNS1_11target_archE1100ELNS1_3gpuE3ELNS1_3repE0EEENS1_30default_config_static_selectorELNS0_4arch9wavefront6targetE0EEEvT1_
; %bb.0:
	s_clause 0x5
	s_load_b128 s[4:7], s[0:1], 0x8
	s_load_b64 s[8:9], s[0:1], 0x18
	s_load_b64 s[10:11], s[0:1], 0x28
	s_load_b128 s[12:15], s[0:1], 0x48
	s_load_b64 s[18:19], s[0:1], 0x58
	s_load_b64 s[16:17], s[0:1], 0x68
	v_cmp_ne_u32_e64 s3, 0, v0
	v_cmp_eq_u32_e64 s2, 0, v0
	s_delay_alu instid0(VALU_DEP_1)
	s_and_saveexec_b32 s20, s2
	s_cbranch_execz .LBB835_4
; %bb.1:
	s_mov_b32 s22, exec_lo
	s_mov_b32 s21, exec_lo
	v_mbcnt_lo_u32_b32 v1, s22, 0
                                        ; implicit-def: $vgpr2
	s_delay_alu instid0(VALU_DEP_1)
	v_cmpx_eq_u32_e32 0, v1
	s_cbranch_execz .LBB835_3
; %bb.2:
	s_load_b64 s[24:25], s[0:1], 0x78
	s_bcnt1_i32_b32 s22, s22
	s_delay_alu instid0(SALU_CYCLE_1)
	v_dual_mov_b32 v2, 0 :: v_dual_mov_b32 v3, s22
	s_waitcnt lgkmcnt(0)
	global_atomic_add_u32 v2, v2, v3, s[24:25] glc
.LBB835_3:
	s_or_b32 exec_lo, exec_lo, s21
	s_waitcnt vmcnt(0)
	v_readfirstlane_b32 s21, v2
	s_delay_alu instid0(VALU_DEP_1)
	v_dual_mov_b32 v2, 0 :: v_dual_add_nc_u32 v1, s21, v1
	ds_store_b32 v2, v1
.LBB835_4:
	s_or_b32 exec_lo, exec_lo, s20
	v_dual_mov_b32 v1, 0 :: v_dual_add_nc_u32 v18, 0x180, v0
	s_waitcnt lgkmcnt(0)
	s_barrier
	buffer_gl0_inv
	ds_load_b32 v2, v1
	s_waitcnt lgkmcnt(0)
	s_barrier
	buffer_gl0_inv
	global_load_b64 v[9:10], v1, s[14:15]
	s_load_b32 s0, s[0:1], 0x70
	s_lshl_b64 s[14:15], s[6:7], 2
	v_lshrrev_b32_e32 v16, 3, v0
	s_add_u32 s23, s4, s14
	s_addc_u32 s24, s5, s15
	v_add_nc_u32_e32 v17, 0x300, v0
	v_add_nc_u32_e32 v15, 0x480, v0
	v_or_b32_e32 v14, 0x600, v0
	v_add_nc_u32_e32 v13, 0x780, v0
	v_add_nc_u32_e32 v12, 0x900, v0
	;; [unrolled: 1-line block ×3, first 2 shown]
	v_readfirstlane_b32 s20, v2
	s_waitcnt lgkmcnt(0)
	s_mul_i32 s1, s0, 0xc00
	s_delay_alu instid0(SALU_CYCLE_1) | instskip(NEXT) | instid1(SALU_CYCLE_1)
	s_add_i32 s4, s1, s6
	s_sub_i32 s21, s18, s4
	s_add_i32 s4, s0, -1
	s_addk_i32 s21, 0xc00
	s_add_u32 s0, s6, s1
	s_addc_u32 s1, s7, 0
	s_cmp_eq_u32 s20, s4
	v_cmp_ge_u64_e64 s5, s[0:1], s[18:19]
	s_cselect_b32 s18, -1, 0
	s_mul_i32 s0, s20, 0xc00
	s_mov_b32 s1, 0
	s_delay_alu instid0(VALU_DEP_1)
	s_and_b32 s22, s5, s18
	s_lshl_b64 s[4:5], s[0:1], 2
	s_xor_b32 s19, s22, -1
	s_add_u32 s23, s23, s4
	s_addc_u32 s1, s24, s5
	s_and_b32 vcc_lo, exec_lo, s19
	s_mov_b32 s24, -1
	s_cbranch_vccz .LBB835_6
; %bb.5:
	v_lshlrev_b32_e32 v7, 2, v0
	v_lshrrev_b32_e32 v21, 3, v18
	v_lshrrev_b32_e32 v22, 3, v17
	;; [unrolled: 1-line block ×4, first 2 shown]
	v_add_co_u32 v1, s0, s23, v7
	s_delay_alu instid0(VALU_DEP_1) | instskip(SKIP_1) | instid1(VALU_DEP_3)
	v_add_co_ci_u32_e64 v2, null, s1, 0, s0
	v_lshrrev_b32_e32 v25, 3, v13
	v_add_co_u32 v3, vcc_lo, 0x1000, v1
	s_delay_alu instid0(VALU_DEP_3)
	v_add_co_ci_u32_e32 v4, vcc_lo, 0, v2, vcc_lo
	v_add_co_u32 v5, vcc_lo, 0x2000, v1
	v_add_co_ci_u32_e32 v6, vcc_lo, 0, v2, vcc_lo
	s_clause 0x7
	flat_load_b32 v8, v[1:2]
	flat_load_b32 v19, v[1:2] offset:1536
	flat_load_b32 v1, v[1:2] offset:3072
	;; [unrolled: 1-line block ×7, first 2 shown]
	v_and_b32_e32 v6, 60, v16
	v_lshrrev_b32_e32 v26, 3, v12
	v_lshrrev_b32_e32 v27, 3, v11
	v_and_b32_e32 v21, 0x7c, v21
	v_and_b32_e32 v22, 0xfc, v22
	;; [unrolled: 1-line block ×4, first 2 shown]
	v_add_nc_u32_e32 v6, v6, v7
	v_and_b32_e32 v25, 0x1fc, v25
	v_and_b32_e32 v26, 0x17c, v26
	;; [unrolled: 1-line block ×3, first 2 shown]
	v_add_nc_u32_e32 v21, v21, v7
	v_add_nc_u32_e32 v22, v22, v7
	v_add_nc_u32_e32 v23, v23, v7
	v_add_nc_u32_e32 v24, v24, v7
	s_mov_b32 s24, 0
	v_add_nc_u32_e32 v25, v25, v7
	v_add_nc_u32_e32 v26, v26, v7
	;; [unrolled: 1-line block ×3, first 2 shown]
	s_waitcnt vmcnt(7) lgkmcnt(7)
	ds_store_b32 v6, v8
	s_waitcnt vmcnt(6) lgkmcnt(7)
	ds_store_b32 v21, v19 offset:1536
	s_waitcnt vmcnt(5) lgkmcnt(7)
	ds_store_b32 v22, v1 offset:3072
	s_waitcnt vmcnt(4) lgkmcnt(7)
	ds_store_b32 v23, v2 offset:4608
	s_waitcnt vmcnt(3) lgkmcnt(7)
	ds_store_b32 v24, v20 offset:6144
	s_waitcnt vmcnt(2) lgkmcnt(7)
	ds_store_b32 v25, v3 offset:7680
	s_waitcnt vmcnt(1) lgkmcnt(7)
	ds_store_b32 v26, v4 offset:9216
	s_waitcnt vmcnt(0) lgkmcnt(7)
	ds_store_b32 v7, v5 offset:10752
	s_waitcnt lgkmcnt(0)
	s_barrier
.LBB835_6:
	v_cmp_gt_u32_e64 s0, s21, v0
	s_and_not1_b32 vcc_lo, exec_lo, s24
	s_cbranch_vccnz .LBB835_24
; %bb.7:
                                        ; implicit-def: $vgpr1_vgpr2_vgpr3_vgpr4_vgpr5_vgpr6_vgpr7_vgpr8
	s_delay_alu instid0(VALU_DEP_1)
	s_and_saveexec_b32 s24, s0
	s_cbranch_execz .LBB835_15
; %bb.8:
	v_lshlrev_b32_e32 v1, 2, v0
	s_delay_alu instid0(VALU_DEP_1) | instskip(NEXT) | instid1(VALU_DEP_1)
	v_add_co_u32 v1, s0, s23, v1
	v_add_co_ci_u32_e64 v2, null, s1, 0, s0
	flat_load_b32 v1, v[1:2]
	s_or_b32 exec_lo, exec_lo, s24
	s_delay_alu instid0(SALU_CYCLE_1)
	s_mov_b32 s0, exec_lo
	v_cmpx_gt_u32_e64 s21, v18
	s_cbranch_execnz .LBB835_16
.LBB835_9:
	s_or_b32 exec_lo, exec_lo, s0
	s_delay_alu instid0(SALU_CYCLE_1)
	s_mov_b32 s0, exec_lo
	v_cmpx_gt_u32_e64 s21, v17
	s_cbranch_execz .LBB835_17
.LBB835_10:
	v_lshlrev_b32_e32 v3, 2, v0
	s_delay_alu instid0(VALU_DEP_1) | instskip(NEXT) | instid1(VALU_DEP_1)
	v_add_co_u32 v19, s24, s23, v3
	v_add_co_ci_u32_e64 v20, null, s1, 0, s24
	flat_load_b32 v3, v[19:20] offset:3072
	s_or_b32 exec_lo, exec_lo, s0
	s_delay_alu instid0(SALU_CYCLE_1)
	s_mov_b32 s0, exec_lo
	v_cmpx_gt_u32_e64 s21, v15
	s_cbranch_execnz .LBB835_18
.LBB835_11:
	s_or_b32 exec_lo, exec_lo, s0
	s_delay_alu instid0(SALU_CYCLE_1)
	s_mov_b32 s0, exec_lo
	v_cmpx_gt_u32_e64 s21, v14
	s_cbranch_execz .LBB835_19
.LBB835_12:
	v_lshlrev_b32_e32 v5, 2, v14
	s_delay_alu instid0(VALU_DEP_1) | instskip(NEXT) | instid1(VALU_DEP_1)
	v_add_co_u32 v19, s24, s23, v5
	v_add_co_ci_u32_e64 v20, null, s1, 0, s24
	flat_load_b32 v5, v[19:20]
	s_or_b32 exec_lo, exec_lo, s0
	s_delay_alu instid0(SALU_CYCLE_1)
	s_mov_b32 s0, exec_lo
	v_cmpx_gt_u32_e64 s21, v13
	s_cbranch_execnz .LBB835_20
.LBB835_13:
	s_or_b32 exec_lo, exec_lo, s0
	s_delay_alu instid0(SALU_CYCLE_1)
	s_mov_b32 s0, exec_lo
	v_cmpx_gt_u32_e64 s21, v12
	s_cbranch_execz .LBB835_21
.LBB835_14:
	v_lshlrev_b32_e32 v7, 2, v12
	s_delay_alu instid0(VALU_DEP_1) | instskip(NEXT) | instid1(VALU_DEP_1)
	v_add_co_u32 v19, s24, s23, v7
	v_add_co_ci_u32_e64 v20, null, s1, 0, s24
	flat_load_b32 v7, v[19:20]
	s_or_b32 exec_lo, exec_lo, s0
	s_delay_alu instid0(SALU_CYCLE_1)
	s_mov_b32 s0, exec_lo
	v_cmpx_gt_u32_e64 s21, v11
	s_cbranch_execnz .LBB835_22
	s_branch .LBB835_23
.LBB835_15:
	s_or_b32 exec_lo, exec_lo, s24
	s_delay_alu instid0(SALU_CYCLE_1)
	s_mov_b32 s0, exec_lo
	v_cmpx_gt_u32_e64 s21, v18
	s_cbranch_execz .LBB835_9
.LBB835_16:
	v_lshlrev_b32_e32 v2, 2, v0
	s_delay_alu instid0(VALU_DEP_1) | instskip(NEXT) | instid1(VALU_DEP_1)
	v_add_co_u32 v19, s24, s23, v2
	v_add_co_ci_u32_e64 v20, null, s1, 0, s24
	flat_load_b32 v2, v[19:20] offset:1536
	s_or_b32 exec_lo, exec_lo, s0
	s_delay_alu instid0(SALU_CYCLE_1)
	s_mov_b32 s0, exec_lo
	v_cmpx_gt_u32_e64 s21, v17
	s_cbranch_execnz .LBB835_10
.LBB835_17:
	s_or_b32 exec_lo, exec_lo, s0
	s_delay_alu instid0(SALU_CYCLE_1)
	s_mov_b32 s0, exec_lo
	v_cmpx_gt_u32_e64 s21, v15
	s_cbranch_execz .LBB835_11
.LBB835_18:
	v_lshlrev_b32_e32 v4, 2, v15
	s_delay_alu instid0(VALU_DEP_1) | instskip(NEXT) | instid1(VALU_DEP_1)
	v_add_co_u32 v19, s24, s23, v4
	v_add_co_ci_u32_e64 v20, null, s1, 0, s24
	flat_load_b32 v4, v[19:20]
	s_or_b32 exec_lo, exec_lo, s0
	s_delay_alu instid0(SALU_CYCLE_1)
	s_mov_b32 s0, exec_lo
	v_cmpx_gt_u32_e64 s21, v14
	s_cbranch_execnz .LBB835_12
.LBB835_19:
	s_or_b32 exec_lo, exec_lo, s0
	s_delay_alu instid0(SALU_CYCLE_1)
	s_mov_b32 s0, exec_lo
	v_cmpx_gt_u32_e64 s21, v13
	s_cbranch_execz .LBB835_13
.LBB835_20:
	v_lshlrev_b32_e32 v6, 2, v13
	s_delay_alu instid0(VALU_DEP_1) | instskip(NEXT) | instid1(VALU_DEP_1)
	v_add_co_u32 v19, s24, s23, v6
	v_add_co_ci_u32_e64 v20, null, s1, 0, s24
	flat_load_b32 v6, v[19:20]
	s_or_b32 exec_lo, exec_lo, s0
	s_delay_alu instid0(SALU_CYCLE_1)
	s_mov_b32 s0, exec_lo
	v_cmpx_gt_u32_e64 s21, v12
	s_cbranch_execnz .LBB835_14
.LBB835_21:
	s_or_b32 exec_lo, exec_lo, s0
	s_delay_alu instid0(SALU_CYCLE_1)
	s_mov_b32 s0, exec_lo
	v_cmpx_gt_u32_e64 s21, v11
	s_cbranch_execz .LBB835_23
.LBB835_22:
	v_lshlrev_b32_e32 v8, 2, v11
	s_delay_alu instid0(VALU_DEP_1) | instskip(NEXT) | instid1(VALU_DEP_1)
	v_add_co_u32 v19, s24, s23, v8
	v_add_co_ci_u32_e64 v20, null, s1, 0, s24
	flat_load_b32 v8, v[19:20]
.LBB835_23:
	s_or_b32 exec_lo, exec_lo, s0
	v_lshrrev_b32_e32 v19, 3, v18
	v_lshrrev_b32_e32 v20, 3, v17
	;; [unrolled: 1-line block ×4, first 2 shown]
	v_and_b32_e32 v21, 60, v16
	v_lshlrev_b32_e32 v22, 2, v0
	v_lshrrev_b32_e32 v25, 3, v13
	v_lshrrev_b32_e32 v26, 3, v12
	;; [unrolled: 1-line block ×3, first 2 shown]
	v_and_b32_e32 v19, 0x7c, v19
	v_and_b32_e32 v20, 0xfc, v20
	;; [unrolled: 1-line block ×4, first 2 shown]
	v_add_nc_u32_e32 v21, v21, v22
	v_and_b32_e32 v25, 0x1fc, v25
	v_and_b32_e32 v26, 0x1fc, v26
	;; [unrolled: 1-line block ×3, first 2 shown]
	v_add_nc_u32_e32 v19, v19, v22
	v_add_nc_u32_e32 v20, v20, v22
	;; [unrolled: 1-line block ×7, first 2 shown]
	s_waitcnt vmcnt(0) lgkmcnt(0)
	ds_store_b32 v21, v1
	ds_store_b32 v19, v2 offset:1536
	ds_store_b32 v20, v3 offset:3072
	;; [unrolled: 1-line block ×7, first 2 shown]
	s_waitcnt lgkmcnt(0)
	s_barrier
.LBB835_24:
	v_lshlrev_b32_e32 v21, 3, v0
	v_lshrrev_b32_e32 v1, 2, v0
	s_waitcnt vmcnt(0)
	buffer_gl0_inv
	s_add_u32 s0, s8, s14
	s_addc_u32 s8, s9, s15
	s_add_u32 s0, s0, s4
	v_add_lshl_u32 v19, v1, v21, 2
	s_addc_u32 s4, s8, s5
	s_and_b32 vcc_lo, exec_lo, s19
	s_mov_b32 s5, -1
	ds_load_2addr_b32 v[7:8], v19 offset1:1
	ds_load_2addr_b32 v[5:6], v19 offset0:2 offset1:3
	ds_load_2addr_b32 v[3:4], v19 offset0:4 offset1:5
	;; [unrolled: 1-line block ×3, first 2 shown]
	s_waitcnt lgkmcnt(0)
	s_barrier
	buffer_gl0_inv
	s_cbranch_vccz .LBB835_26
; %bb.25:
	v_lshlrev_b32_e32 v20, 2, v0
	v_lshrrev_b32_e32 v31, 3, v18
	v_lshrrev_b32_e32 v32, 3, v17
	;; [unrolled: 1-line block ×4, first 2 shown]
	v_add_co_u32 v22, s5, s0, v20
	s_delay_alu instid0(VALU_DEP_1) | instskip(SKIP_1) | instid1(VALU_DEP_3)
	v_add_co_ci_u32_e64 v23, null, s4, 0, s5
	v_lshrrev_b32_e32 v35, 3, v13
	v_add_co_u32 v24, vcc_lo, 0x1000, v22
	s_delay_alu instid0(VALU_DEP_3)
	v_add_co_ci_u32_e32 v25, vcc_lo, 0, v23, vcc_lo
	v_add_co_u32 v26, vcc_lo, 0x2000, v22
	v_add_co_ci_u32_e32 v27, vcc_lo, 0, v23, vcc_lo
	s_clause 0x7
	flat_load_b32 v28, v[22:23]
	flat_load_b32 v29, v[22:23] offset:1536
	flat_load_b32 v22, v[22:23] offset:3072
	;; [unrolled: 1-line block ×7, first 2 shown]
	v_and_b32_e32 v27, 60, v16
	v_lshrrev_b32_e32 v36, 3, v12
	v_lshrrev_b32_e32 v37, 3, v11
	v_and_b32_e32 v31, 0x7c, v31
	v_and_b32_e32 v32, 0xfc, v32
	;; [unrolled: 1-line block ×4, first 2 shown]
	v_add_nc_u32_e32 v27, v27, v20
	v_and_b32_e32 v35, 0x1fc, v35
	v_and_b32_e32 v36, 0x17c, v36
	;; [unrolled: 1-line block ×3, first 2 shown]
	v_add_nc_u32_e32 v31, v31, v20
	v_add_nc_u32_e32 v32, v32, v20
	;; [unrolled: 1-line block ×4, first 2 shown]
	s_mov_b32 s5, 0
	v_add_nc_u32_e32 v35, v35, v20
	v_add_nc_u32_e32 v36, v36, v20
	;; [unrolled: 1-line block ×3, first 2 shown]
	s_waitcnt vmcnt(7) lgkmcnt(7)
	ds_store_b32 v27, v28
	s_waitcnt vmcnt(6) lgkmcnt(7)
	ds_store_b32 v31, v29 offset:1536
	s_waitcnt vmcnt(5) lgkmcnt(7)
	ds_store_b32 v32, v22 offset:3072
	;; [unrolled: 2-line block ×7, first 2 shown]
	s_waitcnt lgkmcnt(0)
	s_barrier
.LBB835_26:
	s_and_not1_b32 vcc_lo, exec_lo, s5
	s_cbranch_vccnz .LBB835_44
; %bb.27:
	s_mov_b32 s5, exec_lo
                                        ; implicit-def: $vgpr20
	v_cmpx_gt_u32_e64 s21, v0
	s_cbranch_execz .LBB835_29
; %bb.28:
	v_lshlrev_b32_e32 v20, 2, v0
	s_delay_alu instid0(VALU_DEP_1) | instskip(NEXT) | instid1(VALU_DEP_1)
	v_add_co_u32 v22, s8, s0, v20
	v_add_co_ci_u32_e64 v23, null, s4, 0, s8
	flat_load_b32 v20, v[22:23]
.LBB835_29:
	s_or_b32 exec_lo, exec_lo, s5
	s_delay_alu instid0(SALU_CYCLE_1)
	s_mov_b32 s5, exec_lo
                                        ; implicit-def: $vgpr22
	v_cmpx_gt_u32_e64 s21, v18
	s_cbranch_execz .LBB835_31
; %bb.30:
	v_lshlrev_b32_e32 v22, 2, v0
	s_delay_alu instid0(VALU_DEP_1) | instskip(NEXT) | instid1(VALU_DEP_1)
	v_add_co_u32 v22, s8, s0, v22
	v_add_co_ci_u32_e64 v23, null, s4, 0, s8
	flat_load_b32 v22, v[22:23] offset:1536
.LBB835_31:
	s_or_b32 exec_lo, exec_lo, s5
	s_delay_alu instid0(SALU_CYCLE_1)
	s_mov_b32 s5, exec_lo
                                        ; implicit-def: $vgpr23
	v_cmpx_gt_u32_e64 s21, v17
	s_cbranch_execz .LBB835_33
; %bb.32:
	v_lshlrev_b32_e32 v23, 2, v0
	s_delay_alu instid0(VALU_DEP_1) | instskip(NEXT) | instid1(VALU_DEP_1)
	v_add_co_u32 v23, s8, s0, v23
	v_add_co_ci_u32_e64 v24, null, s4, 0, s8
	flat_load_b32 v23, v[23:24] offset:3072
.LBB835_33:
	s_or_b32 exec_lo, exec_lo, s5
	s_delay_alu instid0(SALU_CYCLE_1)
	s_mov_b32 s5, exec_lo
                                        ; implicit-def: $vgpr24
	v_cmpx_gt_u32_e64 s21, v15
	s_cbranch_execz .LBB835_35
; %bb.34:
	v_lshlrev_b32_e32 v24, 2, v15
	s_delay_alu instid0(VALU_DEP_1) | instskip(NEXT) | instid1(VALU_DEP_1)
	v_add_co_u32 v24, s8, s0, v24
	v_add_co_ci_u32_e64 v25, null, s4, 0, s8
	flat_load_b32 v24, v[24:25]
.LBB835_35:
	s_or_b32 exec_lo, exec_lo, s5
	s_delay_alu instid0(SALU_CYCLE_1)
	s_mov_b32 s5, exec_lo
                                        ; implicit-def: $vgpr25
	v_cmpx_gt_u32_e64 s21, v14
	s_cbranch_execz .LBB835_37
; %bb.36:
	v_lshlrev_b32_e32 v25, 2, v14
	s_delay_alu instid0(VALU_DEP_1) | instskip(NEXT) | instid1(VALU_DEP_1)
	v_add_co_u32 v25, s8, s0, v25
	v_add_co_ci_u32_e64 v26, null, s4, 0, s8
	flat_load_b32 v25, v[25:26]
.LBB835_37:
	s_or_b32 exec_lo, exec_lo, s5
	s_delay_alu instid0(SALU_CYCLE_1)
	s_mov_b32 s5, exec_lo
                                        ; implicit-def: $vgpr26
	v_cmpx_gt_u32_e64 s21, v13
	s_cbranch_execz .LBB835_39
; %bb.38:
	v_lshlrev_b32_e32 v26, 2, v13
	s_delay_alu instid0(VALU_DEP_1) | instskip(NEXT) | instid1(VALU_DEP_1)
	v_add_co_u32 v26, s8, s0, v26
	v_add_co_ci_u32_e64 v27, null, s4, 0, s8
	flat_load_b32 v26, v[26:27]
.LBB835_39:
	s_or_b32 exec_lo, exec_lo, s5
	s_delay_alu instid0(SALU_CYCLE_1)
	s_mov_b32 s5, exec_lo
                                        ; implicit-def: $vgpr27
	v_cmpx_gt_u32_e64 s21, v12
	s_cbranch_execz .LBB835_41
; %bb.40:
	v_lshlrev_b32_e32 v27, 2, v12
	s_delay_alu instid0(VALU_DEP_1) | instskip(NEXT) | instid1(VALU_DEP_1)
	v_add_co_u32 v27, s8, s0, v27
	v_add_co_ci_u32_e64 v28, null, s4, 0, s8
	flat_load_b32 v27, v[27:28]
.LBB835_41:
	s_or_b32 exec_lo, exec_lo, s5
	s_delay_alu instid0(SALU_CYCLE_1)
	s_mov_b32 s5, exec_lo
                                        ; implicit-def: $vgpr28
	v_cmpx_gt_u32_e64 s21, v11
	s_cbranch_execz .LBB835_43
; %bb.42:
	v_lshlrev_b32_e32 v28, 2, v11
	s_delay_alu instid0(VALU_DEP_1) | instskip(NEXT) | instid1(VALU_DEP_1)
	v_add_co_u32 v28, s0, s0, v28
	v_add_co_ci_u32_e64 v29, null, s4, 0, s0
	flat_load_b32 v28, v[28:29]
.LBB835_43:
	s_or_b32 exec_lo, exec_lo, s5
	v_lshrrev_b32_e32 v18, 3, v18
	v_lshrrev_b32_e32 v17, 3, v17
	;; [unrolled: 1-line block ×4, first 2 shown]
	v_and_b32_e32 v16, 60, v16
	v_lshlrev_b32_e32 v29, 2, v0
	v_lshrrev_b32_e32 v13, 3, v13
	v_lshrrev_b32_e32 v12, 3, v12
	;; [unrolled: 1-line block ×3, first 2 shown]
	v_and_b32_e32 v18, 0x7c, v18
	v_and_b32_e32 v17, 0xfc, v17
	;; [unrolled: 1-line block ×4, first 2 shown]
	v_add_nc_u32_e32 v16, v16, v29
	v_and_b32_e32 v13, 0x1fc, v13
	v_and_b32_e32 v12, 0x1fc, v12
	;; [unrolled: 1-line block ×3, first 2 shown]
	v_add_nc_u32_e32 v18, v18, v29
	v_add_nc_u32_e32 v17, v17, v29
	;; [unrolled: 1-line block ×7, first 2 shown]
	s_waitcnt vmcnt(0) lgkmcnt(0)
	ds_store_b32 v16, v20
	ds_store_b32 v18, v22 offset:1536
	ds_store_b32 v17, v23 offset:3072
	;; [unrolled: 1-line block ×7, first 2 shown]
	s_waitcnt lgkmcnt(0)
	s_barrier
.LBB835_44:
	buffer_gl0_inv
	ds_load_2addr_b32 v[17:18], v19 offset1:1
	ds_load_2addr_b32 v[15:16], v19 offset0:2 offset1:3
	ds_load_2addr_b32 v[13:14], v19 offset0:4 offset1:5
	;; [unrolled: 1-line block ×3, first 2 shown]
	s_cmp_lg_u32 s20, 0
	s_mov_b32 s14, 0
	s_cselect_b32 s9, -1, 0
	s_cmp_lg_u64 s[6:7], 0
	s_waitcnt lgkmcnt(0)
	s_cselect_b32 s0, -1, 0
	s_barrier
	s_or_b32 s0, s0, s9
	buffer_gl0_inv
	s_and_b32 vcc_lo, exec_lo, s0
	s_cbranch_vccz .LBB835_49
; %bb.45:
	v_add_co_u32 v19, s0, -4, s23
	s_delay_alu instid0(VALU_DEP_1)
	v_add_co_ci_u32_e64 v20, null, -1, s1, s0
	v_lshlrev_b32_e32 v23, 2, v0
	s_mov_b32 s1, -1
	s_and_b32 vcc_lo, exec_lo, s19
	flat_load_b32 v22, v[19:20]
	ds_store_b32 v23, v2
	s_cbranch_vccz .LBB835_50
; %bb.46:
	s_waitcnt vmcnt(0) lgkmcnt(1)
	v_mov_b32_e32 v19, v22
	s_waitcnt lgkmcnt(0)
	s_barrier
	buffer_gl0_inv
	s_and_saveexec_b32 s0, s3
	s_cbranch_execz .LBB835_48
; %bb.47:
	v_add_nc_u32_e32 v19, -4, v23
	ds_load_b32 v19, v19
.LBB835_48:
	s_or_b32 exec_lo, exec_lo, s0
	v_cmp_ne_u32_e32 vcc_lo, v1, v2
	s_waitcnt lgkmcnt(0)
	v_cmp_ne_u32_e64 s0, v19, v7
	v_cndmask_b32_e64 v20, 0, 1, vcc_lo
	v_cmp_ne_u32_e32 vcc_lo, v4, v1
	s_delay_alu instid0(VALU_DEP_2) | instskip(SKIP_2) | instid1(VALU_DEP_2)
	v_lshlrev_b16 v20, 8, v20
	v_cndmask_b32_e64 v24, 0, 1, vcc_lo
	v_cmp_ne_u32_e32 vcc_lo, v3, v4
	v_or_b32_e32 v20, v24, v20
	v_cndmask_b32_e64 v25, 0, 1, vcc_lo
	v_cmp_ne_u32_e32 vcc_lo, v5, v6
	s_delay_alu instid0(VALU_DEP_3) | instskip(NEXT) | instid1(VALU_DEP_3)
	v_lshlrev_b32_e32 v20, 16, v20
	v_lshlrev_b16 v25, 8, v25
	v_cndmask_b32_e64 v26, 0, 1, vcc_lo
	v_cmp_ne_u32_e32 vcc_lo, v6, v3
	s_delay_alu instid0(VALU_DEP_2) | instskip(SKIP_2) | instid1(VALU_DEP_2)
	v_lshlrev_b16 v26, 8, v26
	v_cndmask_b32_e64 v27, 0, 1, vcc_lo
	v_cmp_ne_u32_e32 vcc_lo, v8, v5
	v_or_b32_e32 v25, v27, v25
	v_cndmask_b32_e64 v28, 0, 1, vcc_lo
	v_cmp_ne_u32_e32 vcc_lo, v7, v8
	s_delay_alu instid0(VALU_DEP_3) | instskip(NEXT) | instid1(VALU_DEP_3)
	v_and_b32_e32 v25, 0xffff, v25
	v_or_b32_e32 v26, v28, v26
	v_cndmask_b32_e64 v29, 0, 1, vcc_lo
	s_delay_alu instid0(VALU_DEP_3) | instskip(NEXT) | instid1(VALU_DEP_3)
	v_or_b32_e32 v20, v25, v20
	v_lshlrev_b32_e32 v24, 16, v26
	s_delay_alu instid0(VALU_DEP_3) | instskip(NEXT) | instid1(VALU_DEP_1)
	v_lshlrev_b16 v28, 8, v29
	v_and_b32_e32 v26, 0xffff, v28
	s_delay_alu instid0(VALU_DEP_1)
	v_or_b32_e32 v19, v26, v24
	s_branch .LBB835_54
.LBB835_49:
                                        ; implicit-def: $sgpr0
                                        ; implicit-def: $vgpr20
	s_branch .LBB835_55
.LBB835_50:
                                        ; implicit-def: $sgpr0
                                        ; implicit-def: $vgpr20
	s_and_b32 vcc_lo, exec_lo, s1
	s_cbranch_vccz .LBB835_54
; %bb.51:
	s_waitcnt vmcnt(0) lgkmcnt(0)
	s_barrier
	buffer_gl0_inv
	s_and_saveexec_b32 s0, s3
	s_cbranch_execz .LBB835_53
; %bb.52:
	v_add_nc_u32_e32 v19, -4, v23
	ds_load_b32 v22, v19
.LBB835_53:
	s_or_b32 exec_lo, exec_lo, s0
	v_or_b32_e32 v19, 7, v21
	v_or_b32_e32 v20, 6, v21
	;; [unrolled: 1-line block ×3, first 2 shown]
	v_cmp_ne_u32_e32 vcc_lo, v1, v2
	v_cmp_ne_u32_e64 s1, v4, v1
	v_cmp_gt_u32_e64 s0, s21, v19
	v_cmp_gt_u32_e64 s5, s21, v20
	v_cmp_ne_u32_e64 s4, v3, v4
	v_cmp_gt_u32_e64 s6, s21, v23
	v_or_b32_e32 v20, 3, v21
	s_and_b32 s0, s0, vcc_lo
	v_or_b32_e32 v24, 4, v21
	v_cndmask_b32_e64 v19, 0, 1, s0
	s_and_b32 s0, s5, s1
	v_cmp_gt_u32_e32 vcc_lo, s21, v20
	v_cndmask_b32_e64 v23, 0, 1, s0
	s_and_b32 s0, s6, s4
	v_or_b32_e32 v20, 2, v21
	v_cndmask_b32_e64 v25, 0, 1, s0
	v_cmp_ne_u32_e64 s0, v5, v6
	v_cmp_gt_u32_e64 s1, s21, v24
	v_or_b32_e32 v24, 1, v21
	v_cmp_ne_u32_e64 s4, v6, v3
	v_cmp_ne_u32_e64 s6, v7, v8
	s_and_b32 s0, vcc_lo, s0
	v_cmp_gt_u32_e32 vcc_lo, s21, v20
	v_cndmask_b32_e64 v26, 0, 1, s0
	v_cmp_ne_u32_e64 s0, v8, v5
	v_cmp_gt_u32_e64 s5, s21, v24
	s_and_b32 s1, s1, s4
	v_lshlrev_b16 v25, 8, v25
	v_cndmask_b32_e64 v20, 0, 1, s1
	s_and_b32 s0, vcc_lo, s0
	v_lshlrev_b16 v26, 8, v26
	v_cndmask_b32_e64 v24, 0, 1, s0
	s_and_b32 s0, s5, s6
	v_lshlrev_b16 v19, 8, v19
	v_cndmask_b32_e64 v27, 0, 1, s0
	v_or_b32_e32 v20, v20, v25
	v_or_b32_e32 v24, v24, v26
	v_cmp_gt_u32_e32 vcc_lo, s21, v21
	v_or_b32_e32 v19, v23, v19
	v_lshlrev_b16 v26, 8, v27
	v_and_b32_e32 v20, 0xffff, v20
	v_lshlrev_b32_e32 v23, 16, v24
	s_waitcnt lgkmcnt(0)
	v_cmp_ne_u32_e64 s0, v22, v7
	v_lshlrev_b32_e32 v25, 16, v19
	v_and_b32_e32 v24, 0xffff, v26
	s_delay_alu instid0(VALU_DEP_3) | instskip(NEXT) | instid1(VALU_DEP_2)
	s_and_b32 s0, vcc_lo, s0
	v_or_b32_e32 v20, v20, v25
	s_delay_alu instid0(VALU_DEP_2)
	v_or_b32_e32 v19, v24, v23
.LBB835_54:
	s_mov_b32 s14, -1
	s_cbranch_execnz .LBB835_63
.LBB835_55:
	s_waitcnt vmcnt(0) lgkmcnt(1)
	v_lshlrev_b32_e32 v22, 2, v0
	v_cmp_ne_u32_e64 s1, v1, v2
	v_cmp_ne_u32_e64 s4, v4, v1
	;; [unrolled: 1-line block ×7, first 2 shown]
	s_and_b32 vcc_lo, exec_lo, s19
	ds_store_b32 v22, v2
	s_cbranch_vccz .LBB835_59
; %bb.56:
	v_cndmask_b32_e64 v19, 0, 1, s1
	v_cndmask_b32_e64 v23, 0, 1, s5
	;; [unrolled: 1-line block ×7, first 2 shown]
	v_lshlrev_b16 v23, 8, v23
	v_lshlrev_b16 v19, 8, v19
	;; [unrolled: 1-line block ×4, first 2 shown]
	s_waitcnt lgkmcnt(0)
	v_or_b32_e32 v23, v24, v23
	v_or_b32_e32 v19, v20, v19
	;; [unrolled: 1-line block ×4, first 2 shown]
	s_barrier
	v_and_b32_e32 v23, 0xffff, v23
	v_lshlrev_b32_e32 v19, 16, v19
	v_lshlrev_b32_e32 v25, 16, v20
	v_and_b32_e32 v24, 0xffff, v24
	buffer_gl0_inv
                                        ; implicit-def: $sgpr0
	v_or_b32_e32 v20, v23, v19
	v_or_b32_e32 v19, v24, v25
	s_and_saveexec_b32 s1, s3
	s_delay_alu instid0(SALU_CYCLE_1)
	s_xor_b32 s1, exec_lo, s1
	s_cbranch_execz .LBB835_58
; %bb.57:
	v_add_nc_u32_e32 v23, -4, v22
	s_or_b32 s14, s14, exec_lo
	ds_load_b32 v23, v23
	s_waitcnt lgkmcnt(0)
	v_cmp_ne_u32_e32 vcc_lo, v23, v7
	s_and_b32 s0, vcc_lo, exec_lo
.LBB835_58:
	s_or_b32 exec_lo, exec_lo, s1
	s_branch .LBB835_63
.LBB835_59:
                                        ; implicit-def: $sgpr0
                                        ; implicit-def: $vgpr20
	s_cbranch_execz .LBB835_63
; %bb.60:
	v_or_b32_e32 v19, 7, v21
	v_or_b32_e32 v20, 6, v21
	v_cmp_ne_u32_e32 vcc_lo, v1, v2
	v_cmp_ne_u32_e64 s1, v4, v1
	v_or_b32_e32 v23, 5, v21
	v_cmp_gt_u32_e64 s0, s21, v19
	v_cmp_gt_u32_e64 s4, s21, v20
	v_or_b32_e32 v19, 4, v21
	v_or_b32_e32 v24, 3, v21
	v_cmp_gt_u32_e64 s5, s21, v23
	s_and_b32 s0, s0, vcc_lo
	v_cmp_ne_u32_e32 vcc_lo, v3, v4
	v_cndmask_b32_e64 v20, 0, 1, s0
	s_and_b32 s0, s4, s1
	v_cmp_ne_u32_e64 s1, v6, v3
	v_cndmask_b32_e64 v23, 0, 1, s0
	v_cmp_gt_u32_e64 s0, s21, v19
	v_or_b32_e32 v25, 1, v21
	s_and_b32 s4, s5, vcc_lo
	v_cmp_gt_u32_e32 vcc_lo, s21, v24
	v_cndmask_b32_e64 v19, 0, 1, s4
	s_and_b32 s0, s0, s1
	v_or_b32_e32 v27, 2, v21
	v_cndmask_b32_e64 v26, 0, 1, s0
	v_cmp_ne_u32_e64 s0, v5, v6
	v_cmp_gt_u32_e64 s1, s21, v25
	v_cmp_ne_u32_e64 s4, v7, v8
	v_cmp_gt_u32_e64 s5, s21, v27
	v_cmp_ne_u32_e64 s6, v8, v5
	s_and_b32 s0, vcc_lo, s0
	v_lshlrev_b16 v19, 8, v19
	v_cndmask_b32_e64 v24, 0, 1, s0
	s_and_b32 s0, s1, s4
	v_lshlrev_b16 v20, 8, v20
	v_cndmask_b32_e64 v25, 0, 1, s0
	s_and_b32 s0, s5, s6
	v_lshlrev_b16 v24, 8, v24
	v_cndmask_b32_e64 v27, 0, 1, s0
	v_or_b32_e32 v19, v26, v19
	v_lshlrev_b16 v25, 8, v25
	v_or_b32_e32 v20, v23, v20
	s_waitcnt lgkmcnt(0)
	v_or_b32_e32 v23, v27, v24
	v_and_b32_e32 v19, 0xffff, v19
	v_or_b32_e32 v24, 1, v25
	v_lshlrev_b32_e32 v20, 16, v20
	s_barrier
	v_lshlrev_b32_e32 v23, 16, v23
	buffer_gl0_inv
	v_and_b32_e32 v24, 0xffff, v24
	v_or_b32_e32 v20, v19, v20
                                        ; implicit-def: $sgpr0
	s_delay_alu instid0(VALU_DEP_2)
	v_or_b32_e32 v19, v24, v23
	s_and_saveexec_b32 s1, s3
	s_cbranch_execz .LBB835_62
; %bb.61:
	v_add_nc_u32_e32 v22, -4, v22
	v_cmp_gt_u32_e32 vcc_lo, s21, v21
	s_or_b32 s14, s14, exec_lo
	ds_load_b32 v22, v22
	s_waitcnt lgkmcnt(0)
	v_cmp_ne_u32_e64 s0, v22, v7
	s_delay_alu instid0(VALU_DEP_1) | instskip(NEXT) | instid1(SALU_CYCLE_1)
	s_and_b32 s0, vcc_lo, s0
	s_and_b32 s0, s0, exec_lo
.LBB835_62:
	s_or_b32 exec_lo, exec_lo, s1
.LBB835_63:
	s_and_saveexec_b32 s1, s14
	s_cbranch_execz .LBB835_65
; %bb.64:
	s_waitcnt vmcnt(0) lgkmcnt(1)
	v_and_b32_e32 v22, 0xffffff00, v19
	v_cndmask_b32_e64 v23, 0, 1, s0
	s_delay_alu instid0(VALU_DEP_1) | instskip(NEXT) | instid1(VALU_DEP_1)
	v_or_b32_e32 v22, v23, v22
	v_and_b32_e32 v22, 0xffff, v22
	s_delay_alu instid0(VALU_DEP_1)
	v_and_or_b32 v19, 0xffff0000, v19, v22
.LBB835_65:
	s_or_b32 exec_lo, exec_lo, s1
	s_delay_alu instid0(SALU_CYCLE_1)
	s_and_not1_b32 vcc_lo, exec_lo, s22
	s_cbranch_vccnz .LBB835_67
; %bb.66:
	v_cmp_gt_u32_e32 vcc_lo, s21, v21
	v_or_b32_e32 v23, 1, v21
	v_and_b32_e32 v24, 0xffffff00, v20
	v_or_b32_e32 v25, 2, v21
	s_waitcnt vmcnt(0) lgkmcnt(1)
	v_cndmask_b32_e32 v22, 0, v19, vcc_lo
	v_cmp_gt_u32_e32 vcc_lo, s21, v23
	v_or_b32_e32 v23, 4, v21
	v_cmp_gt_u32_e64 s0, s21, v25
	v_or_b32_e32 v25, 3, v21
	v_and_b32_e32 v22, 0xff, v22
	s_delay_alu instid0(VALU_DEP_2) | instskip(NEXT) | instid1(VALU_DEP_2)
	v_cmp_gt_u32_e64 s1, s21, v25
	v_cndmask_b32_e32 v22, v22, v19, vcc_lo
	v_cmp_gt_u32_e32 vcc_lo, s21, v23
	s_delay_alu instid0(VALU_DEP_2) | instskip(SKIP_1) | instid1(VALU_DEP_2)
	v_dual_cndmask_b32 v23, v24, v20 :: v_dual_and_b32 v22, 0xffff, v22
	v_or_b32_e32 v24, 5, v21
	v_cndmask_b32_e64 v22, v22, v19, s0
	s_delay_alu instid0(VALU_DEP_3) | instskip(NEXT) | instid1(VALU_DEP_3)
	v_and_b32_e32 v23, 0xffff00ff, v23
	v_cmp_gt_u32_e64 s0, s21, v24
	v_or_b32_e32 v24, 6, v21
	v_or_b32_e32 v21, 7, v21
	v_and_b32_e32 v22, 0xffffff, v22
	s_delay_alu instid0(VALU_DEP_4) | instskip(NEXT) | instid1(VALU_DEP_2)
	v_cndmask_b32_e64 v23, v23, v20, s0
	v_cndmask_b32_e64 v22, v22, v19, s1
	s_delay_alu instid0(VALU_DEP_2) | instskip(NEXT) | instid1(VALU_DEP_2)
	v_and_b32_e32 v23, 0xff00ffff, v23
	v_cndmask_b32_e32 v22, v22, v19, vcc_lo
	v_cmp_gt_u32_e32 vcc_lo, s21, v24
	s_delay_alu instid0(VALU_DEP_2) | instskip(NEXT) | instid1(VALU_DEP_1)
	v_cndmask_b32_e64 v22, v22, v19, s0
	v_dual_cndmask_b32 v23, v23, v20 :: v_dual_cndmask_b32 v22, v22, v19
	s_delay_alu instid0(VALU_DEP_1) | instskip(SKIP_1) | instid1(VALU_DEP_2)
	v_and_b32_e32 v23, 0xffffff, v23
	v_cmp_gt_u32_e32 vcc_lo, s21, v21
	v_dual_cndmask_b32 v20, v23, v20 :: v_dual_cndmask_b32 v19, v22, v19
.LBB835_67:
	s_delay_alu instid0(VALU_DEP_1) | instskip(NEXT) | instid1(VALU_DEP_2)
	v_and_b32_e32 v30, 0xff, v19
	v_alignbit_b32 v21, v20, v19, 24
	v_bfe_u32 v32, v19, 8, 8
	v_bfe_u32 v34, v19, 16, 8
	v_and_b32_e32 v38, 0xff, v20
	v_bfe_u32 v40, v20, 8, 8
	v_and_b32_e32 v36, 0xff, v21
	v_add_nc_u32_e32 v21, v32, v30
	s_waitcnt vmcnt(0) lgkmcnt(1)
	v_and_b32_e32 v22, 0x1e0, v0
	v_mbcnt_lo_u32_b32 v43, -1, 0
	v_bfe_u32 v42, v20, 16, 8
	v_lshrrev_b32_e32 v41, 24, v20
	v_add3_u32 v21, v21, v34, v36
	v_min_u32_e32 v22, 0x160, v22
	v_and_b32_e32 v23, 15, v43
	v_lshrrev_b32_e32 v44, 5, v0
	s_and_b32 vcc_lo, exec_lo, s9
	v_add3_u32 v21, v21, v38, v40
	v_or_b32_e32 v22, 31, v22
	v_cmp_eq_u32_e64 s3, 0, v23
	v_cmp_lt_u32_e64 s4, 1, v23
	v_cmp_lt_u32_e64 s1, 3, v23
	v_add3_u32 v45, v21, v42, v41
	v_and_b32_e32 v21, 16, v43
	v_cmp_lt_u32_e64 s0, 7, v23
	v_cmp_eq_u32_e64 s5, v22, v0
	s_mov_b32 s7, -1
	s_waitcnt lgkmcnt(0)
	v_cmp_eq_u32_e64 s6, 0, v21
	s_barrier
	buffer_gl0_inv
	s_cbranch_vccz .LBB835_98
; %bb.68:
	v_mov_b32_dpp v21, v45 row_shr:1 row_mask:0xf bank_mask:0xf
	s_delay_alu instid0(VALU_DEP_1) | instskip(NEXT) | instid1(VALU_DEP_1)
	v_cndmask_b32_e64 v21, v21, 0, s3
	v_add_nc_u32_e32 v21, v21, v45
	s_delay_alu instid0(VALU_DEP_1) | instskip(NEXT) | instid1(VALU_DEP_1)
	v_mov_b32_dpp v22, v21 row_shr:2 row_mask:0xf bank_mask:0xf
	v_cndmask_b32_e64 v22, 0, v22, s4
	s_delay_alu instid0(VALU_DEP_1) | instskip(NEXT) | instid1(VALU_DEP_1)
	v_add_nc_u32_e32 v21, v21, v22
	v_mov_b32_dpp v22, v21 row_shr:4 row_mask:0xf bank_mask:0xf
	s_delay_alu instid0(VALU_DEP_1) | instskip(NEXT) | instid1(VALU_DEP_1)
	v_cndmask_b32_e64 v22, 0, v22, s1
	v_add_nc_u32_e32 v21, v21, v22
	s_delay_alu instid0(VALU_DEP_1) | instskip(NEXT) | instid1(VALU_DEP_1)
	v_mov_b32_dpp v22, v21 row_shr:8 row_mask:0xf bank_mask:0xf
	v_cndmask_b32_e64 v22, 0, v22, s0
	s_delay_alu instid0(VALU_DEP_1) | instskip(SKIP_3) | instid1(VALU_DEP_1)
	v_add_nc_u32_e32 v21, v21, v22
	ds_swizzle_b32 v22, v21 offset:swizzle(BROADCAST,32,15)
	s_waitcnt lgkmcnt(0)
	v_cndmask_b32_e64 v22, v22, 0, s6
	v_add_nc_u32_e32 v21, v21, v22
	s_and_saveexec_b32 s7, s5
	s_cbranch_execz .LBB835_70
; %bb.69:
	v_lshlrev_b32_e32 v22, 2, v44
	ds_store_b32 v22, v21
.LBB835_70:
	s_or_b32 exec_lo, exec_lo, s7
	s_delay_alu instid0(SALU_CYCLE_1)
	s_mov_b32 s7, exec_lo
	s_waitcnt lgkmcnt(0)
	s_barrier
	buffer_gl0_inv
	v_cmpx_gt_u32_e32 12, v0
	s_cbranch_execz .LBB835_72
; %bb.71:
	v_lshlrev_b32_e32 v22, 2, v0
	ds_load_b32 v23, v22
	s_waitcnt lgkmcnt(0)
	v_mov_b32_dpp v24, v23 row_shr:1 row_mask:0xf bank_mask:0xf
	s_delay_alu instid0(VALU_DEP_1) | instskip(NEXT) | instid1(VALU_DEP_1)
	v_cndmask_b32_e64 v24, v24, 0, s3
	v_add_nc_u32_e32 v23, v24, v23
	s_delay_alu instid0(VALU_DEP_1) | instskip(NEXT) | instid1(VALU_DEP_1)
	v_mov_b32_dpp v24, v23 row_shr:2 row_mask:0xf bank_mask:0xf
	v_cndmask_b32_e64 v24, 0, v24, s4
	s_delay_alu instid0(VALU_DEP_1) | instskip(NEXT) | instid1(VALU_DEP_1)
	v_add_nc_u32_e32 v23, v23, v24
	v_mov_b32_dpp v24, v23 row_shr:4 row_mask:0xf bank_mask:0xf
	s_delay_alu instid0(VALU_DEP_1) | instskip(NEXT) | instid1(VALU_DEP_1)
	v_cndmask_b32_e64 v24, 0, v24, s1
	v_add_nc_u32_e32 v23, v23, v24
	s_delay_alu instid0(VALU_DEP_1) | instskip(NEXT) | instid1(VALU_DEP_1)
	v_mov_b32_dpp v24, v23 row_shr:8 row_mask:0xf bank_mask:0xf
	v_cndmask_b32_e64 v24, 0, v24, s0
	s_delay_alu instid0(VALU_DEP_1)
	v_add_nc_u32_e32 v23, v23, v24
	ds_store_b32 v22, v23
.LBB835_72:
	s_or_b32 exec_lo, exec_lo, s7
	v_cmp_gt_u32_e32 vcc_lo, 32, v0
	s_mov_b32 s8, exec_lo
	s_waitcnt lgkmcnt(0)
	s_barrier
	buffer_gl0_inv
                                        ; implicit-def: $vgpr29
	v_cmpx_lt_u32_e32 31, v0
	s_cbranch_execz .LBB835_74
; %bb.73:
	v_lshl_add_u32 v22, v44, 2, -4
	ds_load_b32 v29, v22
	s_waitcnt lgkmcnt(0)
	v_add_nc_u32_e32 v21, v29, v21
.LBB835_74:
	s_or_b32 exec_lo, exec_lo, s8
	v_add_nc_u32_e32 v22, -1, v43
	s_delay_alu instid0(VALU_DEP_1) | instskip(NEXT) | instid1(VALU_DEP_1)
	v_cmp_gt_i32_e64 s7, 0, v22
	v_cndmask_b32_e64 v22, v22, v43, s7
	v_cmp_eq_u32_e64 s7, 0, v43
	s_delay_alu instid0(VALU_DEP_2)
	v_lshlrev_b32_e32 v22, 2, v22
	ds_bpermute_b32 v31, v22, v21
	s_and_saveexec_b32 s8, vcc_lo
	s_cbranch_execz .LBB835_97
; %bb.75:
	v_mov_b32_e32 v25, 0
	ds_load_b32 v21, v25 offset:44
	s_and_saveexec_b32 s9, s7
	s_cbranch_execz .LBB835_77
; %bb.76:
	s_add_i32 s14, s20, 32
	s_mov_b32 s15, 0
	v_mov_b32_e32 v22, 1
	s_lshl_b64 s[14:15], s[14:15], 3
	s_delay_alu instid0(SALU_CYCLE_1)
	s_add_u32 s14, s16, s14
	s_addc_u32 s15, s17, s15
	s_waitcnt lgkmcnt(0)
	global_store_b64 v25, v[21:22], s[14:15]
.LBB835_77:
	s_or_b32 exec_lo, exec_lo, s9
	v_xad_u32 v23, v43, -1, s20
	s_mov_b32 s14, 0
	s_mov_b32 s9, exec_lo
	s_delay_alu instid0(VALU_DEP_1) | instskip(NEXT) | instid1(VALU_DEP_1)
	v_add_nc_u32_e32 v24, 32, v23
	v_lshlrev_b64 v[24:25], 3, v[24:25]
	s_delay_alu instid0(VALU_DEP_1) | instskip(NEXT) | instid1(VALU_DEP_2)
	v_add_co_u32 v27, vcc_lo, s16, v24
	v_add_co_ci_u32_e32 v28, vcc_lo, s17, v25, vcc_lo
	global_load_b64 v[25:26], v[27:28], off glc
	s_waitcnt vmcnt(0)
	v_and_b32_e32 v22, 0xff, v26
	s_delay_alu instid0(VALU_DEP_1)
	v_cmpx_eq_u16_e32 0, v22
	s_cbranch_execz .LBB835_83
; %bb.78:
	s_mov_b32 s15, 1
	.p2align	6
.LBB835_79:                             ; =>This Loop Header: Depth=1
                                        ;     Child Loop BB835_80 Depth 2
	s_delay_alu instid0(SALU_CYCLE_1)
	s_max_u32 s21, s15, 1
.LBB835_80:                             ;   Parent Loop BB835_79 Depth=1
                                        ; =>  This Inner Loop Header: Depth=2
	s_delay_alu instid0(SALU_CYCLE_1)
	s_add_i32 s21, s21, -1
	s_sleep 1
	s_cmp_eq_u32 s21, 0
	s_cbranch_scc0 .LBB835_80
; %bb.81:                               ;   in Loop: Header=BB835_79 Depth=1
	global_load_b64 v[25:26], v[27:28], off glc
	s_cmp_lt_u32 s15, 32
	s_cselect_b32 s21, -1, 0
	s_delay_alu instid0(SALU_CYCLE_1) | instskip(SKIP_3) | instid1(VALU_DEP_1)
	s_cmp_lg_u32 s21, 0
	s_addc_u32 s15, s15, 0
	s_waitcnt vmcnt(0)
	v_and_b32_e32 v22, 0xff, v26
	v_cmp_ne_u16_e32 vcc_lo, 0, v22
	s_or_b32 s14, vcc_lo, s14
	s_delay_alu instid0(SALU_CYCLE_1)
	s_and_not1_b32 exec_lo, exec_lo, s14
	s_cbranch_execnz .LBB835_79
; %bb.82:
	s_or_b32 exec_lo, exec_lo, s14
.LBB835_83:
	s_delay_alu instid0(SALU_CYCLE_1)
	s_or_b32 exec_lo, exec_lo, s9
	v_cmp_ne_u32_e32 vcc_lo, 31, v43
	v_lshlrev_b32_e64 v35, v43, -1
	v_add_nc_u32_e32 v39, 2, v43
	v_add_nc_u32_e32 v47, 4, v43
	;; [unrolled: 1-line block ×3, first 2 shown]
	v_add_co_ci_u32_e32 v22, vcc_lo, 0, v43, vcc_lo
	v_add_nc_u32_e32 v51, 16, v43
	s_delay_alu instid0(VALU_DEP_2)
	v_lshlrev_b32_e32 v33, 2, v22
	v_and_b32_e32 v22, 0xff, v26
	ds_bpermute_b32 v24, v33, v25
	v_cmp_eq_u16_e32 vcc_lo, 2, v22
	v_and_or_b32 v22, vcc_lo, v35, 0x80000000
	v_cmp_gt_u32_e32 vcc_lo, 30, v43
	s_delay_alu instid0(VALU_DEP_2) | instskip(SKIP_1) | instid1(VALU_DEP_2)
	v_ctz_i32_b32_e32 v22, v22
	v_cndmask_b32_e64 v27, 0, 1, vcc_lo
	v_cmp_lt_u32_e32 vcc_lo, v43, v22
	s_waitcnt lgkmcnt(0)
	s_delay_alu instid0(VALU_DEP_2) | instskip(NEXT) | instid1(VALU_DEP_1)
	v_dual_cndmask_b32 v24, 0, v24 :: v_dual_lshlrev_b32 v27, 1, v27
	v_add_lshl_u32 v37, v27, v43, 2
	v_cmp_gt_u32_e32 vcc_lo, 28, v43
	s_delay_alu instid0(VALU_DEP_3) | instskip(SKIP_4) | instid1(VALU_DEP_1)
	v_add_nc_u32_e32 v24, v24, v25
	v_cndmask_b32_e64 v27, 0, 1, vcc_lo
	v_cmp_le_u32_e32 vcc_lo, v39, v22
	ds_bpermute_b32 v25, v37, v24
	v_lshlrev_b32_e32 v27, 2, v27
	v_add_lshl_u32 v46, v27, v43, 2
	s_waitcnt lgkmcnt(0)
	v_cndmask_b32_e32 v25, 0, v25, vcc_lo
	v_cmp_gt_u32_e32 vcc_lo, 24, v43
	s_delay_alu instid0(VALU_DEP_2) | instskip(SKIP_4) | instid1(VALU_DEP_1)
	v_add_nc_u32_e32 v24, v24, v25
	v_cndmask_b32_e64 v27, 0, 1, vcc_lo
	v_cmp_le_u32_e32 vcc_lo, v47, v22
	ds_bpermute_b32 v25, v46, v24
	v_lshlrev_b32_e32 v27, 3, v27
	v_add_lshl_u32 v48, v27, v43, 2
	s_waitcnt lgkmcnt(0)
	v_cndmask_b32_e32 v25, 0, v25, vcc_lo
	v_cmp_gt_u32_e32 vcc_lo, 16, v43
	s_delay_alu instid0(VALU_DEP_2) | instskip(SKIP_4) | instid1(VALU_DEP_1)
	v_add_nc_u32_e32 v24, v24, v25
	v_cndmask_b32_e64 v27, 0, 1, vcc_lo
	v_cmp_le_u32_e32 vcc_lo, v49, v22
	ds_bpermute_b32 v25, v48, v24
	v_lshlrev_b32_e32 v27, 4, v27
	v_add_lshl_u32 v50, v27, v43, 2
	s_waitcnt lgkmcnt(0)
	v_cndmask_b32_e32 v25, 0, v25, vcc_lo
	v_cmp_le_u32_e32 vcc_lo, v51, v22
	s_delay_alu instid0(VALU_DEP_2) | instskip(SKIP_3) | instid1(VALU_DEP_1)
	v_add_nc_u32_e32 v24, v24, v25
	ds_bpermute_b32 v25, v50, v24
	s_waitcnt lgkmcnt(0)
	v_cndmask_b32_e32 v22, 0, v25, vcc_lo
	v_dual_mov_b32 v24, 0 :: v_dual_add_nc_u32 v25, v24, v22
	s_branch .LBB835_85
.LBB835_84:                             ;   in Loop: Header=BB835_85 Depth=1
	s_or_b32 exec_lo, exec_lo, s9
	ds_bpermute_b32 v28, v33, v25
	v_and_b32_e32 v27, 0xff, v26
	v_subrev_nc_u32_e32 v23, 32, v23
	s_delay_alu instid0(VALU_DEP_2) | instskip(SKIP_1) | instid1(VALU_DEP_1)
	v_cmp_eq_u16_e32 vcc_lo, 2, v27
	v_and_or_b32 v27, vcc_lo, v35, 0x80000000
	v_ctz_i32_b32_e32 v27, v27
	s_delay_alu instid0(VALU_DEP_1) | instskip(SKIP_3) | instid1(VALU_DEP_2)
	v_cmp_lt_u32_e32 vcc_lo, v43, v27
	s_waitcnt lgkmcnt(0)
	v_cndmask_b32_e32 v28, 0, v28, vcc_lo
	v_cmp_le_u32_e32 vcc_lo, v39, v27
	v_add_nc_u32_e32 v25, v28, v25
	ds_bpermute_b32 v28, v37, v25
	s_waitcnt lgkmcnt(0)
	v_cndmask_b32_e32 v28, 0, v28, vcc_lo
	v_cmp_le_u32_e32 vcc_lo, v47, v27
	s_delay_alu instid0(VALU_DEP_2) | instskip(SKIP_4) | instid1(VALU_DEP_2)
	v_add_nc_u32_e32 v25, v25, v28
	ds_bpermute_b32 v28, v46, v25
	s_waitcnt lgkmcnt(0)
	v_cndmask_b32_e32 v28, 0, v28, vcc_lo
	v_cmp_le_u32_e32 vcc_lo, v49, v27
	v_add_nc_u32_e32 v25, v25, v28
	ds_bpermute_b32 v28, v48, v25
	s_waitcnt lgkmcnt(0)
	v_cndmask_b32_e32 v28, 0, v28, vcc_lo
	v_cmp_le_u32_e32 vcc_lo, v51, v27
	s_delay_alu instid0(VALU_DEP_2) | instskip(SKIP_3) | instid1(VALU_DEP_1)
	v_add_nc_u32_e32 v25, v25, v28
	ds_bpermute_b32 v28, v50, v25
	s_waitcnt lgkmcnt(0)
	v_cndmask_b32_e32 v27, 0, v28, vcc_lo
	v_add3_u32 v25, v27, v22, v25
.LBB835_85:                             ; =>This Loop Header: Depth=1
                                        ;     Child Loop BB835_88 Depth 2
                                        ;       Child Loop BB835_89 Depth 3
	v_and_b32_e32 v22, 0xff, v26
	s_delay_alu instid0(VALU_DEP_1) | instskip(SKIP_2) | instid1(VALU_DEP_1)
	v_cmp_ne_u16_e32 vcc_lo, 2, v22
	v_cndmask_b32_e64 v22, 0, 1, vcc_lo
	;;#ASMSTART
	;;#ASMEND
	v_cmp_ne_u32_e32 vcc_lo, 0, v22
	v_mov_b32_e32 v22, v25
	s_cmp_lg_u32 vcc_lo, exec_lo
	s_cbranch_scc1 .LBB835_92
; %bb.86:                               ;   in Loop: Header=BB835_85 Depth=1
	v_lshlrev_b64 v[25:26], 3, v[23:24]
	s_mov_b32 s9, exec_lo
	s_delay_alu instid0(VALU_DEP_1) | instskip(NEXT) | instid1(VALU_DEP_2)
	v_add_co_u32 v27, vcc_lo, s16, v25
	v_add_co_ci_u32_e32 v28, vcc_lo, s17, v26, vcc_lo
	global_load_b64 v[25:26], v[27:28], off glc
	s_waitcnt vmcnt(0)
	v_and_b32_e32 v52, 0xff, v26
	s_delay_alu instid0(VALU_DEP_1)
	v_cmpx_eq_u16_e32 0, v52
	s_cbranch_execz .LBB835_84
; %bb.87:                               ;   in Loop: Header=BB835_85 Depth=1
	s_mov_b32 s15, 1
	s_mov_b32 s14, 0
	.p2align	6
.LBB835_88:                             ;   Parent Loop BB835_85 Depth=1
                                        ; =>  This Loop Header: Depth=2
                                        ;       Child Loop BB835_89 Depth 3
	s_max_u32 s21, s15, 1
.LBB835_89:                             ;   Parent Loop BB835_85 Depth=1
                                        ;     Parent Loop BB835_88 Depth=2
                                        ; =>    This Inner Loop Header: Depth=3
	s_delay_alu instid0(SALU_CYCLE_1)
	s_add_i32 s21, s21, -1
	s_sleep 1
	s_cmp_eq_u32 s21, 0
	s_cbranch_scc0 .LBB835_89
; %bb.90:                               ;   in Loop: Header=BB835_88 Depth=2
	global_load_b64 v[25:26], v[27:28], off glc
	s_cmp_lt_u32 s15, 32
	s_cselect_b32 s21, -1, 0
	s_delay_alu instid0(SALU_CYCLE_1) | instskip(SKIP_3) | instid1(VALU_DEP_1)
	s_cmp_lg_u32 s21, 0
	s_addc_u32 s15, s15, 0
	s_waitcnt vmcnt(0)
	v_and_b32_e32 v52, 0xff, v26
	v_cmp_ne_u16_e32 vcc_lo, 0, v52
	s_or_b32 s14, vcc_lo, s14
	s_delay_alu instid0(SALU_CYCLE_1)
	s_and_not1_b32 exec_lo, exec_lo, s14
	s_cbranch_execnz .LBB835_88
; %bb.91:                               ;   in Loop: Header=BB835_85 Depth=1
	s_or_b32 exec_lo, exec_lo, s14
	s_branch .LBB835_84
.LBB835_92:                             ;   in Loop: Header=BB835_85 Depth=1
                                        ; implicit-def: $vgpr25
                                        ; implicit-def: $vgpr26
	s_cbranch_execz .LBB835_85
; %bb.93:
	s_and_saveexec_b32 s9, s7
	s_cbranch_execz .LBB835_95
; %bb.94:
	s_add_i32 s14, s20, 32
	s_mov_b32 s15, 0
	v_dual_mov_b32 v24, 2 :: v_dual_add_nc_u32 v23, v22, v21
	s_lshl_b64 s[14:15], s[14:15], 3
	v_mov_b32_e32 v25, 0
	s_add_u32 s14, s16, s14
	s_addc_u32 s15, s17, s15
	global_store_b64 v25, v[23:24], s[14:15]
	ds_store_b64 v25, v[21:22] offset:12672
.LBB835_95:
	s_or_b32 exec_lo, exec_lo, s9
	s_delay_alu instid0(SALU_CYCLE_1)
	s_and_b32 exec_lo, exec_lo, s2
	s_cbranch_execz .LBB835_97
; %bb.96:
	v_mov_b32_e32 v21, 0
	ds_store_b32 v21, v22 offset:44
.LBB835_97:
	s_or_b32 exec_lo, exec_lo, s8
	v_mov_b32_e32 v21, 0
	s_waitcnt lgkmcnt(0)
	s_waitcnt_vscnt null, 0x0
	s_barrier
	buffer_gl0_inv
	v_cndmask_b32_e64 v23, v31, v29, s7
	ds_load_b32 v22, v21 offset:44
	s_waitcnt lgkmcnt(0)
	s_barrier
	buffer_gl0_inv
	v_cndmask_b32_e64 v23, v23, 0, s2
	s_delay_alu instid0(VALU_DEP_1) | instskip(SKIP_2) | instid1(VALU_DEP_1)
	v_add_nc_u32_e32 v39, v22, v23
	ds_load_b64 v[21:22], v21 offset:12672
	v_add_nc_u32_e32 v37, v39, v30
	v_add_nc_u32_e32 v35, v37, v32
	s_delay_alu instid0(VALU_DEP_1) | instskip(NEXT) | instid1(VALU_DEP_1)
	v_add_nc_u32_e32 v33, v35, v34
	v_add_nc_u32_e32 v31, v33, v36
	s_delay_alu instid0(VALU_DEP_1) | instskip(NEXT) | instid1(VALU_DEP_1)
	v_add_nc_u32_e32 v29, v31, v38
	v_add_nc_u32_e32 v27, v29, v40
	s_delay_alu instid0(VALU_DEP_1)
	v_add_nc_u32_e32 v25, v27, v42
	v_lshrrev_b64 v[23:24], 24, v[19:20]
	s_branch .LBB835_108
.LBB835_98:
                                        ; implicit-def: $vgpr25
                                        ; implicit-def: $vgpr27
                                        ; implicit-def: $vgpr29
                                        ; implicit-def: $vgpr31
                                        ; implicit-def: $vgpr33
                                        ; implicit-def: $vgpr35
                                        ; implicit-def: $vgpr37
                                        ; implicit-def: $vgpr39
                                        ; implicit-def: $vgpr22
	v_lshrrev_b64 v[23:24], 24, v[19:20]
	s_and_b32 vcc_lo, exec_lo, s7
	s_cbranch_vccz .LBB835_108
; %bb.99:
	s_waitcnt lgkmcnt(0)
	v_mov_b32_dpp v21, v45 row_shr:1 row_mask:0xf bank_mask:0xf
	s_delay_alu instid0(VALU_DEP_1) | instskip(NEXT) | instid1(VALU_DEP_1)
	v_cndmask_b32_e64 v21, v21, 0, s3
	v_add_nc_u32_e32 v21, v21, v45
	s_delay_alu instid0(VALU_DEP_1) | instskip(NEXT) | instid1(VALU_DEP_1)
	v_mov_b32_dpp v22, v21 row_shr:2 row_mask:0xf bank_mask:0xf
	v_cndmask_b32_e64 v22, 0, v22, s4
	s_delay_alu instid0(VALU_DEP_1) | instskip(NEXT) | instid1(VALU_DEP_1)
	v_add_nc_u32_e32 v21, v21, v22
	v_mov_b32_dpp v22, v21 row_shr:4 row_mask:0xf bank_mask:0xf
	s_delay_alu instid0(VALU_DEP_1) | instskip(NEXT) | instid1(VALU_DEP_1)
	v_cndmask_b32_e64 v22, 0, v22, s1
	v_add_nc_u32_e32 v21, v21, v22
	s_delay_alu instid0(VALU_DEP_1) | instskip(NEXT) | instid1(VALU_DEP_1)
	v_mov_b32_dpp v22, v21 row_shr:8 row_mask:0xf bank_mask:0xf
	v_cndmask_b32_e64 v22, 0, v22, s0
	s_delay_alu instid0(VALU_DEP_1) | instskip(SKIP_3) | instid1(VALU_DEP_1)
	v_add_nc_u32_e32 v21, v21, v22
	ds_swizzle_b32 v22, v21 offset:swizzle(BROADCAST,32,15)
	s_waitcnt lgkmcnt(0)
	v_cndmask_b32_e64 v22, v22, 0, s6
	v_add_nc_u32_e32 v21, v21, v22
	s_and_saveexec_b32 s6, s5
	s_cbranch_execz .LBB835_101
; %bb.100:
	v_lshlrev_b32_e32 v22, 2, v44
	ds_store_b32 v22, v21
.LBB835_101:
	s_or_b32 exec_lo, exec_lo, s6
	s_delay_alu instid0(SALU_CYCLE_1)
	s_mov_b32 s5, exec_lo
	s_waitcnt lgkmcnt(0)
	s_barrier
	buffer_gl0_inv
	v_cmpx_gt_u32_e32 12, v0
	s_cbranch_execz .LBB835_103
; %bb.102:
	v_lshlrev_b32_e32 v22, 2, v0
	ds_load_b32 v24, v22
	s_waitcnt lgkmcnt(0)
	v_mov_b32_dpp v25, v24 row_shr:1 row_mask:0xf bank_mask:0xf
	s_delay_alu instid0(VALU_DEP_1) | instskip(NEXT) | instid1(VALU_DEP_1)
	v_cndmask_b32_e64 v25, v25, 0, s3
	v_add_nc_u32_e32 v24, v25, v24
	s_delay_alu instid0(VALU_DEP_1) | instskip(NEXT) | instid1(VALU_DEP_1)
	v_mov_b32_dpp v25, v24 row_shr:2 row_mask:0xf bank_mask:0xf
	v_cndmask_b32_e64 v25, 0, v25, s4
	s_delay_alu instid0(VALU_DEP_1) | instskip(NEXT) | instid1(VALU_DEP_1)
	v_add_nc_u32_e32 v24, v24, v25
	v_mov_b32_dpp v25, v24 row_shr:4 row_mask:0xf bank_mask:0xf
	s_delay_alu instid0(VALU_DEP_1) | instskip(NEXT) | instid1(VALU_DEP_1)
	v_cndmask_b32_e64 v25, 0, v25, s1
	v_add_nc_u32_e32 v24, v24, v25
	s_delay_alu instid0(VALU_DEP_1) | instskip(NEXT) | instid1(VALU_DEP_1)
	v_mov_b32_dpp v25, v24 row_shr:8 row_mask:0xf bank_mask:0xf
	v_cndmask_b32_e64 v25, 0, v25, s0
	s_delay_alu instid0(VALU_DEP_1)
	v_add_nc_u32_e32 v24, v24, v25
	ds_store_b32 v22, v24
.LBB835_103:
	s_or_b32 exec_lo, exec_lo, s5
	v_mov_b32_e32 v22, 0
	v_mov_b32_e32 v24, 0
	s_mov_b32 s0, exec_lo
	s_waitcnt lgkmcnt(0)
	s_barrier
	buffer_gl0_inv
	v_cmpx_lt_u32_e32 31, v0
	s_cbranch_execz .LBB835_105
; %bb.104:
	v_lshl_add_u32 v24, v44, 2, -4
	ds_load_b32 v24, v24
.LBB835_105:
	s_or_b32 exec_lo, exec_lo, s0
	v_add_nc_u32_e32 v25, -1, v43
	s_waitcnt lgkmcnt(0)
	v_add_nc_u32_e32 v21, v24, v21
	s_delay_alu instid0(VALU_DEP_2) | instskip(SKIP_1) | instid1(VALU_DEP_1)
	v_cmp_gt_i32_e32 vcc_lo, 0, v25
	v_cndmask_b32_e32 v25, v25, v43, vcc_lo
	v_lshlrev_b32_e32 v25, 2, v25
	ds_bpermute_b32 v25, v25, v21
	ds_load_b32 v21, v22 offset:44
	s_and_saveexec_b32 s0, s2
	s_cbranch_execz .LBB835_107
; %bb.106:
	v_mov_b32_e32 v26, 0
	v_mov_b32_e32 v22, 2
	s_waitcnt lgkmcnt(0)
	global_store_b64 v26, v[21:22], s[16:17] offset:256
.LBB835_107:
	s_or_b32 exec_lo, exec_lo, s0
	v_cmp_eq_u32_e32 vcc_lo, 0, v43
	s_waitcnt lgkmcnt(0)
	s_waitcnt_vscnt null, 0x0
	s_barrier
	buffer_gl0_inv
	v_cndmask_b32_e32 v22, v25, v24, vcc_lo
	s_delay_alu instid0(VALU_DEP_1) | instskip(NEXT) | instid1(VALU_DEP_1)
	v_cndmask_b32_e64 v39, v22, 0, s2
	v_dual_mov_b32 v22, 0 :: v_dual_add_nc_u32 v37, v39, v30
	s_delay_alu instid0(VALU_DEP_1) | instskip(NEXT) | instid1(VALU_DEP_1)
	v_add_nc_u32_e32 v35, v37, v32
	v_add_nc_u32_e32 v33, v35, v34
	s_delay_alu instid0(VALU_DEP_1) | instskip(NEXT) | instid1(VALU_DEP_1)
	v_add_nc_u32_e32 v31, v33, v36
	v_add_nc_u32_e32 v29, v31, v38
	;; [unrolled: 3-line block ×3, first 2 shown]
.LBB835_108:
	s_waitcnt lgkmcnt(0)
	v_cmp_gt_u32_e32 vcc_lo, 0x181, v21
	v_lshrrev_b32_e32 v44, 8, v19
	v_lshrrev_b32_e32 v43, 16, v19
	v_lshrrev_b32_e32 v42, 8, v20
	v_lshrrev_b32_e32 v24, 16, v20
	v_cmp_lt_u32_e64 s0, 0x180, v21
	s_mov_b32 s1, -1
	s_cbranch_vccz .LBB835_134
; %bb.109:
	v_lshlrev_b64 v[45:46], 2, v[9:10]
	v_add_nc_u32_e32 v26, v22, v21
	s_delay_alu instid0(VALU_DEP_1) | instskip(NEXT) | instid1(VALU_DEP_3)
	v_cmp_lt_u32_e32 vcc_lo, v39, v26
	v_add_co_u32 v45, s1, s10, v45
	s_delay_alu instid0(VALU_DEP_1) | instskip(SKIP_1) | instid1(SALU_CYCLE_1)
	v_add_co_ci_u32_e64 v46, s1, s11, v46, s1
	s_or_b32 s3, s19, vcc_lo
	s_and_saveexec_b32 s1, s3
	s_cbranch_execz .LBB835_112
; %bb.110:
	v_and_b32_e32 v28, 1, v19
	s_delay_alu instid0(VALU_DEP_1)
	v_cmp_eq_u32_e32 vcc_lo, 1, v28
	s_and_b32 exec_lo, exec_lo, vcc_lo
	s_cbranch_execz .LBB835_112
; %bb.111:
	v_mov_b32_e32 v40, 0
	s_delay_alu instid0(VALU_DEP_1) | instskip(NEXT) | instid1(VALU_DEP_1)
	v_lshlrev_b64 v[47:48], 2, v[39:40]
	v_add_co_u32 v47, vcc_lo, v45, v47
	s_delay_alu instid0(VALU_DEP_2)
	v_add_co_ci_u32_e32 v48, vcc_lo, v46, v48, vcc_lo
	global_store_b32 v[47:48], v7, off
.LBB835_112:
	s_or_b32 exec_lo, exec_lo, s1
	v_cmp_lt_u32_e32 vcc_lo, v37, v26
	s_or_b32 s3, s19, vcc_lo
	s_delay_alu instid0(SALU_CYCLE_1)
	s_and_saveexec_b32 s1, s3
	s_cbranch_execz .LBB835_115
; %bb.113:
	v_and_b32_e32 v28, 1, v44
	s_delay_alu instid0(VALU_DEP_1)
	v_cmp_eq_u32_e32 vcc_lo, 1, v28
	s_and_b32 exec_lo, exec_lo, vcc_lo
	s_cbranch_execz .LBB835_115
; %bb.114:
	v_mov_b32_e32 v38, 0
	s_delay_alu instid0(VALU_DEP_1) | instskip(NEXT) | instid1(VALU_DEP_1)
	v_lshlrev_b64 v[47:48], 2, v[37:38]
	v_add_co_u32 v47, vcc_lo, v45, v47
	s_delay_alu instid0(VALU_DEP_2)
	v_add_co_ci_u32_e32 v48, vcc_lo, v46, v48, vcc_lo
	global_store_b32 v[47:48], v8, off
.LBB835_115:
	s_or_b32 exec_lo, exec_lo, s1
	v_cmp_lt_u32_e32 vcc_lo, v35, v26
	s_or_b32 s3, s19, vcc_lo
	s_delay_alu instid0(SALU_CYCLE_1)
	;; [unrolled: 21-line block ×7, first 2 shown]
	s_and_saveexec_b32 s1, s3
	s_cbranch_execz .LBB835_133
; %bb.131:
	v_and_b32_e32 v26, 1, v41
	s_delay_alu instid0(VALU_DEP_1)
	v_cmp_eq_u32_e32 vcc_lo, 1, v26
	s_and_b32 exec_lo, exec_lo, vcc_lo
	s_cbranch_execz .LBB835_133
; %bb.132:
	v_mov_b32_e32 v26, 0
	s_delay_alu instid0(VALU_DEP_1) | instskip(NEXT) | instid1(VALU_DEP_1)
	v_lshlrev_b64 v[47:48], 2, v[25:26]
	v_add_co_u32 v45, vcc_lo, v45, v47
	s_delay_alu instid0(VALU_DEP_2)
	v_add_co_ci_u32_e32 v46, vcc_lo, v46, v48, vcc_lo
	global_store_b32 v[45:46], v2, off
.LBB835_133:
	s_or_b32 exec_lo, exec_lo, s1
	s_mov_b32 s1, 0
.LBB835_134:
	v_and_b32_e32 v19, 1, v19
	s_and_b32 vcc_lo, exec_lo, s1
	s_delay_alu instid0(VALU_DEP_1)
	v_cmp_eq_u32_e64 s1, 1, v19
	s_cbranch_vccz .LBB835_155
; %bb.135:
	s_delay_alu instid0(VALU_DEP_1)
	s_and_saveexec_b32 s3, s1
	s_cbranch_execz .LBB835_137
; %bb.136:
	v_sub_nc_u32_e32 v26, v39, v22
	s_delay_alu instid0(VALU_DEP_1)
	v_lshlrev_b32_e32 v26, 2, v26
	ds_store_b32 v26, v7
.LBB835_137:
	s_or_b32 exec_lo, exec_lo, s3
	v_and_b32_e32 v7, 1, v44
	s_mov_b32 s1, exec_lo
	s_delay_alu instid0(VALU_DEP_1)
	v_cmpx_eq_u32_e32 1, v7
	s_cbranch_execz .LBB835_139
; %bb.138:
	v_sub_nc_u32_e32 v7, v37, v22
	s_delay_alu instid0(VALU_DEP_1)
	v_lshlrev_b32_e32 v7, 2, v7
	ds_store_b32 v7, v8
.LBB835_139:
	s_or_b32 exec_lo, exec_lo, s1
	v_and_b32_e32 v7, 1, v43
	s_mov_b32 s1, exec_lo
	s_delay_alu instid0(VALU_DEP_1)
	v_cmpx_eq_u32_e32 1, v7
	;; [unrolled: 12-line block ×7, first 2 shown]
	s_cbranch_execz .LBB835_151
; %bb.150:
	v_sub_nc_u32_e32 v1, v25, v22
	s_delay_alu instid0(VALU_DEP_1)
	v_lshlrev_b32_e32 v1, 2, v1
	ds_store_b32 v1, v2
.LBB835_151:
	s_or_b32 exec_lo, exec_lo, s1
	s_delay_alu instid0(SALU_CYCLE_1)
	s_mov_b32 s3, exec_lo
	s_waitcnt lgkmcnt(0)
	s_waitcnt_vscnt null, 0x0
	s_barrier
	buffer_gl0_inv
	v_cmpx_lt_u32_e64 v0, v21
	s_cbranch_execz .LBB835_154
; %bb.152:
	v_dual_mov_b32 v1, 0 :: v_dual_mov_b32 v2, v22
	v_lshlrev_b64 v[4:5], 2, v[9:10]
	s_mov_b32 s4, 0
	s_delay_alu instid0(VALU_DEP_2) | instskip(NEXT) | instid1(VALU_DEP_2)
	v_mov_b32_e32 v3, v1
	v_add_co_u32 v4, vcc_lo, s10, v4
	s_delay_alu instid0(VALU_DEP_2) | instskip(NEXT) | instid1(VALU_DEP_4)
	v_lshlrev_b64 v[2:3], 2, v[2:3]
	v_add_co_ci_u32_e32 v5, vcc_lo, s11, v5, vcc_lo
	s_delay_alu instid0(VALU_DEP_2) | instskip(SKIP_1) | instid1(VALU_DEP_3)
	v_add_co_u32 v2, vcc_lo, v4, v2
	v_lshlrev_b32_e32 v4, 2, v0
	v_add_co_ci_u32_e32 v3, vcc_lo, v5, v3, vcc_lo
	.p2align	6
.LBB835_153:                            ; =>This Inner Loop Header: Depth=1
	ds_load_b32 v7, v4
	v_lshlrev_b64 v[5:6], 2, v[0:1]
	v_add_nc_u32_e32 v0, 0x180, v0
	v_add_nc_u32_e32 v4, 0x600, v4
	s_delay_alu instid0(VALU_DEP_2) | instskip(NEXT) | instid1(VALU_DEP_4)
	v_cmp_ge_u32_e32 vcc_lo, v0, v21
	v_add_co_u32 v5, s1, v2, v5
	s_delay_alu instid0(VALU_DEP_1)
	v_add_co_ci_u32_e64 v6, s1, v3, v6, s1
	s_or_b32 s4, vcc_lo, s4
	s_waitcnt lgkmcnt(0)
	global_store_b32 v[5:6], v7, off
	s_and_not1_b32 exec_lo, exec_lo, s4
	s_cbranch_execnz .LBB835_153
.LBB835_154:
	s_or_b32 exec_lo, exec_lo, s3
.LBB835_155:
	s_delay_alu instid0(SALU_CYCLE_1)
	s_and_not1_b32 vcc_lo, exec_lo, s0
	s_waitcnt_vscnt null, 0x0
	s_barrier
	buffer_gl0_inv
	s_cbranch_vccnz .LBB835_174
; %bb.156:
	s_mov_b32 s0, exec_lo
	v_cmpx_eq_u32_e32 1, v19
	s_cbranch_execz .LBB835_158
; %bb.157:
	v_sub_nc_u32_e32 v0, v39, v22
	s_delay_alu instid0(VALU_DEP_1)
	v_lshlrev_b32_e32 v0, 2, v0
	ds_store_b32 v0, v17
.LBB835_158:
	s_or_b32 exec_lo, exec_lo, s0
	v_and_b32_e32 v0, 1, v44
	s_mov_b32 s0, exec_lo
	s_delay_alu instid0(VALU_DEP_1)
	v_cmpx_eq_u32_e32 1, v0
	s_cbranch_execz .LBB835_160
; %bb.159:
	v_sub_nc_u32_e32 v0, v37, v22
	s_delay_alu instid0(VALU_DEP_1)
	v_lshlrev_b32_e32 v0, 2, v0
	ds_store_b32 v0, v18
.LBB835_160:
	s_or_b32 exec_lo, exec_lo, s0
	v_and_b32_e32 v0, 1, v43
	s_mov_b32 s0, exec_lo
	s_delay_alu instid0(VALU_DEP_1)
	;; [unrolled: 12-line block ×7, first 2 shown]
	v_cmpx_eq_u32_e32 1, v0
	s_cbranch_execz .LBB835_172
; %bb.171:
	v_sub_nc_u32_e32 v0, v25, v22
	s_delay_alu instid0(VALU_DEP_1)
	v_lshlrev_b32_e32 v0, 2, v0
	ds_store_b32 v0, v12
.LBB835_172:
	s_or_b32 exec_lo, exec_lo, s0
	s_waitcnt lgkmcnt(0)
	s_barrier
	buffer_gl0_inv
	s_and_b32 s0, s2, s18
	s_delay_alu instid0(SALU_CYCLE_1)
	s_and_saveexec_b32 s1, s0
	s_cbranch_execnz .LBB835_175
.LBB835_173:
	s_endpgm
.LBB835_174:
	s_and_b32 s0, s2, s18
	s_delay_alu instid0(SALU_CYCLE_1)
	s_and_saveexec_b32 s1, s0
	s_cbranch_execz .LBB835_173
.LBB835_175:
	v_add_co_u32 v0, vcc_lo, v9, v21
	v_add_co_ci_u32_e32 v1, vcc_lo, 0, v10, vcc_lo
	v_mov_b32_e32 v2, 0
	s_delay_alu instid0(VALU_DEP_3) | instskip(NEXT) | instid1(VALU_DEP_3)
	v_add_co_u32 v0, vcc_lo, v0, v22
	v_add_co_ci_u32_e32 v1, vcc_lo, 0, v1, vcc_lo
	global_store_b64 v2, v[0:1], s[12:13]
	s_nop 0
	s_sendmsg sendmsg(MSG_DEALLOC_VGPRS)
	s_endpgm
	.section	.rodata,"a",@progbits
	.p2align	6, 0x0
	.amdhsa_kernel _ZN7rocprim17ROCPRIM_400000_NS6detail17trampoline_kernelINS0_14default_configENS1_25partition_config_selectorILNS1_17partition_subalgoE9EjjbEEZZNS1_14partition_implILS5_9ELb0ES3_jN6thrust23THRUST_200600_302600_NS6detail15normal_iteratorINS9_10device_ptrIjEEEESE_PNS0_10empty_typeENS0_5tupleIJSE_SF_EEENSH_IJNS9_16discard_iteratorINS9_11use_defaultEEESG_EEENS0_18inequality_wrapperINS9_8equal_toIjEEEEPmJSF_EEE10hipError_tPvRmT3_T4_T5_T6_T7_T9_mT8_P12ihipStream_tbDpT10_ENKUlT_T0_E_clISt17integral_constantIbLb1EES1B_EEDaS16_S17_EUlS16_E_NS1_11comp_targetILNS1_3genE9ELNS1_11target_archE1100ELNS1_3gpuE3ELNS1_3repE0EEENS1_30default_config_static_selectorELNS0_4arch9wavefront6targetE0EEEvT1_
		.amdhsa_group_segment_fixed_size 12680
		.amdhsa_private_segment_fixed_size 0
		.amdhsa_kernarg_size 136
		.amdhsa_user_sgpr_count 15
		.amdhsa_user_sgpr_dispatch_ptr 0
		.amdhsa_user_sgpr_queue_ptr 0
		.amdhsa_user_sgpr_kernarg_segment_ptr 1
		.amdhsa_user_sgpr_dispatch_id 0
		.amdhsa_user_sgpr_private_segment_size 0
		.amdhsa_wavefront_size32 1
		.amdhsa_uses_dynamic_stack 0
		.amdhsa_enable_private_segment 0
		.amdhsa_system_sgpr_workgroup_id_x 1
		.amdhsa_system_sgpr_workgroup_id_y 0
		.amdhsa_system_sgpr_workgroup_id_z 0
		.amdhsa_system_sgpr_workgroup_info 0
		.amdhsa_system_vgpr_workitem_id 0
		.amdhsa_next_free_vgpr 53
		.amdhsa_next_free_sgpr 26
		.amdhsa_reserve_vcc 1
		.amdhsa_float_round_mode_32 0
		.amdhsa_float_round_mode_16_64 0
		.amdhsa_float_denorm_mode_32 3
		.amdhsa_float_denorm_mode_16_64 3
		.amdhsa_dx10_clamp 1
		.amdhsa_ieee_mode 1
		.amdhsa_fp16_overflow 0
		.amdhsa_workgroup_processor_mode 1
		.amdhsa_memory_ordered 1
		.amdhsa_forward_progress 0
		.amdhsa_shared_vgpr_count 0
		.amdhsa_exception_fp_ieee_invalid_op 0
		.amdhsa_exception_fp_denorm_src 0
		.amdhsa_exception_fp_ieee_div_zero 0
		.amdhsa_exception_fp_ieee_overflow 0
		.amdhsa_exception_fp_ieee_underflow 0
		.amdhsa_exception_fp_ieee_inexact 0
		.amdhsa_exception_int_div_zero 0
	.end_amdhsa_kernel
	.section	.text._ZN7rocprim17ROCPRIM_400000_NS6detail17trampoline_kernelINS0_14default_configENS1_25partition_config_selectorILNS1_17partition_subalgoE9EjjbEEZZNS1_14partition_implILS5_9ELb0ES3_jN6thrust23THRUST_200600_302600_NS6detail15normal_iteratorINS9_10device_ptrIjEEEESE_PNS0_10empty_typeENS0_5tupleIJSE_SF_EEENSH_IJNS9_16discard_iteratorINS9_11use_defaultEEESG_EEENS0_18inequality_wrapperINS9_8equal_toIjEEEEPmJSF_EEE10hipError_tPvRmT3_T4_T5_T6_T7_T9_mT8_P12ihipStream_tbDpT10_ENKUlT_T0_E_clISt17integral_constantIbLb1EES1B_EEDaS16_S17_EUlS16_E_NS1_11comp_targetILNS1_3genE9ELNS1_11target_archE1100ELNS1_3gpuE3ELNS1_3repE0EEENS1_30default_config_static_selectorELNS0_4arch9wavefront6targetE0EEEvT1_,"axG",@progbits,_ZN7rocprim17ROCPRIM_400000_NS6detail17trampoline_kernelINS0_14default_configENS1_25partition_config_selectorILNS1_17partition_subalgoE9EjjbEEZZNS1_14partition_implILS5_9ELb0ES3_jN6thrust23THRUST_200600_302600_NS6detail15normal_iteratorINS9_10device_ptrIjEEEESE_PNS0_10empty_typeENS0_5tupleIJSE_SF_EEENSH_IJNS9_16discard_iteratorINS9_11use_defaultEEESG_EEENS0_18inequality_wrapperINS9_8equal_toIjEEEEPmJSF_EEE10hipError_tPvRmT3_T4_T5_T6_T7_T9_mT8_P12ihipStream_tbDpT10_ENKUlT_T0_E_clISt17integral_constantIbLb1EES1B_EEDaS16_S17_EUlS16_E_NS1_11comp_targetILNS1_3genE9ELNS1_11target_archE1100ELNS1_3gpuE3ELNS1_3repE0EEENS1_30default_config_static_selectorELNS0_4arch9wavefront6targetE0EEEvT1_,comdat
.Lfunc_end835:
	.size	_ZN7rocprim17ROCPRIM_400000_NS6detail17trampoline_kernelINS0_14default_configENS1_25partition_config_selectorILNS1_17partition_subalgoE9EjjbEEZZNS1_14partition_implILS5_9ELb0ES3_jN6thrust23THRUST_200600_302600_NS6detail15normal_iteratorINS9_10device_ptrIjEEEESE_PNS0_10empty_typeENS0_5tupleIJSE_SF_EEENSH_IJNS9_16discard_iteratorINS9_11use_defaultEEESG_EEENS0_18inequality_wrapperINS9_8equal_toIjEEEEPmJSF_EEE10hipError_tPvRmT3_T4_T5_T6_T7_T9_mT8_P12ihipStream_tbDpT10_ENKUlT_T0_E_clISt17integral_constantIbLb1EES1B_EEDaS16_S17_EUlS16_E_NS1_11comp_targetILNS1_3genE9ELNS1_11target_archE1100ELNS1_3gpuE3ELNS1_3repE0EEENS1_30default_config_static_selectorELNS0_4arch9wavefront6targetE0EEEvT1_, .Lfunc_end835-_ZN7rocprim17ROCPRIM_400000_NS6detail17trampoline_kernelINS0_14default_configENS1_25partition_config_selectorILNS1_17partition_subalgoE9EjjbEEZZNS1_14partition_implILS5_9ELb0ES3_jN6thrust23THRUST_200600_302600_NS6detail15normal_iteratorINS9_10device_ptrIjEEEESE_PNS0_10empty_typeENS0_5tupleIJSE_SF_EEENSH_IJNS9_16discard_iteratorINS9_11use_defaultEEESG_EEENS0_18inequality_wrapperINS9_8equal_toIjEEEEPmJSF_EEE10hipError_tPvRmT3_T4_T5_T6_T7_T9_mT8_P12ihipStream_tbDpT10_ENKUlT_T0_E_clISt17integral_constantIbLb1EES1B_EEDaS16_S17_EUlS16_E_NS1_11comp_targetILNS1_3genE9ELNS1_11target_archE1100ELNS1_3gpuE3ELNS1_3repE0EEENS1_30default_config_static_selectorELNS0_4arch9wavefront6targetE0EEEvT1_
                                        ; -- End function
	.section	.AMDGPU.csdata,"",@progbits
; Kernel info:
; codeLenInByte = 8608
; NumSgprs: 28
; NumVgprs: 53
; ScratchSize: 0
; MemoryBound: 0
; FloatMode: 240
; IeeeMode: 1
; LDSByteSize: 12680 bytes/workgroup (compile time only)
; SGPRBlocks: 3
; VGPRBlocks: 6
; NumSGPRsForWavesPerEU: 28
; NumVGPRsForWavesPerEU: 53
; Occupancy: 15
; WaveLimiterHint : 1
; COMPUTE_PGM_RSRC2:SCRATCH_EN: 0
; COMPUTE_PGM_RSRC2:USER_SGPR: 15
; COMPUTE_PGM_RSRC2:TRAP_HANDLER: 0
; COMPUTE_PGM_RSRC2:TGID_X_EN: 1
; COMPUTE_PGM_RSRC2:TGID_Y_EN: 0
; COMPUTE_PGM_RSRC2:TGID_Z_EN: 0
; COMPUTE_PGM_RSRC2:TIDIG_COMP_CNT: 0
	.section	.text._ZN7rocprim17ROCPRIM_400000_NS6detail17trampoline_kernelINS0_14default_configENS1_25partition_config_selectorILNS1_17partition_subalgoE9EjjbEEZZNS1_14partition_implILS5_9ELb0ES3_jN6thrust23THRUST_200600_302600_NS6detail15normal_iteratorINS9_10device_ptrIjEEEESE_PNS0_10empty_typeENS0_5tupleIJSE_SF_EEENSH_IJNS9_16discard_iteratorINS9_11use_defaultEEESG_EEENS0_18inequality_wrapperINS9_8equal_toIjEEEEPmJSF_EEE10hipError_tPvRmT3_T4_T5_T6_T7_T9_mT8_P12ihipStream_tbDpT10_ENKUlT_T0_E_clISt17integral_constantIbLb1EES1B_EEDaS16_S17_EUlS16_E_NS1_11comp_targetILNS1_3genE8ELNS1_11target_archE1030ELNS1_3gpuE2ELNS1_3repE0EEENS1_30default_config_static_selectorELNS0_4arch9wavefront6targetE0EEEvT1_,"axG",@progbits,_ZN7rocprim17ROCPRIM_400000_NS6detail17trampoline_kernelINS0_14default_configENS1_25partition_config_selectorILNS1_17partition_subalgoE9EjjbEEZZNS1_14partition_implILS5_9ELb0ES3_jN6thrust23THRUST_200600_302600_NS6detail15normal_iteratorINS9_10device_ptrIjEEEESE_PNS0_10empty_typeENS0_5tupleIJSE_SF_EEENSH_IJNS9_16discard_iteratorINS9_11use_defaultEEESG_EEENS0_18inequality_wrapperINS9_8equal_toIjEEEEPmJSF_EEE10hipError_tPvRmT3_T4_T5_T6_T7_T9_mT8_P12ihipStream_tbDpT10_ENKUlT_T0_E_clISt17integral_constantIbLb1EES1B_EEDaS16_S17_EUlS16_E_NS1_11comp_targetILNS1_3genE8ELNS1_11target_archE1030ELNS1_3gpuE2ELNS1_3repE0EEENS1_30default_config_static_selectorELNS0_4arch9wavefront6targetE0EEEvT1_,comdat
	.protected	_ZN7rocprim17ROCPRIM_400000_NS6detail17trampoline_kernelINS0_14default_configENS1_25partition_config_selectorILNS1_17partition_subalgoE9EjjbEEZZNS1_14partition_implILS5_9ELb0ES3_jN6thrust23THRUST_200600_302600_NS6detail15normal_iteratorINS9_10device_ptrIjEEEESE_PNS0_10empty_typeENS0_5tupleIJSE_SF_EEENSH_IJNS9_16discard_iteratorINS9_11use_defaultEEESG_EEENS0_18inequality_wrapperINS9_8equal_toIjEEEEPmJSF_EEE10hipError_tPvRmT3_T4_T5_T6_T7_T9_mT8_P12ihipStream_tbDpT10_ENKUlT_T0_E_clISt17integral_constantIbLb1EES1B_EEDaS16_S17_EUlS16_E_NS1_11comp_targetILNS1_3genE8ELNS1_11target_archE1030ELNS1_3gpuE2ELNS1_3repE0EEENS1_30default_config_static_selectorELNS0_4arch9wavefront6targetE0EEEvT1_ ; -- Begin function _ZN7rocprim17ROCPRIM_400000_NS6detail17trampoline_kernelINS0_14default_configENS1_25partition_config_selectorILNS1_17partition_subalgoE9EjjbEEZZNS1_14partition_implILS5_9ELb0ES3_jN6thrust23THRUST_200600_302600_NS6detail15normal_iteratorINS9_10device_ptrIjEEEESE_PNS0_10empty_typeENS0_5tupleIJSE_SF_EEENSH_IJNS9_16discard_iteratorINS9_11use_defaultEEESG_EEENS0_18inequality_wrapperINS9_8equal_toIjEEEEPmJSF_EEE10hipError_tPvRmT3_T4_T5_T6_T7_T9_mT8_P12ihipStream_tbDpT10_ENKUlT_T0_E_clISt17integral_constantIbLb1EES1B_EEDaS16_S17_EUlS16_E_NS1_11comp_targetILNS1_3genE8ELNS1_11target_archE1030ELNS1_3gpuE2ELNS1_3repE0EEENS1_30default_config_static_selectorELNS0_4arch9wavefront6targetE0EEEvT1_
	.globl	_ZN7rocprim17ROCPRIM_400000_NS6detail17trampoline_kernelINS0_14default_configENS1_25partition_config_selectorILNS1_17partition_subalgoE9EjjbEEZZNS1_14partition_implILS5_9ELb0ES3_jN6thrust23THRUST_200600_302600_NS6detail15normal_iteratorINS9_10device_ptrIjEEEESE_PNS0_10empty_typeENS0_5tupleIJSE_SF_EEENSH_IJNS9_16discard_iteratorINS9_11use_defaultEEESG_EEENS0_18inequality_wrapperINS9_8equal_toIjEEEEPmJSF_EEE10hipError_tPvRmT3_T4_T5_T6_T7_T9_mT8_P12ihipStream_tbDpT10_ENKUlT_T0_E_clISt17integral_constantIbLb1EES1B_EEDaS16_S17_EUlS16_E_NS1_11comp_targetILNS1_3genE8ELNS1_11target_archE1030ELNS1_3gpuE2ELNS1_3repE0EEENS1_30default_config_static_selectorELNS0_4arch9wavefront6targetE0EEEvT1_
	.p2align	8
	.type	_ZN7rocprim17ROCPRIM_400000_NS6detail17trampoline_kernelINS0_14default_configENS1_25partition_config_selectorILNS1_17partition_subalgoE9EjjbEEZZNS1_14partition_implILS5_9ELb0ES3_jN6thrust23THRUST_200600_302600_NS6detail15normal_iteratorINS9_10device_ptrIjEEEESE_PNS0_10empty_typeENS0_5tupleIJSE_SF_EEENSH_IJNS9_16discard_iteratorINS9_11use_defaultEEESG_EEENS0_18inequality_wrapperINS9_8equal_toIjEEEEPmJSF_EEE10hipError_tPvRmT3_T4_T5_T6_T7_T9_mT8_P12ihipStream_tbDpT10_ENKUlT_T0_E_clISt17integral_constantIbLb1EES1B_EEDaS16_S17_EUlS16_E_NS1_11comp_targetILNS1_3genE8ELNS1_11target_archE1030ELNS1_3gpuE2ELNS1_3repE0EEENS1_30default_config_static_selectorELNS0_4arch9wavefront6targetE0EEEvT1_,@function
_ZN7rocprim17ROCPRIM_400000_NS6detail17trampoline_kernelINS0_14default_configENS1_25partition_config_selectorILNS1_17partition_subalgoE9EjjbEEZZNS1_14partition_implILS5_9ELb0ES3_jN6thrust23THRUST_200600_302600_NS6detail15normal_iteratorINS9_10device_ptrIjEEEESE_PNS0_10empty_typeENS0_5tupleIJSE_SF_EEENSH_IJNS9_16discard_iteratorINS9_11use_defaultEEESG_EEENS0_18inequality_wrapperINS9_8equal_toIjEEEEPmJSF_EEE10hipError_tPvRmT3_T4_T5_T6_T7_T9_mT8_P12ihipStream_tbDpT10_ENKUlT_T0_E_clISt17integral_constantIbLb1EES1B_EEDaS16_S17_EUlS16_E_NS1_11comp_targetILNS1_3genE8ELNS1_11target_archE1030ELNS1_3gpuE2ELNS1_3repE0EEENS1_30default_config_static_selectorELNS0_4arch9wavefront6targetE0EEEvT1_: ; @_ZN7rocprim17ROCPRIM_400000_NS6detail17trampoline_kernelINS0_14default_configENS1_25partition_config_selectorILNS1_17partition_subalgoE9EjjbEEZZNS1_14partition_implILS5_9ELb0ES3_jN6thrust23THRUST_200600_302600_NS6detail15normal_iteratorINS9_10device_ptrIjEEEESE_PNS0_10empty_typeENS0_5tupleIJSE_SF_EEENSH_IJNS9_16discard_iteratorINS9_11use_defaultEEESG_EEENS0_18inequality_wrapperINS9_8equal_toIjEEEEPmJSF_EEE10hipError_tPvRmT3_T4_T5_T6_T7_T9_mT8_P12ihipStream_tbDpT10_ENKUlT_T0_E_clISt17integral_constantIbLb1EES1B_EEDaS16_S17_EUlS16_E_NS1_11comp_targetILNS1_3genE8ELNS1_11target_archE1030ELNS1_3gpuE2ELNS1_3repE0EEENS1_30default_config_static_selectorELNS0_4arch9wavefront6targetE0EEEvT1_
; %bb.0:
	.section	.rodata,"a",@progbits
	.p2align	6, 0x0
	.amdhsa_kernel _ZN7rocprim17ROCPRIM_400000_NS6detail17trampoline_kernelINS0_14default_configENS1_25partition_config_selectorILNS1_17partition_subalgoE9EjjbEEZZNS1_14partition_implILS5_9ELb0ES3_jN6thrust23THRUST_200600_302600_NS6detail15normal_iteratorINS9_10device_ptrIjEEEESE_PNS0_10empty_typeENS0_5tupleIJSE_SF_EEENSH_IJNS9_16discard_iteratorINS9_11use_defaultEEESG_EEENS0_18inequality_wrapperINS9_8equal_toIjEEEEPmJSF_EEE10hipError_tPvRmT3_T4_T5_T6_T7_T9_mT8_P12ihipStream_tbDpT10_ENKUlT_T0_E_clISt17integral_constantIbLb1EES1B_EEDaS16_S17_EUlS16_E_NS1_11comp_targetILNS1_3genE8ELNS1_11target_archE1030ELNS1_3gpuE2ELNS1_3repE0EEENS1_30default_config_static_selectorELNS0_4arch9wavefront6targetE0EEEvT1_
		.amdhsa_group_segment_fixed_size 0
		.amdhsa_private_segment_fixed_size 0
		.amdhsa_kernarg_size 136
		.amdhsa_user_sgpr_count 15
		.amdhsa_user_sgpr_dispatch_ptr 0
		.amdhsa_user_sgpr_queue_ptr 0
		.amdhsa_user_sgpr_kernarg_segment_ptr 1
		.amdhsa_user_sgpr_dispatch_id 0
		.amdhsa_user_sgpr_private_segment_size 0
		.amdhsa_wavefront_size32 1
		.amdhsa_uses_dynamic_stack 0
		.amdhsa_enable_private_segment 0
		.amdhsa_system_sgpr_workgroup_id_x 1
		.amdhsa_system_sgpr_workgroup_id_y 0
		.amdhsa_system_sgpr_workgroup_id_z 0
		.amdhsa_system_sgpr_workgroup_info 0
		.amdhsa_system_vgpr_workitem_id 0
		.amdhsa_next_free_vgpr 1
		.amdhsa_next_free_sgpr 1
		.amdhsa_reserve_vcc 0
		.amdhsa_float_round_mode_32 0
		.amdhsa_float_round_mode_16_64 0
		.amdhsa_float_denorm_mode_32 3
		.amdhsa_float_denorm_mode_16_64 3
		.amdhsa_dx10_clamp 1
		.amdhsa_ieee_mode 1
		.amdhsa_fp16_overflow 0
		.amdhsa_workgroup_processor_mode 1
		.amdhsa_memory_ordered 1
		.amdhsa_forward_progress 0
		.amdhsa_shared_vgpr_count 0
		.amdhsa_exception_fp_ieee_invalid_op 0
		.amdhsa_exception_fp_denorm_src 0
		.amdhsa_exception_fp_ieee_div_zero 0
		.amdhsa_exception_fp_ieee_overflow 0
		.amdhsa_exception_fp_ieee_underflow 0
		.amdhsa_exception_fp_ieee_inexact 0
		.amdhsa_exception_int_div_zero 0
	.end_amdhsa_kernel
	.section	.text._ZN7rocprim17ROCPRIM_400000_NS6detail17trampoline_kernelINS0_14default_configENS1_25partition_config_selectorILNS1_17partition_subalgoE9EjjbEEZZNS1_14partition_implILS5_9ELb0ES3_jN6thrust23THRUST_200600_302600_NS6detail15normal_iteratorINS9_10device_ptrIjEEEESE_PNS0_10empty_typeENS0_5tupleIJSE_SF_EEENSH_IJNS9_16discard_iteratorINS9_11use_defaultEEESG_EEENS0_18inequality_wrapperINS9_8equal_toIjEEEEPmJSF_EEE10hipError_tPvRmT3_T4_T5_T6_T7_T9_mT8_P12ihipStream_tbDpT10_ENKUlT_T0_E_clISt17integral_constantIbLb1EES1B_EEDaS16_S17_EUlS16_E_NS1_11comp_targetILNS1_3genE8ELNS1_11target_archE1030ELNS1_3gpuE2ELNS1_3repE0EEENS1_30default_config_static_selectorELNS0_4arch9wavefront6targetE0EEEvT1_,"axG",@progbits,_ZN7rocprim17ROCPRIM_400000_NS6detail17trampoline_kernelINS0_14default_configENS1_25partition_config_selectorILNS1_17partition_subalgoE9EjjbEEZZNS1_14partition_implILS5_9ELb0ES3_jN6thrust23THRUST_200600_302600_NS6detail15normal_iteratorINS9_10device_ptrIjEEEESE_PNS0_10empty_typeENS0_5tupleIJSE_SF_EEENSH_IJNS9_16discard_iteratorINS9_11use_defaultEEESG_EEENS0_18inequality_wrapperINS9_8equal_toIjEEEEPmJSF_EEE10hipError_tPvRmT3_T4_T5_T6_T7_T9_mT8_P12ihipStream_tbDpT10_ENKUlT_T0_E_clISt17integral_constantIbLb1EES1B_EEDaS16_S17_EUlS16_E_NS1_11comp_targetILNS1_3genE8ELNS1_11target_archE1030ELNS1_3gpuE2ELNS1_3repE0EEENS1_30default_config_static_selectorELNS0_4arch9wavefront6targetE0EEEvT1_,comdat
.Lfunc_end836:
	.size	_ZN7rocprim17ROCPRIM_400000_NS6detail17trampoline_kernelINS0_14default_configENS1_25partition_config_selectorILNS1_17partition_subalgoE9EjjbEEZZNS1_14partition_implILS5_9ELb0ES3_jN6thrust23THRUST_200600_302600_NS6detail15normal_iteratorINS9_10device_ptrIjEEEESE_PNS0_10empty_typeENS0_5tupleIJSE_SF_EEENSH_IJNS9_16discard_iteratorINS9_11use_defaultEEESG_EEENS0_18inequality_wrapperINS9_8equal_toIjEEEEPmJSF_EEE10hipError_tPvRmT3_T4_T5_T6_T7_T9_mT8_P12ihipStream_tbDpT10_ENKUlT_T0_E_clISt17integral_constantIbLb1EES1B_EEDaS16_S17_EUlS16_E_NS1_11comp_targetILNS1_3genE8ELNS1_11target_archE1030ELNS1_3gpuE2ELNS1_3repE0EEENS1_30default_config_static_selectorELNS0_4arch9wavefront6targetE0EEEvT1_, .Lfunc_end836-_ZN7rocprim17ROCPRIM_400000_NS6detail17trampoline_kernelINS0_14default_configENS1_25partition_config_selectorILNS1_17partition_subalgoE9EjjbEEZZNS1_14partition_implILS5_9ELb0ES3_jN6thrust23THRUST_200600_302600_NS6detail15normal_iteratorINS9_10device_ptrIjEEEESE_PNS0_10empty_typeENS0_5tupleIJSE_SF_EEENSH_IJNS9_16discard_iteratorINS9_11use_defaultEEESG_EEENS0_18inequality_wrapperINS9_8equal_toIjEEEEPmJSF_EEE10hipError_tPvRmT3_T4_T5_T6_T7_T9_mT8_P12ihipStream_tbDpT10_ENKUlT_T0_E_clISt17integral_constantIbLb1EES1B_EEDaS16_S17_EUlS16_E_NS1_11comp_targetILNS1_3genE8ELNS1_11target_archE1030ELNS1_3gpuE2ELNS1_3repE0EEENS1_30default_config_static_selectorELNS0_4arch9wavefront6targetE0EEEvT1_
                                        ; -- End function
	.section	.AMDGPU.csdata,"",@progbits
; Kernel info:
; codeLenInByte = 0
; NumSgprs: 0
; NumVgprs: 0
; ScratchSize: 0
; MemoryBound: 0
; FloatMode: 240
; IeeeMode: 1
; LDSByteSize: 0 bytes/workgroup (compile time only)
; SGPRBlocks: 0
; VGPRBlocks: 0
; NumSGPRsForWavesPerEU: 1
; NumVGPRsForWavesPerEU: 1
; Occupancy: 16
; WaveLimiterHint : 0
; COMPUTE_PGM_RSRC2:SCRATCH_EN: 0
; COMPUTE_PGM_RSRC2:USER_SGPR: 15
; COMPUTE_PGM_RSRC2:TRAP_HANDLER: 0
; COMPUTE_PGM_RSRC2:TGID_X_EN: 1
; COMPUTE_PGM_RSRC2:TGID_Y_EN: 0
; COMPUTE_PGM_RSRC2:TGID_Z_EN: 0
; COMPUTE_PGM_RSRC2:TIDIG_COMP_CNT: 0
	.section	.text._ZN7rocprim17ROCPRIM_400000_NS6detail17trampoline_kernelINS0_14default_configENS1_25partition_config_selectorILNS1_17partition_subalgoE9EjjbEEZZNS1_14partition_implILS5_9ELb0ES3_jN6thrust23THRUST_200600_302600_NS6detail15normal_iteratorINS9_10device_ptrIjEEEESE_PNS0_10empty_typeENS0_5tupleIJSE_SF_EEENSH_IJNS9_16discard_iteratorINS9_11use_defaultEEESG_EEENS0_18inequality_wrapperINS9_8equal_toIjEEEEPmJSF_EEE10hipError_tPvRmT3_T4_T5_T6_T7_T9_mT8_P12ihipStream_tbDpT10_ENKUlT_T0_E_clISt17integral_constantIbLb1EES1A_IbLb0EEEEDaS16_S17_EUlS16_E_NS1_11comp_targetILNS1_3genE0ELNS1_11target_archE4294967295ELNS1_3gpuE0ELNS1_3repE0EEENS1_30default_config_static_selectorELNS0_4arch9wavefront6targetE0EEEvT1_,"axG",@progbits,_ZN7rocprim17ROCPRIM_400000_NS6detail17trampoline_kernelINS0_14default_configENS1_25partition_config_selectorILNS1_17partition_subalgoE9EjjbEEZZNS1_14partition_implILS5_9ELb0ES3_jN6thrust23THRUST_200600_302600_NS6detail15normal_iteratorINS9_10device_ptrIjEEEESE_PNS0_10empty_typeENS0_5tupleIJSE_SF_EEENSH_IJNS9_16discard_iteratorINS9_11use_defaultEEESG_EEENS0_18inequality_wrapperINS9_8equal_toIjEEEEPmJSF_EEE10hipError_tPvRmT3_T4_T5_T6_T7_T9_mT8_P12ihipStream_tbDpT10_ENKUlT_T0_E_clISt17integral_constantIbLb1EES1A_IbLb0EEEEDaS16_S17_EUlS16_E_NS1_11comp_targetILNS1_3genE0ELNS1_11target_archE4294967295ELNS1_3gpuE0ELNS1_3repE0EEENS1_30default_config_static_selectorELNS0_4arch9wavefront6targetE0EEEvT1_,comdat
	.protected	_ZN7rocprim17ROCPRIM_400000_NS6detail17trampoline_kernelINS0_14default_configENS1_25partition_config_selectorILNS1_17partition_subalgoE9EjjbEEZZNS1_14partition_implILS5_9ELb0ES3_jN6thrust23THRUST_200600_302600_NS6detail15normal_iteratorINS9_10device_ptrIjEEEESE_PNS0_10empty_typeENS0_5tupleIJSE_SF_EEENSH_IJNS9_16discard_iteratorINS9_11use_defaultEEESG_EEENS0_18inequality_wrapperINS9_8equal_toIjEEEEPmJSF_EEE10hipError_tPvRmT3_T4_T5_T6_T7_T9_mT8_P12ihipStream_tbDpT10_ENKUlT_T0_E_clISt17integral_constantIbLb1EES1A_IbLb0EEEEDaS16_S17_EUlS16_E_NS1_11comp_targetILNS1_3genE0ELNS1_11target_archE4294967295ELNS1_3gpuE0ELNS1_3repE0EEENS1_30default_config_static_selectorELNS0_4arch9wavefront6targetE0EEEvT1_ ; -- Begin function _ZN7rocprim17ROCPRIM_400000_NS6detail17trampoline_kernelINS0_14default_configENS1_25partition_config_selectorILNS1_17partition_subalgoE9EjjbEEZZNS1_14partition_implILS5_9ELb0ES3_jN6thrust23THRUST_200600_302600_NS6detail15normal_iteratorINS9_10device_ptrIjEEEESE_PNS0_10empty_typeENS0_5tupleIJSE_SF_EEENSH_IJNS9_16discard_iteratorINS9_11use_defaultEEESG_EEENS0_18inequality_wrapperINS9_8equal_toIjEEEEPmJSF_EEE10hipError_tPvRmT3_T4_T5_T6_T7_T9_mT8_P12ihipStream_tbDpT10_ENKUlT_T0_E_clISt17integral_constantIbLb1EES1A_IbLb0EEEEDaS16_S17_EUlS16_E_NS1_11comp_targetILNS1_3genE0ELNS1_11target_archE4294967295ELNS1_3gpuE0ELNS1_3repE0EEENS1_30default_config_static_selectorELNS0_4arch9wavefront6targetE0EEEvT1_
	.globl	_ZN7rocprim17ROCPRIM_400000_NS6detail17trampoline_kernelINS0_14default_configENS1_25partition_config_selectorILNS1_17partition_subalgoE9EjjbEEZZNS1_14partition_implILS5_9ELb0ES3_jN6thrust23THRUST_200600_302600_NS6detail15normal_iteratorINS9_10device_ptrIjEEEESE_PNS0_10empty_typeENS0_5tupleIJSE_SF_EEENSH_IJNS9_16discard_iteratorINS9_11use_defaultEEESG_EEENS0_18inequality_wrapperINS9_8equal_toIjEEEEPmJSF_EEE10hipError_tPvRmT3_T4_T5_T6_T7_T9_mT8_P12ihipStream_tbDpT10_ENKUlT_T0_E_clISt17integral_constantIbLb1EES1A_IbLb0EEEEDaS16_S17_EUlS16_E_NS1_11comp_targetILNS1_3genE0ELNS1_11target_archE4294967295ELNS1_3gpuE0ELNS1_3repE0EEENS1_30default_config_static_selectorELNS0_4arch9wavefront6targetE0EEEvT1_
	.p2align	8
	.type	_ZN7rocprim17ROCPRIM_400000_NS6detail17trampoline_kernelINS0_14default_configENS1_25partition_config_selectorILNS1_17partition_subalgoE9EjjbEEZZNS1_14partition_implILS5_9ELb0ES3_jN6thrust23THRUST_200600_302600_NS6detail15normal_iteratorINS9_10device_ptrIjEEEESE_PNS0_10empty_typeENS0_5tupleIJSE_SF_EEENSH_IJNS9_16discard_iteratorINS9_11use_defaultEEESG_EEENS0_18inequality_wrapperINS9_8equal_toIjEEEEPmJSF_EEE10hipError_tPvRmT3_T4_T5_T6_T7_T9_mT8_P12ihipStream_tbDpT10_ENKUlT_T0_E_clISt17integral_constantIbLb1EES1A_IbLb0EEEEDaS16_S17_EUlS16_E_NS1_11comp_targetILNS1_3genE0ELNS1_11target_archE4294967295ELNS1_3gpuE0ELNS1_3repE0EEENS1_30default_config_static_selectorELNS0_4arch9wavefront6targetE0EEEvT1_,@function
_ZN7rocprim17ROCPRIM_400000_NS6detail17trampoline_kernelINS0_14default_configENS1_25partition_config_selectorILNS1_17partition_subalgoE9EjjbEEZZNS1_14partition_implILS5_9ELb0ES3_jN6thrust23THRUST_200600_302600_NS6detail15normal_iteratorINS9_10device_ptrIjEEEESE_PNS0_10empty_typeENS0_5tupleIJSE_SF_EEENSH_IJNS9_16discard_iteratorINS9_11use_defaultEEESG_EEENS0_18inequality_wrapperINS9_8equal_toIjEEEEPmJSF_EEE10hipError_tPvRmT3_T4_T5_T6_T7_T9_mT8_P12ihipStream_tbDpT10_ENKUlT_T0_E_clISt17integral_constantIbLb1EES1A_IbLb0EEEEDaS16_S17_EUlS16_E_NS1_11comp_targetILNS1_3genE0ELNS1_11target_archE4294967295ELNS1_3gpuE0ELNS1_3repE0EEENS1_30default_config_static_selectorELNS0_4arch9wavefront6targetE0EEEvT1_: ; @_ZN7rocprim17ROCPRIM_400000_NS6detail17trampoline_kernelINS0_14default_configENS1_25partition_config_selectorILNS1_17partition_subalgoE9EjjbEEZZNS1_14partition_implILS5_9ELb0ES3_jN6thrust23THRUST_200600_302600_NS6detail15normal_iteratorINS9_10device_ptrIjEEEESE_PNS0_10empty_typeENS0_5tupleIJSE_SF_EEENSH_IJNS9_16discard_iteratorINS9_11use_defaultEEESG_EEENS0_18inequality_wrapperINS9_8equal_toIjEEEEPmJSF_EEE10hipError_tPvRmT3_T4_T5_T6_T7_T9_mT8_P12ihipStream_tbDpT10_ENKUlT_T0_E_clISt17integral_constantIbLb1EES1A_IbLb0EEEEDaS16_S17_EUlS16_E_NS1_11comp_targetILNS1_3genE0ELNS1_11target_archE4294967295ELNS1_3gpuE0ELNS1_3repE0EEENS1_30default_config_static_selectorELNS0_4arch9wavefront6targetE0EEEvT1_
; %bb.0:
	.section	.rodata,"a",@progbits
	.p2align	6, 0x0
	.amdhsa_kernel _ZN7rocprim17ROCPRIM_400000_NS6detail17trampoline_kernelINS0_14default_configENS1_25partition_config_selectorILNS1_17partition_subalgoE9EjjbEEZZNS1_14partition_implILS5_9ELb0ES3_jN6thrust23THRUST_200600_302600_NS6detail15normal_iteratorINS9_10device_ptrIjEEEESE_PNS0_10empty_typeENS0_5tupleIJSE_SF_EEENSH_IJNS9_16discard_iteratorINS9_11use_defaultEEESG_EEENS0_18inequality_wrapperINS9_8equal_toIjEEEEPmJSF_EEE10hipError_tPvRmT3_T4_T5_T6_T7_T9_mT8_P12ihipStream_tbDpT10_ENKUlT_T0_E_clISt17integral_constantIbLb1EES1A_IbLb0EEEEDaS16_S17_EUlS16_E_NS1_11comp_targetILNS1_3genE0ELNS1_11target_archE4294967295ELNS1_3gpuE0ELNS1_3repE0EEENS1_30default_config_static_selectorELNS0_4arch9wavefront6targetE0EEEvT1_
		.amdhsa_group_segment_fixed_size 0
		.amdhsa_private_segment_fixed_size 0
		.amdhsa_kernarg_size 120
		.amdhsa_user_sgpr_count 15
		.amdhsa_user_sgpr_dispatch_ptr 0
		.amdhsa_user_sgpr_queue_ptr 0
		.amdhsa_user_sgpr_kernarg_segment_ptr 1
		.amdhsa_user_sgpr_dispatch_id 0
		.amdhsa_user_sgpr_private_segment_size 0
		.amdhsa_wavefront_size32 1
		.amdhsa_uses_dynamic_stack 0
		.amdhsa_enable_private_segment 0
		.amdhsa_system_sgpr_workgroup_id_x 1
		.amdhsa_system_sgpr_workgroup_id_y 0
		.amdhsa_system_sgpr_workgroup_id_z 0
		.amdhsa_system_sgpr_workgroup_info 0
		.amdhsa_system_vgpr_workitem_id 0
		.amdhsa_next_free_vgpr 1
		.amdhsa_next_free_sgpr 1
		.amdhsa_reserve_vcc 0
		.amdhsa_float_round_mode_32 0
		.amdhsa_float_round_mode_16_64 0
		.amdhsa_float_denorm_mode_32 3
		.amdhsa_float_denorm_mode_16_64 3
		.amdhsa_dx10_clamp 1
		.amdhsa_ieee_mode 1
		.amdhsa_fp16_overflow 0
		.amdhsa_workgroup_processor_mode 1
		.amdhsa_memory_ordered 1
		.amdhsa_forward_progress 0
		.amdhsa_shared_vgpr_count 0
		.amdhsa_exception_fp_ieee_invalid_op 0
		.amdhsa_exception_fp_denorm_src 0
		.amdhsa_exception_fp_ieee_div_zero 0
		.amdhsa_exception_fp_ieee_overflow 0
		.amdhsa_exception_fp_ieee_underflow 0
		.amdhsa_exception_fp_ieee_inexact 0
		.amdhsa_exception_int_div_zero 0
	.end_amdhsa_kernel
	.section	.text._ZN7rocprim17ROCPRIM_400000_NS6detail17trampoline_kernelINS0_14default_configENS1_25partition_config_selectorILNS1_17partition_subalgoE9EjjbEEZZNS1_14partition_implILS5_9ELb0ES3_jN6thrust23THRUST_200600_302600_NS6detail15normal_iteratorINS9_10device_ptrIjEEEESE_PNS0_10empty_typeENS0_5tupleIJSE_SF_EEENSH_IJNS9_16discard_iteratorINS9_11use_defaultEEESG_EEENS0_18inequality_wrapperINS9_8equal_toIjEEEEPmJSF_EEE10hipError_tPvRmT3_T4_T5_T6_T7_T9_mT8_P12ihipStream_tbDpT10_ENKUlT_T0_E_clISt17integral_constantIbLb1EES1A_IbLb0EEEEDaS16_S17_EUlS16_E_NS1_11comp_targetILNS1_3genE0ELNS1_11target_archE4294967295ELNS1_3gpuE0ELNS1_3repE0EEENS1_30default_config_static_selectorELNS0_4arch9wavefront6targetE0EEEvT1_,"axG",@progbits,_ZN7rocprim17ROCPRIM_400000_NS6detail17trampoline_kernelINS0_14default_configENS1_25partition_config_selectorILNS1_17partition_subalgoE9EjjbEEZZNS1_14partition_implILS5_9ELb0ES3_jN6thrust23THRUST_200600_302600_NS6detail15normal_iteratorINS9_10device_ptrIjEEEESE_PNS0_10empty_typeENS0_5tupleIJSE_SF_EEENSH_IJNS9_16discard_iteratorINS9_11use_defaultEEESG_EEENS0_18inequality_wrapperINS9_8equal_toIjEEEEPmJSF_EEE10hipError_tPvRmT3_T4_T5_T6_T7_T9_mT8_P12ihipStream_tbDpT10_ENKUlT_T0_E_clISt17integral_constantIbLb1EES1A_IbLb0EEEEDaS16_S17_EUlS16_E_NS1_11comp_targetILNS1_3genE0ELNS1_11target_archE4294967295ELNS1_3gpuE0ELNS1_3repE0EEENS1_30default_config_static_selectorELNS0_4arch9wavefront6targetE0EEEvT1_,comdat
.Lfunc_end837:
	.size	_ZN7rocprim17ROCPRIM_400000_NS6detail17trampoline_kernelINS0_14default_configENS1_25partition_config_selectorILNS1_17partition_subalgoE9EjjbEEZZNS1_14partition_implILS5_9ELb0ES3_jN6thrust23THRUST_200600_302600_NS6detail15normal_iteratorINS9_10device_ptrIjEEEESE_PNS0_10empty_typeENS0_5tupleIJSE_SF_EEENSH_IJNS9_16discard_iteratorINS9_11use_defaultEEESG_EEENS0_18inequality_wrapperINS9_8equal_toIjEEEEPmJSF_EEE10hipError_tPvRmT3_T4_T5_T6_T7_T9_mT8_P12ihipStream_tbDpT10_ENKUlT_T0_E_clISt17integral_constantIbLb1EES1A_IbLb0EEEEDaS16_S17_EUlS16_E_NS1_11comp_targetILNS1_3genE0ELNS1_11target_archE4294967295ELNS1_3gpuE0ELNS1_3repE0EEENS1_30default_config_static_selectorELNS0_4arch9wavefront6targetE0EEEvT1_, .Lfunc_end837-_ZN7rocprim17ROCPRIM_400000_NS6detail17trampoline_kernelINS0_14default_configENS1_25partition_config_selectorILNS1_17partition_subalgoE9EjjbEEZZNS1_14partition_implILS5_9ELb0ES3_jN6thrust23THRUST_200600_302600_NS6detail15normal_iteratorINS9_10device_ptrIjEEEESE_PNS0_10empty_typeENS0_5tupleIJSE_SF_EEENSH_IJNS9_16discard_iteratorINS9_11use_defaultEEESG_EEENS0_18inequality_wrapperINS9_8equal_toIjEEEEPmJSF_EEE10hipError_tPvRmT3_T4_T5_T6_T7_T9_mT8_P12ihipStream_tbDpT10_ENKUlT_T0_E_clISt17integral_constantIbLb1EES1A_IbLb0EEEEDaS16_S17_EUlS16_E_NS1_11comp_targetILNS1_3genE0ELNS1_11target_archE4294967295ELNS1_3gpuE0ELNS1_3repE0EEENS1_30default_config_static_selectorELNS0_4arch9wavefront6targetE0EEEvT1_
                                        ; -- End function
	.section	.AMDGPU.csdata,"",@progbits
; Kernel info:
; codeLenInByte = 0
; NumSgprs: 0
; NumVgprs: 0
; ScratchSize: 0
; MemoryBound: 0
; FloatMode: 240
; IeeeMode: 1
; LDSByteSize: 0 bytes/workgroup (compile time only)
; SGPRBlocks: 0
; VGPRBlocks: 0
; NumSGPRsForWavesPerEU: 1
; NumVGPRsForWavesPerEU: 1
; Occupancy: 16
; WaveLimiterHint : 0
; COMPUTE_PGM_RSRC2:SCRATCH_EN: 0
; COMPUTE_PGM_RSRC2:USER_SGPR: 15
; COMPUTE_PGM_RSRC2:TRAP_HANDLER: 0
; COMPUTE_PGM_RSRC2:TGID_X_EN: 1
; COMPUTE_PGM_RSRC2:TGID_Y_EN: 0
; COMPUTE_PGM_RSRC2:TGID_Z_EN: 0
; COMPUTE_PGM_RSRC2:TIDIG_COMP_CNT: 0
	.section	.text._ZN7rocprim17ROCPRIM_400000_NS6detail17trampoline_kernelINS0_14default_configENS1_25partition_config_selectorILNS1_17partition_subalgoE9EjjbEEZZNS1_14partition_implILS5_9ELb0ES3_jN6thrust23THRUST_200600_302600_NS6detail15normal_iteratorINS9_10device_ptrIjEEEESE_PNS0_10empty_typeENS0_5tupleIJSE_SF_EEENSH_IJNS9_16discard_iteratorINS9_11use_defaultEEESG_EEENS0_18inequality_wrapperINS9_8equal_toIjEEEEPmJSF_EEE10hipError_tPvRmT3_T4_T5_T6_T7_T9_mT8_P12ihipStream_tbDpT10_ENKUlT_T0_E_clISt17integral_constantIbLb1EES1A_IbLb0EEEEDaS16_S17_EUlS16_E_NS1_11comp_targetILNS1_3genE5ELNS1_11target_archE942ELNS1_3gpuE9ELNS1_3repE0EEENS1_30default_config_static_selectorELNS0_4arch9wavefront6targetE0EEEvT1_,"axG",@progbits,_ZN7rocprim17ROCPRIM_400000_NS6detail17trampoline_kernelINS0_14default_configENS1_25partition_config_selectorILNS1_17partition_subalgoE9EjjbEEZZNS1_14partition_implILS5_9ELb0ES3_jN6thrust23THRUST_200600_302600_NS6detail15normal_iteratorINS9_10device_ptrIjEEEESE_PNS0_10empty_typeENS0_5tupleIJSE_SF_EEENSH_IJNS9_16discard_iteratorINS9_11use_defaultEEESG_EEENS0_18inequality_wrapperINS9_8equal_toIjEEEEPmJSF_EEE10hipError_tPvRmT3_T4_T5_T6_T7_T9_mT8_P12ihipStream_tbDpT10_ENKUlT_T0_E_clISt17integral_constantIbLb1EES1A_IbLb0EEEEDaS16_S17_EUlS16_E_NS1_11comp_targetILNS1_3genE5ELNS1_11target_archE942ELNS1_3gpuE9ELNS1_3repE0EEENS1_30default_config_static_selectorELNS0_4arch9wavefront6targetE0EEEvT1_,comdat
	.protected	_ZN7rocprim17ROCPRIM_400000_NS6detail17trampoline_kernelINS0_14default_configENS1_25partition_config_selectorILNS1_17partition_subalgoE9EjjbEEZZNS1_14partition_implILS5_9ELb0ES3_jN6thrust23THRUST_200600_302600_NS6detail15normal_iteratorINS9_10device_ptrIjEEEESE_PNS0_10empty_typeENS0_5tupleIJSE_SF_EEENSH_IJNS9_16discard_iteratorINS9_11use_defaultEEESG_EEENS0_18inequality_wrapperINS9_8equal_toIjEEEEPmJSF_EEE10hipError_tPvRmT3_T4_T5_T6_T7_T9_mT8_P12ihipStream_tbDpT10_ENKUlT_T0_E_clISt17integral_constantIbLb1EES1A_IbLb0EEEEDaS16_S17_EUlS16_E_NS1_11comp_targetILNS1_3genE5ELNS1_11target_archE942ELNS1_3gpuE9ELNS1_3repE0EEENS1_30default_config_static_selectorELNS0_4arch9wavefront6targetE0EEEvT1_ ; -- Begin function _ZN7rocprim17ROCPRIM_400000_NS6detail17trampoline_kernelINS0_14default_configENS1_25partition_config_selectorILNS1_17partition_subalgoE9EjjbEEZZNS1_14partition_implILS5_9ELb0ES3_jN6thrust23THRUST_200600_302600_NS6detail15normal_iteratorINS9_10device_ptrIjEEEESE_PNS0_10empty_typeENS0_5tupleIJSE_SF_EEENSH_IJNS9_16discard_iteratorINS9_11use_defaultEEESG_EEENS0_18inequality_wrapperINS9_8equal_toIjEEEEPmJSF_EEE10hipError_tPvRmT3_T4_T5_T6_T7_T9_mT8_P12ihipStream_tbDpT10_ENKUlT_T0_E_clISt17integral_constantIbLb1EES1A_IbLb0EEEEDaS16_S17_EUlS16_E_NS1_11comp_targetILNS1_3genE5ELNS1_11target_archE942ELNS1_3gpuE9ELNS1_3repE0EEENS1_30default_config_static_selectorELNS0_4arch9wavefront6targetE0EEEvT1_
	.globl	_ZN7rocprim17ROCPRIM_400000_NS6detail17trampoline_kernelINS0_14default_configENS1_25partition_config_selectorILNS1_17partition_subalgoE9EjjbEEZZNS1_14partition_implILS5_9ELb0ES3_jN6thrust23THRUST_200600_302600_NS6detail15normal_iteratorINS9_10device_ptrIjEEEESE_PNS0_10empty_typeENS0_5tupleIJSE_SF_EEENSH_IJNS9_16discard_iteratorINS9_11use_defaultEEESG_EEENS0_18inequality_wrapperINS9_8equal_toIjEEEEPmJSF_EEE10hipError_tPvRmT3_T4_T5_T6_T7_T9_mT8_P12ihipStream_tbDpT10_ENKUlT_T0_E_clISt17integral_constantIbLb1EES1A_IbLb0EEEEDaS16_S17_EUlS16_E_NS1_11comp_targetILNS1_3genE5ELNS1_11target_archE942ELNS1_3gpuE9ELNS1_3repE0EEENS1_30default_config_static_selectorELNS0_4arch9wavefront6targetE0EEEvT1_
	.p2align	8
	.type	_ZN7rocprim17ROCPRIM_400000_NS6detail17trampoline_kernelINS0_14default_configENS1_25partition_config_selectorILNS1_17partition_subalgoE9EjjbEEZZNS1_14partition_implILS5_9ELb0ES3_jN6thrust23THRUST_200600_302600_NS6detail15normal_iteratorINS9_10device_ptrIjEEEESE_PNS0_10empty_typeENS0_5tupleIJSE_SF_EEENSH_IJNS9_16discard_iteratorINS9_11use_defaultEEESG_EEENS0_18inequality_wrapperINS9_8equal_toIjEEEEPmJSF_EEE10hipError_tPvRmT3_T4_T5_T6_T7_T9_mT8_P12ihipStream_tbDpT10_ENKUlT_T0_E_clISt17integral_constantIbLb1EES1A_IbLb0EEEEDaS16_S17_EUlS16_E_NS1_11comp_targetILNS1_3genE5ELNS1_11target_archE942ELNS1_3gpuE9ELNS1_3repE0EEENS1_30default_config_static_selectorELNS0_4arch9wavefront6targetE0EEEvT1_,@function
_ZN7rocprim17ROCPRIM_400000_NS6detail17trampoline_kernelINS0_14default_configENS1_25partition_config_selectorILNS1_17partition_subalgoE9EjjbEEZZNS1_14partition_implILS5_9ELb0ES3_jN6thrust23THRUST_200600_302600_NS6detail15normal_iteratorINS9_10device_ptrIjEEEESE_PNS0_10empty_typeENS0_5tupleIJSE_SF_EEENSH_IJNS9_16discard_iteratorINS9_11use_defaultEEESG_EEENS0_18inequality_wrapperINS9_8equal_toIjEEEEPmJSF_EEE10hipError_tPvRmT3_T4_T5_T6_T7_T9_mT8_P12ihipStream_tbDpT10_ENKUlT_T0_E_clISt17integral_constantIbLb1EES1A_IbLb0EEEEDaS16_S17_EUlS16_E_NS1_11comp_targetILNS1_3genE5ELNS1_11target_archE942ELNS1_3gpuE9ELNS1_3repE0EEENS1_30default_config_static_selectorELNS0_4arch9wavefront6targetE0EEEvT1_: ; @_ZN7rocprim17ROCPRIM_400000_NS6detail17trampoline_kernelINS0_14default_configENS1_25partition_config_selectorILNS1_17partition_subalgoE9EjjbEEZZNS1_14partition_implILS5_9ELb0ES3_jN6thrust23THRUST_200600_302600_NS6detail15normal_iteratorINS9_10device_ptrIjEEEESE_PNS0_10empty_typeENS0_5tupleIJSE_SF_EEENSH_IJNS9_16discard_iteratorINS9_11use_defaultEEESG_EEENS0_18inequality_wrapperINS9_8equal_toIjEEEEPmJSF_EEE10hipError_tPvRmT3_T4_T5_T6_T7_T9_mT8_P12ihipStream_tbDpT10_ENKUlT_T0_E_clISt17integral_constantIbLb1EES1A_IbLb0EEEEDaS16_S17_EUlS16_E_NS1_11comp_targetILNS1_3genE5ELNS1_11target_archE942ELNS1_3gpuE9ELNS1_3repE0EEENS1_30default_config_static_selectorELNS0_4arch9wavefront6targetE0EEEvT1_
; %bb.0:
	.section	.rodata,"a",@progbits
	.p2align	6, 0x0
	.amdhsa_kernel _ZN7rocprim17ROCPRIM_400000_NS6detail17trampoline_kernelINS0_14default_configENS1_25partition_config_selectorILNS1_17partition_subalgoE9EjjbEEZZNS1_14partition_implILS5_9ELb0ES3_jN6thrust23THRUST_200600_302600_NS6detail15normal_iteratorINS9_10device_ptrIjEEEESE_PNS0_10empty_typeENS0_5tupleIJSE_SF_EEENSH_IJNS9_16discard_iteratorINS9_11use_defaultEEESG_EEENS0_18inequality_wrapperINS9_8equal_toIjEEEEPmJSF_EEE10hipError_tPvRmT3_T4_T5_T6_T7_T9_mT8_P12ihipStream_tbDpT10_ENKUlT_T0_E_clISt17integral_constantIbLb1EES1A_IbLb0EEEEDaS16_S17_EUlS16_E_NS1_11comp_targetILNS1_3genE5ELNS1_11target_archE942ELNS1_3gpuE9ELNS1_3repE0EEENS1_30default_config_static_selectorELNS0_4arch9wavefront6targetE0EEEvT1_
		.amdhsa_group_segment_fixed_size 0
		.amdhsa_private_segment_fixed_size 0
		.amdhsa_kernarg_size 120
		.amdhsa_user_sgpr_count 15
		.amdhsa_user_sgpr_dispatch_ptr 0
		.amdhsa_user_sgpr_queue_ptr 0
		.amdhsa_user_sgpr_kernarg_segment_ptr 1
		.amdhsa_user_sgpr_dispatch_id 0
		.amdhsa_user_sgpr_private_segment_size 0
		.amdhsa_wavefront_size32 1
		.amdhsa_uses_dynamic_stack 0
		.amdhsa_enable_private_segment 0
		.amdhsa_system_sgpr_workgroup_id_x 1
		.amdhsa_system_sgpr_workgroup_id_y 0
		.amdhsa_system_sgpr_workgroup_id_z 0
		.amdhsa_system_sgpr_workgroup_info 0
		.amdhsa_system_vgpr_workitem_id 0
		.amdhsa_next_free_vgpr 1
		.amdhsa_next_free_sgpr 1
		.amdhsa_reserve_vcc 0
		.amdhsa_float_round_mode_32 0
		.amdhsa_float_round_mode_16_64 0
		.amdhsa_float_denorm_mode_32 3
		.amdhsa_float_denorm_mode_16_64 3
		.amdhsa_dx10_clamp 1
		.amdhsa_ieee_mode 1
		.amdhsa_fp16_overflow 0
		.amdhsa_workgroup_processor_mode 1
		.amdhsa_memory_ordered 1
		.amdhsa_forward_progress 0
		.amdhsa_shared_vgpr_count 0
		.amdhsa_exception_fp_ieee_invalid_op 0
		.amdhsa_exception_fp_denorm_src 0
		.amdhsa_exception_fp_ieee_div_zero 0
		.amdhsa_exception_fp_ieee_overflow 0
		.amdhsa_exception_fp_ieee_underflow 0
		.amdhsa_exception_fp_ieee_inexact 0
		.amdhsa_exception_int_div_zero 0
	.end_amdhsa_kernel
	.section	.text._ZN7rocprim17ROCPRIM_400000_NS6detail17trampoline_kernelINS0_14default_configENS1_25partition_config_selectorILNS1_17partition_subalgoE9EjjbEEZZNS1_14partition_implILS5_9ELb0ES3_jN6thrust23THRUST_200600_302600_NS6detail15normal_iteratorINS9_10device_ptrIjEEEESE_PNS0_10empty_typeENS0_5tupleIJSE_SF_EEENSH_IJNS9_16discard_iteratorINS9_11use_defaultEEESG_EEENS0_18inequality_wrapperINS9_8equal_toIjEEEEPmJSF_EEE10hipError_tPvRmT3_T4_T5_T6_T7_T9_mT8_P12ihipStream_tbDpT10_ENKUlT_T0_E_clISt17integral_constantIbLb1EES1A_IbLb0EEEEDaS16_S17_EUlS16_E_NS1_11comp_targetILNS1_3genE5ELNS1_11target_archE942ELNS1_3gpuE9ELNS1_3repE0EEENS1_30default_config_static_selectorELNS0_4arch9wavefront6targetE0EEEvT1_,"axG",@progbits,_ZN7rocprim17ROCPRIM_400000_NS6detail17trampoline_kernelINS0_14default_configENS1_25partition_config_selectorILNS1_17partition_subalgoE9EjjbEEZZNS1_14partition_implILS5_9ELb0ES3_jN6thrust23THRUST_200600_302600_NS6detail15normal_iteratorINS9_10device_ptrIjEEEESE_PNS0_10empty_typeENS0_5tupleIJSE_SF_EEENSH_IJNS9_16discard_iteratorINS9_11use_defaultEEESG_EEENS0_18inequality_wrapperINS9_8equal_toIjEEEEPmJSF_EEE10hipError_tPvRmT3_T4_T5_T6_T7_T9_mT8_P12ihipStream_tbDpT10_ENKUlT_T0_E_clISt17integral_constantIbLb1EES1A_IbLb0EEEEDaS16_S17_EUlS16_E_NS1_11comp_targetILNS1_3genE5ELNS1_11target_archE942ELNS1_3gpuE9ELNS1_3repE0EEENS1_30default_config_static_selectorELNS0_4arch9wavefront6targetE0EEEvT1_,comdat
.Lfunc_end838:
	.size	_ZN7rocprim17ROCPRIM_400000_NS6detail17trampoline_kernelINS0_14default_configENS1_25partition_config_selectorILNS1_17partition_subalgoE9EjjbEEZZNS1_14partition_implILS5_9ELb0ES3_jN6thrust23THRUST_200600_302600_NS6detail15normal_iteratorINS9_10device_ptrIjEEEESE_PNS0_10empty_typeENS0_5tupleIJSE_SF_EEENSH_IJNS9_16discard_iteratorINS9_11use_defaultEEESG_EEENS0_18inequality_wrapperINS9_8equal_toIjEEEEPmJSF_EEE10hipError_tPvRmT3_T4_T5_T6_T7_T9_mT8_P12ihipStream_tbDpT10_ENKUlT_T0_E_clISt17integral_constantIbLb1EES1A_IbLb0EEEEDaS16_S17_EUlS16_E_NS1_11comp_targetILNS1_3genE5ELNS1_11target_archE942ELNS1_3gpuE9ELNS1_3repE0EEENS1_30default_config_static_selectorELNS0_4arch9wavefront6targetE0EEEvT1_, .Lfunc_end838-_ZN7rocprim17ROCPRIM_400000_NS6detail17trampoline_kernelINS0_14default_configENS1_25partition_config_selectorILNS1_17partition_subalgoE9EjjbEEZZNS1_14partition_implILS5_9ELb0ES3_jN6thrust23THRUST_200600_302600_NS6detail15normal_iteratorINS9_10device_ptrIjEEEESE_PNS0_10empty_typeENS0_5tupleIJSE_SF_EEENSH_IJNS9_16discard_iteratorINS9_11use_defaultEEESG_EEENS0_18inequality_wrapperINS9_8equal_toIjEEEEPmJSF_EEE10hipError_tPvRmT3_T4_T5_T6_T7_T9_mT8_P12ihipStream_tbDpT10_ENKUlT_T0_E_clISt17integral_constantIbLb1EES1A_IbLb0EEEEDaS16_S17_EUlS16_E_NS1_11comp_targetILNS1_3genE5ELNS1_11target_archE942ELNS1_3gpuE9ELNS1_3repE0EEENS1_30default_config_static_selectorELNS0_4arch9wavefront6targetE0EEEvT1_
                                        ; -- End function
	.section	.AMDGPU.csdata,"",@progbits
; Kernel info:
; codeLenInByte = 0
; NumSgprs: 0
; NumVgprs: 0
; ScratchSize: 0
; MemoryBound: 0
; FloatMode: 240
; IeeeMode: 1
; LDSByteSize: 0 bytes/workgroup (compile time only)
; SGPRBlocks: 0
; VGPRBlocks: 0
; NumSGPRsForWavesPerEU: 1
; NumVGPRsForWavesPerEU: 1
; Occupancy: 16
; WaveLimiterHint : 0
; COMPUTE_PGM_RSRC2:SCRATCH_EN: 0
; COMPUTE_PGM_RSRC2:USER_SGPR: 15
; COMPUTE_PGM_RSRC2:TRAP_HANDLER: 0
; COMPUTE_PGM_RSRC2:TGID_X_EN: 1
; COMPUTE_PGM_RSRC2:TGID_Y_EN: 0
; COMPUTE_PGM_RSRC2:TGID_Z_EN: 0
; COMPUTE_PGM_RSRC2:TIDIG_COMP_CNT: 0
	.section	.text._ZN7rocprim17ROCPRIM_400000_NS6detail17trampoline_kernelINS0_14default_configENS1_25partition_config_selectorILNS1_17partition_subalgoE9EjjbEEZZNS1_14partition_implILS5_9ELb0ES3_jN6thrust23THRUST_200600_302600_NS6detail15normal_iteratorINS9_10device_ptrIjEEEESE_PNS0_10empty_typeENS0_5tupleIJSE_SF_EEENSH_IJNS9_16discard_iteratorINS9_11use_defaultEEESG_EEENS0_18inequality_wrapperINS9_8equal_toIjEEEEPmJSF_EEE10hipError_tPvRmT3_T4_T5_T6_T7_T9_mT8_P12ihipStream_tbDpT10_ENKUlT_T0_E_clISt17integral_constantIbLb1EES1A_IbLb0EEEEDaS16_S17_EUlS16_E_NS1_11comp_targetILNS1_3genE4ELNS1_11target_archE910ELNS1_3gpuE8ELNS1_3repE0EEENS1_30default_config_static_selectorELNS0_4arch9wavefront6targetE0EEEvT1_,"axG",@progbits,_ZN7rocprim17ROCPRIM_400000_NS6detail17trampoline_kernelINS0_14default_configENS1_25partition_config_selectorILNS1_17partition_subalgoE9EjjbEEZZNS1_14partition_implILS5_9ELb0ES3_jN6thrust23THRUST_200600_302600_NS6detail15normal_iteratorINS9_10device_ptrIjEEEESE_PNS0_10empty_typeENS0_5tupleIJSE_SF_EEENSH_IJNS9_16discard_iteratorINS9_11use_defaultEEESG_EEENS0_18inequality_wrapperINS9_8equal_toIjEEEEPmJSF_EEE10hipError_tPvRmT3_T4_T5_T6_T7_T9_mT8_P12ihipStream_tbDpT10_ENKUlT_T0_E_clISt17integral_constantIbLb1EES1A_IbLb0EEEEDaS16_S17_EUlS16_E_NS1_11comp_targetILNS1_3genE4ELNS1_11target_archE910ELNS1_3gpuE8ELNS1_3repE0EEENS1_30default_config_static_selectorELNS0_4arch9wavefront6targetE0EEEvT1_,comdat
	.protected	_ZN7rocprim17ROCPRIM_400000_NS6detail17trampoline_kernelINS0_14default_configENS1_25partition_config_selectorILNS1_17partition_subalgoE9EjjbEEZZNS1_14partition_implILS5_9ELb0ES3_jN6thrust23THRUST_200600_302600_NS6detail15normal_iteratorINS9_10device_ptrIjEEEESE_PNS0_10empty_typeENS0_5tupleIJSE_SF_EEENSH_IJNS9_16discard_iteratorINS9_11use_defaultEEESG_EEENS0_18inequality_wrapperINS9_8equal_toIjEEEEPmJSF_EEE10hipError_tPvRmT3_T4_T5_T6_T7_T9_mT8_P12ihipStream_tbDpT10_ENKUlT_T0_E_clISt17integral_constantIbLb1EES1A_IbLb0EEEEDaS16_S17_EUlS16_E_NS1_11comp_targetILNS1_3genE4ELNS1_11target_archE910ELNS1_3gpuE8ELNS1_3repE0EEENS1_30default_config_static_selectorELNS0_4arch9wavefront6targetE0EEEvT1_ ; -- Begin function _ZN7rocprim17ROCPRIM_400000_NS6detail17trampoline_kernelINS0_14default_configENS1_25partition_config_selectorILNS1_17partition_subalgoE9EjjbEEZZNS1_14partition_implILS5_9ELb0ES3_jN6thrust23THRUST_200600_302600_NS6detail15normal_iteratorINS9_10device_ptrIjEEEESE_PNS0_10empty_typeENS0_5tupleIJSE_SF_EEENSH_IJNS9_16discard_iteratorINS9_11use_defaultEEESG_EEENS0_18inequality_wrapperINS9_8equal_toIjEEEEPmJSF_EEE10hipError_tPvRmT3_T4_T5_T6_T7_T9_mT8_P12ihipStream_tbDpT10_ENKUlT_T0_E_clISt17integral_constantIbLb1EES1A_IbLb0EEEEDaS16_S17_EUlS16_E_NS1_11comp_targetILNS1_3genE4ELNS1_11target_archE910ELNS1_3gpuE8ELNS1_3repE0EEENS1_30default_config_static_selectorELNS0_4arch9wavefront6targetE0EEEvT1_
	.globl	_ZN7rocprim17ROCPRIM_400000_NS6detail17trampoline_kernelINS0_14default_configENS1_25partition_config_selectorILNS1_17partition_subalgoE9EjjbEEZZNS1_14partition_implILS5_9ELb0ES3_jN6thrust23THRUST_200600_302600_NS6detail15normal_iteratorINS9_10device_ptrIjEEEESE_PNS0_10empty_typeENS0_5tupleIJSE_SF_EEENSH_IJNS9_16discard_iteratorINS9_11use_defaultEEESG_EEENS0_18inequality_wrapperINS9_8equal_toIjEEEEPmJSF_EEE10hipError_tPvRmT3_T4_T5_T6_T7_T9_mT8_P12ihipStream_tbDpT10_ENKUlT_T0_E_clISt17integral_constantIbLb1EES1A_IbLb0EEEEDaS16_S17_EUlS16_E_NS1_11comp_targetILNS1_3genE4ELNS1_11target_archE910ELNS1_3gpuE8ELNS1_3repE0EEENS1_30default_config_static_selectorELNS0_4arch9wavefront6targetE0EEEvT1_
	.p2align	8
	.type	_ZN7rocprim17ROCPRIM_400000_NS6detail17trampoline_kernelINS0_14default_configENS1_25partition_config_selectorILNS1_17partition_subalgoE9EjjbEEZZNS1_14partition_implILS5_9ELb0ES3_jN6thrust23THRUST_200600_302600_NS6detail15normal_iteratorINS9_10device_ptrIjEEEESE_PNS0_10empty_typeENS0_5tupleIJSE_SF_EEENSH_IJNS9_16discard_iteratorINS9_11use_defaultEEESG_EEENS0_18inequality_wrapperINS9_8equal_toIjEEEEPmJSF_EEE10hipError_tPvRmT3_T4_T5_T6_T7_T9_mT8_P12ihipStream_tbDpT10_ENKUlT_T0_E_clISt17integral_constantIbLb1EES1A_IbLb0EEEEDaS16_S17_EUlS16_E_NS1_11comp_targetILNS1_3genE4ELNS1_11target_archE910ELNS1_3gpuE8ELNS1_3repE0EEENS1_30default_config_static_selectorELNS0_4arch9wavefront6targetE0EEEvT1_,@function
_ZN7rocprim17ROCPRIM_400000_NS6detail17trampoline_kernelINS0_14default_configENS1_25partition_config_selectorILNS1_17partition_subalgoE9EjjbEEZZNS1_14partition_implILS5_9ELb0ES3_jN6thrust23THRUST_200600_302600_NS6detail15normal_iteratorINS9_10device_ptrIjEEEESE_PNS0_10empty_typeENS0_5tupleIJSE_SF_EEENSH_IJNS9_16discard_iteratorINS9_11use_defaultEEESG_EEENS0_18inequality_wrapperINS9_8equal_toIjEEEEPmJSF_EEE10hipError_tPvRmT3_T4_T5_T6_T7_T9_mT8_P12ihipStream_tbDpT10_ENKUlT_T0_E_clISt17integral_constantIbLb1EES1A_IbLb0EEEEDaS16_S17_EUlS16_E_NS1_11comp_targetILNS1_3genE4ELNS1_11target_archE910ELNS1_3gpuE8ELNS1_3repE0EEENS1_30default_config_static_selectorELNS0_4arch9wavefront6targetE0EEEvT1_: ; @_ZN7rocprim17ROCPRIM_400000_NS6detail17trampoline_kernelINS0_14default_configENS1_25partition_config_selectorILNS1_17partition_subalgoE9EjjbEEZZNS1_14partition_implILS5_9ELb0ES3_jN6thrust23THRUST_200600_302600_NS6detail15normal_iteratorINS9_10device_ptrIjEEEESE_PNS0_10empty_typeENS0_5tupleIJSE_SF_EEENSH_IJNS9_16discard_iteratorINS9_11use_defaultEEESG_EEENS0_18inequality_wrapperINS9_8equal_toIjEEEEPmJSF_EEE10hipError_tPvRmT3_T4_T5_T6_T7_T9_mT8_P12ihipStream_tbDpT10_ENKUlT_T0_E_clISt17integral_constantIbLb1EES1A_IbLb0EEEEDaS16_S17_EUlS16_E_NS1_11comp_targetILNS1_3genE4ELNS1_11target_archE910ELNS1_3gpuE8ELNS1_3repE0EEENS1_30default_config_static_selectorELNS0_4arch9wavefront6targetE0EEEvT1_
; %bb.0:
	.section	.rodata,"a",@progbits
	.p2align	6, 0x0
	.amdhsa_kernel _ZN7rocprim17ROCPRIM_400000_NS6detail17trampoline_kernelINS0_14default_configENS1_25partition_config_selectorILNS1_17partition_subalgoE9EjjbEEZZNS1_14partition_implILS5_9ELb0ES3_jN6thrust23THRUST_200600_302600_NS6detail15normal_iteratorINS9_10device_ptrIjEEEESE_PNS0_10empty_typeENS0_5tupleIJSE_SF_EEENSH_IJNS9_16discard_iteratorINS9_11use_defaultEEESG_EEENS0_18inequality_wrapperINS9_8equal_toIjEEEEPmJSF_EEE10hipError_tPvRmT3_T4_T5_T6_T7_T9_mT8_P12ihipStream_tbDpT10_ENKUlT_T0_E_clISt17integral_constantIbLb1EES1A_IbLb0EEEEDaS16_S17_EUlS16_E_NS1_11comp_targetILNS1_3genE4ELNS1_11target_archE910ELNS1_3gpuE8ELNS1_3repE0EEENS1_30default_config_static_selectorELNS0_4arch9wavefront6targetE0EEEvT1_
		.amdhsa_group_segment_fixed_size 0
		.amdhsa_private_segment_fixed_size 0
		.amdhsa_kernarg_size 120
		.amdhsa_user_sgpr_count 15
		.amdhsa_user_sgpr_dispatch_ptr 0
		.amdhsa_user_sgpr_queue_ptr 0
		.amdhsa_user_sgpr_kernarg_segment_ptr 1
		.amdhsa_user_sgpr_dispatch_id 0
		.amdhsa_user_sgpr_private_segment_size 0
		.amdhsa_wavefront_size32 1
		.amdhsa_uses_dynamic_stack 0
		.amdhsa_enable_private_segment 0
		.amdhsa_system_sgpr_workgroup_id_x 1
		.amdhsa_system_sgpr_workgroup_id_y 0
		.amdhsa_system_sgpr_workgroup_id_z 0
		.amdhsa_system_sgpr_workgroup_info 0
		.amdhsa_system_vgpr_workitem_id 0
		.amdhsa_next_free_vgpr 1
		.amdhsa_next_free_sgpr 1
		.amdhsa_reserve_vcc 0
		.amdhsa_float_round_mode_32 0
		.amdhsa_float_round_mode_16_64 0
		.amdhsa_float_denorm_mode_32 3
		.amdhsa_float_denorm_mode_16_64 3
		.amdhsa_dx10_clamp 1
		.amdhsa_ieee_mode 1
		.amdhsa_fp16_overflow 0
		.amdhsa_workgroup_processor_mode 1
		.amdhsa_memory_ordered 1
		.amdhsa_forward_progress 0
		.amdhsa_shared_vgpr_count 0
		.amdhsa_exception_fp_ieee_invalid_op 0
		.amdhsa_exception_fp_denorm_src 0
		.amdhsa_exception_fp_ieee_div_zero 0
		.amdhsa_exception_fp_ieee_overflow 0
		.amdhsa_exception_fp_ieee_underflow 0
		.amdhsa_exception_fp_ieee_inexact 0
		.amdhsa_exception_int_div_zero 0
	.end_amdhsa_kernel
	.section	.text._ZN7rocprim17ROCPRIM_400000_NS6detail17trampoline_kernelINS0_14default_configENS1_25partition_config_selectorILNS1_17partition_subalgoE9EjjbEEZZNS1_14partition_implILS5_9ELb0ES3_jN6thrust23THRUST_200600_302600_NS6detail15normal_iteratorINS9_10device_ptrIjEEEESE_PNS0_10empty_typeENS0_5tupleIJSE_SF_EEENSH_IJNS9_16discard_iteratorINS9_11use_defaultEEESG_EEENS0_18inequality_wrapperINS9_8equal_toIjEEEEPmJSF_EEE10hipError_tPvRmT3_T4_T5_T6_T7_T9_mT8_P12ihipStream_tbDpT10_ENKUlT_T0_E_clISt17integral_constantIbLb1EES1A_IbLb0EEEEDaS16_S17_EUlS16_E_NS1_11comp_targetILNS1_3genE4ELNS1_11target_archE910ELNS1_3gpuE8ELNS1_3repE0EEENS1_30default_config_static_selectorELNS0_4arch9wavefront6targetE0EEEvT1_,"axG",@progbits,_ZN7rocprim17ROCPRIM_400000_NS6detail17trampoline_kernelINS0_14default_configENS1_25partition_config_selectorILNS1_17partition_subalgoE9EjjbEEZZNS1_14partition_implILS5_9ELb0ES3_jN6thrust23THRUST_200600_302600_NS6detail15normal_iteratorINS9_10device_ptrIjEEEESE_PNS0_10empty_typeENS0_5tupleIJSE_SF_EEENSH_IJNS9_16discard_iteratorINS9_11use_defaultEEESG_EEENS0_18inequality_wrapperINS9_8equal_toIjEEEEPmJSF_EEE10hipError_tPvRmT3_T4_T5_T6_T7_T9_mT8_P12ihipStream_tbDpT10_ENKUlT_T0_E_clISt17integral_constantIbLb1EES1A_IbLb0EEEEDaS16_S17_EUlS16_E_NS1_11comp_targetILNS1_3genE4ELNS1_11target_archE910ELNS1_3gpuE8ELNS1_3repE0EEENS1_30default_config_static_selectorELNS0_4arch9wavefront6targetE0EEEvT1_,comdat
.Lfunc_end839:
	.size	_ZN7rocprim17ROCPRIM_400000_NS6detail17trampoline_kernelINS0_14default_configENS1_25partition_config_selectorILNS1_17partition_subalgoE9EjjbEEZZNS1_14partition_implILS5_9ELb0ES3_jN6thrust23THRUST_200600_302600_NS6detail15normal_iteratorINS9_10device_ptrIjEEEESE_PNS0_10empty_typeENS0_5tupleIJSE_SF_EEENSH_IJNS9_16discard_iteratorINS9_11use_defaultEEESG_EEENS0_18inequality_wrapperINS9_8equal_toIjEEEEPmJSF_EEE10hipError_tPvRmT3_T4_T5_T6_T7_T9_mT8_P12ihipStream_tbDpT10_ENKUlT_T0_E_clISt17integral_constantIbLb1EES1A_IbLb0EEEEDaS16_S17_EUlS16_E_NS1_11comp_targetILNS1_3genE4ELNS1_11target_archE910ELNS1_3gpuE8ELNS1_3repE0EEENS1_30default_config_static_selectorELNS0_4arch9wavefront6targetE0EEEvT1_, .Lfunc_end839-_ZN7rocprim17ROCPRIM_400000_NS6detail17trampoline_kernelINS0_14default_configENS1_25partition_config_selectorILNS1_17partition_subalgoE9EjjbEEZZNS1_14partition_implILS5_9ELb0ES3_jN6thrust23THRUST_200600_302600_NS6detail15normal_iteratorINS9_10device_ptrIjEEEESE_PNS0_10empty_typeENS0_5tupleIJSE_SF_EEENSH_IJNS9_16discard_iteratorINS9_11use_defaultEEESG_EEENS0_18inequality_wrapperINS9_8equal_toIjEEEEPmJSF_EEE10hipError_tPvRmT3_T4_T5_T6_T7_T9_mT8_P12ihipStream_tbDpT10_ENKUlT_T0_E_clISt17integral_constantIbLb1EES1A_IbLb0EEEEDaS16_S17_EUlS16_E_NS1_11comp_targetILNS1_3genE4ELNS1_11target_archE910ELNS1_3gpuE8ELNS1_3repE0EEENS1_30default_config_static_selectorELNS0_4arch9wavefront6targetE0EEEvT1_
                                        ; -- End function
	.section	.AMDGPU.csdata,"",@progbits
; Kernel info:
; codeLenInByte = 0
; NumSgprs: 0
; NumVgprs: 0
; ScratchSize: 0
; MemoryBound: 0
; FloatMode: 240
; IeeeMode: 1
; LDSByteSize: 0 bytes/workgroup (compile time only)
; SGPRBlocks: 0
; VGPRBlocks: 0
; NumSGPRsForWavesPerEU: 1
; NumVGPRsForWavesPerEU: 1
; Occupancy: 15
; WaveLimiterHint : 0
; COMPUTE_PGM_RSRC2:SCRATCH_EN: 0
; COMPUTE_PGM_RSRC2:USER_SGPR: 15
; COMPUTE_PGM_RSRC2:TRAP_HANDLER: 0
; COMPUTE_PGM_RSRC2:TGID_X_EN: 1
; COMPUTE_PGM_RSRC2:TGID_Y_EN: 0
; COMPUTE_PGM_RSRC2:TGID_Z_EN: 0
; COMPUTE_PGM_RSRC2:TIDIG_COMP_CNT: 0
	.section	.text._ZN7rocprim17ROCPRIM_400000_NS6detail17trampoline_kernelINS0_14default_configENS1_25partition_config_selectorILNS1_17partition_subalgoE9EjjbEEZZNS1_14partition_implILS5_9ELb0ES3_jN6thrust23THRUST_200600_302600_NS6detail15normal_iteratorINS9_10device_ptrIjEEEESE_PNS0_10empty_typeENS0_5tupleIJSE_SF_EEENSH_IJNS9_16discard_iteratorINS9_11use_defaultEEESG_EEENS0_18inequality_wrapperINS9_8equal_toIjEEEEPmJSF_EEE10hipError_tPvRmT3_T4_T5_T6_T7_T9_mT8_P12ihipStream_tbDpT10_ENKUlT_T0_E_clISt17integral_constantIbLb1EES1A_IbLb0EEEEDaS16_S17_EUlS16_E_NS1_11comp_targetILNS1_3genE3ELNS1_11target_archE908ELNS1_3gpuE7ELNS1_3repE0EEENS1_30default_config_static_selectorELNS0_4arch9wavefront6targetE0EEEvT1_,"axG",@progbits,_ZN7rocprim17ROCPRIM_400000_NS6detail17trampoline_kernelINS0_14default_configENS1_25partition_config_selectorILNS1_17partition_subalgoE9EjjbEEZZNS1_14partition_implILS5_9ELb0ES3_jN6thrust23THRUST_200600_302600_NS6detail15normal_iteratorINS9_10device_ptrIjEEEESE_PNS0_10empty_typeENS0_5tupleIJSE_SF_EEENSH_IJNS9_16discard_iteratorINS9_11use_defaultEEESG_EEENS0_18inequality_wrapperINS9_8equal_toIjEEEEPmJSF_EEE10hipError_tPvRmT3_T4_T5_T6_T7_T9_mT8_P12ihipStream_tbDpT10_ENKUlT_T0_E_clISt17integral_constantIbLb1EES1A_IbLb0EEEEDaS16_S17_EUlS16_E_NS1_11comp_targetILNS1_3genE3ELNS1_11target_archE908ELNS1_3gpuE7ELNS1_3repE0EEENS1_30default_config_static_selectorELNS0_4arch9wavefront6targetE0EEEvT1_,comdat
	.protected	_ZN7rocprim17ROCPRIM_400000_NS6detail17trampoline_kernelINS0_14default_configENS1_25partition_config_selectorILNS1_17partition_subalgoE9EjjbEEZZNS1_14partition_implILS5_9ELb0ES3_jN6thrust23THRUST_200600_302600_NS6detail15normal_iteratorINS9_10device_ptrIjEEEESE_PNS0_10empty_typeENS0_5tupleIJSE_SF_EEENSH_IJNS9_16discard_iteratorINS9_11use_defaultEEESG_EEENS0_18inequality_wrapperINS9_8equal_toIjEEEEPmJSF_EEE10hipError_tPvRmT3_T4_T5_T6_T7_T9_mT8_P12ihipStream_tbDpT10_ENKUlT_T0_E_clISt17integral_constantIbLb1EES1A_IbLb0EEEEDaS16_S17_EUlS16_E_NS1_11comp_targetILNS1_3genE3ELNS1_11target_archE908ELNS1_3gpuE7ELNS1_3repE0EEENS1_30default_config_static_selectorELNS0_4arch9wavefront6targetE0EEEvT1_ ; -- Begin function _ZN7rocprim17ROCPRIM_400000_NS6detail17trampoline_kernelINS0_14default_configENS1_25partition_config_selectorILNS1_17partition_subalgoE9EjjbEEZZNS1_14partition_implILS5_9ELb0ES3_jN6thrust23THRUST_200600_302600_NS6detail15normal_iteratorINS9_10device_ptrIjEEEESE_PNS0_10empty_typeENS0_5tupleIJSE_SF_EEENSH_IJNS9_16discard_iteratorINS9_11use_defaultEEESG_EEENS0_18inequality_wrapperINS9_8equal_toIjEEEEPmJSF_EEE10hipError_tPvRmT3_T4_T5_T6_T7_T9_mT8_P12ihipStream_tbDpT10_ENKUlT_T0_E_clISt17integral_constantIbLb1EES1A_IbLb0EEEEDaS16_S17_EUlS16_E_NS1_11comp_targetILNS1_3genE3ELNS1_11target_archE908ELNS1_3gpuE7ELNS1_3repE0EEENS1_30default_config_static_selectorELNS0_4arch9wavefront6targetE0EEEvT1_
	.globl	_ZN7rocprim17ROCPRIM_400000_NS6detail17trampoline_kernelINS0_14default_configENS1_25partition_config_selectorILNS1_17partition_subalgoE9EjjbEEZZNS1_14partition_implILS5_9ELb0ES3_jN6thrust23THRUST_200600_302600_NS6detail15normal_iteratorINS9_10device_ptrIjEEEESE_PNS0_10empty_typeENS0_5tupleIJSE_SF_EEENSH_IJNS9_16discard_iteratorINS9_11use_defaultEEESG_EEENS0_18inequality_wrapperINS9_8equal_toIjEEEEPmJSF_EEE10hipError_tPvRmT3_T4_T5_T6_T7_T9_mT8_P12ihipStream_tbDpT10_ENKUlT_T0_E_clISt17integral_constantIbLb1EES1A_IbLb0EEEEDaS16_S17_EUlS16_E_NS1_11comp_targetILNS1_3genE3ELNS1_11target_archE908ELNS1_3gpuE7ELNS1_3repE0EEENS1_30default_config_static_selectorELNS0_4arch9wavefront6targetE0EEEvT1_
	.p2align	8
	.type	_ZN7rocprim17ROCPRIM_400000_NS6detail17trampoline_kernelINS0_14default_configENS1_25partition_config_selectorILNS1_17partition_subalgoE9EjjbEEZZNS1_14partition_implILS5_9ELb0ES3_jN6thrust23THRUST_200600_302600_NS6detail15normal_iteratorINS9_10device_ptrIjEEEESE_PNS0_10empty_typeENS0_5tupleIJSE_SF_EEENSH_IJNS9_16discard_iteratorINS9_11use_defaultEEESG_EEENS0_18inequality_wrapperINS9_8equal_toIjEEEEPmJSF_EEE10hipError_tPvRmT3_T4_T5_T6_T7_T9_mT8_P12ihipStream_tbDpT10_ENKUlT_T0_E_clISt17integral_constantIbLb1EES1A_IbLb0EEEEDaS16_S17_EUlS16_E_NS1_11comp_targetILNS1_3genE3ELNS1_11target_archE908ELNS1_3gpuE7ELNS1_3repE0EEENS1_30default_config_static_selectorELNS0_4arch9wavefront6targetE0EEEvT1_,@function
_ZN7rocprim17ROCPRIM_400000_NS6detail17trampoline_kernelINS0_14default_configENS1_25partition_config_selectorILNS1_17partition_subalgoE9EjjbEEZZNS1_14partition_implILS5_9ELb0ES3_jN6thrust23THRUST_200600_302600_NS6detail15normal_iteratorINS9_10device_ptrIjEEEESE_PNS0_10empty_typeENS0_5tupleIJSE_SF_EEENSH_IJNS9_16discard_iteratorINS9_11use_defaultEEESG_EEENS0_18inequality_wrapperINS9_8equal_toIjEEEEPmJSF_EEE10hipError_tPvRmT3_T4_T5_T6_T7_T9_mT8_P12ihipStream_tbDpT10_ENKUlT_T0_E_clISt17integral_constantIbLb1EES1A_IbLb0EEEEDaS16_S17_EUlS16_E_NS1_11comp_targetILNS1_3genE3ELNS1_11target_archE908ELNS1_3gpuE7ELNS1_3repE0EEENS1_30default_config_static_selectorELNS0_4arch9wavefront6targetE0EEEvT1_: ; @_ZN7rocprim17ROCPRIM_400000_NS6detail17trampoline_kernelINS0_14default_configENS1_25partition_config_selectorILNS1_17partition_subalgoE9EjjbEEZZNS1_14partition_implILS5_9ELb0ES3_jN6thrust23THRUST_200600_302600_NS6detail15normal_iteratorINS9_10device_ptrIjEEEESE_PNS0_10empty_typeENS0_5tupleIJSE_SF_EEENSH_IJNS9_16discard_iteratorINS9_11use_defaultEEESG_EEENS0_18inequality_wrapperINS9_8equal_toIjEEEEPmJSF_EEE10hipError_tPvRmT3_T4_T5_T6_T7_T9_mT8_P12ihipStream_tbDpT10_ENKUlT_T0_E_clISt17integral_constantIbLb1EES1A_IbLb0EEEEDaS16_S17_EUlS16_E_NS1_11comp_targetILNS1_3genE3ELNS1_11target_archE908ELNS1_3gpuE7ELNS1_3repE0EEENS1_30default_config_static_selectorELNS0_4arch9wavefront6targetE0EEEvT1_
; %bb.0:
	.section	.rodata,"a",@progbits
	.p2align	6, 0x0
	.amdhsa_kernel _ZN7rocprim17ROCPRIM_400000_NS6detail17trampoline_kernelINS0_14default_configENS1_25partition_config_selectorILNS1_17partition_subalgoE9EjjbEEZZNS1_14partition_implILS5_9ELb0ES3_jN6thrust23THRUST_200600_302600_NS6detail15normal_iteratorINS9_10device_ptrIjEEEESE_PNS0_10empty_typeENS0_5tupleIJSE_SF_EEENSH_IJNS9_16discard_iteratorINS9_11use_defaultEEESG_EEENS0_18inequality_wrapperINS9_8equal_toIjEEEEPmJSF_EEE10hipError_tPvRmT3_T4_T5_T6_T7_T9_mT8_P12ihipStream_tbDpT10_ENKUlT_T0_E_clISt17integral_constantIbLb1EES1A_IbLb0EEEEDaS16_S17_EUlS16_E_NS1_11comp_targetILNS1_3genE3ELNS1_11target_archE908ELNS1_3gpuE7ELNS1_3repE0EEENS1_30default_config_static_selectorELNS0_4arch9wavefront6targetE0EEEvT1_
		.amdhsa_group_segment_fixed_size 0
		.amdhsa_private_segment_fixed_size 0
		.amdhsa_kernarg_size 120
		.amdhsa_user_sgpr_count 15
		.amdhsa_user_sgpr_dispatch_ptr 0
		.amdhsa_user_sgpr_queue_ptr 0
		.amdhsa_user_sgpr_kernarg_segment_ptr 1
		.amdhsa_user_sgpr_dispatch_id 0
		.amdhsa_user_sgpr_private_segment_size 0
		.amdhsa_wavefront_size32 1
		.amdhsa_uses_dynamic_stack 0
		.amdhsa_enable_private_segment 0
		.amdhsa_system_sgpr_workgroup_id_x 1
		.amdhsa_system_sgpr_workgroup_id_y 0
		.amdhsa_system_sgpr_workgroup_id_z 0
		.amdhsa_system_sgpr_workgroup_info 0
		.amdhsa_system_vgpr_workitem_id 0
		.amdhsa_next_free_vgpr 1
		.amdhsa_next_free_sgpr 1
		.amdhsa_reserve_vcc 0
		.amdhsa_float_round_mode_32 0
		.amdhsa_float_round_mode_16_64 0
		.amdhsa_float_denorm_mode_32 3
		.amdhsa_float_denorm_mode_16_64 3
		.amdhsa_dx10_clamp 1
		.amdhsa_ieee_mode 1
		.amdhsa_fp16_overflow 0
		.amdhsa_workgroup_processor_mode 1
		.amdhsa_memory_ordered 1
		.amdhsa_forward_progress 0
		.amdhsa_shared_vgpr_count 0
		.amdhsa_exception_fp_ieee_invalid_op 0
		.amdhsa_exception_fp_denorm_src 0
		.amdhsa_exception_fp_ieee_div_zero 0
		.amdhsa_exception_fp_ieee_overflow 0
		.amdhsa_exception_fp_ieee_underflow 0
		.amdhsa_exception_fp_ieee_inexact 0
		.amdhsa_exception_int_div_zero 0
	.end_amdhsa_kernel
	.section	.text._ZN7rocprim17ROCPRIM_400000_NS6detail17trampoline_kernelINS0_14default_configENS1_25partition_config_selectorILNS1_17partition_subalgoE9EjjbEEZZNS1_14partition_implILS5_9ELb0ES3_jN6thrust23THRUST_200600_302600_NS6detail15normal_iteratorINS9_10device_ptrIjEEEESE_PNS0_10empty_typeENS0_5tupleIJSE_SF_EEENSH_IJNS9_16discard_iteratorINS9_11use_defaultEEESG_EEENS0_18inequality_wrapperINS9_8equal_toIjEEEEPmJSF_EEE10hipError_tPvRmT3_T4_T5_T6_T7_T9_mT8_P12ihipStream_tbDpT10_ENKUlT_T0_E_clISt17integral_constantIbLb1EES1A_IbLb0EEEEDaS16_S17_EUlS16_E_NS1_11comp_targetILNS1_3genE3ELNS1_11target_archE908ELNS1_3gpuE7ELNS1_3repE0EEENS1_30default_config_static_selectorELNS0_4arch9wavefront6targetE0EEEvT1_,"axG",@progbits,_ZN7rocprim17ROCPRIM_400000_NS6detail17trampoline_kernelINS0_14default_configENS1_25partition_config_selectorILNS1_17partition_subalgoE9EjjbEEZZNS1_14partition_implILS5_9ELb0ES3_jN6thrust23THRUST_200600_302600_NS6detail15normal_iteratorINS9_10device_ptrIjEEEESE_PNS0_10empty_typeENS0_5tupleIJSE_SF_EEENSH_IJNS9_16discard_iteratorINS9_11use_defaultEEESG_EEENS0_18inequality_wrapperINS9_8equal_toIjEEEEPmJSF_EEE10hipError_tPvRmT3_T4_T5_T6_T7_T9_mT8_P12ihipStream_tbDpT10_ENKUlT_T0_E_clISt17integral_constantIbLb1EES1A_IbLb0EEEEDaS16_S17_EUlS16_E_NS1_11comp_targetILNS1_3genE3ELNS1_11target_archE908ELNS1_3gpuE7ELNS1_3repE0EEENS1_30default_config_static_selectorELNS0_4arch9wavefront6targetE0EEEvT1_,comdat
.Lfunc_end840:
	.size	_ZN7rocprim17ROCPRIM_400000_NS6detail17trampoline_kernelINS0_14default_configENS1_25partition_config_selectorILNS1_17partition_subalgoE9EjjbEEZZNS1_14partition_implILS5_9ELb0ES3_jN6thrust23THRUST_200600_302600_NS6detail15normal_iteratorINS9_10device_ptrIjEEEESE_PNS0_10empty_typeENS0_5tupleIJSE_SF_EEENSH_IJNS9_16discard_iteratorINS9_11use_defaultEEESG_EEENS0_18inequality_wrapperINS9_8equal_toIjEEEEPmJSF_EEE10hipError_tPvRmT3_T4_T5_T6_T7_T9_mT8_P12ihipStream_tbDpT10_ENKUlT_T0_E_clISt17integral_constantIbLb1EES1A_IbLb0EEEEDaS16_S17_EUlS16_E_NS1_11comp_targetILNS1_3genE3ELNS1_11target_archE908ELNS1_3gpuE7ELNS1_3repE0EEENS1_30default_config_static_selectorELNS0_4arch9wavefront6targetE0EEEvT1_, .Lfunc_end840-_ZN7rocprim17ROCPRIM_400000_NS6detail17trampoline_kernelINS0_14default_configENS1_25partition_config_selectorILNS1_17partition_subalgoE9EjjbEEZZNS1_14partition_implILS5_9ELb0ES3_jN6thrust23THRUST_200600_302600_NS6detail15normal_iteratorINS9_10device_ptrIjEEEESE_PNS0_10empty_typeENS0_5tupleIJSE_SF_EEENSH_IJNS9_16discard_iteratorINS9_11use_defaultEEESG_EEENS0_18inequality_wrapperINS9_8equal_toIjEEEEPmJSF_EEE10hipError_tPvRmT3_T4_T5_T6_T7_T9_mT8_P12ihipStream_tbDpT10_ENKUlT_T0_E_clISt17integral_constantIbLb1EES1A_IbLb0EEEEDaS16_S17_EUlS16_E_NS1_11comp_targetILNS1_3genE3ELNS1_11target_archE908ELNS1_3gpuE7ELNS1_3repE0EEENS1_30default_config_static_selectorELNS0_4arch9wavefront6targetE0EEEvT1_
                                        ; -- End function
	.section	.AMDGPU.csdata,"",@progbits
; Kernel info:
; codeLenInByte = 0
; NumSgprs: 0
; NumVgprs: 0
; ScratchSize: 0
; MemoryBound: 0
; FloatMode: 240
; IeeeMode: 1
; LDSByteSize: 0 bytes/workgroup (compile time only)
; SGPRBlocks: 0
; VGPRBlocks: 0
; NumSGPRsForWavesPerEU: 1
; NumVGPRsForWavesPerEU: 1
; Occupancy: 16
; WaveLimiterHint : 0
; COMPUTE_PGM_RSRC2:SCRATCH_EN: 0
; COMPUTE_PGM_RSRC2:USER_SGPR: 15
; COMPUTE_PGM_RSRC2:TRAP_HANDLER: 0
; COMPUTE_PGM_RSRC2:TGID_X_EN: 1
; COMPUTE_PGM_RSRC2:TGID_Y_EN: 0
; COMPUTE_PGM_RSRC2:TGID_Z_EN: 0
; COMPUTE_PGM_RSRC2:TIDIG_COMP_CNT: 0
	.section	.text._ZN7rocprim17ROCPRIM_400000_NS6detail17trampoline_kernelINS0_14default_configENS1_25partition_config_selectorILNS1_17partition_subalgoE9EjjbEEZZNS1_14partition_implILS5_9ELb0ES3_jN6thrust23THRUST_200600_302600_NS6detail15normal_iteratorINS9_10device_ptrIjEEEESE_PNS0_10empty_typeENS0_5tupleIJSE_SF_EEENSH_IJNS9_16discard_iteratorINS9_11use_defaultEEESG_EEENS0_18inequality_wrapperINS9_8equal_toIjEEEEPmJSF_EEE10hipError_tPvRmT3_T4_T5_T6_T7_T9_mT8_P12ihipStream_tbDpT10_ENKUlT_T0_E_clISt17integral_constantIbLb1EES1A_IbLb0EEEEDaS16_S17_EUlS16_E_NS1_11comp_targetILNS1_3genE2ELNS1_11target_archE906ELNS1_3gpuE6ELNS1_3repE0EEENS1_30default_config_static_selectorELNS0_4arch9wavefront6targetE0EEEvT1_,"axG",@progbits,_ZN7rocprim17ROCPRIM_400000_NS6detail17trampoline_kernelINS0_14default_configENS1_25partition_config_selectorILNS1_17partition_subalgoE9EjjbEEZZNS1_14partition_implILS5_9ELb0ES3_jN6thrust23THRUST_200600_302600_NS6detail15normal_iteratorINS9_10device_ptrIjEEEESE_PNS0_10empty_typeENS0_5tupleIJSE_SF_EEENSH_IJNS9_16discard_iteratorINS9_11use_defaultEEESG_EEENS0_18inequality_wrapperINS9_8equal_toIjEEEEPmJSF_EEE10hipError_tPvRmT3_T4_T5_T6_T7_T9_mT8_P12ihipStream_tbDpT10_ENKUlT_T0_E_clISt17integral_constantIbLb1EES1A_IbLb0EEEEDaS16_S17_EUlS16_E_NS1_11comp_targetILNS1_3genE2ELNS1_11target_archE906ELNS1_3gpuE6ELNS1_3repE0EEENS1_30default_config_static_selectorELNS0_4arch9wavefront6targetE0EEEvT1_,comdat
	.protected	_ZN7rocprim17ROCPRIM_400000_NS6detail17trampoline_kernelINS0_14default_configENS1_25partition_config_selectorILNS1_17partition_subalgoE9EjjbEEZZNS1_14partition_implILS5_9ELb0ES3_jN6thrust23THRUST_200600_302600_NS6detail15normal_iteratorINS9_10device_ptrIjEEEESE_PNS0_10empty_typeENS0_5tupleIJSE_SF_EEENSH_IJNS9_16discard_iteratorINS9_11use_defaultEEESG_EEENS0_18inequality_wrapperINS9_8equal_toIjEEEEPmJSF_EEE10hipError_tPvRmT3_T4_T5_T6_T7_T9_mT8_P12ihipStream_tbDpT10_ENKUlT_T0_E_clISt17integral_constantIbLb1EES1A_IbLb0EEEEDaS16_S17_EUlS16_E_NS1_11comp_targetILNS1_3genE2ELNS1_11target_archE906ELNS1_3gpuE6ELNS1_3repE0EEENS1_30default_config_static_selectorELNS0_4arch9wavefront6targetE0EEEvT1_ ; -- Begin function _ZN7rocprim17ROCPRIM_400000_NS6detail17trampoline_kernelINS0_14default_configENS1_25partition_config_selectorILNS1_17partition_subalgoE9EjjbEEZZNS1_14partition_implILS5_9ELb0ES3_jN6thrust23THRUST_200600_302600_NS6detail15normal_iteratorINS9_10device_ptrIjEEEESE_PNS0_10empty_typeENS0_5tupleIJSE_SF_EEENSH_IJNS9_16discard_iteratorINS9_11use_defaultEEESG_EEENS0_18inequality_wrapperINS9_8equal_toIjEEEEPmJSF_EEE10hipError_tPvRmT3_T4_T5_T6_T7_T9_mT8_P12ihipStream_tbDpT10_ENKUlT_T0_E_clISt17integral_constantIbLb1EES1A_IbLb0EEEEDaS16_S17_EUlS16_E_NS1_11comp_targetILNS1_3genE2ELNS1_11target_archE906ELNS1_3gpuE6ELNS1_3repE0EEENS1_30default_config_static_selectorELNS0_4arch9wavefront6targetE0EEEvT1_
	.globl	_ZN7rocprim17ROCPRIM_400000_NS6detail17trampoline_kernelINS0_14default_configENS1_25partition_config_selectorILNS1_17partition_subalgoE9EjjbEEZZNS1_14partition_implILS5_9ELb0ES3_jN6thrust23THRUST_200600_302600_NS6detail15normal_iteratorINS9_10device_ptrIjEEEESE_PNS0_10empty_typeENS0_5tupleIJSE_SF_EEENSH_IJNS9_16discard_iteratorINS9_11use_defaultEEESG_EEENS0_18inequality_wrapperINS9_8equal_toIjEEEEPmJSF_EEE10hipError_tPvRmT3_T4_T5_T6_T7_T9_mT8_P12ihipStream_tbDpT10_ENKUlT_T0_E_clISt17integral_constantIbLb1EES1A_IbLb0EEEEDaS16_S17_EUlS16_E_NS1_11comp_targetILNS1_3genE2ELNS1_11target_archE906ELNS1_3gpuE6ELNS1_3repE0EEENS1_30default_config_static_selectorELNS0_4arch9wavefront6targetE0EEEvT1_
	.p2align	8
	.type	_ZN7rocprim17ROCPRIM_400000_NS6detail17trampoline_kernelINS0_14default_configENS1_25partition_config_selectorILNS1_17partition_subalgoE9EjjbEEZZNS1_14partition_implILS5_9ELb0ES3_jN6thrust23THRUST_200600_302600_NS6detail15normal_iteratorINS9_10device_ptrIjEEEESE_PNS0_10empty_typeENS0_5tupleIJSE_SF_EEENSH_IJNS9_16discard_iteratorINS9_11use_defaultEEESG_EEENS0_18inequality_wrapperINS9_8equal_toIjEEEEPmJSF_EEE10hipError_tPvRmT3_T4_T5_T6_T7_T9_mT8_P12ihipStream_tbDpT10_ENKUlT_T0_E_clISt17integral_constantIbLb1EES1A_IbLb0EEEEDaS16_S17_EUlS16_E_NS1_11comp_targetILNS1_3genE2ELNS1_11target_archE906ELNS1_3gpuE6ELNS1_3repE0EEENS1_30default_config_static_selectorELNS0_4arch9wavefront6targetE0EEEvT1_,@function
_ZN7rocprim17ROCPRIM_400000_NS6detail17trampoline_kernelINS0_14default_configENS1_25partition_config_selectorILNS1_17partition_subalgoE9EjjbEEZZNS1_14partition_implILS5_9ELb0ES3_jN6thrust23THRUST_200600_302600_NS6detail15normal_iteratorINS9_10device_ptrIjEEEESE_PNS0_10empty_typeENS0_5tupleIJSE_SF_EEENSH_IJNS9_16discard_iteratorINS9_11use_defaultEEESG_EEENS0_18inequality_wrapperINS9_8equal_toIjEEEEPmJSF_EEE10hipError_tPvRmT3_T4_T5_T6_T7_T9_mT8_P12ihipStream_tbDpT10_ENKUlT_T0_E_clISt17integral_constantIbLb1EES1A_IbLb0EEEEDaS16_S17_EUlS16_E_NS1_11comp_targetILNS1_3genE2ELNS1_11target_archE906ELNS1_3gpuE6ELNS1_3repE0EEENS1_30default_config_static_selectorELNS0_4arch9wavefront6targetE0EEEvT1_: ; @_ZN7rocprim17ROCPRIM_400000_NS6detail17trampoline_kernelINS0_14default_configENS1_25partition_config_selectorILNS1_17partition_subalgoE9EjjbEEZZNS1_14partition_implILS5_9ELb0ES3_jN6thrust23THRUST_200600_302600_NS6detail15normal_iteratorINS9_10device_ptrIjEEEESE_PNS0_10empty_typeENS0_5tupleIJSE_SF_EEENSH_IJNS9_16discard_iteratorINS9_11use_defaultEEESG_EEENS0_18inequality_wrapperINS9_8equal_toIjEEEEPmJSF_EEE10hipError_tPvRmT3_T4_T5_T6_T7_T9_mT8_P12ihipStream_tbDpT10_ENKUlT_T0_E_clISt17integral_constantIbLb1EES1A_IbLb0EEEEDaS16_S17_EUlS16_E_NS1_11comp_targetILNS1_3genE2ELNS1_11target_archE906ELNS1_3gpuE6ELNS1_3repE0EEENS1_30default_config_static_selectorELNS0_4arch9wavefront6targetE0EEEvT1_
; %bb.0:
	.section	.rodata,"a",@progbits
	.p2align	6, 0x0
	.amdhsa_kernel _ZN7rocprim17ROCPRIM_400000_NS6detail17trampoline_kernelINS0_14default_configENS1_25partition_config_selectorILNS1_17partition_subalgoE9EjjbEEZZNS1_14partition_implILS5_9ELb0ES3_jN6thrust23THRUST_200600_302600_NS6detail15normal_iteratorINS9_10device_ptrIjEEEESE_PNS0_10empty_typeENS0_5tupleIJSE_SF_EEENSH_IJNS9_16discard_iteratorINS9_11use_defaultEEESG_EEENS0_18inequality_wrapperINS9_8equal_toIjEEEEPmJSF_EEE10hipError_tPvRmT3_T4_T5_T6_T7_T9_mT8_P12ihipStream_tbDpT10_ENKUlT_T0_E_clISt17integral_constantIbLb1EES1A_IbLb0EEEEDaS16_S17_EUlS16_E_NS1_11comp_targetILNS1_3genE2ELNS1_11target_archE906ELNS1_3gpuE6ELNS1_3repE0EEENS1_30default_config_static_selectorELNS0_4arch9wavefront6targetE0EEEvT1_
		.amdhsa_group_segment_fixed_size 0
		.amdhsa_private_segment_fixed_size 0
		.amdhsa_kernarg_size 120
		.amdhsa_user_sgpr_count 15
		.amdhsa_user_sgpr_dispatch_ptr 0
		.amdhsa_user_sgpr_queue_ptr 0
		.amdhsa_user_sgpr_kernarg_segment_ptr 1
		.amdhsa_user_sgpr_dispatch_id 0
		.amdhsa_user_sgpr_private_segment_size 0
		.amdhsa_wavefront_size32 1
		.amdhsa_uses_dynamic_stack 0
		.amdhsa_enable_private_segment 0
		.amdhsa_system_sgpr_workgroup_id_x 1
		.amdhsa_system_sgpr_workgroup_id_y 0
		.amdhsa_system_sgpr_workgroup_id_z 0
		.amdhsa_system_sgpr_workgroup_info 0
		.amdhsa_system_vgpr_workitem_id 0
		.amdhsa_next_free_vgpr 1
		.amdhsa_next_free_sgpr 1
		.amdhsa_reserve_vcc 0
		.amdhsa_float_round_mode_32 0
		.amdhsa_float_round_mode_16_64 0
		.amdhsa_float_denorm_mode_32 3
		.amdhsa_float_denorm_mode_16_64 3
		.amdhsa_dx10_clamp 1
		.amdhsa_ieee_mode 1
		.amdhsa_fp16_overflow 0
		.amdhsa_workgroup_processor_mode 1
		.amdhsa_memory_ordered 1
		.amdhsa_forward_progress 0
		.amdhsa_shared_vgpr_count 0
		.amdhsa_exception_fp_ieee_invalid_op 0
		.amdhsa_exception_fp_denorm_src 0
		.amdhsa_exception_fp_ieee_div_zero 0
		.amdhsa_exception_fp_ieee_overflow 0
		.amdhsa_exception_fp_ieee_underflow 0
		.amdhsa_exception_fp_ieee_inexact 0
		.amdhsa_exception_int_div_zero 0
	.end_amdhsa_kernel
	.section	.text._ZN7rocprim17ROCPRIM_400000_NS6detail17trampoline_kernelINS0_14default_configENS1_25partition_config_selectorILNS1_17partition_subalgoE9EjjbEEZZNS1_14partition_implILS5_9ELb0ES3_jN6thrust23THRUST_200600_302600_NS6detail15normal_iteratorINS9_10device_ptrIjEEEESE_PNS0_10empty_typeENS0_5tupleIJSE_SF_EEENSH_IJNS9_16discard_iteratorINS9_11use_defaultEEESG_EEENS0_18inequality_wrapperINS9_8equal_toIjEEEEPmJSF_EEE10hipError_tPvRmT3_T4_T5_T6_T7_T9_mT8_P12ihipStream_tbDpT10_ENKUlT_T0_E_clISt17integral_constantIbLb1EES1A_IbLb0EEEEDaS16_S17_EUlS16_E_NS1_11comp_targetILNS1_3genE2ELNS1_11target_archE906ELNS1_3gpuE6ELNS1_3repE0EEENS1_30default_config_static_selectorELNS0_4arch9wavefront6targetE0EEEvT1_,"axG",@progbits,_ZN7rocprim17ROCPRIM_400000_NS6detail17trampoline_kernelINS0_14default_configENS1_25partition_config_selectorILNS1_17partition_subalgoE9EjjbEEZZNS1_14partition_implILS5_9ELb0ES3_jN6thrust23THRUST_200600_302600_NS6detail15normal_iteratorINS9_10device_ptrIjEEEESE_PNS0_10empty_typeENS0_5tupleIJSE_SF_EEENSH_IJNS9_16discard_iteratorINS9_11use_defaultEEESG_EEENS0_18inequality_wrapperINS9_8equal_toIjEEEEPmJSF_EEE10hipError_tPvRmT3_T4_T5_T6_T7_T9_mT8_P12ihipStream_tbDpT10_ENKUlT_T0_E_clISt17integral_constantIbLb1EES1A_IbLb0EEEEDaS16_S17_EUlS16_E_NS1_11comp_targetILNS1_3genE2ELNS1_11target_archE906ELNS1_3gpuE6ELNS1_3repE0EEENS1_30default_config_static_selectorELNS0_4arch9wavefront6targetE0EEEvT1_,comdat
.Lfunc_end841:
	.size	_ZN7rocprim17ROCPRIM_400000_NS6detail17trampoline_kernelINS0_14default_configENS1_25partition_config_selectorILNS1_17partition_subalgoE9EjjbEEZZNS1_14partition_implILS5_9ELb0ES3_jN6thrust23THRUST_200600_302600_NS6detail15normal_iteratorINS9_10device_ptrIjEEEESE_PNS0_10empty_typeENS0_5tupleIJSE_SF_EEENSH_IJNS9_16discard_iteratorINS9_11use_defaultEEESG_EEENS0_18inequality_wrapperINS9_8equal_toIjEEEEPmJSF_EEE10hipError_tPvRmT3_T4_T5_T6_T7_T9_mT8_P12ihipStream_tbDpT10_ENKUlT_T0_E_clISt17integral_constantIbLb1EES1A_IbLb0EEEEDaS16_S17_EUlS16_E_NS1_11comp_targetILNS1_3genE2ELNS1_11target_archE906ELNS1_3gpuE6ELNS1_3repE0EEENS1_30default_config_static_selectorELNS0_4arch9wavefront6targetE0EEEvT1_, .Lfunc_end841-_ZN7rocprim17ROCPRIM_400000_NS6detail17trampoline_kernelINS0_14default_configENS1_25partition_config_selectorILNS1_17partition_subalgoE9EjjbEEZZNS1_14partition_implILS5_9ELb0ES3_jN6thrust23THRUST_200600_302600_NS6detail15normal_iteratorINS9_10device_ptrIjEEEESE_PNS0_10empty_typeENS0_5tupleIJSE_SF_EEENSH_IJNS9_16discard_iteratorINS9_11use_defaultEEESG_EEENS0_18inequality_wrapperINS9_8equal_toIjEEEEPmJSF_EEE10hipError_tPvRmT3_T4_T5_T6_T7_T9_mT8_P12ihipStream_tbDpT10_ENKUlT_T0_E_clISt17integral_constantIbLb1EES1A_IbLb0EEEEDaS16_S17_EUlS16_E_NS1_11comp_targetILNS1_3genE2ELNS1_11target_archE906ELNS1_3gpuE6ELNS1_3repE0EEENS1_30default_config_static_selectorELNS0_4arch9wavefront6targetE0EEEvT1_
                                        ; -- End function
	.section	.AMDGPU.csdata,"",@progbits
; Kernel info:
; codeLenInByte = 0
; NumSgprs: 0
; NumVgprs: 0
; ScratchSize: 0
; MemoryBound: 0
; FloatMode: 240
; IeeeMode: 1
; LDSByteSize: 0 bytes/workgroup (compile time only)
; SGPRBlocks: 0
; VGPRBlocks: 0
; NumSGPRsForWavesPerEU: 1
; NumVGPRsForWavesPerEU: 1
; Occupancy: 16
; WaveLimiterHint : 0
; COMPUTE_PGM_RSRC2:SCRATCH_EN: 0
; COMPUTE_PGM_RSRC2:USER_SGPR: 15
; COMPUTE_PGM_RSRC2:TRAP_HANDLER: 0
; COMPUTE_PGM_RSRC2:TGID_X_EN: 1
; COMPUTE_PGM_RSRC2:TGID_Y_EN: 0
; COMPUTE_PGM_RSRC2:TGID_Z_EN: 0
; COMPUTE_PGM_RSRC2:TIDIG_COMP_CNT: 0
	.section	.text._ZN7rocprim17ROCPRIM_400000_NS6detail17trampoline_kernelINS0_14default_configENS1_25partition_config_selectorILNS1_17partition_subalgoE9EjjbEEZZNS1_14partition_implILS5_9ELb0ES3_jN6thrust23THRUST_200600_302600_NS6detail15normal_iteratorINS9_10device_ptrIjEEEESE_PNS0_10empty_typeENS0_5tupleIJSE_SF_EEENSH_IJNS9_16discard_iteratorINS9_11use_defaultEEESG_EEENS0_18inequality_wrapperINS9_8equal_toIjEEEEPmJSF_EEE10hipError_tPvRmT3_T4_T5_T6_T7_T9_mT8_P12ihipStream_tbDpT10_ENKUlT_T0_E_clISt17integral_constantIbLb1EES1A_IbLb0EEEEDaS16_S17_EUlS16_E_NS1_11comp_targetILNS1_3genE10ELNS1_11target_archE1200ELNS1_3gpuE4ELNS1_3repE0EEENS1_30default_config_static_selectorELNS0_4arch9wavefront6targetE0EEEvT1_,"axG",@progbits,_ZN7rocprim17ROCPRIM_400000_NS6detail17trampoline_kernelINS0_14default_configENS1_25partition_config_selectorILNS1_17partition_subalgoE9EjjbEEZZNS1_14partition_implILS5_9ELb0ES3_jN6thrust23THRUST_200600_302600_NS6detail15normal_iteratorINS9_10device_ptrIjEEEESE_PNS0_10empty_typeENS0_5tupleIJSE_SF_EEENSH_IJNS9_16discard_iteratorINS9_11use_defaultEEESG_EEENS0_18inequality_wrapperINS9_8equal_toIjEEEEPmJSF_EEE10hipError_tPvRmT3_T4_T5_T6_T7_T9_mT8_P12ihipStream_tbDpT10_ENKUlT_T0_E_clISt17integral_constantIbLb1EES1A_IbLb0EEEEDaS16_S17_EUlS16_E_NS1_11comp_targetILNS1_3genE10ELNS1_11target_archE1200ELNS1_3gpuE4ELNS1_3repE0EEENS1_30default_config_static_selectorELNS0_4arch9wavefront6targetE0EEEvT1_,comdat
	.protected	_ZN7rocprim17ROCPRIM_400000_NS6detail17trampoline_kernelINS0_14default_configENS1_25partition_config_selectorILNS1_17partition_subalgoE9EjjbEEZZNS1_14partition_implILS5_9ELb0ES3_jN6thrust23THRUST_200600_302600_NS6detail15normal_iteratorINS9_10device_ptrIjEEEESE_PNS0_10empty_typeENS0_5tupleIJSE_SF_EEENSH_IJNS9_16discard_iteratorINS9_11use_defaultEEESG_EEENS0_18inequality_wrapperINS9_8equal_toIjEEEEPmJSF_EEE10hipError_tPvRmT3_T4_T5_T6_T7_T9_mT8_P12ihipStream_tbDpT10_ENKUlT_T0_E_clISt17integral_constantIbLb1EES1A_IbLb0EEEEDaS16_S17_EUlS16_E_NS1_11comp_targetILNS1_3genE10ELNS1_11target_archE1200ELNS1_3gpuE4ELNS1_3repE0EEENS1_30default_config_static_selectorELNS0_4arch9wavefront6targetE0EEEvT1_ ; -- Begin function _ZN7rocprim17ROCPRIM_400000_NS6detail17trampoline_kernelINS0_14default_configENS1_25partition_config_selectorILNS1_17partition_subalgoE9EjjbEEZZNS1_14partition_implILS5_9ELb0ES3_jN6thrust23THRUST_200600_302600_NS6detail15normal_iteratorINS9_10device_ptrIjEEEESE_PNS0_10empty_typeENS0_5tupleIJSE_SF_EEENSH_IJNS9_16discard_iteratorINS9_11use_defaultEEESG_EEENS0_18inequality_wrapperINS9_8equal_toIjEEEEPmJSF_EEE10hipError_tPvRmT3_T4_T5_T6_T7_T9_mT8_P12ihipStream_tbDpT10_ENKUlT_T0_E_clISt17integral_constantIbLb1EES1A_IbLb0EEEEDaS16_S17_EUlS16_E_NS1_11comp_targetILNS1_3genE10ELNS1_11target_archE1200ELNS1_3gpuE4ELNS1_3repE0EEENS1_30default_config_static_selectorELNS0_4arch9wavefront6targetE0EEEvT1_
	.globl	_ZN7rocprim17ROCPRIM_400000_NS6detail17trampoline_kernelINS0_14default_configENS1_25partition_config_selectorILNS1_17partition_subalgoE9EjjbEEZZNS1_14partition_implILS5_9ELb0ES3_jN6thrust23THRUST_200600_302600_NS6detail15normal_iteratorINS9_10device_ptrIjEEEESE_PNS0_10empty_typeENS0_5tupleIJSE_SF_EEENSH_IJNS9_16discard_iteratorINS9_11use_defaultEEESG_EEENS0_18inequality_wrapperINS9_8equal_toIjEEEEPmJSF_EEE10hipError_tPvRmT3_T4_T5_T6_T7_T9_mT8_P12ihipStream_tbDpT10_ENKUlT_T0_E_clISt17integral_constantIbLb1EES1A_IbLb0EEEEDaS16_S17_EUlS16_E_NS1_11comp_targetILNS1_3genE10ELNS1_11target_archE1200ELNS1_3gpuE4ELNS1_3repE0EEENS1_30default_config_static_selectorELNS0_4arch9wavefront6targetE0EEEvT1_
	.p2align	8
	.type	_ZN7rocprim17ROCPRIM_400000_NS6detail17trampoline_kernelINS0_14default_configENS1_25partition_config_selectorILNS1_17partition_subalgoE9EjjbEEZZNS1_14partition_implILS5_9ELb0ES3_jN6thrust23THRUST_200600_302600_NS6detail15normal_iteratorINS9_10device_ptrIjEEEESE_PNS0_10empty_typeENS0_5tupleIJSE_SF_EEENSH_IJNS9_16discard_iteratorINS9_11use_defaultEEESG_EEENS0_18inequality_wrapperINS9_8equal_toIjEEEEPmJSF_EEE10hipError_tPvRmT3_T4_T5_T6_T7_T9_mT8_P12ihipStream_tbDpT10_ENKUlT_T0_E_clISt17integral_constantIbLb1EES1A_IbLb0EEEEDaS16_S17_EUlS16_E_NS1_11comp_targetILNS1_3genE10ELNS1_11target_archE1200ELNS1_3gpuE4ELNS1_3repE0EEENS1_30default_config_static_selectorELNS0_4arch9wavefront6targetE0EEEvT1_,@function
_ZN7rocprim17ROCPRIM_400000_NS6detail17trampoline_kernelINS0_14default_configENS1_25partition_config_selectorILNS1_17partition_subalgoE9EjjbEEZZNS1_14partition_implILS5_9ELb0ES3_jN6thrust23THRUST_200600_302600_NS6detail15normal_iteratorINS9_10device_ptrIjEEEESE_PNS0_10empty_typeENS0_5tupleIJSE_SF_EEENSH_IJNS9_16discard_iteratorINS9_11use_defaultEEESG_EEENS0_18inequality_wrapperINS9_8equal_toIjEEEEPmJSF_EEE10hipError_tPvRmT3_T4_T5_T6_T7_T9_mT8_P12ihipStream_tbDpT10_ENKUlT_T0_E_clISt17integral_constantIbLb1EES1A_IbLb0EEEEDaS16_S17_EUlS16_E_NS1_11comp_targetILNS1_3genE10ELNS1_11target_archE1200ELNS1_3gpuE4ELNS1_3repE0EEENS1_30default_config_static_selectorELNS0_4arch9wavefront6targetE0EEEvT1_: ; @_ZN7rocprim17ROCPRIM_400000_NS6detail17trampoline_kernelINS0_14default_configENS1_25partition_config_selectorILNS1_17partition_subalgoE9EjjbEEZZNS1_14partition_implILS5_9ELb0ES3_jN6thrust23THRUST_200600_302600_NS6detail15normal_iteratorINS9_10device_ptrIjEEEESE_PNS0_10empty_typeENS0_5tupleIJSE_SF_EEENSH_IJNS9_16discard_iteratorINS9_11use_defaultEEESG_EEENS0_18inequality_wrapperINS9_8equal_toIjEEEEPmJSF_EEE10hipError_tPvRmT3_T4_T5_T6_T7_T9_mT8_P12ihipStream_tbDpT10_ENKUlT_T0_E_clISt17integral_constantIbLb1EES1A_IbLb0EEEEDaS16_S17_EUlS16_E_NS1_11comp_targetILNS1_3genE10ELNS1_11target_archE1200ELNS1_3gpuE4ELNS1_3repE0EEENS1_30default_config_static_selectorELNS0_4arch9wavefront6targetE0EEEvT1_
; %bb.0:
	.section	.rodata,"a",@progbits
	.p2align	6, 0x0
	.amdhsa_kernel _ZN7rocprim17ROCPRIM_400000_NS6detail17trampoline_kernelINS0_14default_configENS1_25partition_config_selectorILNS1_17partition_subalgoE9EjjbEEZZNS1_14partition_implILS5_9ELb0ES3_jN6thrust23THRUST_200600_302600_NS6detail15normal_iteratorINS9_10device_ptrIjEEEESE_PNS0_10empty_typeENS0_5tupleIJSE_SF_EEENSH_IJNS9_16discard_iteratorINS9_11use_defaultEEESG_EEENS0_18inequality_wrapperINS9_8equal_toIjEEEEPmJSF_EEE10hipError_tPvRmT3_T4_T5_T6_T7_T9_mT8_P12ihipStream_tbDpT10_ENKUlT_T0_E_clISt17integral_constantIbLb1EES1A_IbLb0EEEEDaS16_S17_EUlS16_E_NS1_11comp_targetILNS1_3genE10ELNS1_11target_archE1200ELNS1_3gpuE4ELNS1_3repE0EEENS1_30default_config_static_selectorELNS0_4arch9wavefront6targetE0EEEvT1_
		.amdhsa_group_segment_fixed_size 0
		.amdhsa_private_segment_fixed_size 0
		.amdhsa_kernarg_size 120
		.amdhsa_user_sgpr_count 15
		.amdhsa_user_sgpr_dispatch_ptr 0
		.amdhsa_user_sgpr_queue_ptr 0
		.amdhsa_user_sgpr_kernarg_segment_ptr 1
		.amdhsa_user_sgpr_dispatch_id 0
		.amdhsa_user_sgpr_private_segment_size 0
		.amdhsa_wavefront_size32 1
		.amdhsa_uses_dynamic_stack 0
		.amdhsa_enable_private_segment 0
		.amdhsa_system_sgpr_workgroup_id_x 1
		.amdhsa_system_sgpr_workgroup_id_y 0
		.amdhsa_system_sgpr_workgroup_id_z 0
		.amdhsa_system_sgpr_workgroup_info 0
		.amdhsa_system_vgpr_workitem_id 0
		.amdhsa_next_free_vgpr 1
		.amdhsa_next_free_sgpr 1
		.amdhsa_reserve_vcc 0
		.amdhsa_float_round_mode_32 0
		.amdhsa_float_round_mode_16_64 0
		.amdhsa_float_denorm_mode_32 3
		.amdhsa_float_denorm_mode_16_64 3
		.amdhsa_dx10_clamp 1
		.amdhsa_ieee_mode 1
		.amdhsa_fp16_overflow 0
		.amdhsa_workgroup_processor_mode 1
		.amdhsa_memory_ordered 1
		.amdhsa_forward_progress 0
		.amdhsa_shared_vgpr_count 0
		.amdhsa_exception_fp_ieee_invalid_op 0
		.amdhsa_exception_fp_denorm_src 0
		.amdhsa_exception_fp_ieee_div_zero 0
		.amdhsa_exception_fp_ieee_overflow 0
		.amdhsa_exception_fp_ieee_underflow 0
		.amdhsa_exception_fp_ieee_inexact 0
		.amdhsa_exception_int_div_zero 0
	.end_amdhsa_kernel
	.section	.text._ZN7rocprim17ROCPRIM_400000_NS6detail17trampoline_kernelINS0_14default_configENS1_25partition_config_selectorILNS1_17partition_subalgoE9EjjbEEZZNS1_14partition_implILS5_9ELb0ES3_jN6thrust23THRUST_200600_302600_NS6detail15normal_iteratorINS9_10device_ptrIjEEEESE_PNS0_10empty_typeENS0_5tupleIJSE_SF_EEENSH_IJNS9_16discard_iteratorINS9_11use_defaultEEESG_EEENS0_18inequality_wrapperINS9_8equal_toIjEEEEPmJSF_EEE10hipError_tPvRmT3_T4_T5_T6_T7_T9_mT8_P12ihipStream_tbDpT10_ENKUlT_T0_E_clISt17integral_constantIbLb1EES1A_IbLb0EEEEDaS16_S17_EUlS16_E_NS1_11comp_targetILNS1_3genE10ELNS1_11target_archE1200ELNS1_3gpuE4ELNS1_3repE0EEENS1_30default_config_static_selectorELNS0_4arch9wavefront6targetE0EEEvT1_,"axG",@progbits,_ZN7rocprim17ROCPRIM_400000_NS6detail17trampoline_kernelINS0_14default_configENS1_25partition_config_selectorILNS1_17partition_subalgoE9EjjbEEZZNS1_14partition_implILS5_9ELb0ES3_jN6thrust23THRUST_200600_302600_NS6detail15normal_iteratorINS9_10device_ptrIjEEEESE_PNS0_10empty_typeENS0_5tupleIJSE_SF_EEENSH_IJNS9_16discard_iteratorINS9_11use_defaultEEESG_EEENS0_18inequality_wrapperINS9_8equal_toIjEEEEPmJSF_EEE10hipError_tPvRmT3_T4_T5_T6_T7_T9_mT8_P12ihipStream_tbDpT10_ENKUlT_T0_E_clISt17integral_constantIbLb1EES1A_IbLb0EEEEDaS16_S17_EUlS16_E_NS1_11comp_targetILNS1_3genE10ELNS1_11target_archE1200ELNS1_3gpuE4ELNS1_3repE0EEENS1_30default_config_static_selectorELNS0_4arch9wavefront6targetE0EEEvT1_,comdat
.Lfunc_end842:
	.size	_ZN7rocprim17ROCPRIM_400000_NS6detail17trampoline_kernelINS0_14default_configENS1_25partition_config_selectorILNS1_17partition_subalgoE9EjjbEEZZNS1_14partition_implILS5_9ELb0ES3_jN6thrust23THRUST_200600_302600_NS6detail15normal_iteratorINS9_10device_ptrIjEEEESE_PNS0_10empty_typeENS0_5tupleIJSE_SF_EEENSH_IJNS9_16discard_iteratorINS9_11use_defaultEEESG_EEENS0_18inequality_wrapperINS9_8equal_toIjEEEEPmJSF_EEE10hipError_tPvRmT3_T4_T5_T6_T7_T9_mT8_P12ihipStream_tbDpT10_ENKUlT_T0_E_clISt17integral_constantIbLb1EES1A_IbLb0EEEEDaS16_S17_EUlS16_E_NS1_11comp_targetILNS1_3genE10ELNS1_11target_archE1200ELNS1_3gpuE4ELNS1_3repE0EEENS1_30default_config_static_selectorELNS0_4arch9wavefront6targetE0EEEvT1_, .Lfunc_end842-_ZN7rocprim17ROCPRIM_400000_NS6detail17trampoline_kernelINS0_14default_configENS1_25partition_config_selectorILNS1_17partition_subalgoE9EjjbEEZZNS1_14partition_implILS5_9ELb0ES3_jN6thrust23THRUST_200600_302600_NS6detail15normal_iteratorINS9_10device_ptrIjEEEESE_PNS0_10empty_typeENS0_5tupleIJSE_SF_EEENSH_IJNS9_16discard_iteratorINS9_11use_defaultEEESG_EEENS0_18inequality_wrapperINS9_8equal_toIjEEEEPmJSF_EEE10hipError_tPvRmT3_T4_T5_T6_T7_T9_mT8_P12ihipStream_tbDpT10_ENKUlT_T0_E_clISt17integral_constantIbLb1EES1A_IbLb0EEEEDaS16_S17_EUlS16_E_NS1_11comp_targetILNS1_3genE10ELNS1_11target_archE1200ELNS1_3gpuE4ELNS1_3repE0EEENS1_30default_config_static_selectorELNS0_4arch9wavefront6targetE0EEEvT1_
                                        ; -- End function
	.section	.AMDGPU.csdata,"",@progbits
; Kernel info:
; codeLenInByte = 0
; NumSgprs: 0
; NumVgprs: 0
; ScratchSize: 0
; MemoryBound: 0
; FloatMode: 240
; IeeeMode: 1
; LDSByteSize: 0 bytes/workgroup (compile time only)
; SGPRBlocks: 0
; VGPRBlocks: 0
; NumSGPRsForWavesPerEU: 1
; NumVGPRsForWavesPerEU: 1
; Occupancy: 15
; WaveLimiterHint : 0
; COMPUTE_PGM_RSRC2:SCRATCH_EN: 0
; COMPUTE_PGM_RSRC2:USER_SGPR: 15
; COMPUTE_PGM_RSRC2:TRAP_HANDLER: 0
; COMPUTE_PGM_RSRC2:TGID_X_EN: 1
; COMPUTE_PGM_RSRC2:TGID_Y_EN: 0
; COMPUTE_PGM_RSRC2:TGID_Z_EN: 0
; COMPUTE_PGM_RSRC2:TIDIG_COMP_CNT: 0
	.section	.text._ZN7rocprim17ROCPRIM_400000_NS6detail17trampoline_kernelINS0_14default_configENS1_25partition_config_selectorILNS1_17partition_subalgoE9EjjbEEZZNS1_14partition_implILS5_9ELb0ES3_jN6thrust23THRUST_200600_302600_NS6detail15normal_iteratorINS9_10device_ptrIjEEEESE_PNS0_10empty_typeENS0_5tupleIJSE_SF_EEENSH_IJNS9_16discard_iteratorINS9_11use_defaultEEESG_EEENS0_18inequality_wrapperINS9_8equal_toIjEEEEPmJSF_EEE10hipError_tPvRmT3_T4_T5_T6_T7_T9_mT8_P12ihipStream_tbDpT10_ENKUlT_T0_E_clISt17integral_constantIbLb1EES1A_IbLb0EEEEDaS16_S17_EUlS16_E_NS1_11comp_targetILNS1_3genE9ELNS1_11target_archE1100ELNS1_3gpuE3ELNS1_3repE0EEENS1_30default_config_static_selectorELNS0_4arch9wavefront6targetE0EEEvT1_,"axG",@progbits,_ZN7rocprim17ROCPRIM_400000_NS6detail17trampoline_kernelINS0_14default_configENS1_25partition_config_selectorILNS1_17partition_subalgoE9EjjbEEZZNS1_14partition_implILS5_9ELb0ES3_jN6thrust23THRUST_200600_302600_NS6detail15normal_iteratorINS9_10device_ptrIjEEEESE_PNS0_10empty_typeENS0_5tupleIJSE_SF_EEENSH_IJNS9_16discard_iteratorINS9_11use_defaultEEESG_EEENS0_18inequality_wrapperINS9_8equal_toIjEEEEPmJSF_EEE10hipError_tPvRmT3_T4_T5_T6_T7_T9_mT8_P12ihipStream_tbDpT10_ENKUlT_T0_E_clISt17integral_constantIbLb1EES1A_IbLb0EEEEDaS16_S17_EUlS16_E_NS1_11comp_targetILNS1_3genE9ELNS1_11target_archE1100ELNS1_3gpuE3ELNS1_3repE0EEENS1_30default_config_static_selectorELNS0_4arch9wavefront6targetE0EEEvT1_,comdat
	.protected	_ZN7rocprim17ROCPRIM_400000_NS6detail17trampoline_kernelINS0_14default_configENS1_25partition_config_selectorILNS1_17partition_subalgoE9EjjbEEZZNS1_14partition_implILS5_9ELb0ES3_jN6thrust23THRUST_200600_302600_NS6detail15normal_iteratorINS9_10device_ptrIjEEEESE_PNS0_10empty_typeENS0_5tupleIJSE_SF_EEENSH_IJNS9_16discard_iteratorINS9_11use_defaultEEESG_EEENS0_18inequality_wrapperINS9_8equal_toIjEEEEPmJSF_EEE10hipError_tPvRmT3_T4_T5_T6_T7_T9_mT8_P12ihipStream_tbDpT10_ENKUlT_T0_E_clISt17integral_constantIbLb1EES1A_IbLb0EEEEDaS16_S17_EUlS16_E_NS1_11comp_targetILNS1_3genE9ELNS1_11target_archE1100ELNS1_3gpuE3ELNS1_3repE0EEENS1_30default_config_static_selectorELNS0_4arch9wavefront6targetE0EEEvT1_ ; -- Begin function _ZN7rocprim17ROCPRIM_400000_NS6detail17trampoline_kernelINS0_14default_configENS1_25partition_config_selectorILNS1_17partition_subalgoE9EjjbEEZZNS1_14partition_implILS5_9ELb0ES3_jN6thrust23THRUST_200600_302600_NS6detail15normal_iteratorINS9_10device_ptrIjEEEESE_PNS0_10empty_typeENS0_5tupleIJSE_SF_EEENSH_IJNS9_16discard_iteratorINS9_11use_defaultEEESG_EEENS0_18inequality_wrapperINS9_8equal_toIjEEEEPmJSF_EEE10hipError_tPvRmT3_T4_T5_T6_T7_T9_mT8_P12ihipStream_tbDpT10_ENKUlT_T0_E_clISt17integral_constantIbLb1EES1A_IbLb0EEEEDaS16_S17_EUlS16_E_NS1_11comp_targetILNS1_3genE9ELNS1_11target_archE1100ELNS1_3gpuE3ELNS1_3repE0EEENS1_30default_config_static_selectorELNS0_4arch9wavefront6targetE0EEEvT1_
	.globl	_ZN7rocprim17ROCPRIM_400000_NS6detail17trampoline_kernelINS0_14default_configENS1_25partition_config_selectorILNS1_17partition_subalgoE9EjjbEEZZNS1_14partition_implILS5_9ELb0ES3_jN6thrust23THRUST_200600_302600_NS6detail15normal_iteratorINS9_10device_ptrIjEEEESE_PNS0_10empty_typeENS0_5tupleIJSE_SF_EEENSH_IJNS9_16discard_iteratorINS9_11use_defaultEEESG_EEENS0_18inequality_wrapperINS9_8equal_toIjEEEEPmJSF_EEE10hipError_tPvRmT3_T4_T5_T6_T7_T9_mT8_P12ihipStream_tbDpT10_ENKUlT_T0_E_clISt17integral_constantIbLb1EES1A_IbLb0EEEEDaS16_S17_EUlS16_E_NS1_11comp_targetILNS1_3genE9ELNS1_11target_archE1100ELNS1_3gpuE3ELNS1_3repE0EEENS1_30default_config_static_selectorELNS0_4arch9wavefront6targetE0EEEvT1_
	.p2align	8
	.type	_ZN7rocprim17ROCPRIM_400000_NS6detail17trampoline_kernelINS0_14default_configENS1_25partition_config_selectorILNS1_17partition_subalgoE9EjjbEEZZNS1_14partition_implILS5_9ELb0ES3_jN6thrust23THRUST_200600_302600_NS6detail15normal_iteratorINS9_10device_ptrIjEEEESE_PNS0_10empty_typeENS0_5tupleIJSE_SF_EEENSH_IJNS9_16discard_iteratorINS9_11use_defaultEEESG_EEENS0_18inequality_wrapperINS9_8equal_toIjEEEEPmJSF_EEE10hipError_tPvRmT3_T4_T5_T6_T7_T9_mT8_P12ihipStream_tbDpT10_ENKUlT_T0_E_clISt17integral_constantIbLb1EES1A_IbLb0EEEEDaS16_S17_EUlS16_E_NS1_11comp_targetILNS1_3genE9ELNS1_11target_archE1100ELNS1_3gpuE3ELNS1_3repE0EEENS1_30default_config_static_selectorELNS0_4arch9wavefront6targetE0EEEvT1_,@function
_ZN7rocprim17ROCPRIM_400000_NS6detail17trampoline_kernelINS0_14default_configENS1_25partition_config_selectorILNS1_17partition_subalgoE9EjjbEEZZNS1_14partition_implILS5_9ELb0ES3_jN6thrust23THRUST_200600_302600_NS6detail15normal_iteratorINS9_10device_ptrIjEEEESE_PNS0_10empty_typeENS0_5tupleIJSE_SF_EEENSH_IJNS9_16discard_iteratorINS9_11use_defaultEEESG_EEENS0_18inequality_wrapperINS9_8equal_toIjEEEEPmJSF_EEE10hipError_tPvRmT3_T4_T5_T6_T7_T9_mT8_P12ihipStream_tbDpT10_ENKUlT_T0_E_clISt17integral_constantIbLb1EES1A_IbLb0EEEEDaS16_S17_EUlS16_E_NS1_11comp_targetILNS1_3genE9ELNS1_11target_archE1100ELNS1_3gpuE3ELNS1_3repE0EEENS1_30default_config_static_selectorELNS0_4arch9wavefront6targetE0EEEvT1_: ; @_ZN7rocprim17ROCPRIM_400000_NS6detail17trampoline_kernelINS0_14default_configENS1_25partition_config_selectorILNS1_17partition_subalgoE9EjjbEEZZNS1_14partition_implILS5_9ELb0ES3_jN6thrust23THRUST_200600_302600_NS6detail15normal_iteratorINS9_10device_ptrIjEEEESE_PNS0_10empty_typeENS0_5tupleIJSE_SF_EEENSH_IJNS9_16discard_iteratorINS9_11use_defaultEEESG_EEENS0_18inequality_wrapperINS9_8equal_toIjEEEEPmJSF_EEE10hipError_tPvRmT3_T4_T5_T6_T7_T9_mT8_P12ihipStream_tbDpT10_ENKUlT_T0_E_clISt17integral_constantIbLb1EES1A_IbLb0EEEEDaS16_S17_EUlS16_E_NS1_11comp_targetILNS1_3genE9ELNS1_11target_archE1100ELNS1_3gpuE3ELNS1_3repE0EEENS1_30default_config_static_selectorELNS0_4arch9wavefront6targetE0EEEvT1_
; %bb.0:
	s_clause 0x4
	s_load_b128 s[4:7], s[0:1], 0x8
	s_load_b32 s14, s[0:1], 0x70
	s_load_b128 s[16:19], s[0:1], 0x48
	s_load_b64 s[2:3], s[0:1], 0x58
	s_load_b64 s[8:9], s[0:1], 0x18
	s_mov_b32 s23, 0
	s_mul_i32 s22, s15, 0xc00
	v_lshrrev_b32_e32 v10, 3, v0
	v_add_nc_u32_e32 v14, 0x180, v0
	v_add_nc_u32_e32 v13, 0x300, v0
	;; [unrolled: 1-line block ×3, first 2 shown]
	v_or_b32_e32 v15, 0x600, v0
	v_add_nc_u32_e32 v11, 0x780, v0
	v_add_nc_u32_e32 v9, 0x900, v0
	;; [unrolled: 1-line block ×3, first 2 shown]
	s_waitcnt lgkmcnt(0)
	s_lshl_b64 s[12:13], s[6:7], 2
	s_mul_i32 s20, s14, 0xc00
	s_add_u32 s21, s4, s12
	s_addc_u32 s24, s5, s13
	s_add_i32 s4, s20, s6
	s_load_b64 s[10:11], s[18:19], 0x0
	s_sub_i32 s19, s2, s4
	s_add_i32 s14, s14, -1
	s_addk_i32 s19, 0xc00
	s_add_u32 s4, s6, s20
	s_addc_u32 s5, s7, 0
	s_cmp_eq_u32 s15, s14
	v_cmp_ge_u64_e64 s2, s[4:5], s[2:3]
	s_cselect_b32 s14, -1, 0
	s_lshl_b64 s[4:5], s[22:23], 2
	s_mov_b32 s22, -1
	s_delay_alu instid0(VALU_DEP_1) | instskip(NEXT) | instid1(SALU_CYCLE_1)
	s_and_b32 s20, s14, s2
	s_xor_b32 s18, s20, -1
	s_add_u32 s21, s21, s4
	s_addc_u32 s3, s24, s5
	s_and_b32 vcc_lo, exec_lo, s18
	s_cbranch_vccz .LBB843_2
; %bb.1:
	v_lshlrev_b32_e32 v7, 2, v0
	v_lshrrev_b32_e32 v19, 3, v14
	v_lshrrev_b32_e32 v20, 3, v13
	v_lshrrev_b32_e32 v21, 3, v16
	v_lshrrev_b32_e32 v22, 3, v15
	v_add_co_u32 v1, s2, s21, v7
	s_delay_alu instid0(VALU_DEP_1) | instskip(SKIP_1) | instid1(VALU_DEP_3)
	v_add_co_ci_u32_e64 v2, null, s3, 0, s2
	v_lshrrev_b32_e32 v23, 3, v11
	v_add_co_u32 v3, vcc_lo, 0x1000, v1
	s_delay_alu instid0(VALU_DEP_3)
	v_add_co_ci_u32_e32 v4, vcc_lo, 0, v2, vcc_lo
	v_add_co_u32 v5, vcc_lo, 0x2000, v1
	v_add_co_ci_u32_e32 v6, vcc_lo, 0, v2, vcc_lo
	s_clause 0x7
	flat_load_b32 v8, v[1:2]
	flat_load_b32 v17, v[1:2] offset:1536
	flat_load_b32 v1, v[1:2] offset:3072
	;; [unrolled: 1-line block ×7, first 2 shown]
	v_and_b32_e32 v6, 60, v10
	v_lshrrev_b32_e32 v24, 3, v9
	v_lshrrev_b32_e32 v25, 3, v12
	v_and_b32_e32 v19, 0x7c, v19
	v_and_b32_e32 v20, 0xfc, v20
	;; [unrolled: 1-line block ×4, first 2 shown]
	v_add_nc_u32_e32 v6, v6, v7
	v_and_b32_e32 v23, 0x1fc, v23
	v_and_b32_e32 v24, 0x17c, v24
	;; [unrolled: 1-line block ×3, first 2 shown]
	v_add_nc_u32_e32 v19, v19, v7
	v_add_nc_u32_e32 v20, v20, v7
	;; [unrolled: 1-line block ×4, first 2 shown]
	s_mov_b32 s22, 0
	v_add_nc_u32_e32 v23, v23, v7
	v_add_nc_u32_e32 v24, v24, v7
	;; [unrolled: 1-line block ×3, first 2 shown]
	s_waitcnt vmcnt(7) lgkmcnt(0)
	ds_store_b32 v6, v8
	s_waitcnt vmcnt(6)
	ds_store_b32 v19, v17 offset:1536
	s_waitcnt vmcnt(5)
	ds_store_b32 v20, v1 offset:3072
	;; [unrolled: 2-line block ×7, first 2 shown]
	s_waitcnt lgkmcnt(0)
	s_barrier
.LBB843_2:
	v_cmp_gt_u32_e64 s2, s19, v0
	s_and_not1_b32 vcc_lo, exec_lo, s22
	s_cbranch_vccnz .LBB843_20
; %bb.3:
                                        ; implicit-def: $vgpr1_vgpr2_vgpr3_vgpr4_vgpr5_vgpr6_vgpr7_vgpr8
	s_delay_alu instid0(VALU_DEP_1)
	s_and_saveexec_b32 s22, s2
	s_cbranch_execz .LBB843_11
; %bb.4:
	v_lshlrev_b32_e32 v1, 2, v0
	s_delay_alu instid0(VALU_DEP_1) | instskip(NEXT) | instid1(VALU_DEP_1)
	v_add_co_u32 v1, s2, s21, v1
	v_add_co_ci_u32_e64 v2, null, s3, 0, s2
	flat_load_b32 v1, v[1:2]
	s_or_b32 exec_lo, exec_lo, s22
	s_delay_alu instid0(SALU_CYCLE_1)
	s_mov_b32 s2, exec_lo
	v_cmpx_gt_u32_e64 s19, v14
	s_cbranch_execnz .LBB843_12
.LBB843_5:
	s_or_b32 exec_lo, exec_lo, s2
	s_delay_alu instid0(SALU_CYCLE_1)
	s_mov_b32 s2, exec_lo
	v_cmpx_gt_u32_e64 s19, v13
	s_cbranch_execz .LBB843_13
.LBB843_6:
	v_lshlrev_b32_e32 v3, 2, v0
	s_delay_alu instid0(VALU_DEP_1) | instskip(NEXT) | instid1(VALU_DEP_1)
	v_add_co_u32 v17, s22, s21, v3
	v_add_co_ci_u32_e64 v18, null, s3, 0, s22
	flat_load_b32 v3, v[17:18] offset:3072
	s_or_b32 exec_lo, exec_lo, s2
	s_delay_alu instid0(SALU_CYCLE_1)
	s_mov_b32 s2, exec_lo
	v_cmpx_gt_u32_e64 s19, v16
	s_cbranch_execnz .LBB843_14
.LBB843_7:
	s_or_b32 exec_lo, exec_lo, s2
	s_delay_alu instid0(SALU_CYCLE_1)
	s_mov_b32 s2, exec_lo
	v_cmpx_gt_u32_e64 s19, v15
	s_cbranch_execz .LBB843_15
.LBB843_8:
	v_lshlrev_b32_e32 v5, 2, v15
	s_delay_alu instid0(VALU_DEP_1) | instskip(NEXT) | instid1(VALU_DEP_1)
	v_add_co_u32 v17, s22, s21, v5
	v_add_co_ci_u32_e64 v18, null, s3, 0, s22
	flat_load_b32 v5, v[17:18]
	s_or_b32 exec_lo, exec_lo, s2
	s_delay_alu instid0(SALU_CYCLE_1)
	s_mov_b32 s2, exec_lo
	v_cmpx_gt_u32_e64 s19, v11
	s_cbranch_execnz .LBB843_16
.LBB843_9:
	s_or_b32 exec_lo, exec_lo, s2
	s_delay_alu instid0(SALU_CYCLE_1)
	s_mov_b32 s2, exec_lo
	v_cmpx_gt_u32_e64 s19, v9
	s_cbranch_execz .LBB843_17
.LBB843_10:
	v_lshlrev_b32_e32 v7, 2, v9
	s_delay_alu instid0(VALU_DEP_1) | instskip(NEXT) | instid1(VALU_DEP_1)
	v_add_co_u32 v17, s22, s21, v7
	v_add_co_ci_u32_e64 v18, null, s3, 0, s22
	flat_load_b32 v7, v[17:18]
	s_or_b32 exec_lo, exec_lo, s2
	s_delay_alu instid0(SALU_CYCLE_1)
	s_mov_b32 s2, exec_lo
	v_cmpx_gt_u32_e64 s19, v12
	s_cbranch_execnz .LBB843_18
	s_branch .LBB843_19
.LBB843_11:
	s_or_b32 exec_lo, exec_lo, s22
	s_delay_alu instid0(SALU_CYCLE_1)
	s_mov_b32 s2, exec_lo
	v_cmpx_gt_u32_e64 s19, v14
	s_cbranch_execz .LBB843_5
.LBB843_12:
	v_lshlrev_b32_e32 v2, 2, v0
	s_delay_alu instid0(VALU_DEP_1) | instskip(NEXT) | instid1(VALU_DEP_1)
	v_add_co_u32 v17, s22, s21, v2
	v_add_co_ci_u32_e64 v18, null, s3, 0, s22
	flat_load_b32 v2, v[17:18] offset:1536
	s_or_b32 exec_lo, exec_lo, s2
	s_delay_alu instid0(SALU_CYCLE_1)
	s_mov_b32 s2, exec_lo
	v_cmpx_gt_u32_e64 s19, v13
	s_cbranch_execnz .LBB843_6
.LBB843_13:
	s_or_b32 exec_lo, exec_lo, s2
	s_delay_alu instid0(SALU_CYCLE_1)
	s_mov_b32 s2, exec_lo
	v_cmpx_gt_u32_e64 s19, v16
	s_cbranch_execz .LBB843_7
.LBB843_14:
	v_lshlrev_b32_e32 v4, 2, v16
	s_delay_alu instid0(VALU_DEP_1) | instskip(NEXT) | instid1(VALU_DEP_1)
	v_add_co_u32 v17, s22, s21, v4
	v_add_co_ci_u32_e64 v18, null, s3, 0, s22
	flat_load_b32 v4, v[17:18]
	s_or_b32 exec_lo, exec_lo, s2
	s_delay_alu instid0(SALU_CYCLE_1)
	s_mov_b32 s2, exec_lo
	v_cmpx_gt_u32_e64 s19, v15
	s_cbranch_execnz .LBB843_8
.LBB843_15:
	s_or_b32 exec_lo, exec_lo, s2
	s_delay_alu instid0(SALU_CYCLE_1)
	s_mov_b32 s2, exec_lo
	v_cmpx_gt_u32_e64 s19, v11
	s_cbranch_execz .LBB843_9
.LBB843_16:
	v_lshlrev_b32_e32 v6, 2, v11
	s_delay_alu instid0(VALU_DEP_1) | instskip(NEXT) | instid1(VALU_DEP_1)
	v_add_co_u32 v17, s22, s21, v6
	v_add_co_ci_u32_e64 v18, null, s3, 0, s22
	flat_load_b32 v6, v[17:18]
	s_or_b32 exec_lo, exec_lo, s2
	s_delay_alu instid0(SALU_CYCLE_1)
	s_mov_b32 s2, exec_lo
	v_cmpx_gt_u32_e64 s19, v9
	s_cbranch_execnz .LBB843_10
.LBB843_17:
	s_or_b32 exec_lo, exec_lo, s2
	s_delay_alu instid0(SALU_CYCLE_1)
	s_mov_b32 s2, exec_lo
	v_cmpx_gt_u32_e64 s19, v12
	s_cbranch_execz .LBB843_19
.LBB843_18:
	v_lshlrev_b32_e32 v8, 2, v12
	s_delay_alu instid0(VALU_DEP_1) | instskip(NEXT) | instid1(VALU_DEP_1)
	v_add_co_u32 v17, s22, s21, v8
	v_add_co_ci_u32_e64 v18, null, s3, 0, s22
	flat_load_b32 v8, v[17:18]
.LBB843_19:
	s_or_b32 exec_lo, exec_lo, s2
	v_lshrrev_b32_e32 v17, 3, v14
	v_lshrrev_b32_e32 v18, 3, v13
	;; [unrolled: 1-line block ×4, first 2 shown]
	v_and_b32_e32 v19, 60, v10
	v_lshlrev_b32_e32 v20, 2, v0
	v_lshrrev_b32_e32 v23, 3, v11
	v_lshrrev_b32_e32 v24, 3, v9
	;; [unrolled: 1-line block ×3, first 2 shown]
	v_and_b32_e32 v17, 0x7c, v17
	v_and_b32_e32 v18, 0xfc, v18
	;; [unrolled: 1-line block ×4, first 2 shown]
	v_add_nc_u32_e32 v19, v19, v20
	v_and_b32_e32 v23, 0x1fc, v23
	v_and_b32_e32 v24, 0x1fc, v24
	;; [unrolled: 1-line block ×3, first 2 shown]
	v_add_nc_u32_e32 v17, v17, v20
	v_add_nc_u32_e32 v18, v18, v20
	;; [unrolled: 1-line block ×7, first 2 shown]
	s_waitcnt vmcnt(0) lgkmcnt(0)
	ds_store_b32 v19, v1
	ds_store_b32 v17, v2 offset:1536
	ds_store_b32 v18, v3 offset:3072
	;; [unrolled: 1-line block ×7, first 2 shown]
	s_waitcnt lgkmcnt(0)
	s_barrier
.LBB843_20:
	v_lshlrev_b32_e32 v19, 3, v0
	v_lshrrev_b32_e32 v1, 2, v0
	s_waitcnt lgkmcnt(0)
	buffer_gl0_inv
	s_add_u32 s2, s8, s12
	s_addc_u32 s8, s9, s13
	s_add_u32 s2, s2, s4
	v_add_lshl_u32 v17, v1, v19, 2
	s_addc_u32 s4, s8, s5
	s_and_b32 vcc_lo, exec_lo, s18
	s_mov_b32 s5, -1
	ds_load_2addr_b32 v[7:8], v17 offset1:1
	ds_load_2addr_b32 v[5:6], v17 offset0:2 offset1:3
	ds_load_2addr_b32 v[3:4], v17 offset0:4 offset1:5
	;; [unrolled: 1-line block ×3, first 2 shown]
	s_waitcnt lgkmcnt(0)
	s_barrier
	buffer_gl0_inv
	s_cbranch_vccz .LBB843_22
; %bb.21:
	v_lshlrev_b32_e32 v18, 2, v0
	v_lshrrev_b32_e32 v29, 3, v14
	v_lshrrev_b32_e32 v30, 3, v13
	;; [unrolled: 1-line block ×4, first 2 shown]
	v_add_co_u32 v20, s5, s2, v18
	s_delay_alu instid0(VALU_DEP_1) | instskip(SKIP_1) | instid1(VALU_DEP_3)
	v_add_co_ci_u32_e64 v21, null, s4, 0, s5
	v_lshrrev_b32_e32 v33, 3, v11
	v_add_co_u32 v22, vcc_lo, 0x1000, v20
	s_delay_alu instid0(VALU_DEP_3)
	v_add_co_ci_u32_e32 v23, vcc_lo, 0, v21, vcc_lo
	v_add_co_u32 v24, vcc_lo, 0x2000, v20
	v_add_co_ci_u32_e32 v25, vcc_lo, 0, v21, vcc_lo
	s_clause 0x7
	flat_load_b32 v26, v[20:21]
	flat_load_b32 v27, v[20:21] offset:1536
	flat_load_b32 v20, v[20:21] offset:3072
	;; [unrolled: 1-line block ×7, first 2 shown]
	v_and_b32_e32 v25, 60, v10
	v_lshrrev_b32_e32 v34, 3, v9
	v_lshrrev_b32_e32 v35, 3, v12
	v_and_b32_e32 v29, 0x7c, v29
	v_and_b32_e32 v30, 0xfc, v30
	;; [unrolled: 1-line block ×4, first 2 shown]
	v_add_nc_u32_e32 v25, v25, v18
	v_and_b32_e32 v33, 0x1fc, v33
	v_and_b32_e32 v34, 0x17c, v34
	;; [unrolled: 1-line block ×3, first 2 shown]
	v_add_nc_u32_e32 v29, v29, v18
	v_add_nc_u32_e32 v30, v30, v18
	;; [unrolled: 1-line block ×4, first 2 shown]
	s_mov_b32 s5, 0
	v_add_nc_u32_e32 v33, v33, v18
	v_add_nc_u32_e32 v34, v34, v18
	v_add_nc_u32_e32 v18, v35, v18
	s_waitcnt vmcnt(7) lgkmcnt(7)
	ds_store_b32 v25, v26
	s_waitcnt vmcnt(6) lgkmcnt(7)
	ds_store_b32 v29, v27 offset:1536
	s_waitcnt vmcnt(5) lgkmcnt(7)
	ds_store_b32 v30, v20 offset:3072
	;; [unrolled: 2-line block ×7, first 2 shown]
	s_waitcnt lgkmcnt(0)
	s_barrier
.LBB843_22:
	s_and_not1_b32 vcc_lo, exec_lo, s5
	s_cbranch_vccnz .LBB843_40
; %bb.23:
	s_mov_b32 s5, exec_lo
                                        ; implicit-def: $vgpr18
	v_cmpx_gt_u32_e64 s19, v0
	s_cbranch_execz .LBB843_25
; %bb.24:
	v_lshlrev_b32_e32 v18, 2, v0
	s_delay_alu instid0(VALU_DEP_1) | instskip(NEXT) | instid1(VALU_DEP_1)
	v_add_co_u32 v20, s8, s2, v18
	v_add_co_ci_u32_e64 v21, null, s4, 0, s8
	flat_load_b32 v18, v[20:21]
.LBB843_25:
	s_or_b32 exec_lo, exec_lo, s5
	s_delay_alu instid0(SALU_CYCLE_1)
	s_mov_b32 s5, exec_lo
                                        ; implicit-def: $vgpr20
	v_cmpx_gt_u32_e64 s19, v14
	s_cbranch_execz .LBB843_27
; %bb.26:
	v_lshlrev_b32_e32 v20, 2, v0
	s_delay_alu instid0(VALU_DEP_1) | instskip(NEXT) | instid1(VALU_DEP_1)
	v_add_co_u32 v20, s8, s2, v20
	v_add_co_ci_u32_e64 v21, null, s4, 0, s8
	flat_load_b32 v20, v[20:21] offset:1536
.LBB843_27:
	s_or_b32 exec_lo, exec_lo, s5
	s_delay_alu instid0(SALU_CYCLE_1)
	s_mov_b32 s5, exec_lo
                                        ; implicit-def: $vgpr21
	v_cmpx_gt_u32_e64 s19, v13
	s_cbranch_execz .LBB843_29
; %bb.28:
	v_lshlrev_b32_e32 v21, 2, v0
	s_delay_alu instid0(VALU_DEP_1) | instskip(NEXT) | instid1(VALU_DEP_1)
	v_add_co_u32 v21, s8, s2, v21
	v_add_co_ci_u32_e64 v22, null, s4, 0, s8
	flat_load_b32 v21, v[21:22] offset:3072
.LBB843_29:
	s_or_b32 exec_lo, exec_lo, s5
	s_delay_alu instid0(SALU_CYCLE_1)
	s_mov_b32 s5, exec_lo
                                        ; implicit-def: $vgpr22
	v_cmpx_gt_u32_e64 s19, v16
	s_cbranch_execz .LBB843_31
; %bb.30:
	v_lshlrev_b32_e32 v22, 2, v16
	s_delay_alu instid0(VALU_DEP_1) | instskip(NEXT) | instid1(VALU_DEP_1)
	v_add_co_u32 v22, s8, s2, v22
	v_add_co_ci_u32_e64 v23, null, s4, 0, s8
	flat_load_b32 v22, v[22:23]
.LBB843_31:
	s_or_b32 exec_lo, exec_lo, s5
	s_delay_alu instid0(SALU_CYCLE_1)
	s_mov_b32 s5, exec_lo
                                        ; implicit-def: $vgpr23
	v_cmpx_gt_u32_e64 s19, v15
	s_cbranch_execz .LBB843_33
; %bb.32:
	v_lshlrev_b32_e32 v23, 2, v15
	s_delay_alu instid0(VALU_DEP_1) | instskip(NEXT) | instid1(VALU_DEP_1)
	v_add_co_u32 v23, s8, s2, v23
	v_add_co_ci_u32_e64 v24, null, s4, 0, s8
	flat_load_b32 v23, v[23:24]
.LBB843_33:
	s_or_b32 exec_lo, exec_lo, s5
	s_delay_alu instid0(SALU_CYCLE_1)
	s_mov_b32 s5, exec_lo
                                        ; implicit-def: $vgpr24
	v_cmpx_gt_u32_e64 s19, v11
	s_cbranch_execz .LBB843_35
; %bb.34:
	v_lshlrev_b32_e32 v24, 2, v11
	s_delay_alu instid0(VALU_DEP_1) | instskip(NEXT) | instid1(VALU_DEP_1)
	v_add_co_u32 v24, s8, s2, v24
	v_add_co_ci_u32_e64 v25, null, s4, 0, s8
	flat_load_b32 v24, v[24:25]
.LBB843_35:
	s_or_b32 exec_lo, exec_lo, s5
	s_delay_alu instid0(SALU_CYCLE_1)
	s_mov_b32 s5, exec_lo
                                        ; implicit-def: $vgpr25
	v_cmpx_gt_u32_e64 s19, v9
	s_cbranch_execz .LBB843_37
; %bb.36:
	v_lshlrev_b32_e32 v25, 2, v9
	s_delay_alu instid0(VALU_DEP_1) | instskip(NEXT) | instid1(VALU_DEP_1)
	v_add_co_u32 v25, s8, s2, v25
	v_add_co_ci_u32_e64 v26, null, s4, 0, s8
	flat_load_b32 v25, v[25:26]
.LBB843_37:
	s_or_b32 exec_lo, exec_lo, s5
	s_delay_alu instid0(SALU_CYCLE_1)
	s_mov_b32 s5, exec_lo
                                        ; implicit-def: $vgpr26
	v_cmpx_gt_u32_e64 s19, v12
	s_cbranch_execz .LBB843_39
; %bb.38:
	v_lshlrev_b32_e32 v26, 2, v12
	s_delay_alu instid0(VALU_DEP_1) | instskip(NEXT) | instid1(VALU_DEP_1)
	v_add_co_u32 v26, s2, s2, v26
	v_add_co_ci_u32_e64 v27, null, s4, 0, s2
	flat_load_b32 v26, v[26:27]
.LBB843_39:
	s_or_b32 exec_lo, exec_lo, s5
	v_lshrrev_b32_e32 v14, 3, v14
	v_lshrrev_b32_e32 v13, 3, v13
	;; [unrolled: 1-line block ×4, first 2 shown]
	v_and_b32_e32 v10, 60, v10
	v_lshlrev_b32_e32 v27, 2, v0
	v_lshrrev_b32_e32 v11, 3, v11
	v_lshrrev_b32_e32 v9, 3, v9
	;; [unrolled: 1-line block ×3, first 2 shown]
	v_and_b32_e32 v14, 0x7c, v14
	v_and_b32_e32 v13, 0xfc, v13
	;; [unrolled: 1-line block ×4, first 2 shown]
	v_add_nc_u32_e32 v10, v10, v27
	v_and_b32_e32 v11, 0x1fc, v11
	v_and_b32_e32 v9, 0x1fc, v9
	;; [unrolled: 1-line block ×3, first 2 shown]
	v_add_nc_u32_e32 v14, v14, v27
	v_add_nc_u32_e32 v13, v13, v27
	;; [unrolled: 1-line block ×7, first 2 shown]
	s_waitcnt vmcnt(0) lgkmcnt(0)
	ds_store_b32 v10, v18
	ds_store_b32 v14, v20 offset:1536
	ds_store_b32 v13, v21 offset:3072
	;; [unrolled: 1-line block ×7, first 2 shown]
	s_waitcnt lgkmcnt(0)
	s_barrier
.LBB843_40:
	buffer_gl0_inv
	ds_load_2addr_b32 v[15:16], v17 offset1:1
	ds_load_2addr_b32 v[13:14], v17 offset0:2 offset1:3
	ds_load_2addr_b32 v[11:12], v17 offset0:4 offset1:5
	;; [unrolled: 1-line block ×3, first 2 shown]
	s_cmp_lg_u32 s15, 0
	s_mov_b32 s12, 0
	s_cselect_b32 s9, -1, 0
	s_cmp_lg_u64 s[6:7], 0
	s_waitcnt lgkmcnt(0)
	s_cselect_b32 s2, -1, 0
	s_barrier
	s_or_b32 s2, s9, s2
	buffer_gl0_inv
	s_and_b32 vcc_lo, exec_lo, s2
	s_cbranch_vccz .LBB843_45
; %bb.41:
	v_add_co_u32 v17, s2, -4, s21
	s_delay_alu instid0(VALU_DEP_1)
	v_add_co_ci_u32_e64 v18, null, -1, s3, s2
	v_lshlrev_b32_e32 v21, 2, v0
	s_mov_b32 s3, -1
	s_and_b32 vcc_lo, exec_lo, s18
	flat_load_b32 v20, v[17:18]
	ds_store_b32 v21, v2
	s_cbranch_vccz .LBB843_46
; %bb.42:
	s_waitcnt vmcnt(0) lgkmcnt(1)
	v_mov_b32_e32 v17, v20
	s_mov_b32 s3, 0
	s_mov_b32 s2, exec_lo
	s_waitcnt lgkmcnt(0)
	s_barrier
	buffer_gl0_inv
	v_cmpx_ne_u32_e32 0, v0
	s_cbranch_execz .LBB843_44
; %bb.43:
	v_add_nc_u32_e32 v17, -4, v21
	ds_load_b32 v17, v17
.LBB843_44:
	s_or_b32 exec_lo, exec_lo, s2
	v_cmp_ne_u32_e32 vcc_lo, v1, v2
	s_waitcnt lgkmcnt(0)
	v_cmp_ne_u32_e64 s2, v17, v7
	v_cndmask_b32_e64 v18, 0, 1, vcc_lo
	v_cmp_ne_u32_e32 vcc_lo, v4, v1
	s_delay_alu instid0(VALU_DEP_2) | instskip(SKIP_2) | instid1(VALU_DEP_2)
	v_lshlrev_b16 v18, 8, v18
	v_cndmask_b32_e64 v22, 0, 1, vcc_lo
	v_cmp_ne_u32_e32 vcc_lo, v3, v4
	v_or_b32_e32 v18, v22, v18
	v_cndmask_b32_e64 v23, 0, 1, vcc_lo
	v_cmp_ne_u32_e32 vcc_lo, v5, v6
	s_delay_alu instid0(VALU_DEP_3) | instskip(NEXT) | instid1(VALU_DEP_3)
	v_lshlrev_b32_e32 v18, 16, v18
	v_lshlrev_b16 v23, 8, v23
	v_cndmask_b32_e64 v24, 0, 1, vcc_lo
	v_cmp_ne_u32_e32 vcc_lo, v6, v3
	s_delay_alu instid0(VALU_DEP_2) | instskip(SKIP_2) | instid1(VALU_DEP_2)
	v_lshlrev_b16 v24, 8, v24
	v_cndmask_b32_e64 v25, 0, 1, vcc_lo
	v_cmp_ne_u32_e32 vcc_lo, v8, v5
	v_or_b32_e32 v23, v25, v23
	v_cndmask_b32_e64 v26, 0, 1, vcc_lo
	v_cmp_ne_u32_e32 vcc_lo, v7, v8
	s_delay_alu instid0(VALU_DEP_3) | instskip(NEXT) | instid1(VALU_DEP_3)
	v_and_b32_e32 v23, 0xffff, v23
	v_or_b32_e32 v24, v26, v24
	v_cndmask_b32_e64 v27, 0, 1, vcc_lo
	s_delay_alu instid0(VALU_DEP_3) | instskip(NEXT) | instid1(VALU_DEP_3)
	v_or_b32_e32 v18, v23, v18
	v_lshlrev_b32_e32 v22, 16, v24
	s_delay_alu instid0(VALU_DEP_3) | instskip(NEXT) | instid1(VALU_DEP_1)
	v_lshlrev_b16 v26, 8, v27
	v_and_b32_e32 v24, 0xffff, v26
	s_delay_alu instid0(VALU_DEP_1)
	v_or_b32_e32 v17, v24, v22
	s_and_b32 vcc_lo, exec_lo, s3
	s_cbranch_vccnz .LBB843_47
	s_branch .LBB843_50
.LBB843_45:
                                        ; implicit-def: $sgpr2
                                        ; implicit-def: $vgpr18
	s_branch .LBB843_51
.LBB843_46:
                                        ; implicit-def: $sgpr2
                                        ; implicit-def: $vgpr18
	s_and_b32 vcc_lo, exec_lo, s3
	s_cbranch_vccz .LBB843_50
.LBB843_47:
	s_mov_b32 s2, exec_lo
	s_waitcnt vmcnt(0) lgkmcnt(0)
	s_barrier
	buffer_gl0_inv
	v_cmpx_ne_u32_e32 0, v0
	s_cbranch_execz .LBB843_49
; %bb.48:
	v_add_nc_u32_e32 v17, -4, v21
	ds_load_b32 v20, v17
.LBB843_49:
	s_or_b32 exec_lo, exec_lo, s2
	v_or_b32_e32 v17, 7, v19
	v_or_b32_e32 v18, 6, v19
	;; [unrolled: 1-line block ×3, first 2 shown]
	v_cmp_ne_u32_e32 vcc_lo, v1, v2
	v_cmp_ne_u32_e64 s3, v4, v1
	v_cmp_gt_u32_e64 s2, s19, v17
	v_cmp_gt_u32_e64 s5, s19, v18
	v_cmp_ne_u32_e64 s4, v3, v4
	v_cmp_gt_u32_e64 s6, s19, v21
	v_or_b32_e32 v18, 3, v19
	s_and_b32 s2, s2, vcc_lo
	v_or_b32_e32 v22, 4, v19
	v_cndmask_b32_e64 v17, 0, 1, s2
	s_and_b32 s2, s5, s3
	v_cmp_gt_u32_e32 vcc_lo, s19, v18
	v_cndmask_b32_e64 v21, 0, 1, s2
	s_and_b32 s2, s6, s4
	v_or_b32_e32 v18, 2, v19
	v_cndmask_b32_e64 v23, 0, 1, s2
	v_cmp_ne_u32_e64 s2, v5, v6
	v_cmp_gt_u32_e64 s3, s19, v22
	v_or_b32_e32 v22, 1, v19
	v_cmp_ne_u32_e64 s4, v6, v3
	v_cmp_ne_u32_e64 s6, v7, v8
	s_and_b32 s2, vcc_lo, s2
	v_cmp_gt_u32_e32 vcc_lo, s19, v18
	v_cndmask_b32_e64 v24, 0, 1, s2
	v_cmp_ne_u32_e64 s2, v8, v5
	v_cmp_gt_u32_e64 s5, s19, v22
	s_and_b32 s3, s3, s4
	v_lshlrev_b16 v23, 8, v23
	v_cndmask_b32_e64 v18, 0, 1, s3
	s_and_b32 s2, vcc_lo, s2
	v_lshlrev_b16 v24, 8, v24
	v_cndmask_b32_e64 v22, 0, 1, s2
	s_and_b32 s2, s5, s6
	v_lshlrev_b16 v17, 8, v17
	v_cndmask_b32_e64 v25, 0, 1, s2
	v_or_b32_e32 v18, v18, v23
	v_or_b32_e32 v22, v22, v24
	v_cmp_gt_u32_e32 vcc_lo, s19, v19
	v_or_b32_e32 v17, v21, v17
	v_lshlrev_b16 v24, 8, v25
	v_and_b32_e32 v18, 0xffff, v18
	v_lshlrev_b32_e32 v21, 16, v22
	s_waitcnt lgkmcnt(0)
	v_cmp_ne_u32_e64 s2, v20, v7
	v_lshlrev_b32_e32 v23, 16, v17
	v_and_b32_e32 v22, 0xffff, v24
	s_delay_alu instid0(VALU_DEP_3) | instskip(NEXT) | instid1(VALU_DEP_2)
	s_and_b32 s2, vcc_lo, s2
	v_or_b32_e32 v18, v18, v23
	s_delay_alu instid0(VALU_DEP_2)
	v_or_b32_e32 v17, v22, v21
.LBB843_50:
	s_mov_b32 s12, -1
	s_cbranch_execnz .LBB843_59
.LBB843_51:
	s_waitcnt vmcnt(0) lgkmcnt(1)
	v_lshlrev_b32_e32 v20, 2, v0
	v_cmp_ne_u32_e64 s3, v1, v2
	v_cmp_ne_u32_e64 s4, v4, v1
	v_cmp_ne_u32_e64 s5, v3, v4
	v_cmp_ne_u32_e64 s6, v6, v3
	v_cmp_ne_u32_e64 s7, v5, v6
	v_cmp_ne_u32_e64 s2, v8, v5
	v_cmp_ne_u32_e64 s8, v7, v8
	s_and_b32 vcc_lo, exec_lo, s18
	ds_store_b32 v20, v2
	s_cbranch_vccz .LBB843_55
; %bb.52:
	v_cndmask_b32_e64 v17, 0, 1, s3
	v_cndmask_b32_e64 v21, 0, 1, s5
	;; [unrolled: 1-line block ×7, first 2 shown]
	v_lshlrev_b16 v21, 8, v21
	v_lshlrev_b16 v17, 8, v17
	;; [unrolled: 1-line block ×4, first 2 shown]
	s_mov_b32 s3, 0
	v_or_b32_e32 v21, v22, v21
	v_or_b32_e32 v17, v18, v17
	;; [unrolled: 1-line block ×4, first 2 shown]
	s_mov_b32 s4, exec_lo
	v_and_b32_e32 v21, 0xffff, v21
	v_lshlrev_b32_e32 v17, 16, v17
	v_lshlrev_b32_e32 v23, 16, v18
	v_and_b32_e32 v22, 0xffff, v22
	s_waitcnt lgkmcnt(0)
	s_barrier
	v_or_b32_e32 v18, v21, v17
	buffer_gl0_inv
	v_or_b32_e32 v17, v22, v23
                                        ; implicit-def: $sgpr2
	v_cmpx_ne_u32_e32 0, v0
	s_xor_b32 s4, exec_lo, s4
	s_cbranch_execz .LBB843_54
; %bb.53:
	v_add_nc_u32_e32 v21, -4, v20
	s_or_b32 s12, s12, exec_lo
	ds_load_b32 v21, v21
	s_waitcnt lgkmcnt(0)
	v_cmp_ne_u32_e32 vcc_lo, v21, v7
	s_and_b32 s2, vcc_lo, exec_lo
.LBB843_54:
	s_or_b32 exec_lo, exec_lo, s4
	s_delay_alu instid0(SALU_CYCLE_1)
	s_and_b32 vcc_lo, exec_lo, s3
	s_cbranch_vccnz .LBB843_56
	s_branch .LBB843_59
.LBB843_55:
                                        ; implicit-def: $sgpr2
                                        ; implicit-def: $vgpr18
	s_cbranch_execz .LBB843_59
.LBB843_56:
	v_or_b32_e32 v17, 7, v19
	v_or_b32_e32 v18, 6, v19
	v_cmp_ne_u32_e32 vcc_lo, v1, v2
	v_cmp_ne_u32_e64 s3, v4, v1
	v_or_b32_e32 v21, 5, v19
	v_cmp_gt_u32_e64 s2, s19, v17
	v_cmp_gt_u32_e64 s4, s19, v18
	v_or_b32_e32 v17, 4, v19
	v_or_b32_e32 v22, 3, v19
	v_cmp_gt_u32_e64 s5, s19, v21
	s_and_b32 s2, s2, vcc_lo
	v_cmp_ne_u32_e32 vcc_lo, v3, v4
	v_cndmask_b32_e64 v18, 0, 1, s2
	s_and_b32 s2, s4, s3
	v_cmp_ne_u32_e64 s3, v6, v3
	v_cndmask_b32_e64 v21, 0, 1, s2
	v_cmp_gt_u32_e64 s2, s19, v17
	v_or_b32_e32 v23, 1, v19
	s_and_b32 s4, s5, vcc_lo
	v_cmp_gt_u32_e32 vcc_lo, s19, v22
	v_cndmask_b32_e64 v17, 0, 1, s4
	s_and_b32 s2, s2, s3
	v_or_b32_e32 v25, 2, v19
	v_cndmask_b32_e64 v24, 0, 1, s2
	v_cmp_ne_u32_e64 s2, v5, v6
	v_cmp_gt_u32_e64 s3, s19, v23
	v_cmp_ne_u32_e64 s4, v7, v8
	v_cmp_gt_u32_e64 s5, s19, v25
	v_cmp_ne_u32_e64 s6, v8, v5
	s_and_b32 s2, vcc_lo, s2
	v_lshlrev_b16 v17, 8, v17
	v_cndmask_b32_e64 v22, 0, 1, s2
	s_and_b32 s2, s3, s4
	v_lshlrev_b16 v18, 8, v18
	v_cndmask_b32_e64 v23, 0, 1, s2
	s_and_b32 s2, s5, s6
	v_lshlrev_b16 v22, 8, v22
	v_cndmask_b32_e64 v25, 0, 1, s2
	v_or_b32_e32 v17, v24, v17
	v_lshlrev_b16 v23, 8, v23
	v_or_b32_e32 v18, v21, v18
	s_mov_b32 s3, exec_lo
	v_or_b32_e32 v21, v25, v22
	v_and_b32_e32 v17, 0xffff, v17
	v_or_b32_e32 v22, 1, v23
	v_lshlrev_b32_e32 v18, 16, v18
	s_waitcnt lgkmcnt(0)
	v_lshlrev_b32_e32 v21, 16, v21
	s_barrier
	v_and_b32_e32 v22, 0xffff, v22
	v_or_b32_e32 v18, v17, v18
	buffer_gl0_inv
                                        ; implicit-def: $sgpr2
	v_or_b32_e32 v17, v22, v21
	v_cmpx_ne_u32_e32 0, v0
	s_cbranch_execz .LBB843_58
; %bb.57:
	v_add_nc_u32_e32 v20, -4, v20
	v_cmp_gt_u32_e32 vcc_lo, s19, v19
	s_or_b32 s12, s12, exec_lo
	ds_load_b32 v20, v20
	s_waitcnt lgkmcnt(0)
	v_cmp_ne_u32_e64 s2, v20, v7
	s_delay_alu instid0(VALU_DEP_1) | instskip(NEXT) | instid1(SALU_CYCLE_1)
	s_and_b32 s2, vcc_lo, s2
	s_and_b32 s2, s2, exec_lo
.LBB843_58:
	s_or_b32 exec_lo, exec_lo, s3
.LBB843_59:
	s_and_saveexec_b32 s3, s12
	s_cbranch_execz .LBB843_61
; %bb.60:
	s_waitcnt vmcnt(0) lgkmcnt(1)
	v_and_b32_e32 v20, 0xffffff00, v17
	v_cndmask_b32_e64 v21, 0, 1, s2
	s_delay_alu instid0(VALU_DEP_1) | instskip(NEXT) | instid1(VALU_DEP_1)
	v_or_b32_e32 v20, v21, v20
	v_and_b32_e32 v20, 0xffff, v20
	s_delay_alu instid0(VALU_DEP_1)
	v_and_or_b32 v17, 0xffff0000, v17, v20
.LBB843_61:
	s_or_b32 exec_lo, exec_lo, s3
	s_load_b64 s[12:13], s[0:1], 0x68
	s_and_not1_b32 vcc_lo, exec_lo, s20
	s_cbranch_vccnz .LBB843_63
; %bb.62:
	v_cmp_gt_u32_e32 vcc_lo, s19, v19
	v_or_b32_e32 v21, 1, v19
	v_and_b32_e32 v22, 0xffffff00, v18
	v_or_b32_e32 v23, 2, v19
	s_waitcnt vmcnt(0) lgkmcnt(0)
	v_cndmask_b32_e32 v20, 0, v17, vcc_lo
	v_cmp_gt_u32_e32 vcc_lo, s19, v21
	v_or_b32_e32 v21, 4, v19
	v_cmp_gt_u32_e64 s2, s19, v23
	v_or_b32_e32 v23, 3, v19
	v_and_b32_e32 v20, 0xff, v20
	s_delay_alu instid0(VALU_DEP_2) | instskip(NEXT) | instid1(VALU_DEP_2)
	v_cmp_gt_u32_e64 s3, s19, v23
	v_cndmask_b32_e32 v20, v20, v17, vcc_lo
	v_cmp_gt_u32_e32 vcc_lo, s19, v21
	s_delay_alu instid0(VALU_DEP_2) | instskip(SKIP_1) | instid1(VALU_DEP_2)
	v_dual_cndmask_b32 v21, v22, v18 :: v_dual_and_b32 v20, 0xffff, v20
	v_or_b32_e32 v22, 5, v19
	v_cndmask_b32_e64 v20, v20, v17, s2
	s_delay_alu instid0(VALU_DEP_3) | instskip(NEXT) | instid1(VALU_DEP_3)
	v_and_b32_e32 v21, 0xffff00ff, v21
	v_cmp_gt_u32_e64 s2, s19, v22
	v_or_b32_e32 v22, 6, v19
	v_or_b32_e32 v19, 7, v19
	v_and_b32_e32 v20, 0xffffff, v20
	s_delay_alu instid0(VALU_DEP_4) | instskip(NEXT) | instid1(VALU_DEP_2)
	v_cndmask_b32_e64 v21, v21, v18, s2
	v_cndmask_b32_e64 v20, v20, v17, s3
	s_delay_alu instid0(VALU_DEP_2) | instskip(NEXT) | instid1(VALU_DEP_2)
	v_and_b32_e32 v21, 0xff00ffff, v21
	v_cndmask_b32_e32 v20, v20, v17, vcc_lo
	v_cmp_gt_u32_e32 vcc_lo, s19, v22
	s_delay_alu instid0(VALU_DEP_2) | instskip(NEXT) | instid1(VALU_DEP_1)
	v_cndmask_b32_e64 v20, v20, v17, s2
	v_dual_cndmask_b32 v21, v21, v18 :: v_dual_cndmask_b32 v20, v20, v17
	s_delay_alu instid0(VALU_DEP_1) | instskip(SKIP_1) | instid1(VALU_DEP_2)
	v_and_b32_e32 v21, 0xffffff, v21
	v_cmp_gt_u32_e32 vcc_lo, s19, v19
	v_dual_cndmask_b32 v18, v21, v18 :: v_dual_cndmask_b32 v17, v20, v17
.LBB843_63:
	s_delay_alu instid0(VALU_DEP_1) | instskip(NEXT) | instid1(VALU_DEP_2)
	v_and_b32_e32 v28, 0xff, v17
	v_alignbit_b32 v19, v18, v17, 24
	v_bfe_u32 v30, v17, 8, 8
	v_bfe_u32 v32, v17, 16, 8
	v_and_b32_e32 v36, 0xff, v18
	v_bfe_u32 v38, v18, 8, 8
	v_and_b32_e32 v34, 0xff, v19
	v_add_nc_u32_e32 v19, v30, v28
	s_waitcnt vmcnt(0) lgkmcnt(0)
	v_and_b32_e32 v20, 0x1e0, v0
	v_mbcnt_lo_u32_b32 v41, -1, 0
	v_bfe_u32 v40, v18, 16, 8
	v_lshrrev_b32_e32 v39, 24, v18
	v_add3_u32 v19, v19, v32, v34
	v_min_u32_e32 v20, 0x160, v20
	v_and_b32_e32 v21, 15, v41
	v_lshrrev_b32_e32 v42, 5, v0
	s_and_b32 vcc_lo, exec_lo, s9
	v_add3_u32 v19, v19, v36, v38
	v_or_b32_e32 v20, 31, v20
	v_cmp_eq_u32_e64 s4, 0, v21
	v_cmp_lt_u32_e64 s5, 1, v21
	v_cmp_lt_u32_e64 s3, 3, v21
	v_add3_u32 v43, v19, v40, v39
	v_and_b32_e32 v19, 16, v41
	v_cmp_lt_u32_e64 s2, 7, v21
	v_cmp_eq_u32_e64 s6, v20, v0
	s_mov_b32 s19, -1
	s_delay_alu instid0(VALU_DEP_3)
	v_cmp_eq_u32_e64 s7, 0, v19
	s_barrier
	buffer_gl0_inv
	s_cbranch_vccz .LBB843_94
; %bb.64:
	v_mov_b32_dpp v19, v43 row_shr:1 row_mask:0xf bank_mask:0xf
	s_delay_alu instid0(VALU_DEP_1) | instskip(NEXT) | instid1(VALU_DEP_1)
	v_cndmask_b32_e64 v19, v19, 0, s4
	v_add_nc_u32_e32 v19, v19, v43
	s_delay_alu instid0(VALU_DEP_1) | instskip(NEXT) | instid1(VALU_DEP_1)
	v_mov_b32_dpp v20, v19 row_shr:2 row_mask:0xf bank_mask:0xf
	v_cndmask_b32_e64 v20, 0, v20, s5
	s_delay_alu instid0(VALU_DEP_1) | instskip(NEXT) | instid1(VALU_DEP_1)
	v_add_nc_u32_e32 v19, v19, v20
	v_mov_b32_dpp v20, v19 row_shr:4 row_mask:0xf bank_mask:0xf
	s_delay_alu instid0(VALU_DEP_1) | instskip(NEXT) | instid1(VALU_DEP_1)
	v_cndmask_b32_e64 v20, 0, v20, s3
	v_add_nc_u32_e32 v19, v19, v20
	s_delay_alu instid0(VALU_DEP_1) | instskip(NEXT) | instid1(VALU_DEP_1)
	v_mov_b32_dpp v20, v19 row_shr:8 row_mask:0xf bank_mask:0xf
	v_cndmask_b32_e64 v20, 0, v20, s2
	s_delay_alu instid0(VALU_DEP_1) | instskip(SKIP_3) | instid1(VALU_DEP_1)
	v_add_nc_u32_e32 v19, v19, v20
	ds_swizzle_b32 v20, v19 offset:swizzle(BROADCAST,32,15)
	s_waitcnt lgkmcnt(0)
	v_cndmask_b32_e64 v20, v20, 0, s7
	v_add_nc_u32_e32 v19, v19, v20
	s_and_saveexec_b32 s8, s6
	s_cbranch_execz .LBB843_66
; %bb.65:
	v_lshlrev_b32_e32 v20, 2, v42
	ds_store_b32 v20, v19
.LBB843_66:
	s_or_b32 exec_lo, exec_lo, s8
	s_delay_alu instid0(SALU_CYCLE_1)
	s_mov_b32 s8, exec_lo
	s_waitcnt lgkmcnt(0)
	s_barrier
	buffer_gl0_inv
	v_cmpx_gt_u32_e32 12, v0
	s_cbranch_execz .LBB843_68
; %bb.67:
	v_lshlrev_b32_e32 v20, 2, v0
	ds_load_b32 v21, v20
	s_waitcnt lgkmcnt(0)
	v_mov_b32_dpp v22, v21 row_shr:1 row_mask:0xf bank_mask:0xf
	s_delay_alu instid0(VALU_DEP_1) | instskip(NEXT) | instid1(VALU_DEP_1)
	v_cndmask_b32_e64 v22, v22, 0, s4
	v_add_nc_u32_e32 v21, v22, v21
	s_delay_alu instid0(VALU_DEP_1) | instskip(NEXT) | instid1(VALU_DEP_1)
	v_mov_b32_dpp v22, v21 row_shr:2 row_mask:0xf bank_mask:0xf
	v_cndmask_b32_e64 v22, 0, v22, s5
	s_delay_alu instid0(VALU_DEP_1) | instskip(NEXT) | instid1(VALU_DEP_1)
	v_add_nc_u32_e32 v21, v21, v22
	v_mov_b32_dpp v22, v21 row_shr:4 row_mask:0xf bank_mask:0xf
	s_delay_alu instid0(VALU_DEP_1) | instskip(NEXT) | instid1(VALU_DEP_1)
	v_cndmask_b32_e64 v22, 0, v22, s3
	v_add_nc_u32_e32 v21, v21, v22
	s_delay_alu instid0(VALU_DEP_1) | instskip(NEXT) | instid1(VALU_DEP_1)
	v_mov_b32_dpp v22, v21 row_shr:8 row_mask:0xf bank_mask:0xf
	v_cndmask_b32_e64 v22, 0, v22, s2
	s_delay_alu instid0(VALU_DEP_1)
	v_add_nc_u32_e32 v21, v21, v22
	ds_store_b32 v20, v21
.LBB843_68:
	s_or_b32 exec_lo, exec_lo, s8
	v_cmp_gt_u32_e32 vcc_lo, 32, v0
	s_mov_b32 s9, exec_lo
	s_waitcnt lgkmcnt(0)
	s_barrier
	buffer_gl0_inv
                                        ; implicit-def: $vgpr27
	v_cmpx_lt_u32_e32 31, v0
	s_cbranch_execz .LBB843_70
; %bb.69:
	v_lshl_add_u32 v20, v42, 2, -4
	ds_load_b32 v27, v20
	s_waitcnt lgkmcnt(0)
	v_add_nc_u32_e32 v19, v27, v19
.LBB843_70:
	s_or_b32 exec_lo, exec_lo, s9
	v_add_nc_u32_e32 v20, -1, v41
	s_delay_alu instid0(VALU_DEP_1) | instskip(NEXT) | instid1(VALU_DEP_1)
	v_cmp_gt_i32_e64 s8, 0, v20
	v_cndmask_b32_e64 v20, v20, v41, s8
	v_cmp_eq_u32_e64 s8, 0, v41
	s_delay_alu instid0(VALU_DEP_2)
	v_lshlrev_b32_e32 v20, 2, v20
	ds_bpermute_b32 v29, v20, v19
	s_and_saveexec_b32 s9, vcc_lo
	s_cbranch_execz .LBB843_93
; %bb.71:
	v_mov_b32_e32 v23, 0
	ds_load_b32 v19, v23 offset:44
	s_and_saveexec_b32 s19, s8
	s_cbranch_execz .LBB843_73
; %bb.72:
	s_add_i32 s20, s15, 32
	s_mov_b32 s21, 0
	v_mov_b32_e32 v20, 1
	s_lshl_b64 s[20:21], s[20:21], 3
	s_delay_alu instid0(SALU_CYCLE_1)
	s_add_u32 s20, s12, s20
	s_addc_u32 s21, s13, s21
	s_waitcnt lgkmcnt(0)
	global_store_b64 v23, v[19:20], s[20:21]
.LBB843_73:
	s_or_b32 exec_lo, exec_lo, s19
	v_xad_u32 v21, v41, -1, s15
	s_mov_b32 s20, 0
	s_mov_b32 s19, exec_lo
	s_delay_alu instid0(VALU_DEP_1) | instskip(NEXT) | instid1(VALU_DEP_1)
	v_add_nc_u32_e32 v22, 32, v21
	v_lshlrev_b64 v[22:23], 3, v[22:23]
	s_delay_alu instid0(VALU_DEP_1) | instskip(NEXT) | instid1(VALU_DEP_2)
	v_add_co_u32 v25, vcc_lo, s12, v22
	v_add_co_ci_u32_e32 v26, vcc_lo, s13, v23, vcc_lo
	global_load_b64 v[23:24], v[25:26], off glc
	s_waitcnt vmcnt(0)
	v_and_b32_e32 v20, 0xff, v24
	s_delay_alu instid0(VALU_DEP_1)
	v_cmpx_eq_u16_e32 0, v20
	s_cbranch_execz .LBB843_79
; %bb.74:
	s_mov_b32 s21, 1
	.p2align	6
.LBB843_75:                             ; =>This Loop Header: Depth=1
                                        ;     Child Loop BB843_76 Depth 2
	s_delay_alu instid0(SALU_CYCLE_1)
	s_max_u32 s22, s21, 1
.LBB843_76:                             ;   Parent Loop BB843_75 Depth=1
                                        ; =>  This Inner Loop Header: Depth=2
	s_delay_alu instid0(SALU_CYCLE_1)
	s_add_i32 s22, s22, -1
	s_sleep 1
	s_cmp_eq_u32 s22, 0
	s_cbranch_scc0 .LBB843_76
; %bb.77:                               ;   in Loop: Header=BB843_75 Depth=1
	global_load_b64 v[23:24], v[25:26], off glc
	s_cmp_lt_u32 s21, 32
	s_cselect_b32 s22, -1, 0
	s_delay_alu instid0(SALU_CYCLE_1) | instskip(SKIP_3) | instid1(VALU_DEP_1)
	s_cmp_lg_u32 s22, 0
	s_addc_u32 s21, s21, 0
	s_waitcnt vmcnt(0)
	v_and_b32_e32 v20, 0xff, v24
	v_cmp_ne_u16_e32 vcc_lo, 0, v20
	s_or_b32 s20, vcc_lo, s20
	s_delay_alu instid0(SALU_CYCLE_1)
	s_and_not1_b32 exec_lo, exec_lo, s20
	s_cbranch_execnz .LBB843_75
; %bb.78:
	s_or_b32 exec_lo, exec_lo, s20
.LBB843_79:
	s_delay_alu instid0(SALU_CYCLE_1)
	s_or_b32 exec_lo, exec_lo, s19
	v_cmp_ne_u32_e32 vcc_lo, 31, v41
	v_lshlrev_b32_e64 v33, v41, -1
	v_add_nc_u32_e32 v37, 2, v41
	v_add_nc_u32_e32 v45, 4, v41
	;; [unrolled: 1-line block ×3, first 2 shown]
	v_add_co_ci_u32_e32 v20, vcc_lo, 0, v41, vcc_lo
	v_add_nc_u32_e32 v49, 16, v41
	s_delay_alu instid0(VALU_DEP_2)
	v_lshlrev_b32_e32 v31, 2, v20
	v_and_b32_e32 v20, 0xff, v24
	ds_bpermute_b32 v22, v31, v23
	v_cmp_eq_u16_e32 vcc_lo, 2, v20
	v_and_or_b32 v20, vcc_lo, v33, 0x80000000
	v_cmp_gt_u32_e32 vcc_lo, 30, v41
	s_delay_alu instid0(VALU_DEP_2) | instskip(SKIP_1) | instid1(VALU_DEP_2)
	v_ctz_i32_b32_e32 v20, v20
	v_cndmask_b32_e64 v25, 0, 1, vcc_lo
	v_cmp_lt_u32_e32 vcc_lo, v41, v20
	s_waitcnt lgkmcnt(0)
	s_delay_alu instid0(VALU_DEP_2) | instskip(NEXT) | instid1(VALU_DEP_1)
	v_dual_cndmask_b32 v22, 0, v22 :: v_dual_lshlrev_b32 v25, 1, v25
	v_add_lshl_u32 v35, v25, v41, 2
	v_cmp_gt_u32_e32 vcc_lo, 28, v41
	s_delay_alu instid0(VALU_DEP_3) | instskip(SKIP_4) | instid1(VALU_DEP_1)
	v_add_nc_u32_e32 v22, v22, v23
	v_cndmask_b32_e64 v25, 0, 1, vcc_lo
	v_cmp_le_u32_e32 vcc_lo, v37, v20
	ds_bpermute_b32 v23, v35, v22
	v_lshlrev_b32_e32 v25, 2, v25
	v_add_lshl_u32 v44, v25, v41, 2
	s_waitcnt lgkmcnt(0)
	v_cndmask_b32_e32 v23, 0, v23, vcc_lo
	v_cmp_gt_u32_e32 vcc_lo, 24, v41
	s_delay_alu instid0(VALU_DEP_2) | instskip(SKIP_4) | instid1(VALU_DEP_1)
	v_add_nc_u32_e32 v22, v22, v23
	v_cndmask_b32_e64 v25, 0, 1, vcc_lo
	v_cmp_le_u32_e32 vcc_lo, v45, v20
	ds_bpermute_b32 v23, v44, v22
	v_lshlrev_b32_e32 v25, 3, v25
	v_add_lshl_u32 v46, v25, v41, 2
	s_waitcnt lgkmcnt(0)
	v_cndmask_b32_e32 v23, 0, v23, vcc_lo
	v_cmp_gt_u32_e32 vcc_lo, 16, v41
	s_delay_alu instid0(VALU_DEP_2) | instskip(SKIP_4) | instid1(VALU_DEP_1)
	v_add_nc_u32_e32 v22, v22, v23
	v_cndmask_b32_e64 v25, 0, 1, vcc_lo
	v_cmp_le_u32_e32 vcc_lo, v47, v20
	ds_bpermute_b32 v23, v46, v22
	v_lshlrev_b32_e32 v25, 4, v25
	v_add_lshl_u32 v48, v25, v41, 2
	s_waitcnt lgkmcnt(0)
	v_cndmask_b32_e32 v23, 0, v23, vcc_lo
	v_cmp_le_u32_e32 vcc_lo, v49, v20
	s_delay_alu instid0(VALU_DEP_2) | instskip(SKIP_3) | instid1(VALU_DEP_1)
	v_add_nc_u32_e32 v22, v22, v23
	ds_bpermute_b32 v23, v48, v22
	s_waitcnt lgkmcnt(0)
	v_cndmask_b32_e32 v20, 0, v23, vcc_lo
	v_dual_mov_b32 v22, 0 :: v_dual_add_nc_u32 v23, v22, v20
	s_branch .LBB843_81
.LBB843_80:                             ;   in Loop: Header=BB843_81 Depth=1
	s_or_b32 exec_lo, exec_lo, s19
	ds_bpermute_b32 v26, v31, v23
	v_and_b32_e32 v25, 0xff, v24
	v_subrev_nc_u32_e32 v21, 32, v21
	s_delay_alu instid0(VALU_DEP_2) | instskip(SKIP_1) | instid1(VALU_DEP_1)
	v_cmp_eq_u16_e32 vcc_lo, 2, v25
	v_and_or_b32 v25, vcc_lo, v33, 0x80000000
	v_ctz_i32_b32_e32 v25, v25
	s_delay_alu instid0(VALU_DEP_1) | instskip(SKIP_3) | instid1(VALU_DEP_2)
	v_cmp_lt_u32_e32 vcc_lo, v41, v25
	s_waitcnt lgkmcnt(0)
	v_cndmask_b32_e32 v26, 0, v26, vcc_lo
	v_cmp_le_u32_e32 vcc_lo, v37, v25
	v_add_nc_u32_e32 v23, v26, v23
	ds_bpermute_b32 v26, v35, v23
	s_waitcnt lgkmcnt(0)
	v_cndmask_b32_e32 v26, 0, v26, vcc_lo
	v_cmp_le_u32_e32 vcc_lo, v45, v25
	s_delay_alu instid0(VALU_DEP_2) | instskip(SKIP_4) | instid1(VALU_DEP_2)
	v_add_nc_u32_e32 v23, v23, v26
	ds_bpermute_b32 v26, v44, v23
	s_waitcnt lgkmcnt(0)
	v_cndmask_b32_e32 v26, 0, v26, vcc_lo
	v_cmp_le_u32_e32 vcc_lo, v47, v25
	v_add_nc_u32_e32 v23, v23, v26
	ds_bpermute_b32 v26, v46, v23
	s_waitcnt lgkmcnt(0)
	v_cndmask_b32_e32 v26, 0, v26, vcc_lo
	v_cmp_le_u32_e32 vcc_lo, v49, v25
	s_delay_alu instid0(VALU_DEP_2) | instskip(SKIP_3) | instid1(VALU_DEP_1)
	v_add_nc_u32_e32 v23, v23, v26
	ds_bpermute_b32 v26, v48, v23
	s_waitcnt lgkmcnt(0)
	v_cndmask_b32_e32 v25, 0, v26, vcc_lo
	v_add3_u32 v23, v25, v20, v23
.LBB843_81:                             ; =>This Loop Header: Depth=1
                                        ;     Child Loop BB843_84 Depth 2
                                        ;       Child Loop BB843_85 Depth 3
	v_and_b32_e32 v20, 0xff, v24
	s_delay_alu instid0(VALU_DEP_1) | instskip(SKIP_2) | instid1(VALU_DEP_1)
	v_cmp_ne_u16_e32 vcc_lo, 2, v20
	v_cndmask_b32_e64 v20, 0, 1, vcc_lo
	;;#ASMSTART
	;;#ASMEND
	v_cmp_ne_u32_e32 vcc_lo, 0, v20
	v_mov_b32_e32 v20, v23
	s_cmp_lg_u32 vcc_lo, exec_lo
	s_cbranch_scc1 .LBB843_88
; %bb.82:                               ;   in Loop: Header=BB843_81 Depth=1
	v_lshlrev_b64 v[23:24], 3, v[21:22]
	s_mov_b32 s19, exec_lo
	s_delay_alu instid0(VALU_DEP_1) | instskip(NEXT) | instid1(VALU_DEP_2)
	v_add_co_u32 v25, vcc_lo, s12, v23
	v_add_co_ci_u32_e32 v26, vcc_lo, s13, v24, vcc_lo
	global_load_b64 v[23:24], v[25:26], off glc
	s_waitcnt vmcnt(0)
	v_and_b32_e32 v50, 0xff, v24
	s_delay_alu instid0(VALU_DEP_1)
	v_cmpx_eq_u16_e32 0, v50
	s_cbranch_execz .LBB843_80
; %bb.83:                               ;   in Loop: Header=BB843_81 Depth=1
	s_mov_b32 s21, 1
	s_mov_b32 s20, 0
	.p2align	6
.LBB843_84:                             ;   Parent Loop BB843_81 Depth=1
                                        ; =>  This Loop Header: Depth=2
                                        ;       Child Loop BB843_85 Depth 3
	s_max_u32 s22, s21, 1
.LBB843_85:                             ;   Parent Loop BB843_81 Depth=1
                                        ;     Parent Loop BB843_84 Depth=2
                                        ; =>    This Inner Loop Header: Depth=3
	s_delay_alu instid0(SALU_CYCLE_1)
	s_add_i32 s22, s22, -1
	s_sleep 1
	s_cmp_eq_u32 s22, 0
	s_cbranch_scc0 .LBB843_85
; %bb.86:                               ;   in Loop: Header=BB843_84 Depth=2
	global_load_b64 v[23:24], v[25:26], off glc
	s_cmp_lt_u32 s21, 32
	s_cselect_b32 s22, -1, 0
	s_delay_alu instid0(SALU_CYCLE_1) | instskip(SKIP_3) | instid1(VALU_DEP_1)
	s_cmp_lg_u32 s22, 0
	s_addc_u32 s21, s21, 0
	s_waitcnt vmcnt(0)
	v_and_b32_e32 v50, 0xff, v24
	v_cmp_ne_u16_e32 vcc_lo, 0, v50
	s_or_b32 s20, vcc_lo, s20
	s_delay_alu instid0(SALU_CYCLE_1)
	s_and_not1_b32 exec_lo, exec_lo, s20
	s_cbranch_execnz .LBB843_84
; %bb.87:                               ;   in Loop: Header=BB843_81 Depth=1
	s_or_b32 exec_lo, exec_lo, s20
	s_branch .LBB843_80
.LBB843_88:                             ;   in Loop: Header=BB843_81 Depth=1
                                        ; implicit-def: $vgpr23
                                        ; implicit-def: $vgpr24
	s_cbranch_execz .LBB843_81
; %bb.89:
	s_and_saveexec_b32 s19, s8
	s_cbranch_execz .LBB843_91
; %bb.90:
	s_add_i32 s20, s15, 32
	s_mov_b32 s21, 0
	v_dual_mov_b32 v22, 2 :: v_dual_add_nc_u32 v21, v20, v19
	s_lshl_b64 s[20:21], s[20:21], 3
	v_mov_b32_e32 v23, 0
	s_add_u32 s20, s12, s20
	s_addc_u32 s21, s13, s21
	global_store_b64 v23, v[21:22], s[20:21]
	ds_store_b64 v23, v[19:20] offset:12672
.LBB843_91:
	s_or_b32 exec_lo, exec_lo, s19
	v_cmp_eq_u32_e32 vcc_lo, 0, v0
	s_and_b32 exec_lo, exec_lo, vcc_lo
	s_cbranch_execz .LBB843_93
; %bb.92:
	v_mov_b32_e32 v19, 0
	ds_store_b32 v19, v20 offset:44
.LBB843_93:
	s_or_b32 exec_lo, exec_lo, s9
	v_mov_b32_e32 v19, 0
	s_waitcnt lgkmcnt(0)
	s_waitcnt_vscnt null, 0x0
	s_barrier
	buffer_gl0_inv
	v_cndmask_b32_e64 v21, v29, v27, s8
	ds_load_b32 v20, v19 offset:44
	v_cmp_ne_u32_e32 vcc_lo, 0, v0
	s_waitcnt lgkmcnt(0)
	s_barrier
	buffer_gl0_inv
	v_cndmask_b32_e32 v21, 0, v21, vcc_lo
	s_delay_alu instid0(VALU_DEP_1) | instskip(SKIP_2) | instid1(VALU_DEP_1)
	v_add_nc_u32_e32 v37, v20, v21
	ds_load_b64 v[19:20], v19 offset:12672
	v_add_nc_u32_e32 v35, v37, v28
	v_add_nc_u32_e32 v33, v35, v30
	s_delay_alu instid0(VALU_DEP_1) | instskip(NEXT) | instid1(VALU_DEP_1)
	v_add_nc_u32_e32 v31, v33, v32
	v_add_nc_u32_e32 v29, v31, v34
	s_delay_alu instid0(VALU_DEP_1) | instskip(NEXT) | instid1(VALU_DEP_1)
	v_add_nc_u32_e32 v27, v29, v36
	v_add_nc_u32_e32 v25, v27, v38
	s_delay_alu instid0(VALU_DEP_1)
	v_add_nc_u32_e32 v23, v25, v40
	s_load_b64 s[8:9], s[0:1], 0x28
	v_lshrrev_b64 v[21:22], 24, v[17:18]
	s_branch .LBB843_104
.LBB843_94:
                                        ; implicit-def: $vgpr23
                                        ; implicit-def: $vgpr25
                                        ; implicit-def: $vgpr27
                                        ; implicit-def: $vgpr29
                                        ; implicit-def: $vgpr31
                                        ; implicit-def: $vgpr33
                                        ; implicit-def: $vgpr35
                                        ; implicit-def: $vgpr37
                                        ; implicit-def: $vgpr20
	s_load_b64 s[8:9], s[0:1], 0x28
	v_lshrrev_b64 v[21:22], 24, v[17:18]
	s_and_b32 vcc_lo, exec_lo, s19
	s_cbranch_vccz .LBB843_104
; %bb.95:
	s_waitcnt lgkmcnt(0)
	v_mov_b32_dpp v19, v43 row_shr:1 row_mask:0xf bank_mask:0xf
	s_delay_alu instid0(VALU_DEP_1) | instskip(NEXT) | instid1(VALU_DEP_1)
	v_cndmask_b32_e64 v19, v19, 0, s4
	v_add_nc_u32_e32 v19, v19, v43
	s_delay_alu instid0(VALU_DEP_1) | instskip(NEXT) | instid1(VALU_DEP_1)
	v_mov_b32_dpp v20, v19 row_shr:2 row_mask:0xf bank_mask:0xf
	v_cndmask_b32_e64 v20, 0, v20, s5
	s_delay_alu instid0(VALU_DEP_1) | instskip(NEXT) | instid1(VALU_DEP_1)
	v_add_nc_u32_e32 v19, v19, v20
	v_mov_b32_dpp v20, v19 row_shr:4 row_mask:0xf bank_mask:0xf
	s_delay_alu instid0(VALU_DEP_1) | instskip(NEXT) | instid1(VALU_DEP_1)
	v_cndmask_b32_e64 v20, 0, v20, s3
	v_add_nc_u32_e32 v19, v19, v20
	s_delay_alu instid0(VALU_DEP_1) | instskip(NEXT) | instid1(VALU_DEP_1)
	v_mov_b32_dpp v20, v19 row_shr:8 row_mask:0xf bank_mask:0xf
	v_cndmask_b32_e64 v20, 0, v20, s2
	s_delay_alu instid0(VALU_DEP_1) | instskip(SKIP_3) | instid1(VALU_DEP_1)
	v_add_nc_u32_e32 v19, v19, v20
	ds_swizzle_b32 v20, v19 offset:swizzle(BROADCAST,32,15)
	s_waitcnt lgkmcnt(0)
	v_cndmask_b32_e64 v20, v20, 0, s7
	v_add_nc_u32_e32 v19, v19, v20
	s_and_saveexec_b32 s0, s6
	s_cbranch_execz .LBB843_97
; %bb.96:
	v_lshlrev_b32_e32 v20, 2, v42
	ds_store_b32 v20, v19
.LBB843_97:
	s_or_b32 exec_lo, exec_lo, s0
	s_delay_alu instid0(SALU_CYCLE_1)
	s_mov_b32 s0, exec_lo
	s_waitcnt lgkmcnt(0)
	s_barrier
	buffer_gl0_inv
	v_cmpx_gt_u32_e32 12, v0
	s_cbranch_execz .LBB843_99
; %bb.98:
	v_lshlrev_b32_e32 v20, 2, v0
	ds_load_b32 v22, v20
	s_waitcnt lgkmcnt(0)
	v_mov_b32_dpp v23, v22 row_shr:1 row_mask:0xf bank_mask:0xf
	s_delay_alu instid0(VALU_DEP_1) | instskip(NEXT) | instid1(VALU_DEP_1)
	v_cndmask_b32_e64 v23, v23, 0, s4
	v_add_nc_u32_e32 v22, v23, v22
	s_delay_alu instid0(VALU_DEP_1) | instskip(NEXT) | instid1(VALU_DEP_1)
	v_mov_b32_dpp v23, v22 row_shr:2 row_mask:0xf bank_mask:0xf
	v_cndmask_b32_e64 v23, 0, v23, s5
	s_delay_alu instid0(VALU_DEP_1) | instskip(NEXT) | instid1(VALU_DEP_1)
	v_add_nc_u32_e32 v22, v22, v23
	v_mov_b32_dpp v23, v22 row_shr:4 row_mask:0xf bank_mask:0xf
	s_delay_alu instid0(VALU_DEP_1) | instskip(NEXT) | instid1(VALU_DEP_1)
	v_cndmask_b32_e64 v23, 0, v23, s3
	v_add_nc_u32_e32 v22, v22, v23
	s_delay_alu instid0(VALU_DEP_1) | instskip(NEXT) | instid1(VALU_DEP_1)
	v_mov_b32_dpp v23, v22 row_shr:8 row_mask:0xf bank_mask:0xf
	v_cndmask_b32_e64 v23, 0, v23, s2
	s_delay_alu instid0(VALU_DEP_1)
	v_add_nc_u32_e32 v22, v22, v23
	ds_store_b32 v20, v22
.LBB843_99:
	s_or_b32 exec_lo, exec_lo, s0
	v_mov_b32_e32 v20, 0
	v_mov_b32_e32 v22, 0
	s_mov_b32 s0, exec_lo
	s_waitcnt lgkmcnt(0)
	s_barrier
	buffer_gl0_inv
	v_cmpx_lt_u32_e32 31, v0
	s_cbranch_execz .LBB843_101
; %bb.100:
	v_lshl_add_u32 v22, v42, 2, -4
	ds_load_b32 v22, v22
.LBB843_101:
	s_or_b32 exec_lo, exec_lo, s0
	v_add_nc_u32_e32 v23, -1, v41
	s_waitcnt lgkmcnt(0)
	v_add_nc_u32_e32 v19, v22, v19
	s_delay_alu instid0(VALU_DEP_2) | instskip(SKIP_2) | instid1(VALU_DEP_2)
	v_cmp_gt_i32_e32 vcc_lo, 0, v23
	v_cndmask_b32_e32 v23, v23, v41, vcc_lo
	v_cmp_eq_u32_e32 vcc_lo, 0, v0
	v_lshlrev_b32_e32 v23, 2, v23
	ds_bpermute_b32 v23, v23, v19
	ds_load_b32 v19, v20 offset:44
	s_and_saveexec_b32 s0, vcc_lo
	s_cbranch_execz .LBB843_103
; %bb.102:
	v_mov_b32_e32 v24, 0
	v_mov_b32_e32 v20, 2
	s_waitcnt lgkmcnt(0)
	global_store_b64 v24, v[19:20], s[12:13] offset:256
.LBB843_103:
	s_or_b32 exec_lo, exec_lo, s0
	v_cmp_eq_u32_e64 s0, 0, v41
	s_waitcnt lgkmcnt(0)
	s_waitcnt_vscnt null, 0x0
	s_barrier
	buffer_gl0_inv
	v_cndmask_b32_e64 v20, v23, v22, s0
	s_delay_alu instid0(VALU_DEP_1) | instskip(NEXT) | instid1(VALU_DEP_1)
	v_cndmask_b32_e64 v37, v20, 0, vcc_lo
	v_dual_mov_b32 v20, 0 :: v_dual_add_nc_u32 v35, v37, v28
	s_delay_alu instid0(VALU_DEP_1) | instskip(NEXT) | instid1(VALU_DEP_1)
	v_add_nc_u32_e32 v33, v35, v30
	v_add_nc_u32_e32 v31, v33, v32
	s_delay_alu instid0(VALU_DEP_1) | instskip(NEXT) | instid1(VALU_DEP_1)
	v_add_nc_u32_e32 v29, v31, v34
	v_add_nc_u32_e32 v27, v29, v36
	;; [unrolled: 3-line block ×3, first 2 shown]
.LBB843_104:
	s_waitcnt lgkmcnt(0)
	v_cmp_gt_u32_e32 vcc_lo, 0x181, v19
	v_lshrrev_b32_e32 v42, 8, v17
	v_lshrrev_b32_e32 v41, 16, v17
	;; [unrolled: 1-line block ×4, first 2 shown]
	v_cmp_lt_u32_e64 s0, 0x180, v19
	s_mov_b32 s1, -1
	s_cbranch_vccz .LBB843_130
; %bb.105:
	v_add_nc_u32_e32 v24, v20, v19
	s_lshl_b64 s[2:3], s[10:11], 2
	s_delay_alu instid0(SALU_CYCLE_1) | instskip(SKIP_1) | instid1(VALU_DEP_1)
	s_add_u32 s1, s8, s2
	s_addc_u32 s2, s9, s3
	v_cmp_lt_u32_e32 vcc_lo, v37, v24
	s_or_b32 s4, s18, vcc_lo
	s_delay_alu instid0(SALU_CYCLE_1)
	s_and_saveexec_b32 s3, s4
	s_cbranch_execz .LBB843_108
; %bb.106:
	v_and_b32_e32 v26, 1, v17
	s_delay_alu instid0(VALU_DEP_1)
	v_cmp_eq_u32_e32 vcc_lo, 1, v26
	s_and_b32 exec_lo, exec_lo, vcc_lo
	s_cbranch_execz .LBB843_108
; %bb.107:
	v_mov_b32_e32 v38, 0
	s_delay_alu instid0(VALU_DEP_1) | instskip(NEXT) | instid1(VALU_DEP_1)
	v_lshlrev_b64 v[43:44], 2, v[37:38]
	v_add_co_u32 v43, vcc_lo, s1, v43
	s_delay_alu instid0(VALU_DEP_2)
	v_add_co_ci_u32_e32 v44, vcc_lo, s2, v44, vcc_lo
	global_store_b32 v[43:44], v7, off
.LBB843_108:
	s_or_b32 exec_lo, exec_lo, s3
	v_cmp_lt_u32_e32 vcc_lo, v35, v24
	s_or_b32 s4, s18, vcc_lo
	s_delay_alu instid0(SALU_CYCLE_1)
	s_and_saveexec_b32 s3, s4
	s_cbranch_execz .LBB843_111
; %bb.109:
	v_and_b32_e32 v26, 1, v42
	s_delay_alu instid0(VALU_DEP_1)
	v_cmp_eq_u32_e32 vcc_lo, 1, v26
	s_and_b32 exec_lo, exec_lo, vcc_lo
	s_cbranch_execz .LBB843_111
; %bb.110:
	v_mov_b32_e32 v36, 0
	s_delay_alu instid0(VALU_DEP_1) | instskip(NEXT) | instid1(VALU_DEP_1)
	v_lshlrev_b64 v[43:44], 2, v[35:36]
	v_add_co_u32 v43, vcc_lo, s1, v43
	s_delay_alu instid0(VALU_DEP_2)
	v_add_co_ci_u32_e32 v44, vcc_lo, s2, v44, vcc_lo
	global_store_b32 v[43:44], v8, off
.LBB843_111:
	s_or_b32 exec_lo, exec_lo, s3
	v_cmp_lt_u32_e32 vcc_lo, v33, v24
	s_or_b32 s4, s18, vcc_lo
	s_delay_alu instid0(SALU_CYCLE_1)
	s_and_saveexec_b32 s3, s4
	s_cbranch_execz .LBB843_114
; %bb.112:
	v_and_b32_e32 v26, 1, v41
	s_delay_alu instid0(VALU_DEP_1)
	v_cmp_eq_u32_e32 vcc_lo, 1, v26
	s_and_b32 exec_lo, exec_lo, vcc_lo
	s_cbranch_execz .LBB843_114
; %bb.113:
	v_mov_b32_e32 v34, 0
	s_delay_alu instid0(VALU_DEP_1) | instskip(NEXT) | instid1(VALU_DEP_1)
	v_lshlrev_b64 v[43:44], 2, v[33:34]
	v_add_co_u32 v43, vcc_lo, s1, v43
	s_delay_alu instid0(VALU_DEP_2)
	v_add_co_ci_u32_e32 v44, vcc_lo, s2, v44, vcc_lo
	global_store_b32 v[43:44], v5, off
.LBB843_114:
	s_or_b32 exec_lo, exec_lo, s3
	v_cmp_lt_u32_e32 vcc_lo, v31, v24
	s_or_b32 s4, s18, vcc_lo
	s_delay_alu instid0(SALU_CYCLE_1)
	s_and_saveexec_b32 s3, s4
	s_cbranch_execz .LBB843_117
; %bb.115:
	v_and_b32_e32 v26, 1, v21
	s_delay_alu instid0(VALU_DEP_1)
	v_cmp_eq_u32_e32 vcc_lo, 1, v26
	s_and_b32 exec_lo, exec_lo, vcc_lo
	s_cbranch_execz .LBB843_117
; %bb.116:
	v_mov_b32_e32 v32, 0
	s_delay_alu instid0(VALU_DEP_1) | instskip(NEXT) | instid1(VALU_DEP_1)
	v_lshlrev_b64 v[43:44], 2, v[31:32]
	v_add_co_u32 v43, vcc_lo, s1, v43
	s_delay_alu instid0(VALU_DEP_2)
	v_add_co_ci_u32_e32 v44, vcc_lo, s2, v44, vcc_lo
	global_store_b32 v[43:44], v6, off
.LBB843_117:
	s_or_b32 exec_lo, exec_lo, s3
	v_cmp_lt_u32_e32 vcc_lo, v29, v24
	s_or_b32 s4, s18, vcc_lo
	s_delay_alu instid0(SALU_CYCLE_1)
	s_and_saveexec_b32 s3, s4
	s_cbranch_execz .LBB843_120
; %bb.118:
	v_and_b32_e32 v26, 1, v18
	s_delay_alu instid0(VALU_DEP_1)
	v_cmp_eq_u32_e32 vcc_lo, 1, v26
	s_and_b32 exec_lo, exec_lo, vcc_lo
	s_cbranch_execz .LBB843_120
; %bb.119:
	v_mov_b32_e32 v30, 0
	s_delay_alu instid0(VALU_DEP_1) | instskip(NEXT) | instid1(VALU_DEP_1)
	v_lshlrev_b64 v[43:44], 2, v[29:30]
	v_add_co_u32 v43, vcc_lo, s1, v43
	s_delay_alu instid0(VALU_DEP_2)
	v_add_co_ci_u32_e32 v44, vcc_lo, s2, v44, vcc_lo
	global_store_b32 v[43:44], v3, off
.LBB843_120:
	s_or_b32 exec_lo, exec_lo, s3
	v_cmp_lt_u32_e32 vcc_lo, v27, v24
	s_or_b32 s4, s18, vcc_lo
	s_delay_alu instid0(SALU_CYCLE_1)
	s_and_saveexec_b32 s3, s4
	s_cbranch_execz .LBB843_123
; %bb.121:
	v_and_b32_e32 v26, 1, v40
	s_delay_alu instid0(VALU_DEP_1)
	v_cmp_eq_u32_e32 vcc_lo, 1, v26
	s_and_b32 exec_lo, exec_lo, vcc_lo
	s_cbranch_execz .LBB843_123
; %bb.122:
	v_mov_b32_e32 v28, 0
	s_delay_alu instid0(VALU_DEP_1) | instskip(NEXT) | instid1(VALU_DEP_1)
	v_lshlrev_b64 v[43:44], 2, v[27:28]
	v_add_co_u32 v43, vcc_lo, s1, v43
	s_delay_alu instid0(VALU_DEP_2)
	v_add_co_ci_u32_e32 v44, vcc_lo, s2, v44, vcc_lo
	global_store_b32 v[43:44], v4, off
.LBB843_123:
	s_or_b32 exec_lo, exec_lo, s3
	v_cmp_lt_u32_e32 vcc_lo, v25, v24
	s_or_b32 s4, s18, vcc_lo
	s_delay_alu instid0(SALU_CYCLE_1)
	s_and_saveexec_b32 s3, s4
	s_cbranch_execz .LBB843_126
; %bb.124:
	v_and_b32_e32 v26, 1, v22
	s_delay_alu instid0(VALU_DEP_1)
	v_cmp_eq_u32_e32 vcc_lo, 1, v26
	s_and_b32 exec_lo, exec_lo, vcc_lo
	s_cbranch_execz .LBB843_126
; %bb.125:
	v_mov_b32_e32 v26, 0
	s_delay_alu instid0(VALU_DEP_1) | instskip(NEXT) | instid1(VALU_DEP_1)
	v_lshlrev_b64 v[43:44], 2, v[25:26]
	v_add_co_u32 v43, vcc_lo, s1, v43
	s_delay_alu instid0(VALU_DEP_2)
	v_add_co_ci_u32_e32 v44, vcc_lo, s2, v44, vcc_lo
	global_store_b32 v[43:44], v1, off
.LBB843_126:
	s_or_b32 exec_lo, exec_lo, s3
	v_cmp_lt_u32_e32 vcc_lo, v23, v24
	s_or_b32 s4, s18, vcc_lo
	s_delay_alu instid0(SALU_CYCLE_1)
	s_and_saveexec_b32 s3, s4
	s_cbranch_execz .LBB843_129
; %bb.127:
	v_and_b32_e32 v24, 1, v39
	s_delay_alu instid0(VALU_DEP_1)
	v_cmp_eq_u32_e32 vcc_lo, 1, v24
	s_and_b32 exec_lo, exec_lo, vcc_lo
	s_cbranch_execz .LBB843_129
; %bb.128:
	v_mov_b32_e32 v24, 0
	s_delay_alu instid0(VALU_DEP_1) | instskip(NEXT) | instid1(VALU_DEP_1)
	v_lshlrev_b64 v[43:44], 2, v[23:24]
	v_add_co_u32 v43, vcc_lo, s1, v43
	s_delay_alu instid0(VALU_DEP_2)
	v_add_co_ci_u32_e32 v44, vcc_lo, s2, v44, vcc_lo
	global_store_b32 v[43:44], v2, off
.LBB843_129:
	s_or_b32 exec_lo, exec_lo, s3
	s_mov_b32 s1, 0
.LBB843_130:
	v_and_b32_e32 v17, 1, v17
	s_and_b32 vcc_lo, exec_lo, s1
	s_delay_alu instid0(VALU_DEP_1)
	v_cmp_eq_u32_e64 s1, 1, v17
	s_cbranch_vccz .LBB843_151
; %bb.131:
	s_delay_alu instid0(VALU_DEP_1)
	s_and_saveexec_b32 s2, s1
	s_cbranch_execz .LBB843_133
; %bb.132:
	v_sub_nc_u32_e32 v24, v37, v20
	s_delay_alu instid0(VALU_DEP_1)
	v_lshlrev_b32_e32 v24, 2, v24
	ds_store_b32 v24, v7
.LBB843_133:
	s_or_b32 exec_lo, exec_lo, s2
	v_and_b32_e32 v7, 1, v42
	s_mov_b32 s1, exec_lo
	s_delay_alu instid0(VALU_DEP_1)
	v_cmpx_eq_u32_e32 1, v7
	s_cbranch_execz .LBB843_135
; %bb.134:
	v_sub_nc_u32_e32 v7, v35, v20
	s_delay_alu instid0(VALU_DEP_1)
	v_lshlrev_b32_e32 v7, 2, v7
	ds_store_b32 v7, v8
.LBB843_135:
	s_or_b32 exec_lo, exec_lo, s1
	v_and_b32_e32 v7, 1, v41
	s_mov_b32 s1, exec_lo
	s_delay_alu instid0(VALU_DEP_1)
	v_cmpx_eq_u32_e32 1, v7
	;; [unrolled: 12-line block ×7, first 2 shown]
	s_cbranch_execz .LBB843_147
; %bb.146:
	v_sub_nc_u32_e32 v1, v23, v20
	s_delay_alu instid0(VALU_DEP_1)
	v_lshlrev_b32_e32 v1, 2, v1
	ds_store_b32 v1, v2
.LBB843_147:
	s_or_b32 exec_lo, exec_lo, s1
	s_delay_alu instid0(SALU_CYCLE_1)
	s_mov_b32 s2, exec_lo
	s_waitcnt lgkmcnt(0)
	s_waitcnt_vscnt null, 0x0
	s_barrier
	buffer_gl0_inv
	v_cmpx_lt_u32_e64 v0, v19
	s_cbranch_execz .LBB843_150
; %bb.148:
	v_dual_mov_b32 v2, 0 :: v_dual_mov_b32 v1, v20
	s_lshl_b64 s[4:5], s[10:11], 2
	v_lshlrev_b32_e32 v3, 2, v0
	s_add_u32 s1, s8, s4
	s_addc_u32 s3, s9, s5
	v_lshlrev_b64 v[4:5], 2, v[1:2]
	v_mov_b32_e32 v1, v0
	s_delay_alu instid0(VALU_DEP_2) | instskip(NEXT) | instid1(VALU_DEP_3)
	v_add_co_u32 v4, vcc_lo, s1, v4
	v_add_co_ci_u32_e32 v5, vcc_lo, s3, v5, vcc_lo
	s_mov_b32 s3, 0
	.p2align	6
.LBB843_149:                            ; =>This Inner Loop Header: Depth=1
	ds_load_b32 v8, v3
	v_lshlrev_b64 v[6:7], 2, v[1:2]
	v_add_nc_u32_e32 v1, 0x180, v1
	v_add_nc_u32_e32 v3, 0x600, v3
	s_delay_alu instid0(VALU_DEP_2) | instskip(NEXT) | instid1(VALU_DEP_4)
	v_cmp_ge_u32_e32 vcc_lo, v1, v19
	v_add_co_u32 v6, s1, v4, v6
	s_delay_alu instid0(VALU_DEP_1)
	v_add_co_ci_u32_e64 v7, s1, v5, v7, s1
	s_or_b32 s3, vcc_lo, s3
	s_waitcnt lgkmcnt(0)
	global_store_b32 v[6:7], v8, off
	s_and_not1_b32 exec_lo, exec_lo, s3
	s_cbranch_execnz .LBB843_149
.LBB843_150:
	s_or_b32 exec_lo, exec_lo, s2
.LBB843_151:
	s_delay_alu instid0(SALU_CYCLE_1)
	s_and_not1_b32 vcc_lo, exec_lo, s0
	s_waitcnt_vscnt null, 0x0
	s_barrier
	buffer_gl0_inv
	s_cbranch_vccnz .LBB843_170
; %bb.152:
	s_mov_b32 s0, exec_lo
	v_cmpx_eq_u32_e32 1, v17
	s_cbranch_execz .LBB843_154
; %bb.153:
	v_sub_nc_u32_e32 v1, v37, v20
	s_delay_alu instid0(VALU_DEP_1)
	v_lshlrev_b32_e32 v1, 2, v1
	ds_store_b32 v1, v15
.LBB843_154:
	s_or_b32 exec_lo, exec_lo, s0
	v_and_b32_e32 v1, 1, v42
	s_mov_b32 s0, exec_lo
	s_delay_alu instid0(VALU_DEP_1)
	v_cmpx_eq_u32_e32 1, v1
	s_cbranch_execz .LBB843_156
; %bb.155:
	v_sub_nc_u32_e32 v1, v35, v20
	s_delay_alu instid0(VALU_DEP_1)
	v_lshlrev_b32_e32 v1, 2, v1
	ds_store_b32 v1, v16
.LBB843_156:
	s_or_b32 exec_lo, exec_lo, s0
	v_and_b32_e32 v1, 1, v41
	s_mov_b32 s0, exec_lo
	s_delay_alu instid0(VALU_DEP_1)
	;; [unrolled: 12-line block ×7, first 2 shown]
	v_cmpx_eq_u32_e32 1, v1
	s_cbranch_execz .LBB843_168
; %bb.167:
	v_sub_nc_u32_e32 v1, v23, v20
	s_delay_alu instid0(VALU_DEP_1)
	v_lshlrev_b32_e32 v1, 2, v1
	ds_store_b32 v1, v10
.LBB843_168:
	s_or_b32 exec_lo, exec_lo, s0
	s_waitcnt lgkmcnt(0)
	s_barrier
	buffer_gl0_inv
	v_cmp_eq_u32_e32 vcc_lo, 0, v0
	s_and_b32 s0, vcc_lo, s14
	s_delay_alu instid0(SALU_CYCLE_1)
	s_and_saveexec_b32 s1, s0
	s_cbranch_execnz .LBB843_171
.LBB843_169:
	s_endpgm
.LBB843_170:
	v_cmp_eq_u32_e32 vcc_lo, 0, v0
	s_and_b32 s0, vcc_lo, s14
	s_delay_alu instid0(SALU_CYCLE_1)
	s_and_saveexec_b32 s1, s0
	s_cbranch_execz .LBB843_169
.LBB843_171:
	v_add_co_u32 v0, s0, s10, v19
	s_delay_alu instid0(VALU_DEP_1) | instskip(SKIP_1) | instid1(VALU_DEP_3)
	v_add_co_ci_u32_e64 v1, null, s11, 0, s0
	v_mov_b32_e32 v2, 0
	v_add_co_u32 v0, vcc_lo, v0, v20
	s_delay_alu instid0(VALU_DEP_3)
	v_add_co_ci_u32_e32 v1, vcc_lo, 0, v1, vcc_lo
	global_store_b64 v2, v[0:1], s[16:17]
	s_nop 0
	s_sendmsg sendmsg(MSG_DEALLOC_VGPRS)
	s_endpgm
	.section	.rodata,"a",@progbits
	.p2align	6, 0x0
	.amdhsa_kernel _ZN7rocprim17ROCPRIM_400000_NS6detail17trampoline_kernelINS0_14default_configENS1_25partition_config_selectorILNS1_17partition_subalgoE9EjjbEEZZNS1_14partition_implILS5_9ELb0ES3_jN6thrust23THRUST_200600_302600_NS6detail15normal_iteratorINS9_10device_ptrIjEEEESE_PNS0_10empty_typeENS0_5tupleIJSE_SF_EEENSH_IJNS9_16discard_iteratorINS9_11use_defaultEEESG_EEENS0_18inequality_wrapperINS9_8equal_toIjEEEEPmJSF_EEE10hipError_tPvRmT3_T4_T5_T6_T7_T9_mT8_P12ihipStream_tbDpT10_ENKUlT_T0_E_clISt17integral_constantIbLb1EES1A_IbLb0EEEEDaS16_S17_EUlS16_E_NS1_11comp_targetILNS1_3genE9ELNS1_11target_archE1100ELNS1_3gpuE3ELNS1_3repE0EEENS1_30default_config_static_selectorELNS0_4arch9wavefront6targetE0EEEvT1_
		.amdhsa_group_segment_fixed_size 12680
		.amdhsa_private_segment_fixed_size 0
		.amdhsa_kernarg_size 120
		.amdhsa_user_sgpr_count 15
		.amdhsa_user_sgpr_dispatch_ptr 0
		.amdhsa_user_sgpr_queue_ptr 0
		.amdhsa_user_sgpr_kernarg_segment_ptr 1
		.amdhsa_user_sgpr_dispatch_id 0
		.amdhsa_user_sgpr_private_segment_size 0
		.amdhsa_wavefront_size32 1
		.amdhsa_uses_dynamic_stack 0
		.amdhsa_enable_private_segment 0
		.amdhsa_system_sgpr_workgroup_id_x 1
		.amdhsa_system_sgpr_workgroup_id_y 0
		.amdhsa_system_sgpr_workgroup_id_z 0
		.amdhsa_system_sgpr_workgroup_info 0
		.amdhsa_system_vgpr_workitem_id 0
		.amdhsa_next_free_vgpr 51
		.amdhsa_next_free_sgpr 25
		.amdhsa_reserve_vcc 1
		.amdhsa_float_round_mode_32 0
		.amdhsa_float_round_mode_16_64 0
		.amdhsa_float_denorm_mode_32 3
		.amdhsa_float_denorm_mode_16_64 3
		.amdhsa_dx10_clamp 1
		.amdhsa_ieee_mode 1
		.amdhsa_fp16_overflow 0
		.amdhsa_workgroup_processor_mode 1
		.amdhsa_memory_ordered 1
		.amdhsa_forward_progress 0
		.amdhsa_shared_vgpr_count 0
		.amdhsa_exception_fp_ieee_invalid_op 0
		.amdhsa_exception_fp_denorm_src 0
		.amdhsa_exception_fp_ieee_div_zero 0
		.amdhsa_exception_fp_ieee_overflow 0
		.amdhsa_exception_fp_ieee_underflow 0
		.amdhsa_exception_fp_ieee_inexact 0
		.amdhsa_exception_int_div_zero 0
	.end_amdhsa_kernel
	.section	.text._ZN7rocprim17ROCPRIM_400000_NS6detail17trampoline_kernelINS0_14default_configENS1_25partition_config_selectorILNS1_17partition_subalgoE9EjjbEEZZNS1_14partition_implILS5_9ELb0ES3_jN6thrust23THRUST_200600_302600_NS6detail15normal_iteratorINS9_10device_ptrIjEEEESE_PNS0_10empty_typeENS0_5tupleIJSE_SF_EEENSH_IJNS9_16discard_iteratorINS9_11use_defaultEEESG_EEENS0_18inequality_wrapperINS9_8equal_toIjEEEEPmJSF_EEE10hipError_tPvRmT3_T4_T5_T6_T7_T9_mT8_P12ihipStream_tbDpT10_ENKUlT_T0_E_clISt17integral_constantIbLb1EES1A_IbLb0EEEEDaS16_S17_EUlS16_E_NS1_11comp_targetILNS1_3genE9ELNS1_11target_archE1100ELNS1_3gpuE3ELNS1_3repE0EEENS1_30default_config_static_selectorELNS0_4arch9wavefront6targetE0EEEvT1_,"axG",@progbits,_ZN7rocprim17ROCPRIM_400000_NS6detail17trampoline_kernelINS0_14default_configENS1_25partition_config_selectorILNS1_17partition_subalgoE9EjjbEEZZNS1_14partition_implILS5_9ELb0ES3_jN6thrust23THRUST_200600_302600_NS6detail15normal_iteratorINS9_10device_ptrIjEEEESE_PNS0_10empty_typeENS0_5tupleIJSE_SF_EEENSH_IJNS9_16discard_iteratorINS9_11use_defaultEEESG_EEENS0_18inequality_wrapperINS9_8equal_toIjEEEEPmJSF_EEE10hipError_tPvRmT3_T4_T5_T6_T7_T9_mT8_P12ihipStream_tbDpT10_ENKUlT_T0_E_clISt17integral_constantIbLb1EES1A_IbLb0EEEEDaS16_S17_EUlS16_E_NS1_11comp_targetILNS1_3genE9ELNS1_11target_archE1100ELNS1_3gpuE3ELNS1_3repE0EEENS1_30default_config_static_selectorELNS0_4arch9wavefront6targetE0EEEvT1_,comdat
.Lfunc_end843:
	.size	_ZN7rocprim17ROCPRIM_400000_NS6detail17trampoline_kernelINS0_14default_configENS1_25partition_config_selectorILNS1_17partition_subalgoE9EjjbEEZZNS1_14partition_implILS5_9ELb0ES3_jN6thrust23THRUST_200600_302600_NS6detail15normal_iteratorINS9_10device_ptrIjEEEESE_PNS0_10empty_typeENS0_5tupleIJSE_SF_EEENSH_IJNS9_16discard_iteratorINS9_11use_defaultEEESG_EEENS0_18inequality_wrapperINS9_8equal_toIjEEEEPmJSF_EEE10hipError_tPvRmT3_T4_T5_T6_T7_T9_mT8_P12ihipStream_tbDpT10_ENKUlT_T0_E_clISt17integral_constantIbLb1EES1A_IbLb0EEEEDaS16_S17_EUlS16_E_NS1_11comp_targetILNS1_3genE9ELNS1_11target_archE1100ELNS1_3gpuE3ELNS1_3repE0EEENS1_30default_config_static_selectorELNS0_4arch9wavefront6targetE0EEEvT1_, .Lfunc_end843-_ZN7rocprim17ROCPRIM_400000_NS6detail17trampoline_kernelINS0_14default_configENS1_25partition_config_selectorILNS1_17partition_subalgoE9EjjbEEZZNS1_14partition_implILS5_9ELb0ES3_jN6thrust23THRUST_200600_302600_NS6detail15normal_iteratorINS9_10device_ptrIjEEEESE_PNS0_10empty_typeENS0_5tupleIJSE_SF_EEENSH_IJNS9_16discard_iteratorINS9_11use_defaultEEESG_EEENS0_18inequality_wrapperINS9_8equal_toIjEEEEPmJSF_EEE10hipError_tPvRmT3_T4_T5_T6_T7_T9_mT8_P12ihipStream_tbDpT10_ENKUlT_T0_E_clISt17integral_constantIbLb1EES1A_IbLb0EEEEDaS16_S17_EUlS16_E_NS1_11comp_targetILNS1_3genE9ELNS1_11target_archE1100ELNS1_3gpuE3ELNS1_3repE0EEENS1_30default_config_static_selectorELNS0_4arch9wavefront6targetE0EEEvT1_
                                        ; -- End function
	.section	.AMDGPU.csdata,"",@progbits
; Kernel info:
; codeLenInByte = 8468
; NumSgprs: 27
; NumVgprs: 51
; ScratchSize: 0
; MemoryBound: 0
; FloatMode: 240
; IeeeMode: 1
; LDSByteSize: 12680 bytes/workgroup (compile time only)
; SGPRBlocks: 3
; VGPRBlocks: 6
; NumSGPRsForWavesPerEU: 27
; NumVGPRsForWavesPerEU: 51
; Occupancy: 15
; WaveLimiterHint : 1
; COMPUTE_PGM_RSRC2:SCRATCH_EN: 0
; COMPUTE_PGM_RSRC2:USER_SGPR: 15
; COMPUTE_PGM_RSRC2:TRAP_HANDLER: 0
; COMPUTE_PGM_RSRC2:TGID_X_EN: 1
; COMPUTE_PGM_RSRC2:TGID_Y_EN: 0
; COMPUTE_PGM_RSRC2:TGID_Z_EN: 0
; COMPUTE_PGM_RSRC2:TIDIG_COMP_CNT: 0
	.section	.text._ZN7rocprim17ROCPRIM_400000_NS6detail17trampoline_kernelINS0_14default_configENS1_25partition_config_selectorILNS1_17partition_subalgoE9EjjbEEZZNS1_14partition_implILS5_9ELb0ES3_jN6thrust23THRUST_200600_302600_NS6detail15normal_iteratorINS9_10device_ptrIjEEEESE_PNS0_10empty_typeENS0_5tupleIJSE_SF_EEENSH_IJNS9_16discard_iteratorINS9_11use_defaultEEESG_EEENS0_18inequality_wrapperINS9_8equal_toIjEEEEPmJSF_EEE10hipError_tPvRmT3_T4_T5_T6_T7_T9_mT8_P12ihipStream_tbDpT10_ENKUlT_T0_E_clISt17integral_constantIbLb1EES1A_IbLb0EEEEDaS16_S17_EUlS16_E_NS1_11comp_targetILNS1_3genE8ELNS1_11target_archE1030ELNS1_3gpuE2ELNS1_3repE0EEENS1_30default_config_static_selectorELNS0_4arch9wavefront6targetE0EEEvT1_,"axG",@progbits,_ZN7rocprim17ROCPRIM_400000_NS6detail17trampoline_kernelINS0_14default_configENS1_25partition_config_selectorILNS1_17partition_subalgoE9EjjbEEZZNS1_14partition_implILS5_9ELb0ES3_jN6thrust23THRUST_200600_302600_NS6detail15normal_iteratorINS9_10device_ptrIjEEEESE_PNS0_10empty_typeENS0_5tupleIJSE_SF_EEENSH_IJNS9_16discard_iteratorINS9_11use_defaultEEESG_EEENS0_18inequality_wrapperINS9_8equal_toIjEEEEPmJSF_EEE10hipError_tPvRmT3_T4_T5_T6_T7_T9_mT8_P12ihipStream_tbDpT10_ENKUlT_T0_E_clISt17integral_constantIbLb1EES1A_IbLb0EEEEDaS16_S17_EUlS16_E_NS1_11comp_targetILNS1_3genE8ELNS1_11target_archE1030ELNS1_3gpuE2ELNS1_3repE0EEENS1_30default_config_static_selectorELNS0_4arch9wavefront6targetE0EEEvT1_,comdat
	.protected	_ZN7rocprim17ROCPRIM_400000_NS6detail17trampoline_kernelINS0_14default_configENS1_25partition_config_selectorILNS1_17partition_subalgoE9EjjbEEZZNS1_14partition_implILS5_9ELb0ES3_jN6thrust23THRUST_200600_302600_NS6detail15normal_iteratorINS9_10device_ptrIjEEEESE_PNS0_10empty_typeENS0_5tupleIJSE_SF_EEENSH_IJNS9_16discard_iteratorINS9_11use_defaultEEESG_EEENS0_18inequality_wrapperINS9_8equal_toIjEEEEPmJSF_EEE10hipError_tPvRmT3_T4_T5_T6_T7_T9_mT8_P12ihipStream_tbDpT10_ENKUlT_T0_E_clISt17integral_constantIbLb1EES1A_IbLb0EEEEDaS16_S17_EUlS16_E_NS1_11comp_targetILNS1_3genE8ELNS1_11target_archE1030ELNS1_3gpuE2ELNS1_3repE0EEENS1_30default_config_static_selectorELNS0_4arch9wavefront6targetE0EEEvT1_ ; -- Begin function _ZN7rocprim17ROCPRIM_400000_NS6detail17trampoline_kernelINS0_14default_configENS1_25partition_config_selectorILNS1_17partition_subalgoE9EjjbEEZZNS1_14partition_implILS5_9ELb0ES3_jN6thrust23THRUST_200600_302600_NS6detail15normal_iteratorINS9_10device_ptrIjEEEESE_PNS0_10empty_typeENS0_5tupleIJSE_SF_EEENSH_IJNS9_16discard_iteratorINS9_11use_defaultEEESG_EEENS0_18inequality_wrapperINS9_8equal_toIjEEEEPmJSF_EEE10hipError_tPvRmT3_T4_T5_T6_T7_T9_mT8_P12ihipStream_tbDpT10_ENKUlT_T0_E_clISt17integral_constantIbLb1EES1A_IbLb0EEEEDaS16_S17_EUlS16_E_NS1_11comp_targetILNS1_3genE8ELNS1_11target_archE1030ELNS1_3gpuE2ELNS1_3repE0EEENS1_30default_config_static_selectorELNS0_4arch9wavefront6targetE0EEEvT1_
	.globl	_ZN7rocprim17ROCPRIM_400000_NS6detail17trampoline_kernelINS0_14default_configENS1_25partition_config_selectorILNS1_17partition_subalgoE9EjjbEEZZNS1_14partition_implILS5_9ELb0ES3_jN6thrust23THRUST_200600_302600_NS6detail15normal_iteratorINS9_10device_ptrIjEEEESE_PNS0_10empty_typeENS0_5tupleIJSE_SF_EEENSH_IJNS9_16discard_iteratorINS9_11use_defaultEEESG_EEENS0_18inequality_wrapperINS9_8equal_toIjEEEEPmJSF_EEE10hipError_tPvRmT3_T4_T5_T6_T7_T9_mT8_P12ihipStream_tbDpT10_ENKUlT_T0_E_clISt17integral_constantIbLb1EES1A_IbLb0EEEEDaS16_S17_EUlS16_E_NS1_11comp_targetILNS1_3genE8ELNS1_11target_archE1030ELNS1_3gpuE2ELNS1_3repE0EEENS1_30default_config_static_selectorELNS0_4arch9wavefront6targetE0EEEvT1_
	.p2align	8
	.type	_ZN7rocprim17ROCPRIM_400000_NS6detail17trampoline_kernelINS0_14default_configENS1_25partition_config_selectorILNS1_17partition_subalgoE9EjjbEEZZNS1_14partition_implILS5_9ELb0ES3_jN6thrust23THRUST_200600_302600_NS6detail15normal_iteratorINS9_10device_ptrIjEEEESE_PNS0_10empty_typeENS0_5tupleIJSE_SF_EEENSH_IJNS9_16discard_iteratorINS9_11use_defaultEEESG_EEENS0_18inequality_wrapperINS9_8equal_toIjEEEEPmJSF_EEE10hipError_tPvRmT3_T4_T5_T6_T7_T9_mT8_P12ihipStream_tbDpT10_ENKUlT_T0_E_clISt17integral_constantIbLb1EES1A_IbLb0EEEEDaS16_S17_EUlS16_E_NS1_11comp_targetILNS1_3genE8ELNS1_11target_archE1030ELNS1_3gpuE2ELNS1_3repE0EEENS1_30default_config_static_selectorELNS0_4arch9wavefront6targetE0EEEvT1_,@function
_ZN7rocprim17ROCPRIM_400000_NS6detail17trampoline_kernelINS0_14default_configENS1_25partition_config_selectorILNS1_17partition_subalgoE9EjjbEEZZNS1_14partition_implILS5_9ELb0ES3_jN6thrust23THRUST_200600_302600_NS6detail15normal_iteratorINS9_10device_ptrIjEEEESE_PNS0_10empty_typeENS0_5tupleIJSE_SF_EEENSH_IJNS9_16discard_iteratorINS9_11use_defaultEEESG_EEENS0_18inequality_wrapperINS9_8equal_toIjEEEEPmJSF_EEE10hipError_tPvRmT3_T4_T5_T6_T7_T9_mT8_P12ihipStream_tbDpT10_ENKUlT_T0_E_clISt17integral_constantIbLb1EES1A_IbLb0EEEEDaS16_S17_EUlS16_E_NS1_11comp_targetILNS1_3genE8ELNS1_11target_archE1030ELNS1_3gpuE2ELNS1_3repE0EEENS1_30default_config_static_selectorELNS0_4arch9wavefront6targetE0EEEvT1_: ; @_ZN7rocprim17ROCPRIM_400000_NS6detail17trampoline_kernelINS0_14default_configENS1_25partition_config_selectorILNS1_17partition_subalgoE9EjjbEEZZNS1_14partition_implILS5_9ELb0ES3_jN6thrust23THRUST_200600_302600_NS6detail15normal_iteratorINS9_10device_ptrIjEEEESE_PNS0_10empty_typeENS0_5tupleIJSE_SF_EEENSH_IJNS9_16discard_iteratorINS9_11use_defaultEEESG_EEENS0_18inequality_wrapperINS9_8equal_toIjEEEEPmJSF_EEE10hipError_tPvRmT3_T4_T5_T6_T7_T9_mT8_P12ihipStream_tbDpT10_ENKUlT_T0_E_clISt17integral_constantIbLb1EES1A_IbLb0EEEEDaS16_S17_EUlS16_E_NS1_11comp_targetILNS1_3genE8ELNS1_11target_archE1030ELNS1_3gpuE2ELNS1_3repE0EEENS1_30default_config_static_selectorELNS0_4arch9wavefront6targetE0EEEvT1_
; %bb.0:
	.section	.rodata,"a",@progbits
	.p2align	6, 0x0
	.amdhsa_kernel _ZN7rocprim17ROCPRIM_400000_NS6detail17trampoline_kernelINS0_14default_configENS1_25partition_config_selectorILNS1_17partition_subalgoE9EjjbEEZZNS1_14partition_implILS5_9ELb0ES3_jN6thrust23THRUST_200600_302600_NS6detail15normal_iteratorINS9_10device_ptrIjEEEESE_PNS0_10empty_typeENS0_5tupleIJSE_SF_EEENSH_IJNS9_16discard_iteratorINS9_11use_defaultEEESG_EEENS0_18inequality_wrapperINS9_8equal_toIjEEEEPmJSF_EEE10hipError_tPvRmT3_T4_T5_T6_T7_T9_mT8_P12ihipStream_tbDpT10_ENKUlT_T0_E_clISt17integral_constantIbLb1EES1A_IbLb0EEEEDaS16_S17_EUlS16_E_NS1_11comp_targetILNS1_3genE8ELNS1_11target_archE1030ELNS1_3gpuE2ELNS1_3repE0EEENS1_30default_config_static_selectorELNS0_4arch9wavefront6targetE0EEEvT1_
		.amdhsa_group_segment_fixed_size 0
		.amdhsa_private_segment_fixed_size 0
		.amdhsa_kernarg_size 120
		.amdhsa_user_sgpr_count 15
		.amdhsa_user_sgpr_dispatch_ptr 0
		.amdhsa_user_sgpr_queue_ptr 0
		.amdhsa_user_sgpr_kernarg_segment_ptr 1
		.amdhsa_user_sgpr_dispatch_id 0
		.amdhsa_user_sgpr_private_segment_size 0
		.amdhsa_wavefront_size32 1
		.amdhsa_uses_dynamic_stack 0
		.amdhsa_enable_private_segment 0
		.amdhsa_system_sgpr_workgroup_id_x 1
		.amdhsa_system_sgpr_workgroup_id_y 0
		.amdhsa_system_sgpr_workgroup_id_z 0
		.amdhsa_system_sgpr_workgroup_info 0
		.amdhsa_system_vgpr_workitem_id 0
		.amdhsa_next_free_vgpr 1
		.amdhsa_next_free_sgpr 1
		.amdhsa_reserve_vcc 0
		.amdhsa_float_round_mode_32 0
		.amdhsa_float_round_mode_16_64 0
		.amdhsa_float_denorm_mode_32 3
		.amdhsa_float_denorm_mode_16_64 3
		.amdhsa_dx10_clamp 1
		.amdhsa_ieee_mode 1
		.amdhsa_fp16_overflow 0
		.amdhsa_workgroup_processor_mode 1
		.amdhsa_memory_ordered 1
		.amdhsa_forward_progress 0
		.amdhsa_shared_vgpr_count 0
		.amdhsa_exception_fp_ieee_invalid_op 0
		.amdhsa_exception_fp_denorm_src 0
		.amdhsa_exception_fp_ieee_div_zero 0
		.amdhsa_exception_fp_ieee_overflow 0
		.amdhsa_exception_fp_ieee_underflow 0
		.amdhsa_exception_fp_ieee_inexact 0
		.amdhsa_exception_int_div_zero 0
	.end_amdhsa_kernel
	.section	.text._ZN7rocprim17ROCPRIM_400000_NS6detail17trampoline_kernelINS0_14default_configENS1_25partition_config_selectorILNS1_17partition_subalgoE9EjjbEEZZNS1_14partition_implILS5_9ELb0ES3_jN6thrust23THRUST_200600_302600_NS6detail15normal_iteratorINS9_10device_ptrIjEEEESE_PNS0_10empty_typeENS0_5tupleIJSE_SF_EEENSH_IJNS9_16discard_iteratorINS9_11use_defaultEEESG_EEENS0_18inequality_wrapperINS9_8equal_toIjEEEEPmJSF_EEE10hipError_tPvRmT3_T4_T5_T6_T7_T9_mT8_P12ihipStream_tbDpT10_ENKUlT_T0_E_clISt17integral_constantIbLb1EES1A_IbLb0EEEEDaS16_S17_EUlS16_E_NS1_11comp_targetILNS1_3genE8ELNS1_11target_archE1030ELNS1_3gpuE2ELNS1_3repE0EEENS1_30default_config_static_selectorELNS0_4arch9wavefront6targetE0EEEvT1_,"axG",@progbits,_ZN7rocprim17ROCPRIM_400000_NS6detail17trampoline_kernelINS0_14default_configENS1_25partition_config_selectorILNS1_17partition_subalgoE9EjjbEEZZNS1_14partition_implILS5_9ELb0ES3_jN6thrust23THRUST_200600_302600_NS6detail15normal_iteratorINS9_10device_ptrIjEEEESE_PNS0_10empty_typeENS0_5tupleIJSE_SF_EEENSH_IJNS9_16discard_iteratorINS9_11use_defaultEEESG_EEENS0_18inequality_wrapperINS9_8equal_toIjEEEEPmJSF_EEE10hipError_tPvRmT3_T4_T5_T6_T7_T9_mT8_P12ihipStream_tbDpT10_ENKUlT_T0_E_clISt17integral_constantIbLb1EES1A_IbLb0EEEEDaS16_S17_EUlS16_E_NS1_11comp_targetILNS1_3genE8ELNS1_11target_archE1030ELNS1_3gpuE2ELNS1_3repE0EEENS1_30default_config_static_selectorELNS0_4arch9wavefront6targetE0EEEvT1_,comdat
.Lfunc_end844:
	.size	_ZN7rocprim17ROCPRIM_400000_NS6detail17trampoline_kernelINS0_14default_configENS1_25partition_config_selectorILNS1_17partition_subalgoE9EjjbEEZZNS1_14partition_implILS5_9ELb0ES3_jN6thrust23THRUST_200600_302600_NS6detail15normal_iteratorINS9_10device_ptrIjEEEESE_PNS0_10empty_typeENS0_5tupleIJSE_SF_EEENSH_IJNS9_16discard_iteratorINS9_11use_defaultEEESG_EEENS0_18inequality_wrapperINS9_8equal_toIjEEEEPmJSF_EEE10hipError_tPvRmT3_T4_T5_T6_T7_T9_mT8_P12ihipStream_tbDpT10_ENKUlT_T0_E_clISt17integral_constantIbLb1EES1A_IbLb0EEEEDaS16_S17_EUlS16_E_NS1_11comp_targetILNS1_3genE8ELNS1_11target_archE1030ELNS1_3gpuE2ELNS1_3repE0EEENS1_30default_config_static_selectorELNS0_4arch9wavefront6targetE0EEEvT1_, .Lfunc_end844-_ZN7rocprim17ROCPRIM_400000_NS6detail17trampoline_kernelINS0_14default_configENS1_25partition_config_selectorILNS1_17partition_subalgoE9EjjbEEZZNS1_14partition_implILS5_9ELb0ES3_jN6thrust23THRUST_200600_302600_NS6detail15normal_iteratorINS9_10device_ptrIjEEEESE_PNS0_10empty_typeENS0_5tupleIJSE_SF_EEENSH_IJNS9_16discard_iteratorINS9_11use_defaultEEESG_EEENS0_18inequality_wrapperINS9_8equal_toIjEEEEPmJSF_EEE10hipError_tPvRmT3_T4_T5_T6_T7_T9_mT8_P12ihipStream_tbDpT10_ENKUlT_T0_E_clISt17integral_constantIbLb1EES1A_IbLb0EEEEDaS16_S17_EUlS16_E_NS1_11comp_targetILNS1_3genE8ELNS1_11target_archE1030ELNS1_3gpuE2ELNS1_3repE0EEENS1_30default_config_static_selectorELNS0_4arch9wavefront6targetE0EEEvT1_
                                        ; -- End function
	.section	.AMDGPU.csdata,"",@progbits
; Kernel info:
; codeLenInByte = 0
; NumSgprs: 0
; NumVgprs: 0
; ScratchSize: 0
; MemoryBound: 0
; FloatMode: 240
; IeeeMode: 1
; LDSByteSize: 0 bytes/workgroup (compile time only)
; SGPRBlocks: 0
; VGPRBlocks: 0
; NumSGPRsForWavesPerEU: 1
; NumVGPRsForWavesPerEU: 1
; Occupancy: 16
; WaveLimiterHint : 0
; COMPUTE_PGM_RSRC2:SCRATCH_EN: 0
; COMPUTE_PGM_RSRC2:USER_SGPR: 15
; COMPUTE_PGM_RSRC2:TRAP_HANDLER: 0
; COMPUTE_PGM_RSRC2:TGID_X_EN: 1
; COMPUTE_PGM_RSRC2:TGID_Y_EN: 0
; COMPUTE_PGM_RSRC2:TGID_Z_EN: 0
; COMPUTE_PGM_RSRC2:TIDIG_COMP_CNT: 0
	.section	.text._ZN7rocprim17ROCPRIM_400000_NS6detail17trampoline_kernelINS0_14default_configENS1_25partition_config_selectorILNS1_17partition_subalgoE9EjjbEEZZNS1_14partition_implILS5_9ELb0ES3_jN6thrust23THRUST_200600_302600_NS6detail15normal_iteratorINS9_10device_ptrIjEEEESE_PNS0_10empty_typeENS0_5tupleIJSE_SF_EEENSH_IJNS9_16discard_iteratorINS9_11use_defaultEEESG_EEENS0_18inequality_wrapperINS9_8equal_toIjEEEEPmJSF_EEE10hipError_tPvRmT3_T4_T5_T6_T7_T9_mT8_P12ihipStream_tbDpT10_ENKUlT_T0_E_clISt17integral_constantIbLb0EES1A_IbLb1EEEEDaS16_S17_EUlS16_E_NS1_11comp_targetILNS1_3genE0ELNS1_11target_archE4294967295ELNS1_3gpuE0ELNS1_3repE0EEENS1_30default_config_static_selectorELNS0_4arch9wavefront6targetE0EEEvT1_,"axG",@progbits,_ZN7rocprim17ROCPRIM_400000_NS6detail17trampoline_kernelINS0_14default_configENS1_25partition_config_selectorILNS1_17partition_subalgoE9EjjbEEZZNS1_14partition_implILS5_9ELb0ES3_jN6thrust23THRUST_200600_302600_NS6detail15normal_iteratorINS9_10device_ptrIjEEEESE_PNS0_10empty_typeENS0_5tupleIJSE_SF_EEENSH_IJNS9_16discard_iteratorINS9_11use_defaultEEESG_EEENS0_18inequality_wrapperINS9_8equal_toIjEEEEPmJSF_EEE10hipError_tPvRmT3_T4_T5_T6_T7_T9_mT8_P12ihipStream_tbDpT10_ENKUlT_T0_E_clISt17integral_constantIbLb0EES1A_IbLb1EEEEDaS16_S17_EUlS16_E_NS1_11comp_targetILNS1_3genE0ELNS1_11target_archE4294967295ELNS1_3gpuE0ELNS1_3repE0EEENS1_30default_config_static_selectorELNS0_4arch9wavefront6targetE0EEEvT1_,comdat
	.protected	_ZN7rocprim17ROCPRIM_400000_NS6detail17trampoline_kernelINS0_14default_configENS1_25partition_config_selectorILNS1_17partition_subalgoE9EjjbEEZZNS1_14partition_implILS5_9ELb0ES3_jN6thrust23THRUST_200600_302600_NS6detail15normal_iteratorINS9_10device_ptrIjEEEESE_PNS0_10empty_typeENS0_5tupleIJSE_SF_EEENSH_IJNS9_16discard_iteratorINS9_11use_defaultEEESG_EEENS0_18inequality_wrapperINS9_8equal_toIjEEEEPmJSF_EEE10hipError_tPvRmT3_T4_T5_T6_T7_T9_mT8_P12ihipStream_tbDpT10_ENKUlT_T0_E_clISt17integral_constantIbLb0EES1A_IbLb1EEEEDaS16_S17_EUlS16_E_NS1_11comp_targetILNS1_3genE0ELNS1_11target_archE4294967295ELNS1_3gpuE0ELNS1_3repE0EEENS1_30default_config_static_selectorELNS0_4arch9wavefront6targetE0EEEvT1_ ; -- Begin function _ZN7rocprim17ROCPRIM_400000_NS6detail17trampoline_kernelINS0_14default_configENS1_25partition_config_selectorILNS1_17partition_subalgoE9EjjbEEZZNS1_14partition_implILS5_9ELb0ES3_jN6thrust23THRUST_200600_302600_NS6detail15normal_iteratorINS9_10device_ptrIjEEEESE_PNS0_10empty_typeENS0_5tupleIJSE_SF_EEENSH_IJNS9_16discard_iteratorINS9_11use_defaultEEESG_EEENS0_18inequality_wrapperINS9_8equal_toIjEEEEPmJSF_EEE10hipError_tPvRmT3_T4_T5_T6_T7_T9_mT8_P12ihipStream_tbDpT10_ENKUlT_T0_E_clISt17integral_constantIbLb0EES1A_IbLb1EEEEDaS16_S17_EUlS16_E_NS1_11comp_targetILNS1_3genE0ELNS1_11target_archE4294967295ELNS1_3gpuE0ELNS1_3repE0EEENS1_30default_config_static_selectorELNS0_4arch9wavefront6targetE0EEEvT1_
	.globl	_ZN7rocprim17ROCPRIM_400000_NS6detail17trampoline_kernelINS0_14default_configENS1_25partition_config_selectorILNS1_17partition_subalgoE9EjjbEEZZNS1_14partition_implILS5_9ELb0ES3_jN6thrust23THRUST_200600_302600_NS6detail15normal_iteratorINS9_10device_ptrIjEEEESE_PNS0_10empty_typeENS0_5tupleIJSE_SF_EEENSH_IJNS9_16discard_iteratorINS9_11use_defaultEEESG_EEENS0_18inequality_wrapperINS9_8equal_toIjEEEEPmJSF_EEE10hipError_tPvRmT3_T4_T5_T6_T7_T9_mT8_P12ihipStream_tbDpT10_ENKUlT_T0_E_clISt17integral_constantIbLb0EES1A_IbLb1EEEEDaS16_S17_EUlS16_E_NS1_11comp_targetILNS1_3genE0ELNS1_11target_archE4294967295ELNS1_3gpuE0ELNS1_3repE0EEENS1_30default_config_static_selectorELNS0_4arch9wavefront6targetE0EEEvT1_
	.p2align	8
	.type	_ZN7rocprim17ROCPRIM_400000_NS6detail17trampoline_kernelINS0_14default_configENS1_25partition_config_selectorILNS1_17partition_subalgoE9EjjbEEZZNS1_14partition_implILS5_9ELb0ES3_jN6thrust23THRUST_200600_302600_NS6detail15normal_iteratorINS9_10device_ptrIjEEEESE_PNS0_10empty_typeENS0_5tupleIJSE_SF_EEENSH_IJNS9_16discard_iteratorINS9_11use_defaultEEESG_EEENS0_18inequality_wrapperINS9_8equal_toIjEEEEPmJSF_EEE10hipError_tPvRmT3_T4_T5_T6_T7_T9_mT8_P12ihipStream_tbDpT10_ENKUlT_T0_E_clISt17integral_constantIbLb0EES1A_IbLb1EEEEDaS16_S17_EUlS16_E_NS1_11comp_targetILNS1_3genE0ELNS1_11target_archE4294967295ELNS1_3gpuE0ELNS1_3repE0EEENS1_30default_config_static_selectorELNS0_4arch9wavefront6targetE0EEEvT1_,@function
_ZN7rocprim17ROCPRIM_400000_NS6detail17trampoline_kernelINS0_14default_configENS1_25partition_config_selectorILNS1_17partition_subalgoE9EjjbEEZZNS1_14partition_implILS5_9ELb0ES3_jN6thrust23THRUST_200600_302600_NS6detail15normal_iteratorINS9_10device_ptrIjEEEESE_PNS0_10empty_typeENS0_5tupleIJSE_SF_EEENSH_IJNS9_16discard_iteratorINS9_11use_defaultEEESG_EEENS0_18inequality_wrapperINS9_8equal_toIjEEEEPmJSF_EEE10hipError_tPvRmT3_T4_T5_T6_T7_T9_mT8_P12ihipStream_tbDpT10_ENKUlT_T0_E_clISt17integral_constantIbLb0EES1A_IbLb1EEEEDaS16_S17_EUlS16_E_NS1_11comp_targetILNS1_3genE0ELNS1_11target_archE4294967295ELNS1_3gpuE0ELNS1_3repE0EEENS1_30default_config_static_selectorELNS0_4arch9wavefront6targetE0EEEvT1_: ; @_ZN7rocprim17ROCPRIM_400000_NS6detail17trampoline_kernelINS0_14default_configENS1_25partition_config_selectorILNS1_17partition_subalgoE9EjjbEEZZNS1_14partition_implILS5_9ELb0ES3_jN6thrust23THRUST_200600_302600_NS6detail15normal_iteratorINS9_10device_ptrIjEEEESE_PNS0_10empty_typeENS0_5tupleIJSE_SF_EEENSH_IJNS9_16discard_iteratorINS9_11use_defaultEEESG_EEENS0_18inequality_wrapperINS9_8equal_toIjEEEEPmJSF_EEE10hipError_tPvRmT3_T4_T5_T6_T7_T9_mT8_P12ihipStream_tbDpT10_ENKUlT_T0_E_clISt17integral_constantIbLb0EES1A_IbLb1EEEEDaS16_S17_EUlS16_E_NS1_11comp_targetILNS1_3genE0ELNS1_11target_archE4294967295ELNS1_3gpuE0ELNS1_3repE0EEENS1_30default_config_static_selectorELNS0_4arch9wavefront6targetE0EEEvT1_
; %bb.0:
	.section	.rodata,"a",@progbits
	.p2align	6, 0x0
	.amdhsa_kernel _ZN7rocprim17ROCPRIM_400000_NS6detail17trampoline_kernelINS0_14default_configENS1_25partition_config_selectorILNS1_17partition_subalgoE9EjjbEEZZNS1_14partition_implILS5_9ELb0ES3_jN6thrust23THRUST_200600_302600_NS6detail15normal_iteratorINS9_10device_ptrIjEEEESE_PNS0_10empty_typeENS0_5tupleIJSE_SF_EEENSH_IJNS9_16discard_iteratorINS9_11use_defaultEEESG_EEENS0_18inequality_wrapperINS9_8equal_toIjEEEEPmJSF_EEE10hipError_tPvRmT3_T4_T5_T6_T7_T9_mT8_P12ihipStream_tbDpT10_ENKUlT_T0_E_clISt17integral_constantIbLb0EES1A_IbLb1EEEEDaS16_S17_EUlS16_E_NS1_11comp_targetILNS1_3genE0ELNS1_11target_archE4294967295ELNS1_3gpuE0ELNS1_3repE0EEENS1_30default_config_static_selectorELNS0_4arch9wavefront6targetE0EEEvT1_
		.amdhsa_group_segment_fixed_size 0
		.amdhsa_private_segment_fixed_size 0
		.amdhsa_kernarg_size 136
		.amdhsa_user_sgpr_count 15
		.amdhsa_user_sgpr_dispatch_ptr 0
		.amdhsa_user_sgpr_queue_ptr 0
		.amdhsa_user_sgpr_kernarg_segment_ptr 1
		.amdhsa_user_sgpr_dispatch_id 0
		.amdhsa_user_sgpr_private_segment_size 0
		.amdhsa_wavefront_size32 1
		.amdhsa_uses_dynamic_stack 0
		.amdhsa_enable_private_segment 0
		.amdhsa_system_sgpr_workgroup_id_x 1
		.amdhsa_system_sgpr_workgroup_id_y 0
		.amdhsa_system_sgpr_workgroup_id_z 0
		.amdhsa_system_sgpr_workgroup_info 0
		.amdhsa_system_vgpr_workitem_id 0
		.amdhsa_next_free_vgpr 1
		.amdhsa_next_free_sgpr 1
		.amdhsa_reserve_vcc 0
		.amdhsa_float_round_mode_32 0
		.amdhsa_float_round_mode_16_64 0
		.amdhsa_float_denorm_mode_32 3
		.amdhsa_float_denorm_mode_16_64 3
		.amdhsa_dx10_clamp 1
		.amdhsa_ieee_mode 1
		.amdhsa_fp16_overflow 0
		.amdhsa_workgroup_processor_mode 1
		.amdhsa_memory_ordered 1
		.amdhsa_forward_progress 0
		.amdhsa_shared_vgpr_count 0
		.amdhsa_exception_fp_ieee_invalid_op 0
		.amdhsa_exception_fp_denorm_src 0
		.amdhsa_exception_fp_ieee_div_zero 0
		.amdhsa_exception_fp_ieee_overflow 0
		.amdhsa_exception_fp_ieee_underflow 0
		.amdhsa_exception_fp_ieee_inexact 0
		.amdhsa_exception_int_div_zero 0
	.end_amdhsa_kernel
	.section	.text._ZN7rocprim17ROCPRIM_400000_NS6detail17trampoline_kernelINS0_14default_configENS1_25partition_config_selectorILNS1_17partition_subalgoE9EjjbEEZZNS1_14partition_implILS5_9ELb0ES3_jN6thrust23THRUST_200600_302600_NS6detail15normal_iteratorINS9_10device_ptrIjEEEESE_PNS0_10empty_typeENS0_5tupleIJSE_SF_EEENSH_IJNS9_16discard_iteratorINS9_11use_defaultEEESG_EEENS0_18inequality_wrapperINS9_8equal_toIjEEEEPmJSF_EEE10hipError_tPvRmT3_T4_T5_T6_T7_T9_mT8_P12ihipStream_tbDpT10_ENKUlT_T0_E_clISt17integral_constantIbLb0EES1A_IbLb1EEEEDaS16_S17_EUlS16_E_NS1_11comp_targetILNS1_3genE0ELNS1_11target_archE4294967295ELNS1_3gpuE0ELNS1_3repE0EEENS1_30default_config_static_selectorELNS0_4arch9wavefront6targetE0EEEvT1_,"axG",@progbits,_ZN7rocprim17ROCPRIM_400000_NS6detail17trampoline_kernelINS0_14default_configENS1_25partition_config_selectorILNS1_17partition_subalgoE9EjjbEEZZNS1_14partition_implILS5_9ELb0ES3_jN6thrust23THRUST_200600_302600_NS6detail15normal_iteratorINS9_10device_ptrIjEEEESE_PNS0_10empty_typeENS0_5tupleIJSE_SF_EEENSH_IJNS9_16discard_iteratorINS9_11use_defaultEEESG_EEENS0_18inequality_wrapperINS9_8equal_toIjEEEEPmJSF_EEE10hipError_tPvRmT3_T4_T5_T6_T7_T9_mT8_P12ihipStream_tbDpT10_ENKUlT_T0_E_clISt17integral_constantIbLb0EES1A_IbLb1EEEEDaS16_S17_EUlS16_E_NS1_11comp_targetILNS1_3genE0ELNS1_11target_archE4294967295ELNS1_3gpuE0ELNS1_3repE0EEENS1_30default_config_static_selectorELNS0_4arch9wavefront6targetE0EEEvT1_,comdat
.Lfunc_end845:
	.size	_ZN7rocprim17ROCPRIM_400000_NS6detail17trampoline_kernelINS0_14default_configENS1_25partition_config_selectorILNS1_17partition_subalgoE9EjjbEEZZNS1_14partition_implILS5_9ELb0ES3_jN6thrust23THRUST_200600_302600_NS6detail15normal_iteratorINS9_10device_ptrIjEEEESE_PNS0_10empty_typeENS0_5tupleIJSE_SF_EEENSH_IJNS9_16discard_iteratorINS9_11use_defaultEEESG_EEENS0_18inequality_wrapperINS9_8equal_toIjEEEEPmJSF_EEE10hipError_tPvRmT3_T4_T5_T6_T7_T9_mT8_P12ihipStream_tbDpT10_ENKUlT_T0_E_clISt17integral_constantIbLb0EES1A_IbLb1EEEEDaS16_S17_EUlS16_E_NS1_11comp_targetILNS1_3genE0ELNS1_11target_archE4294967295ELNS1_3gpuE0ELNS1_3repE0EEENS1_30default_config_static_selectorELNS0_4arch9wavefront6targetE0EEEvT1_, .Lfunc_end845-_ZN7rocprim17ROCPRIM_400000_NS6detail17trampoline_kernelINS0_14default_configENS1_25partition_config_selectorILNS1_17partition_subalgoE9EjjbEEZZNS1_14partition_implILS5_9ELb0ES3_jN6thrust23THRUST_200600_302600_NS6detail15normal_iteratorINS9_10device_ptrIjEEEESE_PNS0_10empty_typeENS0_5tupleIJSE_SF_EEENSH_IJNS9_16discard_iteratorINS9_11use_defaultEEESG_EEENS0_18inequality_wrapperINS9_8equal_toIjEEEEPmJSF_EEE10hipError_tPvRmT3_T4_T5_T6_T7_T9_mT8_P12ihipStream_tbDpT10_ENKUlT_T0_E_clISt17integral_constantIbLb0EES1A_IbLb1EEEEDaS16_S17_EUlS16_E_NS1_11comp_targetILNS1_3genE0ELNS1_11target_archE4294967295ELNS1_3gpuE0ELNS1_3repE0EEENS1_30default_config_static_selectorELNS0_4arch9wavefront6targetE0EEEvT1_
                                        ; -- End function
	.section	.AMDGPU.csdata,"",@progbits
; Kernel info:
; codeLenInByte = 0
; NumSgprs: 0
; NumVgprs: 0
; ScratchSize: 0
; MemoryBound: 0
; FloatMode: 240
; IeeeMode: 1
; LDSByteSize: 0 bytes/workgroup (compile time only)
; SGPRBlocks: 0
; VGPRBlocks: 0
; NumSGPRsForWavesPerEU: 1
; NumVGPRsForWavesPerEU: 1
; Occupancy: 16
; WaveLimiterHint : 0
; COMPUTE_PGM_RSRC2:SCRATCH_EN: 0
; COMPUTE_PGM_RSRC2:USER_SGPR: 15
; COMPUTE_PGM_RSRC2:TRAP_HANDLER: 0
; COMPUTE_PGM_RSRC2:TGID_X_EN: 1
; COMPUTE_PGM_RSRC2:TGID_Y_EN: 0
; COMPUTE_PGM_RSRC2:TGID_Z_EN: 0
; COMPUTE_PGM_RSRC2:TIDIG_COMP_CNT: 0
	.section	.text._ZN7rocprim17ROCPRIM_400000_NS6detail17trampoline_kernelINS0_14default_configENS1_25partition_config_selectorILNS1_17partition_subalgoE9EjjbEEZZNS1_14partition_implILS5_9ELb0ES3_jN6thrust23THRUST_200600_302600_NS6detail15normal_iteratorINS9_10device_ptrIjEEEESE_PNS0_10empty_typeENS0_5tupleIJSE_SF_EEENSH_IJNS9_16discard_iteratorINS9_11use_defaultEEESG_EEENS0_18inequality_wrapperINS9_8equal_toIjEEEEPmJSF_EEE10hipError_tPvRmT3_T4_T5_T6_T7_T9_mT8_P12ihipStream_tbDpT10_ENKUlT_T0_E_clISt17integral_constantIbLb0EES1A_IbLb1EEEEDaS16_S17_EUlS16_E_NS1_11comp_targetILNS1_3genE5ELNS1_11target_archE942ELNS1_3gpuE9ELNS1_3repE0EEENS1_30default_config_static_selectorELNS0_4arch9wavefront6targetE0EEEvT1_,"axG",@progbits,_ZN7rocprim17ROCPRIM_400000_NS6detail17trampoline_kernelINS0_14default_configENS1_25partition_config_selectorILNS1_17partition_subalgoE9EjjbEEZZNS1_14partition_implILS5_9ELb0ES3_jN6thrust23THRUST_200600_302600_NS6detail15normal_iteratorINS9_10device_ptrIjEEEESE_PNS0_10empty_typeENS0_5tupleIJSE_SF_EEENSH_IJNS9_16discard_iteratorINS9_11use_defaultEEESG_EEENS0_18inequality_wrapperINS9_8equal_toIjEEEEPmJSF_EEE10hipError_tPvRmT3_T4_T5_T6_T7_T9_mT8_P12ihipStream_tbDpT10_ENKUlT_T0_E_clISt17integral_constantIbLb0EES1A_IbLb1EEEEDaS16_S17_EUlS16_E_NS1_11comp_targetILNS1_3genE5ELNS1_11target_archE942ELNS1_3gpuE9ELNS1_3repE0EEENS1_30default_config_static_selectorELNS0_4arch9wavefront6targetE0EEEvT1_,comdat
	.protected	_ZN7rocprim17ROCPRIM_400000_NS6detail17trampoline_kernelINS0_14default_configENS1_25partition_config_selectorILNS1_17partition_subalgoE9EjjbEEZZNS1_14partition_implILS5_9ELb0ES3_jN6thrust23THRUST_200600_302600_NS6detail15normal_iteratorINS9_10device_ptrIjEEEESE_PNS0_10empty_typeENS0_5tupleIJSE_SF_EEENSH_IJNS9_16discard_iteratorINS9_11use_defaultEEESG_EEENS0_18inequality_wrapperINS9_8equal_toIjEEEEPmJSF_EEE10hipError_tPvRmT3_T4_T5_T6_T7_T9_mT8_P12ihipStream_tbDpT10_ENKUlT_T0_E_clISt17integral_constantIbLb0EES1A_IbLb1EEEEDaS16_S17_EUlS16_E_NS1_11comp_targetILNS1_3genE5ELNS1_11target_archE942ELNS1_3gpuE9ELNS1_3repE0EEENS1_30default_config_static_selectorELNS0_4arch9wavefront6targetE0EEEvT1_ ; -- Begin function _ZN7rocprim17ROCPRIM_400000_NS6detail17trampoline_kernelINS0_14default_configENS1_25partition_config_selectorILNS1_17partition_subalgoE9EjjbEEZZNS1_14partition_implILS5_9ELb0ES3_jN6thrust23THRUST_200600_302600_NS6detail15normal_iteratorINS9_10device_ptrIjEEEESE_PNS0_10empty_typeENS0_5tupleIJSE_SF_EEENSH_IJNS9_16discard_iteratorINS9_11use_defaultEEESG_EEENS0_18inequality_wrapperINS9_8equal_toIjEEEEPmJSF_EEE10hipError_tPvRmT3_T4_T5_T6_T7_T9_mT8_P12ihipStream_tbDpT10_ENKUlT_T0_E_clISt17integral_constantIbLb0EES1A_IbLb1EEEEDaS16_S17_EUlS16_E_NS1_11comp_targetILNS1_3genE5ELNS1_11target_archE942ELNS1_3gpuE9ELNS1_3repE0EEENS1_30default_config_static_selectorELNS0_4arch9wavefront6targetE0EEEvT1_
	.globl	_ZN7rocprim17ROCPRIM_400000_NS6detail17trampoline_kernelINS0_14default_configENS1_25partition_config_selectorILNS1_17partition_subalgoE9EjjbEEZZNS1_14partition_implILS5_9ELb0ES3_jN6thrust23THRUST_200600_302600_NS6detail15normal_iteratorINS9_10device_ptrIjEEEESE_PNS0_10empty_typeENS0_5tupleIJSE_SF_EEENSH_IJNS9_16discard_iteratorINS9_11use_defaultEEESG_EEENS0_18inequality_wrapperINS9_8equal_toIjEEEEPmJSF_EEE10hipError_tPvRmT3_T4_T5_T6_T7_T9_mT8_P12ihipStream_tbDpT10_ENKUlT_T0_E_clISt17integral_constantIbLb0EES1A_IbLb1EEEEDaS16_S17_EUlS16_E_NS1_11comp_targetILNS1_3genE5ELNS1_11target_archE942ELNS1_3gpuE9ELNS1_3repE0EEENS1_30default_config_static_selectorELNS0_4arch9wavefront6targetE0EEEvT1_
	.p2align	8
	.type	_ZN7rocprim17ROCPRIM_400000_NS6detail17trampoline_kernelINS0_14default_configENS1_25partition_config_selectorILNS1_17partition_subalgoE9EjjbEEZZNS1_14partition_implILS5_9ELb0ES3_jN6thrust23THRUST_200600_302600_NS6detail15normal_iteratorINS9_10device_ptrIjEEEESE_PNS0_10empty_typeENS0_5tupleIJSE_SF_EEENSH_IJNS9_16discard_iteratorINS9_11use_defaultEEESG_EEENS0_18inequality_wrapperINS9_8equal_toIjEEEEPmJSF_EEE10hipError_tPvRmT3_T4_T5_T6_T7_T9_mT8_P12ihipStream_tbDpT10_ENKUlT_T0_E_clISt17integral_constantIbLb0EES1A_IbLb1EEEEDaS16_S17_EUlS16_E_NS1_11comp_targetILNS1_3genE5ELNS1_11target_archE942ELNS1_3gpuE9ELNS1_3repE0EEENS1_30default_config_static_selectorELNS0_4arch9wavefront6targetE0EEEvT1_,@function
_ZN7rocprim17ROCPRIM_400000_NS6detail17trampoline_kernelINS0_14default_configENS1_25partition_config_selectorILNS1_17partition_subalgoE9EjjbEEZZNS1_14partition_implILS5_9ELb0ES3_jN6thrust23THRUST_200600_302600_NS6detail15normal_iteratorINS9_10device_ptrIjEEEESE_PNS0_10empty_typeENS0_5tupleIJSE_SF_EEENSH_IJNS9_16discard_iteratorINS9_11use_defaultEEESG_EEENS0_18inequality_wrapperINS9_8equal_toIjEEEEPmJSF_EEE10hipError_tPvRmT3_T4_T5_T6_T7_T9_mT8_P12ihipStream_tbDpT10_ENKUlT_T0_E_clISt17integral_constantIbLb0EES1A_IbLb1EEEEDaS16_S17_EUlS16_E_NS1_11comp_targetILNS1_3genE5ELNS1_11target_archE942ELNS1_3gpuE9ELNS1_3repE0EEENS1_30default_config_static_selectorELNS0_4arch9wavefront6targetE0EEEvT1_: ; @_ZN7rocprim17ROCPRIM_400000_NS6detail17trampoline_kernelINS0_14default_configENS1_25partition_config_selectorILNS1_17partition_subalgoE9EjjbEEZZNS1_14partition_implILS5_9ELb0ES3_jN6thrust23THRUST_200600_302600_NS6detail15normal_iteratorINS9_10device_ptrIjEEEESE_PNS0_10empty_typeENS0_5tupleIJSE_SF_EEENSH_IJNS9_16discard_iteratorINS9_11use_defaultEEESG_EEENS0_18inequality_wrapperINS9_8equal_toIjEEEEPmJSF_EEE10hipError_tPvRmT3_T4_T5_T6_T7_T9_mT8_P12ihipStream_tbDpT10_ENKUlT_T0_E_clISt17integral_constantIbLb0EES1A_IbLb1EEEEDaS16_S17_EUlS16_E_NS1_11comp_targetILNS1_3genE5ELNS1_11target_archE942ELNS1_3gpuE9ELNS1_3repE0EEENS1_30default_config_static_selectorELNS0_4arch9wavefront6targetE0EEEvT1_
; %bb.0:
	.section	.rodata,"a",@progbits
	.p2align	6, 0x0
	.amdhsa_kernel _ZN7rocprim17ROCPRIM_400000_NS6detail17trampoline_kernelINS0_14default_configENS1_25partition_config_selectorILNS1_17partition_subalgoE9EjjbEEZZNS1_14partition_implILS5_9ELb0ES3_jN6thrust23THRUST_200600_302600_NS6detail15normal_iteratorINS9_10device_ptrIjEEEESE_PNS0_10empty_typeENS0_5tupleIJSE_SF_EEENSH_IJNS9_16discard_iteratorINS9_11use_defaultEEESG_EEENS0_18inequality_wrapperINS9_8equal_toIjEEEEPmJSF_EEE10hipError_tPvRmT3_T4_T5_T6_T7_T9_mT8_P12ihipStream_tbDpT10_ENKUlT_T0_E_clISt17integral_constantIbLb0EES1A_IbLb1EEEEDaS16_S17_EUlS16_E_NS1_11comp_targetILNS1_3genE5ELNS1_11target_archE942ELNS1_3gpuE9ELNS1_3repE0EEENS1_30default_config_static_selectorELNS0_4arch9wavefront6targetE0EEEvT1_
		.amdhsa_group_segment_fixed_size 0
		.amdhsa_private_segment_fixed_size 0
		.amdhsa_kernarg_size 136
		.amdhsa_user_sgpr_count 15
		.amdhsa_user_sgpr_dispatch_ptr 0
		.amdhsa_user_sgpr_queue_ptr 0
		.amdhsa_user_sgpr_kernarg_segment_ptr 1
		.amdhsa_user_sgpr_dispatch_id 0
		.amdhsa_user_sgpr_private_segment_size 0
		.amdhsa_wavefront_size32 1
		.amdhsa_uses_dynamic_stack 0
		.amdhsa_enable_private_segment 0
		.amdhsa_system_sgpr_workgroup_id_x 1
		.amdhsa_system_sgpr_workgroup_id_y 0
		.amdhsa_system_sgpr_workgroup_id_z 0
		.amdhsa_system_sgpr_workgroup_info 0
		.amdhsa_system_vgpr_workitem_id 0
		.amdhsa_next_free_vgpr 1
		.amdhsa_next_free_sgpr 1
		.amdhsa_reserve_vcc 0
		.amdhsa_float_round_mode_32 0
		.amdhsa_float_round_mode_16_64 0
		.amdhsa_float_denorm_mode_32 3
		.amdhsa_float_denorm_mode_16_64 3
		.amdhsa_dx10_clamp 1
		.amdhsa_ieee_mode 1
		.amdhsa_fp16_overflow 0
		.amdhsa_workgroup_processor_mode 1
		.amdhsa_memory_ordered 1
		.amdhsa_forward_progress 0
		.amdhsa_shared_vgpr_count 0
		.amdhsa_exception_fp_ieee_invalid_op 0
		.amdhsa_exception_fp_denorm_src 0
		.amdhsa_exception_fp_ieee_div_zero 0
		.amdhsa_exception_fp_ieee_overflow 0
		.amdhsa_exception_fp_ieee_underflow 0
		.amdhsa_exception_fp_ieee_inexact 0
		.amdhsa_exception_int_div_zero 0
	.end_amdhsa_kernel
	.section	.text._ZN7rocprim17ROCPRIM_400000_NS6detail17trampoline_kernelINS0_14default_configENS1_25partition_config_selectorILNS1_17partition_subalgoE9EjjbEEZZNS1_14partition_implILS5_9ELb0ES3_jN6thrust23THRUST_200600_302600_NS6detail15normal_iteratorINS9_10device_ptrIjEEEESE_PNS0_10empty_typeENS0_5tupleIJSE_SF_EEENSH_IJNS9_16discard_iteratorINS9_11use_defaultEEESG_EEENS0_18inequality_wrapperINS9_8equal_toIjEEEEPmJSF_EEE10hipError_tPvRmT3_T4_T5_T6_T7_T9_mT8_P12ihipStream_tbDpT10_ENKUlT_T0_E_clISt17integral_constantIbLb0EES1A_IbLb1EEEEDaS16_S17_EUlS16_E_NS1_11comp_targetILNS1_3genE5ELNS1_11target_archE942ELNS1_3gpuE9ELNS1_3repE0EEENS1_30default_config_static_selectorELNS0_4arch9wavefront6targetE0EEEvT1_,"axG",@progbits,_ZN7rocprim17ROCPRIM_400000_NS6detail17trampoline_kernelINS0_14default_configENS1_25partition_config_selectorILNS1_17partition_subalgoE9EjjbEEZZNS1_14partition_implILS5_9ELb0ES3_jN6thrust23THRUST_200600_302600_NS6detail15normal_iteratorINS9_10device_ptrIjEEEESE_PNS0_10empty_typeENS0_5tupleIJSE_SF_EEENSH_IJNS9_16discard_iteratorINS9_11use_defaultEEESG_EEENS0_18inequality_wrapperINS9_8equal_toIjEEEEPmJSF_EEE10hipError_tPvRmT3_T4_T5_T6_T7_T9_mT8_P12ihipStream_tbDpT10_ENKUlT_T0_E_clISt17integral_constantIbLb0EES1A_IbLb1EEEEDaS16_S17_EUlS16_E_NS1_11comp_targetILNS1_3genE5ELNS1_11target_archE942ELNS1_3gpuE9ELNS1_3repE0EEENS1_30default_config_static_selectorELNS0_4arch9wavefront6targetE0EEEvT1_,comdat
.Lfunc_end846:
	.size	_ZN7rocprim17ROCPRIM_400000_NS6detail17trampoline_kernelINS0_14default_configENS1_25partition_config_selectorILNS1_17partition_subalgoE9EjjbEEZZNS1_14partition_implILS5_9ELb0ES3_jN6thrust23THRUST_200600_302600_NS6detail15normal_iteratorINS9_10device_ptrIjEEEESE_PNS0_10empty_typeENS0_5tupleIJSE_SF_EEENSH_IJNS9_16discard_iteratorINS9_11use_defaultEEESG_EEENS0_18inequality_wrapperINS9_8equal_toIjEEEEPmJSF_EEE10hipError_tPvRmT3_T4_T5_T6_T7_T9_mT8_P12ihipStream_tbDpT10_ENKUlT_T0_E_clISt17integral_constantIbLb0EES1A_IbLb1EEEEDaS16_S17_EUlS16_E_NS1_11comp_targetILNS1_3genE5ELNS1_11target_archE942ELNS1_3gpuE9ELNS1_3repE0EEENS1_30default_config_static_selectorELNS0_4arch9wavefront6targetE0EEEvT1_, .Lfunc_end846-_ZN7rocprim17ROCPRIM_400000_NS6detail17trampoline_kernelINS0_14default_configENS1_25partition_config_selectorILNS1_17partition_subalgoE9EjjbEEZZNS1_14partition_implILS5_9ELb0ES3_jN6thrust23THRUST_200600_302600_NS6detail15normal_iteratorINS9_10device_ptrIjEEEESE_PNS0_10empty_typeENS0_5tupleIJSE_SF_EEENSH_IJNS9_16discard_iteratorINS9_11use_defaultEEESG_EEENS0_18inequality_wrapperINS9_8equal_toIjEEEEPmJSF_EEE10hipError_tPvRmT3_T4_T5_T6_T7_T9_mT8_P12ihipStream_tbDpT10_ENKUlT_T0_E_clISt17integral_constantIbLb0EES1A_IbLb1EEEEDaS16_S17_EUlS16_E_NS1_11comp_targetILNS1_3genE5ELNS1_11target_archE942ELNS1_3gpuE9ELNS1_3repE0EEENS1_30default_config_static_selectorELNS0_4arch9wavefront6targetE0EEEvT1_
                                        ; -- End function
	.section	.AMDGPU.csdata,"",@progbits
; Kernel info:
; codeLenInByte = 0
; NumSgprs: 0
; NumVgprs: 0
; ScratchSize: 0
; MemoryBound: 0
; FloatMode: 240
; IeeeMode: 1
; LDSByteSize: 0 bytes/workgroup (compile time only)
; SGPRBlocks: 0
; VGPRBlocks: 0
; NumSGPRsForWavesPerEU: 1
; NumVGPRsForWavesPerEU: 1
; Occupancy: 16
; WaveLimiterHint : 0
; COMPUTE_PGM_RSRC2:SCRATCH_EN: 0
; COMPUTE_PGM_RSRC2:USER_SGPR: 15
; COMPUTE_PGM_RSRC2:TRAP_HANDLER: 0
; COMPUTE_PGM_RSRC2:TGID_X_EN: 1
; COMPUTE_PGM_RSRC2:TGID_Y_EN: 0
; COMPUTE_PGM_RSRC2:TGID_Z_EN: 0
; COMPUTE_PGM_RSRC2:TIDIG_COMP_CNT: 0
	.section	.text._ZN7rocprim17ROCPRIM_400000_NS6detail17trampoline_kernelINS0_14default_configENS1_25partition_config_selectorILNS1_17partition_subalgoE9EjjbEEZZNS1_14partition_implILS5_9ELb0ES3_jN6thrust23THRUST_200600_302600_NS6detail15normal_iteratorINS9_10device_ptrIjEEEESE_PNS0_10empty_typeENS0_5tupleIJSE_SF_EEENSH_IJNS9_16discard_iteratorINS9_11use_defaultEEESG_EEENS0_18inequality_wrapperINS9_8equal_toIjEEEEPmJSF_EEE10hipError_tPvRmT3_T4_T5_T6_T7_T9_mT8_P12ihipStream_tbDpT10_ENKUlT_T0_E_clISt17integral_constantIbLb0EES1A_IbLb1EEEEDaS16_S17_EUlS16_E_NS1_11comp_targetILNS1_3genE4ELNS1_11target_archE910ELNS1_3gpuE8ELNS1_3repE0EEENS1_30default_config_static_selectorELNS0_4arch9wavefront6targetE0EEEvT1_,"axG",@progbits,_ZN7rocprim17ROCPRIM_400000_NS6detail17trampoline_kernelINS0_14default_configENS1_25partition_config_selectorILNS1_17partition_subalgoE9EjjbEEZZNS1_14partition_implILS5_9ELb0ES3_jN6thrust23THRUST_200600_302600_NS6detail15normal_iteratorINS9_10device_ptrIjEEEESE_PNS0_10empty_typeENS0_5tupleIJSE_SF_EEENSH_IJNS9_16discard_iteratorINS9_11use_defaultEEESG_EEENS0_18inequality_wrapperINS9_8equal_toIjEEEEPmJSF_EEE10hipError_tPvRmT3_T4_T5_T6_T7_T9_mT8_P12ihipStream_tbDpT10_ENKUlT_T0_E_clISt17integral_constantIbLb0EES1A_IbLb1EEEEDaS16_S17_EUlS16_E_NS1_11comp_targetILNS1_3genE4ELNS1_11target_archE910ELNS1_3gpuE8ELNS1_3repE0EEENS1_30default_config_static_selectorELNS0_4arch9wavefront6targetE0EEEvT1_,comdat
	.protected	_ZN7rocprim17ROCPRIM_400000_NS6detail17trampoline_kernelINS0_14default_configENS1_25partition_config_selectorILNS1_17partition_subalgoE9EjjbEEZZNS1_14partition_implILS5_9ELb0ES3_jN6thrust23THRUST_200600_302600_NS6detail15normal_iteratorINS9_10device_ptrIjEEEESE_PNS0_10empty_typeENS0_5tupleIJSE_SF_EEENSH_IJNS9_16discard_iteratorINS9_11use_defaultEEESG_EEENS0_18inequality_wrapperINS9_8equal_toIjEEEEPmJSF_EEE10hipError_tPvRmT3_T4_T5_T6_T7_T9_mT8_P12ihipStream_tbDpT10_ENKUlT_T0_E_clISt17integral_constantIbLb0EES1A_IbLb1EEEEDaS16_S17_EUlS16_E_NS1_11comp_targetILNS1_3genE4ELNS1_11target_archE910ELNS1_3gpuE8ELNS1_3repE0EEENS1_30default_config_static_selectorELNS0_4arch9wavefront6targetE0EEEvT1_ ; -- Begin function _ZN7rocprim17ROCPRIM_400000_NS6detail17trampoline_kernelINS0_14default_configENS1_25partition_config_selectorILNS1_17partition_subalgoE9EjjbEEZZNS1_14partition_implILS5_9ELb0ES3_jN6thrust23THRUST_200600_302600_NS6detail15normal_iteratorINS9_10device_ptrIjEEEESE_PNS0_10empty_typeENS0_5tupleIJSE_SF_EEENSH_IJNS9_16discard_iteratorINS9_11use_defaultEEESG_EEENS0_18inequality_wrapperINS9_8equal_toIjEEEEPmJSF_EEE10hipError_tPvRmT3_T4_T5_T6_T7_T9_mT8_P12ihipStream_tbDpT10_ENKUlT_T0_E_clISt17integral_constantIbLb0EES1A_IbLb1EEEEDaS16_S17_EUlS16_E_NS1_11comp_targetILNS1_3genE4ELNS1_11target_archE910ELNS1_3gpuE8ELNS1_3repE0EEENS1_30default_config_static_selectorELNS0_4arch9wavefront6targetE0EEEvT1_
	.globl	_ZN7rocprim17ROCPRIM_400000_NS6detail17trampoline_kernelINS0_14default_configENS1_25partition_config_selectorILNS1_17partition_subalgoE9EjjbEEZZNS1_14partition_implILS5_9ELb0ES3_jN6thrust23THRUST_200600_302600_NS6detail15normal_iteratorINS9_10device_ptrIjEEEESE_PNS0_10empty_typeENS0_5tupleIJSE_SF_EEENSH_IJNS9_16discard_iteratorINS9_11use_defaultEEESG_EEENS0_18inequality_wrapperINS9_8equal_toIjEEEEPmJSF_EEE10hipError_tPvRmT3_T4_T5_T6_T7_T9_mT8_P12ihipStream_tbDpT10_ENKUlT_T0_E_clISt17integral_constantIbLb0EES1A_IbLb1EEEEDaS16_S17_EUlS16_E_NS1_11comp_targetILNS1_3genE4ELNS1_11target_archE910ELNS1_3gpuE8ELNS1_3repE0EEENS1_30default_config_static_selectorELNS0_4arch9wavefront6targetE0EEEvT1_
	.p2align	8
	.type	_ZN7rocprim17ROCPRIM_400000_NS6detail17trampoline_kernelINS0_14default_configENS1_25partition_config_selectorILNS1_17partition_subalgoE9EjjbEEZZNS1_14partition_implILS5_9ELb0ES3_jN6thrust23THRUST_200600_302600_NS6detail15normal_iteratorINS9_10device_ptrIjEEEESE_PNS0_10empty_typeENS0_5tupleIJSE_SF_EEENSH_IJNS9_16discard_iteratorINS9_11use_defaultEEESG_EEENS0_18inequality_wrapperINS9_8equal_toIjEEEEPmJSF_EEE10hipError_tPvRmT3_T4_T5_T6_T7_T9_mT8_P12ihipStream_tbDpT10_ENKUlT_T0_E_clISt17integral_constantIbLb0EES1A_IbLb1EEEEDaS16_S17_EUlS16_E_NS1_11comp_targetILNS1_3genE4ELNS1_11target_archE910ELNS1_3gpuE8ELNS1_3repE0EEENS1_30default_config_static_selectorELNS0_4arch9wavefront6targetE0EEEvT1_,@function
_ZN7rocprim17ROCPRIM_400000_NS6detail17trampoline_kernelINS0_14default_configENS1_25partition_config_selectorILNS1_17partition_subalgoE9EjjbEEZZNS1_14partition_implILS5_9ELb0ES3_jN6thrust23THRUST_200600_302600_NS6detail15normal_iteratorINS9_10device_ptrIjEEEESE_PNS0_10empty_typeENS0_5tupleIJSE_SF_EEENSH_IJNS9_16discard_iteratorINS9_11use_defaultEEESG_EEENS0_18inequality_wrapperINS9_8equal_toIjEEEEPmJSF_EEE10hipError_tPvRmT3_T4_T5_T6_T7_T9_mT8_P12ihipStream_tbDpT10_ENKUlT_T0_E_clISt17integral_constantIbLb0EES1A_IbLb1EEEEDaS16_S17_EUlS16_E_NS1_11comp_targetILNS1_3genE4ELNS1_11target_archE910ELNS1_3gpuE8ELNS1_3repE0EEENS1_30default_config_static_selectorELNS0_4arch9wavefront6targetE0EEEvT1_: ; @_ZN7rocprim17ROCPRIM_400000_NS6detail17trampoline_kernelINS0_14default_configENS1_25partition_config_selectorILNS1_17partition_subalgoE9EjjbEEZZNS1_14partition_implILS5_9ELb0ES3_jN6thrust23THRUST_200600_302600_NS6detail15normal_iteratorINS9_10device_ptrIjEEEESE_PNS0_10empty_typeENS0_5tupleIJSE_SF_EEENSH_IJNS9_16discard_iteratorINS9_11use_defaultEEESG_EEENS0_18inequality_wrapperINS9_8equal_toIjEEEEPmJSF_EEE10hipError_tPvRmT3_T4_T5_T6_T7_T9_mT8_P12ihipStream_tbDpT10_ENKUlT_T0_E_clISt17integral_constantIbLb0EES1A_IbLb1EEEEDaS16_S17_EUlS16_E_NS1_11comp_targetILNS1_3genE4ELNS1_11target_archE910ELNS1_3gpuE8ELNS1_3repE0EEENS1_30default_config_static_selectorELNS0_4arch9wavefront6targetE0EEEvT1_
; %bb.0:
	.section	.rodata,"a",@progbits
	.p2align	6, 0x0
	.amdhsa_kernel _ZN7rocprim17ROCPRIM_400000_NS6detail17trampoline_kernelINS0_14default_configENS1_25partition_config_selectorILNS1_17partition_subalgoE9EjjbEEZZNS1_14partition_implILS5_9ELb0ES3_jN6thrust23THRUST_200600_302600_NS6detail15normal_iteratorINS9_10device_ptrIjEEEESE_PNS0_10empty_typeENS0_5tupleIJSE_SF_EEENSH_IJNS9_16discard_iteratorINS9_11use_defaultEEESG_EEENS0_18inequality_wrapperINS9_8equal_toIjEEEEPmJSF_EEE10hipError_tPvRmT3_T4_T5_T6_T7_T9_mT8_P12ihipStream_tbDpT10_ENKUlT_T0_E_clISt17integral_constantIbLb0EES1A_IbLb1EEEEDaS16_S17_EUlS16_E_NS1_11comp_targetILNS1_3genE4ELNS1_11target_archE910ELNS1_3gpuE8ELNS1_3repE0EEENS1_30default_config_static_selectorELNS0_4arch9wavefront6targetE0EEEvT1_
		.amdhsa_group_segment_fixed_size 0
		.amdhsa_private_segment_fixed_size 0
		.amdhsa_kernarg_size 136
		.amdhsa_user_sgpr_count 15
		.amdhsa_user_sgpr_dispatch_ptr 0
		.amdhsa_user_sgpr_queue_ptr 0
		.amdhsa_user_sgpr_kernarg_segment_ptr 1
		.amdhsa_user_sgpr_dispatch_id 0
		.amdhsa_user_sgpr_private_segment_size 0
		.amdhsa_wavefront_size32 1
		.amdhsa_uses_dynamic_stack 0
		.amdhsa_enable_private_segment 0
		.amdhsa_system_sgpr_workgroup_id_x 1
		.amdhsa_system_sgpr_workgroup_id_y 0
		.amdhsa_system_sgpr_workgroup_id_z 0
		.amdhsa_system_sgpr_workgroup_info 0
		.amdhsa_system_vgpr_workitem_id 0
		.amdhsa_next_free_vgpr 1
		.amdhsa_next_free_sgpr 1
		.amdhsa_reserve_vcc 0
		.amdhsa_float_round_mode_32 0
		.amdhsa_float_round_mode_16_64 0
		.amdhsa_float_denorm_mode_32 3
		.amdhsa_float_denorm_mode_16_64 3
		.amdhsa_dx10_clamp 1
		.amdhsa_ieee_mode 1
		.amdhsa_fp16_overflow 0
		.amdhsa_workgroup_processor_mode 1
		.amdhsa_memory_ordered 1
		.amdhsa_forward_progress 0
		.amdhsa_shared_vgpr_count 0
		.amdhsa_exception_fp_ieee_invalid_op 0
		.amdhsa_exception_fp_denorm_src 0
		.amdhsa_exception_fp_ieee_div_zero 0
		.amdhsa_exception_fp_ieee_overflow 0
		.amdhsa_exception_fp_ieee_underflow 0
		.amdhsa_exception_fp_ieee_inexact 0
		.amdhsa_exception_int_div_zero 0
	.end_amdhsa_kernel
	.section	.text._ZN7rocprim17ROCPRIM_400000_NS6detail17trampoline_kernelINS0_14default_configENS1_25partition_config_selectorILNS1_17partition_subalgoE9EjjbEEZZNS1_14partition_implILS5_9ELb0ES3_jN6thrust23THRUST_200600_302600_NS6detail15normal_iteratorINS9_10device_ptrIjEEEESE_PNS0_10empty_typeENS0_5tupleIJSE_SF_EEENSH_IJNS9_16discard_iteratorINS9_11use_defaultEEESG_EEENS0_18inequality_wrapperINS9_8equal_toIjEEEEPmJSF_EEE10hipError_tPvRmT3_T4_T5_T6_T7_T9_mT8_P12ihipStream_tbDpT10_ENKUlT_T0_E_clISt17integral_constantIbLb0EES1A_IbLb1EEEEDaS16_S17_EUlS16_E_NS1_11comp_targetILNS1_3genE4ELNS1_11target_archE910ELNS1_3gpuE8ELNS1_3repE0EEENS1_30default_config_static_selectorELNS0_4arch9wavefront6targetE0EEEvT1_,"axG",@progbits,_ZN7rocprim17ROCPRIM_400000_NS6detail17trampoline_kernelINS0_14default_configENS1_25partition_config_selectorILNS1_17partition_subalgoE9EjjbEEZZNS1_14partition_implILS5_9ELb0ES3_jN6thrust23THRUST_200600_302600_NS6detail15normal_iteratorINS9_10device_ptrIjEEEESE_PNS0_10empty_typeENS0_5tupleIJSE_SF_EEENSH_IJNS9_16discard_iteratorINS9_11use_defaultEEESG_EEENS0_18inequality_wrapperINS9_8equal_toIjEEEEPmJSF_EEE10hipError_tPvRmT3_T4_T5_T6_T7_T9_mT8_P12ihipStream_tbDpT10_ENKUlT_T0_E_clISt17integral_constantIbLb0EES1A_IbLb1EEEEDaS16_S17_EUlS16_E_NS1_11comp_targetILNS1_3genE4ELNS1_11target_archE910ELNS1_3gpuE8ELNS1_3repE0EEENS1_30default_config_static_selectorELNS0_4arch9wavefront6targetE0EEEvT1_,comdat
.Lfunc_end847:
	.size	_ZN7rocprim17ROCPRIM_400000_NS6detail17trampoline_kernelINS0_14default_configENS1_25partition_config_selectorILNS1_17partition_subalgoE9EjjbEEZZNS1_14partition_implILS5_9ELb0ES3_jN6thrust23THRUST_200600_302600_NS6detail15normal_iteratorINS9_10device_ptrIjEEEESE_PNS0_10empty_typeENS0_5tupleIJSE_SF_EEENSH_IJNS9_16discard_iteratorINS9_11use_defaultEEESG_EEENS0_18inequality_wrapperINS9_8equal_toIjEEEEPmJSF_EEE10hipError_tPvRmT3_T4_T5_T6_T7_T9_mT8_P12ihipStream_tbDpT10_ENKUlT_T0_E_clISt17integral_constantIbLb0EES1A_IbLb1EEEEDaS16_S17_EUlS16_E_NS1_11comp_targetILNS1_3genE4ELNS1_11target_archE910ELNS1_3gpuE8ELNS1_3repE0EEENS1_30default_config_static_selectorELNS0_4arch9wavefront6targetE0EEEvT1_, .Lfunc_end847-_ZN7rocprim17ROCPRIM_400000_NS6detail17trampoline_kernelINS0_14default_configENS1_25partition_config_selectorILNS1_17partition_subalgoE9EjjbEEZZNS1_14partition_implILS5_9ELb0ES3_jN6thrust23THRUST_200600_302600_NS6detail15normal_iteratorINS9_10device_ptrIjEEEESE_PNS0_10empty_typeENS0_5tupleIJSE_SF_EEENSH_IJNS9_16discard_iteratorINS9_11use_defaultEEESG_EEENS0_18inequality_wrapperINS9_8equal_toIjEEEEPmJSF_EEE10hipError_tPvRmT3_T4_T5_T6_T7_T9_mT8_P12ihipStream_tbDpT10_ENKUlT_T0_E_clISt17integral_constantIbLb0EES1A_IbLb1EEEEDaS16_S17_EUlS16_E_NS1_11comp_targetILNS1_3genE4ELNS1_11target_archE910ELNS1_3gpuE8ELNS1_3repE0EEENS1_30default_config_static_selectorELNS0_4arch9wavefront6targetE0EEEvT1_
                                        ; -- End function
	.section	.AMDGPU.csdata,"",@progbits
; Kernel info:
; codeLenInByte = 0
; NumSgprs: 0
; NumVgprs: 0
; ScratchSize: 0
; MemoryBound: 0
; FloatMode: 240
; IeeeMode: 1
; LDSByteSize: 0 bytes/workgroup (compile time only)
; SGPRBlocks: 0
; VGPRBlocks: 0
; NumSGPRsForWavesPerEU: 1
; NumVGPRsForWavesPerEU: 1
; Occupancy: 15
; WaveLimiterHint : 0
; COMPUTE_PGM_RSRC2:SCRATCH_EN: 0
; COMPUTE_PGM_RSRC2:USER_SGPR: 15
; COMPUTE_PGM_RSRC2:TRAP_HANDLER: 0
; COMPUTE_PGM_RSRC2:TGID_X_EN: 1
; COMPUTE_PGM_RSRC2:TGID_Y_EN: 0
; COMPUTE_PGM_RSRC2:TGID_Z_EN: 0
; COMPUTE_PGM_RSRC2:TIDIG_COMP_CNT: 0
	.section	.text._ZN7rocprim17ROCPRIM_400000_NS6detail17trampoline_kernelINS0_14default_configENS1_25partition_config_selectorILNS1_17partition_subalgoE9EjjbEEZZNS1_14partition_implILS5_9ELb0ES3_jN6thrust23THRUST_200600_302600_NS6detail15normal_iteratorINS9_10device_ptrIjEEEESE_PNS0_10empty_typeENS0_5tupleIJSE_SF_EEENSH_IJNS9_16discard_iteratorINS9_11use_defaultEEESG_EEENS0_18inequality_wrapperINS9_8equal_toIjEEEEPmJSF_EEE10hipError_tPvRmT3_T4_T5_T6_T7_T9_mT8_P12ihipStream_tbDpT10_ENKUlT_T0_E_clISt17integral_constantIbLb0EES1A_IbLb1EEEEDaS16_S17_EUlS16_E_NS1_11comp_targetILNS1_3genE3ELNS1_11target_archE908ELNS1_3gpuE7ELNS1_3repE0EEENS1_30default_config_static_selectorELNS0_4arch9wavefront6targetE0EEEvT1_,"axG",@progbits,_ZN7rocprim17ROCPRIM_400000_NS6detail17trampoline_kernelINS0_14default_configENS1_25partition_config_selectorILNS1_17partition_subalgoE9EjjbEEZZNS1_14partition_implILS5_9ELb0ES3_jN6thrust23THRUST_200600_302600_NS6detail15normal_iteratorINS9_10device_ptrIjEEEESE_PNS0_10empty_typeENS0_5tupleIJSE_SF_EEENSH_IJNS9_16discard_iteratorINS9_11use_defaultEEESG_EEENS0_18inequality_wrapperINS9_8equal_toIjEEEEPmJSF_EEE10hipError_tPvRmT3_T4_T5_T6_T7_T9_mT8_P12ihipStream_tbDpT10_ENKUlT_T0_E_clISt17integral_constantIbLb0EES1A_IbLb1EEEEDaS16_S17_EUlS16_E_NS1_11comp_targetILNS1_3genE3ELNS1_11target_archE908ELNS1_3gpuE7ELNS1_3repE0EEENS1_30default_config_static_selectorELNS0_4arch9wavefront6targetE0EEEvT1_,comdat
	.protected	_ZN7rocprim17ROCPRIM_400000_NS6detail17trampoline_kernelINS0_14default_configENS1_25partition_config_selectorILNS1_17partition_subalgoE9EjjbEEZZNS1_14partition_implILS5_9ELb0ES3_jN6thrust23THRUST_200600_302600_NS6detail15normal_iteratorINS9_10device_ptrIjEEEESE_PNS0_10empty_typeENS0_5tupleIJSE_SF_EEENSH_IJNS9_16discard_iteratorINS9_11use_defaultEEESG_EEENS0_18inequality_wrapperINS9_8equal_toIjEEEEPmJSF_EEE10hipError_tPvRmT3_T4_T5_T6_T7_T9_mT8_P12ihipStream_tbDpT10_ENKUlT_T0_E_clISt17integral_constantIbLb0EES1A_IbLb1EEEEDaS16_S17_EUlS16_E_NS1_11comp_targetILNS1_3genE3ELNS1_11target_archE908ELNS1_3gpuE7ELNS1_3repE0EEENS1_30default_config_static_selectorELNS0_4arch9wavefront6targetE0EEEvT1_ ; -- Begin function _ZN7rocprim17ROCPRIM_400000_NS6detail17trampoline_kernelINS0_14default_configENS1_25partition_config_selectorILNS1_17partition_subalgoE9EjjbEEZZNS1_14partition_implILS5_9ELb0ES3_jN6thrust23THRUST_200600_302600_NS6detail15normal_iteratorINS9_10device_ptrIjEEEESE_PNS0_10empty_typeENS0_5tupleIJSE_SF_EEENSH_IJNS9_16discard_iteratorINS9_11use_defaultEEESG_EEENS0_18inequality_wrapperINS9_8equal_toIjEEEEPmJSF_EEE10hipError_tPvRmT3_T4_T5_T6_T7_T9_mT8_P12ihipStream_tbDpT10_ENKUlT_T0_E_clISt17integral_constantIbLb0EES1A_IbLb1EEEEDaS16_S17_EUlS16_E_NS1_11comp_targetILNS1_3genE3ELNS1_11target_archE908ELNS1_3gpuE7ELNS1_3repE0EEENS1_30default_config_static_selectorELNS0_4arch9wavefront6targetE0EEEvT1_
	.globl	_ZN7rocprim17ROCPRIM_400000_NS6detail17trampoline_kernelINS0_14default_configENS1_25partition_config_selectorILNS1_17partition_subalgoE9EjjbEEZZNS1_14partition_implILS5_9ELb0ES3_jN6thrust23THRUST_200600_302600_NS6detail15normal_iteratorINS9_10device_ptrIjEEEESE_PNS0_10empty_typeENS0_5tupleIJSE_SF_EEENSH_IJNS9_16discard_iteratorINS9_11use_defaultEEESG_EEENS0_18inequality_wrapperINS9_8equal_toIjEEEEPmJSF_EEE10hipError_tPvRmT3_T4_T5_T6_T7_T9_mT8_P12ihipStream_tbDpT10_ENKUlT_T0_E_clISt17integral_constantIbLb0EES1A_IbLb1EEEEDaS16_S17_EUlS16_E_NS1_11comp_targetILNS1_3genE3ELNS1_11target_archE908ELNS1_3gpuE7ELNS1_3repE0EEENS1_30default_config_static_selectorELNS0_4arch9wavefront6targetE0EEEvT1_
	.p2align	8
	.type	_ZN7rocprim17ROCPRIM_400000_NS6detail17trampoline_kernelINS0_14default_configENS1_25partition_config_selectorILNS1_17partition_subalgoE9EjjbEEZZNS1_14partition_implILS5_9ELb0ES3_jN6thrust23THRUST_200600_302600_NS6detail15normal_iteratorINS9_10device_ptrIjEEEESE_PNS0_10empty_typeENS0_5tupleIJSE_SF_EEENSH_IJNS9_16discard_iteratorINS9_11use_defaultEEESG_EEENS0_18inequality_wrapperINS9_8equal_toIjEEEEPmJSF_EEE10hipError_tPvRmT3_T4_T5_T6_T7_T9_mT8_P12ihipStream_tbDpT10_ENKUlT_T0_E_clISt17integral_constantIbLb0EES1A_IbLb1EEEEDaS16_S17_EUlS16_E_NS1_11comp_targetILNS1_3genE3ELNS1_11target_archE908ELNS1_3gpuE7ELNS1_3repE0EEENS1_30default_config_static_selectorELNS0_4arch9wavefront6targetE0EEEvT1_,@function
_ZN7rocprim17ROCPRIM_400000_NS6detail17trampoline_kernelINS0_14default_configENS1_25partition_config_selectorILNS1_17partition_subalgoE9EjjbEEZZNS1_14partition_implILS5_9ELb0ES3_jN6thrust23THRUST_200600_302600_NS6detail15normal_iteratorINS9_10device_ptrIjEEEESE_PNS0_10empty_typeENS0_5tupleIJSE_SF_EEENSH_IJNS9_16discard_iteratorINS9_11use_defaultEEESG_EEENS0_18inequality_wrapperINS9_8equal_toIjEEEEPmJSF_EEE10hipError_tPvRmT3_T4_T5_T6_T7_T9_mT8_P12ihipStream_tbDpT10_ENKUlT_T0_E_clISt17integral_constantIbLb0EES1A_IbLb1EEEEDaS16_S17_EUlS16_E_NS1_11comp_targetILNS1_3genE3ELNS1_11target_archE908ELNS1_3gpuE7ELNS1_3repE0EEENS1_30default_config_static_selectorELNS0_4arch9wavefront6targetE0EEEvT1_: ; @_ZN7rocprim17ROCPRIM_400000_NS6detail17trampoline_kernelINS0_14default_configENS1_25partition_config_selectorILNS1_17partition_subalgoE9EjjbEEZZNS1_14partition_implILS5_9ELb0ES3_jN6thrust23THRUST_200600_302600_NS6detail15normal_iteratorINS9_10device_ptrIjEEEESE_PNS0_10empty_typeENS0_5tupleIJSE_SF_EEENSH_IJNS9_16discard_iteratorINS9_11use_defaultEEESG_EEENS0_18inequality_wrapperINS9_8equal_toIjEEEEPmJSF_EEE10hipError_tPvRmT3_T4_T5_T6_T7_T9_mT8_P12ihipStream_tbDpT10_ENKUlT_T0_E_clISt17integral_constantIbLb0EES1A_IbLb1EEEEDaS16_S17_EUlS16_E_NS1_11comp_targetILNS1_3genE3ELNS1_11target_archE908ELNS1_3gpuE7ELNS1_3repE0EEENS1_30default_config_static_selectorELNS0_4arch9wavefront6targetE0EEEvT1_
; %bb.0:
	.section	.rodata,"a",@progbits
	.p2align	6, 0x0
	.amdhsa_kernel _ZN7rocprim17ROCPRIM_400000_NS6detail17trampoline_kernelINS0_14default_configENS1_25partition_config_selectorILNS1_17partition_subalgoE9EjjbEEZZNS1_14partition_implILS5_9ELb0ES3_jN6thrust23THRUST_200600_302600_NS6detail15normal_iteratorINS9_10device_ptrIjEEEESE_PNS0_10empty_typeENS0_5tupleIJSE_SF_EEENSH_IJNS9_16discard_iteratorINS9_11use_defaultEEESG_EEENS0_18inequality_wrapperINS9_8equal_toIjEEEEPmJSF_EEE10hipError_tPvRmT3_T4_T5_T6_T7_T9_mT8_P12ihipStream_tbDpT10_ENKUlT_T0_E_clISt17integral_constantIbLb0EES1A_IbLb1EEEEDaS16_S17_EUlS16_E_NS1_11comp_targetILNS1_3genE3ELNS1_11target_archE908ELNS1_3gpuE7ELNS1_3repE0EEENS1_30default_config_static_selectorELNS0_4arch9wavefront6targetE0EEEvT1_
		.amdhsa_group_segment_fixed_size 0
		.amdhsa_private_segment_fixed_size 0
		.amdhsa_kernarg_size 136
		.amdhsa_user_sgpr_count 15
		.amdhsa_user_sgpr_dispatch_ptr 0
		.amdhsa_user_sgpr_queue_ptr 0
		.amdhsa_user_sgpr_kernarg_segment_ptr 1
		.amdhsa_user_sgpr_dispatch_id 0
		.amdhsa_user_sgpr_private_segment_size 0
		.amdhsa_wavefront_size32 1
		.amdhsa_uses_dynamic_stack 0
		.amdhsa_enable_private_segment 0
		.amdhsa_system_sgpr_workgroup_id_x 1
		.amdhsa_system_sgpr_workgroup_id_y 0
		.amdhsa_system_sgpr_workgroup_id_z 0
		.amdhsa_system_sgpr_workgroup_info 0
		.amdhsa_system_vgpr_workitem_id 0
		.amdhsa_next_free_vgpr 1
		.amdhsa_next_free_sgpr 1
		.amdhsa_reserve_vcc 0
		.amdhsa_float_round_mode_32 0
		.amdhsa_float_round_mode_16_64 0
		.amdhsa_float_denorm_mode_32 3
		.amdhsa_float_denorm_mode_16_64 3
		.amdhsa_dx10_clamp 1
		.amdhsa_ieee_mode 1
		.amdhsa_fp16_overflow 0
		.amdhsa_workgroup_processor_mode 1
		.amdhsa_memory_ordered 1
		.amdhsa_forward_progress 0
		.amdhsa_shared_vgpr_count 0
		.amdhsa_exception_fp_ieee_invalid_op 0
		.amdhsa_exception_fp_denorm_src 0
		.amdhsa_exception_fp_ieee_div_zero 0
		.amdhsa_exception_fp_ieee_overflow 0
		.amdhsa_exception_fp_ieee_underflow 0
		.amdhsa_exception_fp_ieee_inexact 0
		.amdhsa_exception_int_div_zero 0
	.end_amdhsa_kernel
	.section	.text._ZN7rocprim17ROCPRIM_400000_NS6detail17trampoline_kernelINS0_14default_configENS1_25partition_config_selectorILNS1_17partition_subalgoE9EjjbEEZZNS1_14partition_implILS5_9ELb0ES3_jN6thrust23THRUST_200600_302600_NS6detail15normal_iteratorINS9_10device_ptrIjEEEESE_PNS0_10empty_typeENS0_5tupleIJSE_SF_EEENSH_IJNS9_16discard_iteratorINS9_11use_defaultEEESG_EEENS0_18inequality_wrapperINS9_8equal_toIjEEEEPmJSF_EEE10hipError_tPvRmT3_T4_T5_T6_T7_T9_mT8_P12ihipStream_tbDpT10_ENKUlT_T0_E_clISt17integral_constantIbLb0EES1A_IbLb1EEEEDaS16_S17_EUlS16_E_NS1_11comp_targetILNS1_3genE3ELNS1_11target_archE908ELNS1_3gpuE7ELNS1_3repE0EEENS1_30default_config_static_selectorELNS0_4arch9wavefront6targetE0EEEvT1_,"axG",@progbits,_ZN7rocprim17ROCPRIM_400000_NS6detail17trampoline_kernelINS0_14default_configENS1_25partition_config_selectorILNS1_17partition_subalgoE9EjjbEEZZNS1_14partition_implILS5_9ELb0ES3_jN6thrust23THRUST_200600_302600_NS6detail15normal_iteratorINS9_10device_ptrIjEEEESE_PNS0_10empty_typeENS0_5tupleIJSE_SF_EEENSH_IJNS9_16discard_iteratorINS9_11use_defaultEEESG_EEENS0_18inequality_wrapperINS9_8equal_toIjEEEEPmJSF_EEE10hipError_tPvRmT3_T4_T5_T6_T7_T9_mT8_P12ihipStream_tbDpT10_ENKUlT_T0_E_clISt17integral_constantIbLb0EES1A_IbLb1EEEEDaS16_S17_EUlS16_E_NS1_11comp_targetILNS1_3genE3ELNS1_11target_archE908ELNS1_3gpuE7ELNS1_3repE0EEENS1_30default_config_static_selectorELNS0_4arch9wavefront6targetE0EEEvT1_,comdat
.Lfunc_end848:
	.size	_ZN7rocprim17ROCPRIM_400000_NS6detail17trampoline_kernelINS0_14default_configENS1_25partition_config_selectorILNS1_17partition_subalgoE9EjjbEEZZNS1_14partition_implILS5_9ELb0ES3_jN6thrust23THRUST_200600_302600_NS6detail15normal_iteratorINS9_10device_ptrIjEEEESE_PNS0_10empty_typeENS0_5tupleIJSE_SF_EEENSH_IJNS9_16discard_iteratorINS9_11use_defaultEEESG_EEENS0_18inequality_wrapperINS9_8equal_toIjEEEEPmJSF_EEE10hipError_tPvRmT3_T4_T5_T6_T7_T9_mT8_P12ihipStream_tbDpT10_ENKUlT_T0_E_clISt17integral_constantIbLb0EES1A_IbLb1EEEEDaS16_S17_EUlS16_E_NS1_11comp_targetILNS1_3genE3ELNS1_11target_archE908ELNS1_3gpuE7ELNS1_3repE0EEENS1_30default_config_static_selectorELNS0_4arch9wavefront6targetE0EEEvT1_, .Lfunc_end848-_ZN7rocprim17ROCPRIM_400000_NS6detail17trampoline_kernelINS0_14default_configENS1_25partition_config_selectorILNS1_17partition_subalgoE9EjjbEEZZNS1_14partition_implILS5_9ELb0ES3_jN6thrust23THRUST_200600_302600_NS6detail15normal_iteratorINS9_10device_ptrIjEEEESE_PNS0_10empty_typeENS0_5tupleIJSE_SF_EEENSH_IJNS9_16discard_iteratorINS9_11use_defaultEEESG_EEENS0_18inequality_wrapperINS9_8equal_toIjEEEEPmJSF_EEE10hipError_tPvRmT3_T4_T5_T6_T7_T9_mT8_P12ihipStream_tbDpT10_ENKUlT_T0_E_clISt17integral_constantIbLb0EES1A_IbLb1EEEEDaS16_S17_EUlS16_E_NS1_11comp_targetILNS1_3genE3ELNS1_11target_archE908ELNS1_3gpuE7ELNS1_3repE0EEENS1_30default_config_static_selectorELNS0_4arch9wavefront6targetE0EEEvT1_
                                        ; -- End function
	.section	.AMDGPU.csdata,"",@progbits
; Kernel info:
; codeLenInByte = 0
; NumSgprs: 0
; NumVgprs: 0
; ScratchSize: 0
; MemoryBound: 0
; FloatMode: 240
; IeeeMode: 1
; LDSByteSize: 0 bytes/workgroup (compile time only)
; SGPRBlocks: 0
; VGPRBlocks: 0
; NumSGPRsForWavesPerEU: 1
; NumVGPRsForWavesPerEU: 1
; Occupancy: 16
; WaveLimiterHint : 0
; COMPUTE_PGM_RSRC2:SCRATCH_EN: 0
; COMPUTE_PGM_RSRC2:USER_SGPR: 15
; COMPUTE_PGM_RSRC2:TRAP_HANDLER: 0
; COMPUTE_PGM_RSRC2:TGID_X_EN: 1
; COMPUTE_PGM_RSRC2:TGID_Y_EN: 0
; COMPUTE_PGM_RSRC2:TGID_Z_EN: 0
; COMPUTE_PGM_RSRC2:TIDIG_COMP_CNT: 0
	.section	.text._ZN7rocprim17ROCPRIM_400000_NS6detail17trampoline_kernelINS0_14default_configENS1_25partition_config_selectorILNS1_17partition_subalgoE9EjjbEEZZNS1_14partition_implILS5_9ELb0ES3_jN6thrust23THRUST_200600_302600_NS6detail15normal_iteratorINS9_10device_ptrIjEEEESE_PNS0_10empty_typeENS0_5tupleIJSE_SF_EEENSH_IJNS9_16discard_iteratorINS9_11use_defaultEEESG_EEENS0_18inequality_wrapperINS9_8equal_toIjEEEEPmJSF_EEE10hipError_tPvRmT3_T4_T5_T6_T7_T9_mT8_P12ihipStream_tbDpT10_ENKUlT_T0_E_clISt17integral_constantIbLb0EES1A_IbLb1EEEEDaS16_S17_EUlS16_E_NS1_11comp_targetILNS1_3genE2ELNS1_11target_archE906ELNS1_3gpuE6ELNS1_3repE0EEENS1_30default_config_static_selectorELNS0_4arch9wavefront6targetE0EEEvT1_,"axG",@progbits,_ZN7rocprim17ROCPRIM_400000_NS6detail17trampoline_kernelINS0_14default_configENS1_25partition_config_selectorILNS1_17partition_subalgoE9EjjbEEZZNS1_14partition_implILS5_9ELb0ES3_jN6thrust23THRUST_200600_302600_NS6detail15normal_iteratorINS9_10device_ptrIjEEEESE_PNS0_10empty_typeENS0_5tupleIJSE_SF_EEENSH_IJNS9_16discard_iteratorINS9_11use_defaultEEESG_EEENS0_18inequality_wrapperINS9_8equal_toIjEEEEPmJSF_EEE10hipError_tPvRmT3_T4_T5_T6_T7_T9_mT8_P12ihipStream_tbDpT10_ENKUlT_T0_E_clISt17integral_constantIbLb0EES1A_IbLb1EEEEDaS16_S17_EUlS16_E_NS1_11comp_targetILNS1_3genE2ELNS1_11target_archE906ELNS1_3gpuE6ELNS1_3repE0EEENS1_30default_config_static_selectorELNS0_4arch9wavefront6targetE0EEEvT1_,comdat
	.protected	_ZN7rocprim17ROCPRIM_400000_NS6detail17trampoline_kernelINS0_14default_configENS1_25partition_config_selectorILNS1_17partition_subalgoE9EjjbEEZZNS1_14partition_implILS5_9ELb0ES3_jN6thrust23THRUST_200600_302600_NS6detail15normal_iteratorINS9_10device_ptrIjEEEESE_PNS0_10empty_typeENS0_5tupleIJSE_SF_EEENSH_IJNS9_16discard_iteratorINS9_11use_defaultEEESG_EEENS0_18inequality_wrapperINS9_8equal_toIjEEEEPmJSF_EEE10hipError_tPvRmT3_T4_T5_T6_T7_T9_mT8_P12ihipStream_tbDpT10_ENKUlT_T0_E_clISt17integral_constantIbLb0EES1A_IbLb1EEEEDaS16_S17_EUlS16_E_NS1_11comp_targetILNS1_3genE2ELNS1_11target_archE906ELNS1_3gpuE6ELNS1_3repE0EEENS1_30default_config_static_selectorELNS0_4arch9wavefront6targetE0EEEvT1_ ; -- Begin function _ZN7rocprim17ROCPRIM_400000_NS6detail17trampoline_kernelINS0_14default_configENS1_25partition_config_selectorILNS1_17partition_subalgoE9EjjbEEZZNS1_14partition_implILS5_9ELb0ES3_jN6thrust23THRUST_200600_302600_NS6detail15normal_iteratorINS9_10device_ptrIjEEEESE_PNS0_10empty_typeENS0_5tupleIJSE_SF_EEENSH_IJNS9_16discard_iteratorINS9_11use_defaultEEESG_EEENS0_18inequality_wrapperINS9_8equal_toIjEEEEPmJSF_EEE10hipError_tPvRmT3_T4_T5_T6_T7_T9_mT8_P12ihipStream_tbDpT10_ENKUlT_T0_E_clISt17integral_constantIbLb0EES1A_IbLb1EEEEDaS16_S17_EUlS16_E_NS1_11comp_targetILNS1_3genE2ELNS1_11target_archE906ELNS1_3gpuE6ELNS1_3repE0EEENS1_30default_config_static_selectorELNS0_4arch9wavefront6targetE0EEEvT1_
	.globl	_ZN7rocprim17ROCPRIM_400000_NS6detail17trampoline_kernelINS0_14default_configENS1_25partition_config_selectorILNS1_17partition_subalgoE9EjjbEEZZNS1_14partition_implILS5_9ELb0ES3_jN6thrust23THRUST_200600_302600_NS6detail15normal_iteratorINS9_10device_ptrIjEEEESE_PNS0_10empty_typeENS0_5tupleIJSE_SF_EEENSH_IJNS9_16discard_iteratorINS9_11use_defaultEEESG_EEENS0_18inequality_wrapperINS9_8equal_toIjEEEEPmJSF_EEE10hipError_tPvRmT3_T4_T5_T6_T7_T9_mT8_P12ihipStream_tbDpT10_ENKUlT_T0_E_clISt17integral_constantIbLb0EES1A_IbLb1EEEEDaS16_S17_EUlS16_E_NS1_11comp_targetILNS1_3genE2ELNS1_11target_archE906ELNS1_3gpuE6ELNS1_3repE0EEENS1_30default_config_static_selectorELNS0_4arch9wavefront6targetE0EEEvT1_
	.p2align	8
	.type	_ZN7rocprim17ROCPRIM_400000_NS6detail17trampoline_kernelINS0_14default_configENS1_25partition_config_selectorILNS1_17partition_subalgoE9EjjbEEZZNS1_14partition_implILS5_9ELb0ES3_jN6thrust23THRUST_200600_302600_NS6detail15normal_iteratorINS9_10device_ptrIjEEEESE_PNS0_10empty_typeENS0_5tupleIJSE_SF_EEENSH_IJNS9_16discard_iteratorINS9_11use_defaultEEESG_EEENS0_18inequality_wrapperINS9_8equal_toIjEEEEPmJSF_EEE10hipError_tPvRmT3_T4_T5_T6_T7_T9_mT8_P12ihipStream_tbDpT10_ENKUlT_T0_E_clISt17integral_constantIbLb0EES1A_IbLb1EEEEDaS16_S17_EUlS16_E_NS1_11comp_targetILNS1_3genE2ELNS1_11target_archE906ELNS1_3gpuE6ELNS1_3repE0EEENS1_30default_config_static_selectorELNS0_4arch9wavefront6targetE0EEEvT1_,@function
_ZN7rocprim17ROCPRIM_400000_NS6detail17trampoline_kernelINS0_14default_configENS1_25partition_config_selectorILNS1_17partition_subalgoE9EjjbEEZZNS1_14partition_implILS5_9ELb0ES3_jN6thrust23THRUST_200600_302600_NS6detail15normal_iteratorINS9_10device_ptrIjEEEESE_PNS0_10empty_typeENS0_5tupleIJSE_SF_EEENSH_IJNS9_16discard_iteratorINS9_11use_defaultEEESG_EEENS0_18inequality_wrapperINS9_8equal_toIjEEEEPmJSF_EEE10hipError_tPvRmT3_T4_T5_T6_T7_T9_mT8_P12ihipStream_tbDpT10_ENKUlT_T0_E_clISt17integral_constantIbLb0EES1A_IbLb1EEEEDaS16_S17_EUlS16_E_NS1_11comp_targetILNS1_3genE2ELNS1_11target_archE906ELNS1_3gpuE6ELNS1_3repE0EEENS1_30default_config_static_selectorELNS0_4arch9wavefront6targetE0EEEvT1_: ; @_ZN7rocprim17ROCPRIM_400000_NS6detail17trampoline_kernelINS0_14default_configENS1_25partition_config_selectorILNS1_17partition_subalgoE9EjjbEEZZNS1_14partition_implILS5_9ELb0ES3_jN6thrust23THRUST_200600_302600_NS6detail15normal_iteratorINS9_10device_ptrIjEEEESE_PNS0_10empty_typeENS0_5tupleIJSE_SF_EEENSH_IJNS9_16discard_iteratorINS9_11use_defaultEEESG_EEENS0_18inequality_wrapperINS9_8equal_toIjEEEEPmJSF_EEE10hipError_tPvRmT3_T4_T5_T6_T7_T9_mT8_P12ihipStream_tbDpT10_ENKUlT_T0_E_clISt17integral_constantIbLb0EES1A_IbLb1EEEEDaS16_S17_EUlS16_E_NS1_11comp_targetILNS1_3genE2ELNS1_11target_archE906ELNS1_3gpuE6ELNS1_3repE0EEENS1_30default_config_static_selectorELNS0_4arch9wavefront6targetE0EEEvT1_
; %bb.0:
	.section	.rodata,"a",@progbits
	.p2align	6, 0x0
	.amdhsa_kernel _ZN7rocprim17ROCPRIM_400000_NS6detail17trampoline_kernelINS0_14default_configENS1_25partition_config_selectorILNS1_17partition_subalgoE9EjjbEEZZNS1_14partition_implILS5_9ELb0ES3_jN6thrust23THRUST_200600_302600_NS6detail15normal_iteratorINS9_10device_ptrIjEEEESE_PNS0_10empty_typeENS0_5tupleIJSE_SF_EEENSH_IJNS9_16discard_iteratorINS9_11use_defaultEEESG_EEENS0_18inequality_wrapperINS9_8equal_toIjEEEEPmJSF_EEE10hipError_tPvRmT3_T4_T5_T6_T7_T9_mT8_P12ihipStream_tbDpT10_ENKUlT_T0_E_clISt17integral_constantIbLb0EES1A_IbLb1EEEEDaS16_S17_EUlS16_E_NS1_11comp_targetILNS1_3genE2ELNS1_11target_archE906ELNS1_3gpuE6ELNS1_3repE0EEENS1_30default_config_static_selectorELNS0_4arch9wavefront6targetE0EEEvT1_
		.amdhsa_group_segment_fixed_size 0
		.amdhsa_private_segment_fixed_size 0
		.amdhsa_kernarg_size 136
		.amdhsa_user_sgpr_count 15
		.amdhsa_user_sgpr_dispatch_ptr 0
		.amdhsa_user_sgpr_queue_ptr 0
		.amdhsa_user_sgpr_kernarg_segment_ptr 1
		.amdhsa_user_sgpr_dispatch_id 0
		.amdhsa_user_sgpr_private_segment_size 0
		.amdhsa_wavefront_size32 1
		.amdhsa_uses_dynamic_stack 0
		.amdhsa_enable_private_segment 0
		.amdhsa_system_sgpr_workgroup_id_x 1
		.amdhsa_system_sgpr_workgroup_id_y 0
		.amdhsa_system_sgpr_workgroup_id_z 0
		.amdhsa_system_sgpr_workgroup_info 0
		.amdhsa_system_vgpr_workitem_id 0
		.amdhsa_next_free_vgpr 1
		.amdhsa_next_free_sgpr 1
		.amdhsa_reserve_vcc 0
		.amdhsa_float_round_mode_32 0
		.amdhsa_float_round_mode_16_64 0
		.amdhsa_float_denorm_mode_32 3
		.amdhsa_float_denorm_mode_16_64 3
		.amdhsa_dx10_clamp 1
		.amdhsa_ieee_mode 1
		.amdhsa_fp16_overflow 0
		.amdhsa_workgroup_processor_mode 1
		.amdhsa_memory_ordered 1
		.amdhsa_forward_progress 0
		.amdhsa_shared_vgpr_count 0
		.amdhsa_exception_fp_ieee_invalid_op 0
		.amdhsa_exception_fp_denorm_src 0
		.amdhsa_exception_fp_ieee_div_zero 0
		.amdhsa_exception_fp_ieee_overflow 0
		.amdhsa_exception_fp_ieee_underflow 0
		.amdhsa_exception_fp_ieee_inexact 0
		.amdhsa_exception_int_div_zero 0
	.end_amdhsa_kernel
	.section	.text._ZN7rocprim17ROCPRIM_400000_NS6detail17trampoline_kernelINS0_14default_configENS1_25partition_config_selectorILNS1_17partition_subalgoE9EjjbEEZZNS1_14partition_implILS5_9ELb0ES3_jN6thrust23THRUST_200600_302600_NS6detail15normal_iteratorINS9_10device_ptrIjEEEESE_PNS0_10empty_typeENS0_5tupleIJSE_SF_EEENSH_IJNS9_16discard_iteratorINS9_11use_defaultEEESG_EEENS0_18inequality_wrapperINS9_8equal_toIjEEEEPmJSF_EEE10hipError_tPvRmT3_T4_T5_T6_T7_T9_mT8_P12ihipStream_tbDpT10_ENKUlT_T0_E_clISt17integral_constantIbLb0EES1A_IbLb1EEEEDaS16_S17_EUlS16_E_NS1_11comp_targetILNS1_3genE2ELNS1_11target_archE906ELNS1_3gpuE6ELNS1_3repE0EEENS1_30default_config_static_selectorELNS0_4arch9wavefront6targetE0EEEvT1_,"axG",@progbits,_ZN7rocprim17ROCPRIM_400000_NS6detail17trampoline_kernelINS0_14default_configENS1_25partition_config_selectorILNS1_17partition_subalgoE9EjjbEEZZNS1_14partition_implILS5_9ELb0ES3_jN6thrust23THRUST_200600_302600_NS6detail15normal_iteratorINS9_10device_ptrIjEEEESE_PNS0_10empty_typeENS0_5tupleIJSE_SF_EEENSH_IJNS9_16discard_iteratorINS9_11use_defaultEEESG_EEENS0_18inequality_wrapperINS9_8equal_toIjEEEEPmJSF_EEE10hipError_tPvRmT3_T4_T5_T6_T7_T9_mT8_P12ihipStream_tbDpT10_ENKUlT_T0_E_clISt17integral_constantIbLb0EES1A_IbLb1EEEEDaS16_S17_EUlS16_E_NS1_11comp_targetILNS1_3genE2ELNS1_11target_archE906ELNS1_3gpuE6ELNS1_3repE0EEENS1_30default_config_static_selectorELNS0_4arch9wavefront6targetE0EEEvT1_,comdat
.Lfunc_end849:
	.size	_ZN7rocprim17ROCPRIM_400000_NS6detail17trampoline_kernelINS0_14default_configENS1_25partition_config_selectorILNS1_17partition_subalgoE9EjjbEEZZNS1_14partition_implILS5_9ELb0ES3_jN6thrust23THRUST_200600_302600_NS6detail15normal_iteratorINS9_10device_ptrIjEEEESE_PNS0_10empty_typeENS0_5tupleIJSE_SF_EEENSH_IJNS9_16discard_iteratorINS9_11use_defaultEEESG_EEENS0_18inequality_wrapperINS9_8equal_toIjEEEEPmJSF_EEE10hipError_tPvRmT3_T4_T5_T6_T7_T9_mT8_P12ihipStream_tbDpT10_ENKUlT_T0_E_clISt17integral_constantIbLb0EES1A_IbLb1EEEEDaS16_S17_EUlS16_E_NS1_11comp_targetILNS1_3genE2ELNS1_11target_archE906ELNS1_3gpuE6ELNS1_3repE0EEENS1_30default_config_static_selectorELNS0_4arch9wavefront6targetE0EEEvT1_, .Lfunc_end849-_ZN7rocprim17ROCPRIM_400000_NS6detail17trampoline_kernelINS0_14default_configENS1_25partition_config_selectorILNS1_17partition_subalgoE9EjjbEEZZNS1_14partition_implILS5_9ELb0ES3_jN6thrust23THRUST_200600_302600_NS6detail15normal_iteratorINS9_10device_ptrIjEEEESE_PNS0_10empty_typeENS0_5tupleIJSE_SF_EEENSH_IJNS9_16discard_iteratorINS9_11use_defaultEEESG_EEENS0_18inequality_wrapperINS9_8equal_toIjEEEEPmJSF_EEE10hipError_tPvRmT3_T4_T5_T6_T7_T9_mT8_P12ihipStream_tbDpT10_ENKUlT_T0_E_clISt17integral_constantIbLb0EES1A_IbLb1EEEEDaS16_S17_EUlS16_E_NS1_11comp_targetILNS1_3genE2ELNS1_11target_archE906ELNS1_3gpuE6ELNS1_3repE0EEENS1_30default_config_static_selectorELNS0_4arch9wavefront6targetE0EEEvT1_
                                        ; -- End function
	.section	.AMDGPU.csdata,"",@progbits
; Kernel info:
; codeLenInByte = 0
; NumSgprs: 0
; NumVgprs: 0
; ScratchSize: 0
; MemoryBound: 0
; FloatMode: 240
; IeeeMode: 1
; LDSByteSize: 0 bytes/workgroup (compile time only)
; SGPRBlocks: 0
; VGPRBlocks: 0
; NumSGPRsForWavesPerEU: 1
; NumVGPRsForWavesPerEU: 1
; Occupancy: 16
; WaveLimiterHint : 0
; COMPUTE_PGM_RSRC2:SCRATCH_EN: 0
; COMPUTE_PGM_RSRC2:USER_SGPR: 15
; COMPUTE_PGM_RSRC2:TRAP_HANDLER: 0
; COMPUTE_PGM_RSRC2:TGID_X_EN: 1
; COMPUTE_PGM_RSRC2:TGID_Y_EN: 0
; COMPUTE_PGM_RSRC2:TGID_Z_EN: 0
; COMPUTE_PGM_RSRC2:TIDIG_COMP_CNT: 0
	.section	.text._ZN7rocprim17ROCPRIM_400000_NS6detail17trampoline_kernelINS0_14default_configENS1_25partition_config_selectorILNS1_17partition_subalgoE9EjjbEEZZNS1_14partition_implILS5_9ELb0ES3_jN6thrust23THRUST_200600_302600_NS6detail15normal_iteratorINS9_10device_ptrIjEEEESE_PNS0_10empty_typeENS0_5tupleIJSE_SF_EEENSH_IJNS9_16discard_iteratorINS9_11use_defaultEEESG_EEENS0_18inequality_wrapperINS9_8equal_toIjEEEEPmJSF_EEE10hipError_tPvRmT3_T4_T5_T6_T7_T9_mT8_P12ihipStream_tbDpT10_ENKUlT_T0_E_clISt17integral_constantIbLb0EES1A_IbLb1EEEEDaS16_S17_EUlS16_E_NS1_11comp_targetILNS1_3genE10ELNS1_11target_archE1200ELNS1_3gpuE4ELNS1_3repE0EEENS1_30default_config_static_selectorELNS0_4arch9wavefront6targetE0EEEvT1_,"axG",@progbits,_ZN7rocprim17ROCPRIM_400000_NS6detail17trampoline_kernelINS0_14default_configENS1_25partition_config_selectorILNS1_17partition_subalgoE9EjjbEEZZNS1_14partition_implILS5_9ELb0ES3_jN6thrust23THRUST_200600_302600_NS6detail15normal_iteratorINS9_10device_ptrIjEEEESE_PNS0_10empty_typeENS0_5tupleIJSE_SF_EEENSH_IJNS9_16discard_iteratorINS9_11use_defaultEEESG_EEENS0_18inequality_wrapperINS9_8equal_toIjEEEEPmJSF_EEE10hipError_tPvRmT3_T4_T5_T6_T7_T9_mT8_P12ihipStream_tbDpT10_ENKUlT_T0_E_clISt17integral_constantIbLb0EES1A_IbLb1EEEEDaS16_S17_EUlS16_E_NS1_11comp_targetILNS1_3genE10ELNS1_11target_archE1200ELNS1_3gpuE4ELNS1_3repE0EEENS1_30default_config_static_selectorELNS0_4arch9wavefront6targetE0EEEvT1_,comdat
	.protected	_ZN7rocprim17ROCPRIM_400000_NS6detail17trampoline_kernelINS0_14default_configENS1_25partition_config_selectorILNS1_17partition_subalgoE9EjjbEEZZNS1_14partition_implILS5_9ELb0ES3_jN6thrust23THRUST_200600_302600_NS6detail15normal_iteratorINS9_10device_ptrIjEEEESE_PNS0_10empty_typeENS0_5tupleIJSE_SF_EEENSH_IJNS9_16discard_iteratorINS9_11use_defaultEEESG_EEENS0_18inequality_wrapperINS9_8equal_toIjEEEEPmJSF_EEE10hipError_tPvRmT3_T4_T5_T6_T7_T9_mT8_P12ihipStream_tbDpT10_ENKUlT_T0_E_clISt17integral_constantIbLb0EES1A_IbLb1EEEEDaS16_S17_EUlS16_E_NS1_11comp_targetILNS1_3genE10ELNS1_11target_archE1200ELNS1_3gpuE4ELNS1_3repE0EEENS1_30default_config_static_selectorELNS0_4arch9wavefront6targetE0EEEvT1_ ; -- Begin function _ZN7rocprim17ROCPRIM_400000_NS6detail17trampoline_kernelINS0_14default_configENS1_25partition_config_selectorILNS1_17partition_subalgoE9EjjbEEZZNS1_14partition_implILS5_9ELb0ES3_jN6thrust23THRUST_200600_302600_NS6detail15normal_iteratorINS9_10device_ptrIjEEEESE_PNS0_10empty_typeENS0_5tupleIJSE_SF_EEENSH_IJNS9_16discard_iteratorINS9_11use_defaultEEESG_EEENS0_18inequality_wrapperINS9_8equal_toIjEEEEPmJSF_EEE10hipError_tPvRmT3_T4_T5_T6_T7_T9_mT8_P12ihipStream_tbDpT10_ENKUlT_T0_E_clISt17integral_constantIbLb0EES1A_IbLb1EEEEDaS16_S17_EUlS16_E_NS1_11comp_targetILNS1_3genE10ELNS1_11target_archE1200ELNS1_3gpuE4ELNS1_3repE0EEENS1_30default_config_static_selectorELNS0_4arch9wavefront6targetE0EEEvT1_
	.globl	_ZN7rocprim17ROCPRIM_400000_NS6detail17trampoline_kernelINS0_14default_configENS1_25partition_config_selectorILNS1_17partition_subalgoE9EjjbEEZZNS1_14partition_implILS5_9ELb0ES3_jN6thrust23THRUST_200600_302600_NS6detail15normal_iteratorINS9_10device_ptrIjEEEESE_PNS0_10empty_typeENS0_5tupleIJSE_SF_EEENSH_IJNS9_16discard_iteratorINS9_11use_defaultEEESG_EEENS0_18inequality_wrapperINS9_8equal_toIjEEEEPmJSF_EEE10hipError_tPvRmT3_T4_T5_T6_T7_T9_mT8_P12ihipStream_tbDpT10_ENKUlT_T0_E_clISt17integral_constantIbLb0EES1A_IbLb1EEEEDaS16_S17_EUlS16_E_NS1_11comp_targetILNS1_3genE10ELNS1_11target_archE1200ELNS1_3gpuE4ELNS1_3repE0EEENS1_30default_config_static_selectorELNS0_4arch9wavefront6targetE0EEEvT1_
	.p2align	8
	.type	_ZN7rocprim17ROCPRIM_400000_NS6detail17trampoline_kernelINS0_14default_configENS1_25partition_config_selectorILNS1_17partition_subalgoE9EjjbEEZZNS1_14partition_implILS5_9ELb0ES3_jN6thrust23THRUST_200600_302600_NS6detail15normal_iteratorINS9_10device_ptrIjEEEESE_PNS0_10empty_typeENS0_5tupleIJSE_SF_EEENSH_IJNS9_16discard_iteratorINS9_11use_defaultEEESG_EEENS0_18inequality_wrapperINS9_8equal_toIjEEEEPmJSF_EEE10hipError_tPvRmT3_T4_T5_T6_T7_T9_mT8_P12ihipStream_tbDpT10_ENKUlT_T0_E_clISt17integral_constantIbLb0EES1A_IbLb1EEEEDaS16_S17_EUlS16_E_NS1_11comp_targetILNS1_3genE10ELNS1_11target_archE1200ELNS1_3gpuE4ELNS1_3repE0EEENS1_30default_config_static_selectorELNS0_4arch9wavefront6targetE0EEEvT1_,@function
_ZN7rocprim17ROCPRIM_400000_NS6detail17trampoline_kernelINS0_14default_configENS1_25partition_config_selectorILNS1_17partition_subalgoE9EjjbEEZZNS1_14partition_implILS5_9ELb0ES3_jN6thrust23THRUST_200600_302600_NS6detail15normal_iteratorINS9_10device_ptrIjEEEESE_PNS0_10empty_typeENS0_5tupleIJSE_SF_EEENSH_IJNS9_16discard_iteratorINS9_11use_defaultEEESG_EEENS0_18inequality_wrapperINS9_8equal_toIjEEEEPmJSF_EEE10hipError_tPvRmT3_T4_T5_T6_T7_T9_mT8_P12ihipStream_tbDpT10_ENKUlT_T0_E_clISt17integral_constantIbLb0EES1A_IbLb1EEEEDaS16_S17_EUlS16_E_NS1_11comp_targetILNS1_3genE10ELNS1_11target_archE1200ELNS1_3gpuE4ELNS1_3repE0EEENS1_30default_config_static_selectorELNS0_4arch9wavefront6targetE0EEEvT1_: ; @_ZN7rocprim17ROCPRIM_400000_NS6detail17trampoline_kernelINS0_14default_configENS1_25partition_config_selectorILNS1_17partition_subalgoE9EjjbEEZZNS1_14partition_implILS5_9ELb0ES3_jN6thrust23THRUST_200600_302600_NS6detail15normal_iteratorINS9_10device_ptrIjEEEESE_PNS0_10empty_typeENS0_5tupleIJSE_SF_EEENSH_IJNS9_16discard_iteratorINS9_11use_defaultEEESG_EEENS0_18inequality_wrapperINS9_8equal_toIjEEEEPmJSF_EEE10hipError_tPvRmT3_T4_T5_T6_T7_T9_mT8_P12ihipStream_tbDpT10_ENKUlT_T0_E_clISt17integral_constantIbLb0EES1A_IbLb1EEEEDaS16_S17_EUlS16_E_NS1_11comp_targetILNS1_3genE10ELNS1_11target_archE1200ELNS1_3gpuE4ELNS1_3repE0EEENS1_30default_config_static_selectorELNS0_4arch9wavefront6targetE0EEEvT1_
; %bb.0:
	.section	.rodata,"a",@progbits
	.p2align	6, 0x0
	.amdhsa_kernel _ZN7rocprim17ROCPRIM_400000_NS6detail17trampoline_kernelINS0_14default_configENS1_25partition_config_selectorILNS1_17partition_subalgoE9EjjbEEZZNS1_14partition_implILS5_9ELb0ES3_jN6thrust23THRUST_200600_302600_NS6detail15normal_iteratorINS9_10device_ptrIjEEEESE_PNS0_10empty_typeENS0_5tupleIJSE_SF_EEENSH_IJNS9_16discard_iteratorINS9_11use_defaultEEESG_EEENS0_18inequality_wrapperINS9_8equal_toIjEEEEPmJSF_EEE10hipError_tPvRmT3_T4_T5_T6_T7_T9_mT8_P12ihipStream_tbDpT10_ENKUlT_T0_E_clISt17integral_constantIbLb0EES1A_IbLb1EEEEDaS16_S17_EUlS16_E_NS1_11comp_targetILNS1_3genE10ELNS1_11target_archE1200ELNS1_3gpuE4ELNS1_3repE0EEENS1_30default_config_static_selectorELNS0_4arch9wavefront6targetE0EEEvT1_
		.amdhsa_group_segment_fixed_size 0
		.amdhsa_private_segment_fixed_size 0
		.amdhsa_kernarg_size 136
		.amdhsa_user_sgpr_count 15
		.amdhsa_user_sgpr_dispatch_ptr 0
		.amdhsa_user_sgpr_queue_ptr 0
		.amdhsa_user_sgpr_kernarg_segment_ptr 1
		.amdhsa_user_sgpr_dispatch_id 0
		.amdhsa_user_sgpr_private_segment_size 0
		.amdhsa_wavefront_size32 1
		.amdhsa_uses_dynamic_stack 0
		.amdhsa_enable_private_segment 0
		.amdhsa_system_sgpr_workgroup_id_x 1
		.amdhsa_system_sgpr_workgroup_id_y 0
		.amdhsa_system_sgpr_workgroup_id_z 0
		.amdhsa_system_sgpr_workgroup_info 0
		.amdhsa_system_vgpr_workitem_id 0
		.amdhsa_next_free_vgpr 1
		.amdhsa_next_free_sgpr 1
		.amdhsa_reserve_vcc 0
		.amdhsa_float_round_mode_32 0
		.amdhsa_float_round_mode_16_64 0
		.amdhsa_float_denorm_mode_32 3
		.amdhsa_float_denorm_mode_16_64 3
		.amdhsa_dx10_clamp 1
		.amdhsa_ieee_mode 1
		.amdhsa_fp16_overflow 0
		.amdhsa_workgroup_processor_mode 1
		.amdhsa_memory_ordered 1
		.amdhsa_forward_progress 0
		.amdhsa_shared_vgpr_count 0
		.amdhsa_exception_fp_ieee_invalid_op 0
		.amdhsa_exception_fp_denorm_src 0
		.amdhsa_exception_fp_ieee_div_zero 0
		.amdhsa_exception_fp_ieee_overflow 0
		.amdhsa_exception_fp_ieee_underflow 0
		.amdhsa_exception_fp_ieee_inexact 0
		.amdhsa_exception_int_div_zero 0
	.end_amdhsa_kernel
	.section	.text._ZN7rocprim17ROCPRIM_400000_NS6detail17trampoline_kernelINS0_14default_configENS1_25partition_config_selectorILNS1_17partition_subalgoE9EjjbEEZZNS1_14partition_implILS5_9ELb0ES3_jN6thrust23THRUST_200600_302600_NS6detail15normal_iteratorINS9_10device_ptrIjEEEESE_PNS0_10empty_typeENS0_5tupleIJSE_SF_EEENSH_IJNS9_16discard_iteratorINS9_11use_defaultEEESG_EEENS0_18inequality_wrapperINS9_8equal_toIjEEEEPmJSF_EEE10hipError_tPvRmT3_T4_T5_T6_T7_T9_mT8_P12ihipStream_tbDpT10_ENKUlT_T0_E_clISt17integral_constantIbLb0EES1A_IbLb1EEEEDaS16_S17_EUlS16_E_NS1_11comp_targetILNS1_3genE10ELNS1_11target_archE1200ELNS1_3gpuE4ELNS1_3repE0EEENS1_30default_config_static_selectorELNS0_4arch9wavefront6targetE0EEEvT1_,"axG",@progbits,_ZN7rocprim17ROCPRIM_400000_NS6detail17trampoline_kernelINS0_14default_configENS1_25partition_config_selectorILNS1_17partition_subalgoE9EjjbEEZZNS1_14partition_implILS5_9ELb0ES3_jN6thrust23THRUST_200600_302600_NS6detail15normal_iteratorINS9_10device_ptrIjEEEESE_PNS0_10empty_typeENS0_5tupleIJSE_SF_EEENSH_IJNS9_16discard_iteratorINS9_11use_defaultEEESG_EEENS0_18inequality_wrapperINS9_8equal_toIjEEEEPmJSF_EEE10hipError_tPvRmT3_T4_T5_T6_T7_T9_mT8_P12ihipStream_tbDpT10_ENKUlT_T0_E_clISt17integral_constantIbLb0EES1A_IbLb1EEEEDaS16_S17_EUlS16_E_NS1_11comp_targetILNS1_3genE10ELNS1_11target_archE1200ELNS1_3gpuE4ELNS1_3repE0EEENS1_30default_config_static_selectorELNS0_4arch9wavefront6targetE0EEEvT1_,comdat
.Lfunc_end850:
	.size	_ZN7rocprim17ROCPRIM_400000_NS6detail17trampoline_kernelINS0_14default_configENS1_25partition_config_selectorILNS1_17partition_subalgoE9EjjbEEZZNS1_14partition_implILS5_9ELb0ES3_jN6thrust23THRUST_200600_302600_NS6detail15normal_iteratorINS9_10device_ptrIjEEEESE_PNS0_10empty_typeENS0_5tupleIJSE_SF_EEENSH_IJNS9_16discard_iteratorINS9_11use_defaultEEESG_EEENS0_18inequality_wrapperINS9_8equal_toIjEEEEPmJSF_EEE10hipError_tPvRmT3_T4_T5_T6_T7_T9_mT8_P12ihipStream_tbDpT10_ENKUlT_T0_E_clISt17integral_constantIbLb0EES1A_IbLb1EEEEDaS16_S17_EUlS16_E_NS1_11comp_targetILNS1_3genE10ELNS1_11target_archE1200ELNS1_3gpuE4ELNS1_3repE0EEENS1_30default_config_static_selectorELNS0_4arch9wavefront6targetE0EEEvT1_, .Lfunc_end850-_ZN7rocprim17ROCPRIM_400000_NS6detail17trampoline_kernelINS0_14default_configENS1_25partition_config_selectorILNS1_17partition_subalgoE9EjjbEEZZNS1_14partition_implILS5_9ELb0ES3_jN6thrust23THRUST_200600_302600_NS6detail15normal_iteratorINS9_10device_ptrIjEEEESE_PNS0_10empty_typeENS0_5tupleIJSE_SF_EEENSH_IJNS9_16discard_iteratorINS9_11use_defaultEEESG_EEENS0_18inequality_wrapperINS9_8equal_toIjEEEEPmJSF_EEE10hipError_tPvRmT3_T4_T5_T6_T7_T9_mT8_P12ihipStream_tbDpT10_ENKUlT_T0_E_clISt17integral_constantIbLb0EES1A_IbLb1EEEEDaS16_S17_EUlS16_E_NS1_11comp_targetILNS1_3genE10ELNS1_11target_archE1200ELNS1_3gpuE4ELNS1_3repE0EEENS1_30default_config_static_selectorELNS0_4arch9wavefront6targetE0EEEvT1_
                                        ; -- End function
	.section	.AMDGPU.csdata,"",@progbits
; Kernel info:
; codeLenInByte = 0
; NumSgprs: 0
; NumVgprs: 0
; ScratchSize: 0
; MemoryBound: 0
; FloatMode: 240
; IeeeMode: 1
; LDSByteSize: 0 bytes/workgroup (compile time only)
; SGPRBlocks: 0
; VGPRBlocks: 0
; NumSGPRsForWavesPerEU: 1
; NumVGPRsForWavesPerEU: 1
; Occupancy: 15
; WaveLimiterHint : 0
; COMPUTE_PGM_RSRC2:SCRATCH_EN: 0
; COMPUTE_PGM_RSRC2:USER_SGPR: 15
; COMPUTE_PGM_RSRC2:TRAP_HANDLER: 0
; COMPUTE_PGM_RSRC2:TGID_X_EN: 1
; COMPUTE_PGM_RSRC2:TGID_Y_EN: 0
; COMPUTE_PGM_RSRC2:TGID_Z_EN: 0
; COMPUTE_PGM_RSRC2:TIDIG_COMP_CNT: 0
	.section	.text._ZN7rocprim17ROCPRIM_400000_NS6detail17trampoline_kernelINS0_14default_configENS1_25partition_config_selectorILNS1_17partition_subalgoE9EjjbEEZZNS1_14partition_implILS5_9ELb0ES3_jN6thrust23THRUST_200600_302600_NS6detail15normal_iteratorINS9_10device_ptrIjEEEESE_PNS0_10empty_typeENS0_5tupleIJSE_SF_EEENSH_IJNS9_16discard_iteratorINS9_11use_defaultEEESG_EEENS0_18inequality_wrapperINS9_8equal_toIjEEEEPmJSF_EEE10hipError_tPvRmT3_T4_T5_T6_T7_T9_mT8_P12ihipStream_tbDpT10_ENKUlT_T0_E_clISt17integral_constantIbLb0EES1A_IbLb1EEEEDaS16_S17_EUlS16_E_NS1_11comp_targetILNS1_3genE9ELNS1_11target_archE1100ELNS1_3gpuE3ELNS1_3repE0EEENS1_30default_config_static_selectorELNS0_4arch9wavefront6targetE0EEEvT1_,"axG",@progbits,_ZN7rocprim17ROCPRIM_400000_NS6detail17trampoline_kernelINS0_14default_configENS1_25partition_config_selectorILNS1_17partition_subalgoE9EjjbEEZZNS1_14partition_implILS5_9ELb0ES3_jN6thrust23THRUST_200600_302600_NS6detail15normal_iteratorINS9_10device_ptrIjEEEESE_PNS0_10empty_typeENS0_5tupleIJSE_SF_EEENSH_IJNS9_16discard_iteratorINS9_11use_defaultEEESG_EEENS0_18inequality_wrapperINS9_8equal_toIjEEEEPmJSF_EEE10hipError_tPvRmT3_T4_T5_T6_T7_T9_mT8_P12ihipStream_tbDpT10_ENKUlT_T0_E_clISt17integral_constantIbLb0EES1A_IbLb1EEEEDaS16_S17_EUlS16_E_NS1_11comp_targetILNS1_3genE9ELNS1_11target_archE1100ELNS1_3gpuE3ELNS1_3repE0EEENS1_30default_config_static_selectorELNS0_4arch9wavefront6targetE0EEEvT1_,comdat
	.protected	_ZN7rocprim17ROCPRIM_400000_NS6detail17trampoline_kernelINS0_14default_configENS1_25partition_config_selectorILNS1_17partition_subalgoE9EjjbEEZZNS1_14partition_implILS5_9ELb0ES3_jN6thrust23THRUST_200600_302600_NS6detail15normal_iteratorINS9_10device_ptrIjEEEESE_PNS0_10empty_typeENS0_5tupleIJSE_SF_EEENSH_IJNS9_16discard_iteratorINS9_11use_defaultEEESG_EEENS0_18inequality_wrapperINS9_8equal_toIjEEEEPmJSF_EEE10hipError_tPvRmT3_T4_T5_T6_T7_T9_mT8_P12ihipStream_tbDpT10_ENKUlT_T0_E_clISt17integral_constantIbLb0EES1A_IbLb1EEEEDaS16_S17_EUlS16_E_NS1_11comp_targetILNS1_3genE9ELNS1_11target_archE1100ELNS1_3gpuE3ELNS1_3repE0EEENS1_30default_config_static_selectorELNS0_4arch9wavefront6targetE0EEEvT1_ ; -- Begin function _ZN7rocprim17ROCPRIM_400000_NS6detail17trampoline_kernelINS0_14default_configENS1_25partition_config_selectorILNS1_17partition_subalgoE9EjjbEEZZNS1_14partition_implILS5_9ELb0ES3_jN6thrust23THRUST_200600_302600_NS6detail15normal_iteratorINS9_10device_ptrIjEEEESE_PNS0_10empty_typeENS0_5tupleIJSE_SF_EEENSH_IJNS9_16discard_iteratorINS9_11use_defaultEEESG_EEENS0_18inequality_wrapperINS9_8equal_toIjEEEEPmJSF_EEE10hipError_tPvRmT3_T4_T5_T6_T7_T9_mT8_P12ihipStream_tbDpT10_ENKUlT_T0_E_clISt17integral_constantIbLb0EES1A_IbLb1EEEEDaS16_S17_EUlS16_E_NS1_11comp_targetILNS1_3genE9ELNS1_11target_archE1100ELNS1_3gpuE3ELNS1_3repE0EEENS1_30default_config_static_selectorELNS0_4arch9wavefront6targetE0EEEvT1_
	.globl	_ZN7rocprim17ROCPRIM_400000_NS6detail17trampoline_kernelINS0_14default_configENS1_25partition_config_selectorILNS1_17partition_subalgoE9EjjbEEZZNS1_14partition_implILS5_9ELb0ES3_jN6thrust23THRUST_200600_302600_NS6detail15normal_iteratorINS9_10device_ptrIjEEEESE_PNS0_10empty_typeENS0_5tupleIJSE_SF_EEENSH_IJNS9_16discard_iteratorINS9_11use_defaultEEESG_EEENS0_18inequality_wrapperINS9_8equal_toIjEEEEPmJSF_EEE10hipError_tPvRmT3_T4_T5_T6_T7_T9_mT8_P12ihipStream_tbDpT10_ENKUlT_T0_E_clISt17integral_constantIbLb0EES1A_IbLb1EEEEDaS16_S17_EUlS16_E_NS1_11comp_targetILNS1_3genE9ELNS1_11target_archE1100ELNS1_3gpuE3ELNS1_3repE0EEENS1_30default_config_static_selectorELNS0_4arch9wavefront6targetE0EEEvT1_
	.p2align	8
	.type	_ZN7rocprim17ROCPRIM_400000_NS6detail17trampoline_kernelINS0_14default_configENS1_25partition_config_selectorILNS1_17partition_subalgoE9EjjbEEZZNS1_14partition_implILS5_9ELb0ES3_jN6thrust23THRUST_200600_302600_NS6detail15normal_iteratorINS9_10device_ptrIjEEEESE_PNS0_10empty_typeENS0_5tupleIJSE_SF_EEENSH_IJNS9_16discard_iteratorINS9_11use_defaultEEESG_EEENS0_18inequality_wrapperINS9_8equal_toIjEEEEPmJSF_EEE10hipError_tPvRmT3_T4_T5_T6_T7_T9_mT8_P12ihipStream_tbDpT10_ENKUlT_T0_E_clISt17integral_constantIbLb0EES1A_IbLb1EEEEDaS16_S17_EUlS16_E_NS1_11comp_targetILNS1_3genE9ELNS1_11target_archE1100ELNS1_3gpuE3ELNS1_3repE0EEENS1_30default_config_static_selectorELNS0_4arch9wavefront6targetE0EEEvT1_,@function
_ZN7rocprim17ROCPRIM_400000_NS6detail17trampoline_kernelINS0_14default_configENS1_25partition_config_selectorILNS1_17partition_subalgoE9EjjbEEZZNS1_14partition_implILS5_9ELb0ES3_jN6thrust23THRUST_200600_302600_NS6detail15normal_iteratorINS9_10device_ptrIjEEEESE_PNS0_10empty_typeENS0_5tupleIJSE_SF_EEENSH_IJNS9_16discard_iteratorINS9_11use_defaultEEESG_EEENS0_18inequality_wrapperINS9_8equal_toIjEEEEPmJSF_EEE10hipError_tPvRmT3_T4_T5_T6_T7_T9_mT8_P12ihipStream_tbDpT10_ENKUlT_T0_E_clISt17integral_constantIbLb0EES1A_IbLb1EEEEDaS16_S17_EUlS16_E_NS1_11comp_targetILNS1_3genE9ELNS1_11target_archE1100ELNS1_3gpuE3ELNS1_3repE0EEENS1_30default_config_static_selectorELNS0_4arch9wavefront6targetE0EEEvT1_: ; @_ZN7rocprim17ROCPRIM_400000_NS6detail17trampoline_kernelINS0_14default_configENS1_25partition_config_selectorILNS1_17partition_subalgoE9EjjbEEZZNS1_14partition_implILS5_9ELb0ES3_jN6thrust23THRUST_200600_302600_NS6detail15normal_iteratorINS9_10device_ptrIjEEEESE_PNS0_10empty_typeENS0_5tupleIJSE_SF_EEENSH_IJNS9_16discard_iteratorINS9_11use_defaultEEESG_EEENS0_18inequality_wrapperINS9_8equal_toIjEEEEPmJSF_EEE10hipError_tPvRmT3_T4_T5_T6_T7_T9_mT8_P12ihipStream_tbDpT10_ENKUlT_T0_E_clISt17integral_constantIbLb0EES1A_IbLb1EEEEDaS16_S17_EUlS16_E_NS1_11comp_targetILNS1_3genE9ELNS1_11target_archE1100ELNS1_3gpuE3ELNS1_3repE0EEENS1_30default_config_static_selectorELNS0_4arch9wavefront6targetE0EEEvT1_
; %bb.0:
	s_clause 0x5
	s_load_b128 s[4:7], s[0:1], 0x8
	s_load_b64 s[8:9], s[0:1], 0x18
	s_load_b64 s[10:11], s[0:1], 0x28
	s_load_b128 s[12:15], s[0:1], 0x48
	s_load_b64 s[18:19], s[0:1], 0x58
	s_load_b64 s[16:17], s[0:1], 0x68
	v_cmp_ne_u32_e64 s3, 0, v0
	v_cmp_eq_u32_e64 s2, 0, v0
	s_delay_alu instid0(VALU_DEP_1)
	s_and_saveexec_b32 s20, s2
	s_cbranch_execz .LBB851_4
; %bb.1:
	s_mov_b32 s22, exec_lo
	s_mov_b32 s21, exec_lo
	v_mbcnt_lo_u32_b32 v1, s22, 0
                                        ; implicit-def: $vgpr2
	s_delay_alu instid0(VALU_DEP_1)
	v_cmpx_eq_u32_e32 0, v1
	s_cbranch_execz .LBB851_3
; %bb.2:
	s_load_b64 s[24:25], s[0:1], 0x78
	s_bcnt1_i32_b32 s22, s22
	s_delay_alu instid0(SALU_CYCLE_1)
	v_dual_mov_b32 v2, 0 :: v_dual_mov_b32 v3, s22
	s_waitcnt lgkmcnt(0)
	global_atomic_add_u32 v2, v2, v3, s[24:25] glc
.LBB851_3:
	s_or_b32 exec_lo, exec_lo, s21
	s_waitcnt vmcnt(0)
	v_readfirstlane_b32 s21, v2
	s_delay_alu instid0(VALU_DEP_1)
	v_dual_mov_b32 v2, 0 :: v_dual_add_nc_u32 v1, s21, v1
	ds_store_b32 v2, v1
.LBB851_4:
	s_or_b32 exec_lo, exec_lo, s20
	v_dual_mov_b32 v1, 0 :: v_dual_add_nc_u32 v18, 0x180, v0
	s_waitcnt lgkmcnt(0)
	s_barrier
	buffer_gl0_inv
	ds_load_b32 v2, v1
	s_waitcnt lgkmcnt(0)
	s_barrier
	buffer_gl0_inv
	global_load_b64 v[9:10], v1, s[14:15]
	s_load_b32 s0, s[0:1], 0x70
	s_lshl_b64 s[14:15], s[6:7], 2
	v_lshrrev_b32_e32 v16, 3, v0
	s_add_u32 s23, s4, s14
	s_addc_u32 s24, s5, s15
	v_add_nc_u32_e32 v17, 0x300, v0
	v_add_nc_u32_e32 v15, 0x480, v0
	v_or_b32_e32 v14, 0x600, v0
	v_add_nc_u32_e32 v13, 0x780, v0
	v_add_nc_u32_e32 v12, 0x900, v0
	;; [unrolled: 1-line block ×3, first 2 shown]
	v_readfirstlane_b32 s20, v2
	s_waitcnt lgkmcnt(0)
	s_mul_i32 s1, s0, 0xc00
	s_delay_alu instid0(SALU_CYCLE_1) | instskip(NEXT) | instid1(SALU_CYCLE_1)
	s_add_i32 s4, s1, s6
	s_sub_i32 s21, s18, s4
	s_add_i32 s4, s0, -1
	s_addk_i32 s21, 0xc00
	s_add_u32 s0, s6, s1
	s_addc_u32 s1, s7, 0
	s_cmp_eq_u32 s20, s4
	v_cmp_ge_u64_e64 s5, s[0:1], s[18:19]
	s_cselect_b32 s18, -1, 0
	s_mul_i32 s0, s20, 0xc00
	s_mov_b32 s1, 0
	s_delay_alu instid0(VALU_DEP_1)
	s_and_b32 s22, s5, s18
	s_lshl_b64 s[4:5], s[0:1], 2
	s_xor_b32 s19, s22, -1
	s_add_u32 s23, s23, s4
	s_addc_u32 s1, s24, s5
	s_and_b32 vcc_lo, exec_lo, s19
	s_mov_b32 s24, -1
	s_cbranch_vccz .LBB851_6
; %bb.5:
	v_lshlrev_b32_e32 v7, 2, v0
	v_lshrrev_b32_e32 v21, 3, v18
	v_lshrrev_b32_e32 v22, 3, v17
	;; [unrolled: 1-line block ×4, first 2 shown]
	v_add_co_u32 v1, s0, s23, v7
	s_delay_alu instid0(VALU_DEP_1) | instskip(SKIP_1) | instid1(VALU_DEP_3)
	v_add_co_ci_u32_e64 v2, null, s1, 0, s0
	v_lshrrev_b32_e32 v25, 3, v13
	v_add_co_u32 v3, vcc_lo, 0x1000, v1
	s_delay_alu instid0(VALU_DEP_3)
	v_add_co_ci_u32_e32 v4, vcc_lo, 0, v2, vcc_lo
	v_add_co_u32 v5, vcc_lo, 0x2000, v1
	v_add_co_ci_u32_e32 v6, vcc_lo, 0, v2, vcc_lo
	s_clause 0x7
	flat_load_b32 v8, v[1:2]
	flat_load_b32 v19, v[1:2] offset:1536
	flat_load_b32 v1, v[1:2] offset:3072
	;; [unrolled: 1-line block ×7, first 2 shown]
	v_and_b32_e32 v6, 60, v16
	v_lshrrev_b32_e32 v26, 3, v12
	v_lshrrev_b32_e32 v27, 3, v11
	v_and_b32_e32 v21, 0x7c, v21
	v_and_b32_e32 v22, 0xfc, v22
	;; [unrolled: 1-line block ×4, first 2 shown]
	v_add_nc_u32_e32 v6, v6, v7
	v_and_b32_e32 v25, 0x1fc, v25
	v_and_b32_e32 v26, 0x17c, v26
	;; [unrolled: 1-line block ×3, first 2 shown]
	v_add_nc_u32_e32 v21, v21, v7
	v_add_nc_u32_e32 v22, v22, v7
	v_add_nc_u32_e32 v23, v23, v7
	v_add_nc_u32_e32 v24, v24, v7
	s_mov_b32 s24, 0
	v_add_nc_u32_e32 v25, v25, v7
	v_add_nc_u32_e32 v26, v26, v7
	;; [unrolled: 1-line block ×3, first 2 shown]
	s_waitcnt vmcnt(7) lgkmcnt(7)
	ds_store_b32 v6, v8
	s_waitcnt vmcnt(6) lgkmcnt(7)
	ds_store_b32 v21, v19 offset:1536
	s_waitcnt vmcnt(5) lgkmcnt(7)
	ds_store_b32 v22, v1 offset:3072
	;; [unrolled: 2-line block ×7, first 2 shown]
	s_waitcnt lgkmcnt(0)
	s_barrier
.LBB851_6:
	v_cmp_gt_u32_e64 s0, s21, v0
	s_and_not1_b32 vcc_lo, exec_lo, s24
	s_cbranch_vccnz .LBB851_24
; %bb.7:
                                        ; implicit-def: $vgpr1_vgpr2_vgpr3_vgpr4_vgpr5_vgpr6_vgpr7_vgpr8
	s_delay_alu instid0(VALU_DEP_1)
	s_and_saveexec_b32 s24, s0
	s_cbranch_execz .LBB851_15
; %bb.8:
	v_lshlrev_b32_e32 v1, 2, v0
	s_delay_alu instid0(VALU_DEP_1) | instskip(NEXT) | instid1(VALU_DEP_1)
	v_add_co_u32 v1, s0, s23, v1
	v_add_co_ci_u32_e64 v2, null, s1, 0, s0
	flat_load_b32 v1, v[1:2]
	s_or_b32 exec_lo, exec_lo, s24
	s_delay_alu instid0(SALU_CYCLE_1)
	s_mov_b32 s0, exec_lo
	v_cmpx_gt_u32_e64 s21, v18
	s_cbranch_execnz .LBB851_16
.LBB851_9:
	s_or_b32 exec_lo, exec_lo, s0
	s_delay_alu instid0(SALU_CYCLE_1)
	s_mov_b32 s0, exec_lo
	v_cmpx_gt_u32_e64 s21, v17
	s_cbranch_execz .LBB851_17
.LBB851_10:
	v_lshlrev_b32_e32 v3, 2, v0
	s_delay_alu instid0(VALU_DEP_1) | instskip(NEXT) | instid1(VALU_DEP_1)
	v_add_co_u32 v19, s24, s23, v3
	v_add_co_ci_u32_e64 v20, null, s1, 0, s24
	flat_load_b32 v3, v[19:20] offset:3072
	s_or_b32 exec_lo, exec_lo, s0
	s_delay_alu instid0(SALU_CYCLE_1)
	s_mov_b32 s0, exec_lo
	v_cmpx_gt_u32_e64 s21, v15
	s_cbranch_execnz .LBB851_18
.LBB851_11:
	s_or_b32 exec_lo, exec_lo, s0
	s_delay_alu instid0(SALU_CYCLE_1)
	s_mov_b32 s0, exec_lo
	v_cmpx_gt_u32_e64 s21, v14
	s_cbranch_execz .LBB851_19
.LBB851_12:
	v_lshlrev_b32_e32 v5, 2, v14
	s_delay_alu instid0(VALU_DEP_1) | instskip(NEXT) | instid1(VALU_DEP_1)
	v_add_co_u32 v19, s24, s23, v5
	v_add_co_ci_u32_e64 v20, null, s1, 0, s24
	flat_load_b32 v5, v[19:20]
	s_or_b32 exec_lo, exec_lo, s0
	s_delay_alu instid0(SALU_CYCLE_1)
	s_mov_b32 s0, exec_lo
	v_cmpx_gt_u32_e64 s21, v13
	s_cbranch_execnz .LBB851_20
.LBB851_13:
	s_or_b32 exec_lo, exec_lo, s0
	s_delay_alu instid0(SALU_CYCLE_1)
	s_mov_b32 s0, exec_lo
	v_cmpx_gt_u32_e64 s21, v12
	s_cbranch_execz .LBB851_21
.LBB851_14:
	v_lshlrev_b32_e32 v7, 2, v12
	s_delay_alu instid0(VALU_DEP_1) | instskip(NEXT) | instid1(VALU_DEP_1)
	v_add_co_u32 v19, s24, s23, v7
	v_add_co_ci_u32_e64 v20, null, s1, 0, s24
	flat_load_b32 v7, v[19:20]
	s_or_b32 exec_lo, exec_lo, s0
	s_delay_alu instid0(SALU_CYCLE_1)
	s_mov_b32 s0, exec_lo
	v_cmpx_gt_u32_e64 s21, v11
	s_cbranch_execnz .LBB851_22
	s_branch .LBB851_23
.LBB851_15:
	s_or_b32 exec_lo, exec_lo, s24
	s_delay_alu instid0(SALU_CYCLE_1)
	s_mov_b32 s0, exec_lo
	v_cmpx_gt_u32_e64 s21, v18
	s_cbranch_execz .LBB851_9
.LBB851_16:
	v_lshlrev_b32_e32 v2, 2, v0
	s_delay_alu instid0(VALU_DEP_1) | instskip(NEXT) | instid1(VALU_DEP_1)
	v_add_co_u32 v19, s24, s23, v2
	v_add_co_ci_u32_e64 v20, null, s1, 0, s24
	flat_load_b32 v2, v[19:20] offset:1536
	s_or_b32 exec_lo, exec_lo, s0
	s_delay_alu instid0(SALU_CYCLE_1)
	s_mov_b32 s0, exec_lo
	v_cmpx_gt_u32_e64 s21, v17
	s_cbranch_execnz .LBB851_10
.LBB851_17:
	s_or_b32 exec_lo, exec_lo, s0
	s_delay_alu instid0(SALU_CYCLE_1)
	s_mov_b32 s0, exec_lo
	v_cmpx_gt_u32_e64 s21, v15
	s_cbranch_execz .LBB851_11
.LBB851_18:
	v_lshlrev_b32_e32 v4, 2, v15
	s_delay_alu instid0(VALU_DEP_1) | instskip(NEXT) | instid1(VALU_DEP_1)
	v_add_co_u32 v19, s24, s23, v4
	v_add_co_ci_u32_e64 v20, null, s1, 0, s24
	flat_load_b32 v4, v[19:20]
	s_or_b32 exec_lo, exec_lo, s0
	s_delay_alu instid0(SALU_CYCLE_1)
	s_mov_b32 s0, exec_lo
	v_cmpx_gt_u32_e64 s21, v14
	s_cbranch_execnz .LBB851_12
.LBB851_19:
	s_or_b32 exec_lo, exec_lo, s0
	s_delay_alu instid0(SALU_CYCLE_1)
	s_mov_b32 s0, exec_lo
	v_cmpx_gt_u32_e64 s21, v13
	s_cbranch_execz .LBB851_13
.LBB851_20:
	v_lshlrev_b32_e32 v6, 2, v13
	s_delay_alu instid0(VALU_DEP_1) | instskip(NEXT) | instid1(VALU_DEP_1)
	v_add_co_u32 v19, s24, s23, v6
	v_add_co_ci_u32_e64 v20, null, s1, 0, s24
	flat_load_b32 v6, v[19:20]
	s_or_b32 exec_lo, exec_lo, s0
	s_delay_alu instid0(SALU_CYCLE_1)
	s_mov_b32 s0, exec_lo
	v_cmpx_gt_u32_e64 s21, v12
	s_cbranch_execnz .LBB851_14
.LBB851_21:
	s_or_b32 exec_lo, exec_lo, s0
	s_delay_alu instid0(SALU_CYCLE_1)
	s_mov_b32 s0, exec_lo
	v_cmpx_gt_u32_e64 s21, v11
	s_cbranch_execz .LBB851_23
.LBB851_22:
	v_lshlrev_b32_e32 v8, 2, v11
	s_delay_alu instid0(VALU_DEP_1) | instskip(NEXT) | instid1(VALU_DEP_1)
	v_add_co_u32 v19, s24, s23, v8
	v_add_co_ci_u32_e64 v20, null, s1, 0, s24
	flat_load_b32 v8, v[19:20]
.LBB851_23:
	s_or_b32 exec_lo, exec_lo, s0
	v_lshrrev_b32_e32 v19, 3, v18
	v_lshrrev_b32_e32 v20, 3, v17
	;; [unrolled: 1-line block ×4, first 2 shown]
	v_and_b32_e32 v21, 60, v16
	v_lshlrev_b32_e32 v22, 2, v0
	v_lshrrev_b32_e32 v25, 3, v13
	v_lshrrev_b32_e32 v26, 3, v12
	v_lshrrev_b32_e32 v27, 3, v11
	v_and_b32_e32 v19, 0x7c, v19
	v_and_b32_e32 v20, 0xfc, v20
	;; [unrolled: 1-line block ×4, first 2 shown]
	v_add_nc_u32_e32 v21, v21, v22
	v_and_b32_e32 v25, 0x1fc, v25
	v_and_b32_e32 v26, 0x1fc, v26
	v_and_b32_e32 v27, 0x1fc, v27
	v_add_nc_u32_e32 v19, v19, v22
	v_add_nc_u32_e32 v20, v20, v22
	;; [unrolled: 1-line block ×7, first 2 shown]
	s_waitcnt vmcnt(0) lgkmcnt(0)
	ds_store_b32 v21, v1
	ds_store_b32 v19, v2 offset:1536
	ds_store_b32 v20, v3 offset:3072
	;; [unrolled: 1-line block ×7, first 2 shown]
	s_waitcnt lgkmcnt(0)
	s_barrier
.LBB851_24:
	v_lshlrev_b32_e32 v21, 3, v0
	v_lshrrev_b32_e32 v1, 2, v0
	s_waitcnt vmcnt(0)
	buffer_gl0_inv
	s_add_u32 s0, s8, s14
	s_addc_u32 s8, s9, s15
	s_add_u32 s0, s0, s4
	v_add_lshl_u32 v19, v1, v21, 2
	s_addc_u32 s4, s8, s5
	s_and_b32 vcc_lo, exec_lo, s19
	s_mov_b32 s5, -1
	ds_load_2addr_b32 v[7:8], v19 offset1:1
	ds_load_2addr_b32 v[5:6], v19 offset0:2 offset1:3
	ds_load_2addr_b32 v[3:4], v19 offset0:4 offset1:5
	;; [unrolled: 1-line block ×3, first 2 shown]
	s_waitcnt lgkmcnt(0)
	s_barrier
	buffer_gl0_inv
	s_cbranch_vccz .LBB851_26
; %bb.25:
	v_lshlrev_b32_e32 v20, 2, v0
	v_lshrrev_b32_e32 v31, 3, v18
	v_lshrrev_b32_e32 v32, 3, v17
	;; [unrolled: 1-line block ×4, first 2 shown]
	v_add_co_u32 v22, s5, s0, v20
	s_delay_alu instid0(VALU_DEP_1) | instskip(SKIP_1) | instid1(VALU_DEP_3)
	v_add_co_ci_u32_e64 v23, null, s4, 0, s5
	v_lshrrev_b32_e32 v35, 3, v13
	v_add_co_u32 v24, vcc_lo, 0x1000, v22
	s_delay_alu instid0(VALU_DEP_3)
	v_add_co_ci_u32_e32 v25, vcc_lo, 0, v23, vcc_lo
	v_add_co_u32 v26, vcc_lo, 0x2000, v22
	v_add_co_ci_u32_e32 v27, vcc_lo, 0, v23, vcc_lo
	s_clause 0x7
	flat_load_b32 v28, v[22:23]
	flat_load_b32 v29, v[22:23] offset:1536
	flat_load_b32 v22, v[22:23] offset:3072
	;; [unrolled: 1-line block ×7, first 2 shown]
	v_and_b32_e32 v27, 60, v16
	v_lshrrev_b32_e32 v36, 3, v12
	v_lshrrev_b32_e32 v37, 3, v11
	v_and_b32_e32 v31, 0x7c, v31
	v_and_b32_e32 v32, 0xfc, v32
	;; [unrolled: 1-line block ×4, first 2 shown]
	v_add_nc_u32_e32 v27, v27, v20
	v_and_b32_e32 v35, 0x1fc, v35
	v_and_b32_e32 v36, 0x17c, v36
	v_and_b32_e32 v37, 0x1fc, v37
	v_add_nc_u32_e32 v31, v31, v20
	v_add_nc_u32_e32 v32, v32, v20
	;; [unrolled: 1-line block ×4, first 2 shown]
	s_mov_b32 s5, 0
	v_add_nc_u32_e32 v35, v35, v20
	v_add_nc_u32_e32 v36, v36, v20
	;; [unrolled: 1-line block ×3, first 2 shown]
	s_waitcnt vmcnt(7) lgkmcnt(7)
	ds_store_b32 v27, v28
	s_waitcnt vmcnt(6) lgkmcnt(7)
	ds_store_b32 v31, v29 offset:1536
	s_waitcnt vmcnt(5) lgkmcnt(7)
	ds_store_b32 v32, v22 offset:3072
	;; [unrolled: 2-line block ×7, first 2 shown]
	s_waitcnt lgkmcnt(0)
	s_barrier
.LBB851_26:
	s_and_not1_b32 vcc_lo, exec_lo, s5
	s_cbranch_vccnz .LBB851_44
; %bb.27:
	s_mov_b32 s5, exec_lo
                                        ; implicit-def: $vgpr20
	v_cmpx_gt_u32_e64 s21, v0
	s_cbranch_execz .LBB851_29
; %bb.28:
	v_lshlrev_b32_e32 v20, 2, v0
	s_delay_alu instid0(VALU_DEP_1) | instskip(NEXT) | instid1(VALU_DEP_1)
	v_add_co_u32 v22, s8, s0, v20
	v_add_co_ci_u32_e64 v23, null, s4, 0, s8
	flat_load_b32 v20, v[22:23]
.LBB851_29:
	s_or_b32 exec_lo, exec_lo, s5
	s_delay_alu instid0(SALU_CYCLE_1)
	s_mov_b32 s5, exec_lo
                                        ; implicit-def: $vgpr22
	v_cmpx_gt_u32_e64 s21, v18
	s_cbranch_execz .LBB851_31
; %bb.30:
	v_lshlrev_b32_e32 v22, 2, v0
	s_delay_alu instid0(VALU_DEP_1) | instskip(NEXT) | instid1(VALU_DEP_1)
	v_add_co_u32 v22, s8, s0, v22
	v_add_co_ci_u32_e64 v23, null, s4, 0, s8
	flat_load_b32 v22, v[22:23] offset:1536
.LBB851_31:
	s_or_b32 exec_lo, exec_lo, s5
	s_delay_alu instid0(SALU_CYCLE_1)
	s_mov_b32 s5, exec_lo
                                        ; implicit-def: $vgpr23
	v_cmpx_gt_u32_e64 s21, v17
	s_cbranch_execz .LBB851_33
; %bb.32:
	v_lshlrev_b32_e32 v23, 2, v0
	s_delay_alu instid0(VALU_DEP_1) | instskip(NEXT) | instid1(VALU_DEP_1)
	v_add_co_u32 v23, s8, s0, v23
	v_add_co_ci_u32_e64 v24, null, s4, 0, s8
	flat_load_b32 v23, v[23:24] offset:3072
.LBB851_33:
	s_or_b32 exec_lo, exec_lo, s5
	s_delay_alu instid0(SALU_CYCLE_1)
	s_mov_b32 s5, exec_lo
                                        ; implicit-def: $vgpr24
	v_cmpx_gt_u32_e64 s21, v15
	s_cbranch_execz .LBB851_35
; %bb.34:
	v_lshlrev_b32_e32 v24, 2, v15
	s_delay_alu instid0(VALU_DEP_1) | instskip(NEXT) | instid1(VALU_DEP_1)
	v_add_co_u32 v24, s8, s0, v24
	v_add_co_ci_u32_e64 v25, null, s4, 0, s8
	flat_load_b32 v24, v[24:25]
.LBB851_35:
	s_or_b32 exec_lo, exec_lo, s5
	s_delay_alu instid0(SALU_CYCLE_1)
	s_mov_b32 s5, exec_lo
                                        ; implicit-def: $vgpr25
	v_cmpx_gt_u32_e64 s21, v14
	s_cbranch_execz .LBB851_37
; %bb.36:
	v_lshlrev_b32_e32 v25, 2, v14
	s_delay_alu instid0(VALU_DEP_1) | instskip(NEXT) | instid1(VALU_DEP_1)
	v_add_co_u32 v25, s8, s0, v25
	v_add_co_ci_u32_e64 v26, null, s4, 0, s8
	flat_load_b32 v25, v[25:26]
.LBB851_37:
	s_or_b32 exec_lo, exec_lo, s5
	s_delay_alu instid0(SALU_CYCLE_1)
	s_mov_b32 s5, exec_lo
                                        ; implicit-def: $vgpr26
	v_cmpx_gt_u32_e64 s21, v13
	s_cbranch_execz .LBB851_39
; %bb.38:
	v_lshlrev_b32_e32 v26, 2, v13
	s_delay_alu instid0(VALU_DEP_1) | instskip(NEXT) | instid1(VALU_DEP_1)
	v_add_co_u32 v26, s8, s0, v26
	v_add_co_ci_u32_e64 v27, null, s4, 0, s8
	flat_load_b32 v26, v[26:27]
.LBB851_39:
	s_or_b32 exec_lo, exec_lo, s5
	s_delay_alu instid0(SALU_CYCLE_1)
	s_mov_b32 s5, exec_lo
                                        ; implicit-def: $vgpr27
	v_cmpx_gt_u32_e64 s21, v12
	s_cbranch_execz .LBB851_41
; %bb.40:
	v_lshlrev_b32_e32 v27, 2, v12
	s_delay_alu instid0(VALU_DEP_1) | instskip(NEXT) | instid1(VALU_DEP_1)
	v_add_co_u32 v27, s8, s0, v27
	v_add_co_ci_u32_e64 v28, null, s4, 0, s8
	flat_load_b32 v27, v[27:28]
.LBB851_41:
	s_or_b32 exec_lo, exec_lo, s5
	s_delay_alu instid0(SALU_CYCLE_1)
	s_mov_b32 s5, exec_lo
                                        ; implicit-def: $vgpr28
	v_cmpx_gt_u32_e64 s21, v11
	s_cbranch_execz .LBB851_43
; %bb.42:
	v_lshlrev_b32_e32 v28, 2, v11
	s_delay_alu instid0(VALU_DEP_1) | instskip(NEXT) | instid1(VALU_DEP_1)
	v_add_co_u32 v28, s0, s0, v28
	v_add_co_ci_u32_e64 v29, null, s4, 0, s0
	flat_load_b32 v28, v[28:29]
.LBB851_43:
	s_or_b32 exec_lo, exec_lo, s5
	v_lshrrev_b32_e32 v18, 3, v18
	v_lshrrev_b32_e32 v17, 3, v17
	v_lshrrev_b32_e32 v15, 3, v15
	v_lshrrev_b32_e32 v14, 3, v14
	v_and_b32_e32 v16, 60, v16
	v_lshlrev_b32_e32 v29, 2, v0
	v_lshrrev_b32_e32 v13, 3, v13
	v_lshrrev_b32_e32 v12, 3, v12
	;; [unrolled: 1-line block ×3, first 2 shown]
	v_and_b32_e32 v18, 0x7c, v18
	v_and_b32_e32 v17, 0xfc, v17
	;; [unrolled: 1-line block ×4, first 2 shown]
	v_add_nc_u32_e32 v16, v16, v29
	v_and_b32_e32 v13, 0x1fc, v13
	v_and_b32_e32 v12, 0x1fc, v12
	;; [unrolled: 1-line block ×3, first 2 shown]
	v_add_nc_u32_e32 v18, v18, v29
	v_add_nc_u32_e32 v17, v17, v29
	;; [unrolled: 1-line block ×7, first 2 shown]
	s_waitcnt vmcnt(0) lgkmcnt(0)
	ds_store_b32 v16, v20
	ds_store_b32 v18, v22 offset:1536
	ds_store_b32 v17, v23 offset:3072
	;; [unrolled: 1-line block ×7, first 2 shown]
	s_waitcnt lgkmcnt(0)
	s_barrier
.LBB851_44:
	buffer_gl0_inv
	ds_load_2addr_b32 v[17:18], v19 offset1:1
	ds_load_2addr_b32 v[15:16], v19 offset0:2 offset1:3
	ds_load_2addr_b32 v[13:14], v19 offset0:4 offset1:5
	ds_load_2addr_b32 v[11:12], v19 offset0:6 offset1:7
	s_cmp_lg_u32 s20, 0
	s_mov_b32 s14, 0
	s_cselect_b32 s9, -1, 0
	s_cmp_lg_u64 s[6:7], 0
	s_waitcnt lgkmcnt(0)
	s_cselect_b32 s0, -1, 0
	s_barrier
	s_or_b32 s0, s0, s9
	buffer_gl0_inv
	s_and_b32 vcc_lo, exec_lo, s0
	s_cbranch_vccz .LBB851_49
; %bb.45:
	v_add_co_u32 v19, s0, -4, s23
	s_delay_alu instid0(VALU_DEP_1)
	v_add_co_ci_u32_e64 v20, null, -1, s1, s0
	v_lshlrev_b32_e32 v23, 2, v0
	s_mov_b32 s1, -1
	s_and_b32 vcc_lo, exec_lo, s19
	flat_load_b32 v22, v[19:20]
	ds_store_b32 v23, v2
	s_cbranch_vccz .LBB851_50
; %bb.46:
	s_waitcnt vmcnt(0) lgkmcnt(1)
	v_mov_b32_e32 v19, v22
	s_waitcnt lgkmcnt(0)
	s_barrier
	buffer_gl0_inv
	s_and_saveexec_b32 s0, s3
	s_cbranch_execz .LBB851_48
; %bb.47:
	v_add_nc_u32_e32 v19, -4, v23
	ds_load_b32 v19, v19
.LBB851_48:
	s_or_b32 exec_lo, exec_lo, s0
	v_cmp_ne_u32_e32 vcc_lo, v1, v2
	s_waitcnt lgkmcnt(0)
	v_cmp_ne_u32_e64 s0, v19, v7
	v_cndmask_b32_e64 v20, 0, 1, vcc_lo
	v_cmp_ne_u32_e32 vcc_lo, v4, v1
	s_delay_alu instid0(VALU_DEP_2) | instskip(SKIP_2) | instid1(VALU_DEP_2)
	v_lshlrev_b16 v20, 8, v20
	v_cndmask_b32_e64 v24, 0, 1, vcc_lo
	v_cmp_ne_u32_e32 vcc_lo, v3, v4
	v_or_b32_e32 v20, v24, v20
	v_cndmask_b32_e64 v25, 0, 1, vcc_lo
	v_cmp_ne_u32_e32 vcc_lo, v5, v6
	s_delay_alu instid0(VALU_DEP_3) | instskip(NEXT) | instid1(VALU_DEP_3)
	v_lshlrev_b32_e32 v20, 16, v20
	v_lshlrev_b16 v25, 8, v25
	v_cndmask_b32_e64 v26, 0, 1, vcc_lo
	v_cmp_ne_u32_e32 vcc_lo, v6, v3
	s_delay_alu instid0(VALU_DEP_2) | instskip(SKIP_2) | instid1(VALU_DEP_2)
	v_lshlrev_b16 v26, 8, v26
	v_cndmask_b32_e64 v27, 0, 1, vcc_lo
	v_cmp_ne_u32_e32 vcc_lo, v8, v5
	v_or_b32_e32 v25, v27, v25
	v_cndmask_b32_e64 v28, 0, 1, vcc_lo
	v_cmp_ne_u32_e32 vcc_lo, v7, v8
	s_delay_alu instid0(VALU_DEP_3) | instskip(NEXT) | instid1(VALU_DEP_3)
	v_and_b32_e32 v25, 0xffff, v25
	v_or_b32_e32 v26, v28, v26
	v_cndmask_b32_e64 v29, 0, 1, vcc_lo
	s_delay_alu instid0(VALU_DEP_3) | instskip(NEXT) | instid1(VALU_DEP_3)
	v_or_b32_e32 v20, v25, v20
	v_lshlrev_b32_e32 v24, 16, v26
	s_delay_alu instid0(VALU_DEP_3) | instskip(NEXT) | instid1(VALU_DEP_1)
	v_lshlrev_b16 v28, 8, v29
	v_and_b32_e32 v26, 0xffff, v28
	s_delay_alu instid0(VALU_DEP_1)
	v_or_b32_e32 v19, v26, v24
	s_branch .LBB851_54
.LBB851_49:
                                        ; implicit-def: $sgpr0
                                        ; implicit-def: $vgpr20
	s_branch .LBB851_55
.LBB851_50:
                                        ; implicit-def: $sgpr0
                                        ; implicit-def: $vgpr20
	s_and_b32 vcc_lo, exec_lo, s1
	s_cbranch_vccz .LBB851_54
; %bb.51:
	s_waitcnt vmcnt(0) lgkmcnt(0)
	s_barrier
	buffer_gl0_inv
	s_and_saveexec_b32 s0, s3
	s_cbranch_execz .LBB851_53
; %bb.52:
	v_add_nc_u32_e32 v19, -4, v23
	ds_load_b32 v22, v19
.LBB851_53:
	s_or_b32 exec_lo, exec_lo, s0
	v_or_b32_e32 v19, 7, v21
	v_or_b32_e32 v20, 6, v21
	;; [unrolled: 1-line block ×3, first 2 shown]
	v_cmp_ne_u32_e32 vcc_lo, v1, v2
	v_cmp_ne_u32_e64 s1, v4, v1
	v_cmp_gt_u32_e64 s0, s21, v19
	v_cmp_gt_u32_e64 s5, s21, v20
	v_cmp_ne_u32_e64 s4, v3, v4
	v_cmp_gt_u32_e64 s6, s21, v23
	v_or_b32_e32 v20, 3, v21
	s_and_b32 s0, s0, vcc_lo
	v_or_b32_e32 v24, 4, v21
	v_cndmask_b32_e64 v19, 0, 1, s0
	s_and_b32 s0, s5, s1
	v_cmp_gt_u32_e32 vcc_lo, s21, v20
	v_cndmask_b32_e64 v23, 0, 1, s0
	s_and_b32 s0, s6, s4
	v_or_b32_e32 v20, 2, v21
	v_cndmask_b32_e64 v25, 0, 1, s0
	v_cmp_ne_u32_e64 s0, v5, v6
	v_cmp_gt_u32_e64 s1, s21, v24
	v_or_b32_e32 v24, 1, v21
	v_cmp_ne_u32_e64 s4, v6, v3
	v_cmp_ne_u32_e64 s6, v7, v8
	s_and_b32 s0, vcc_lo, s0
	v_cmp_gt_u32_e32 vcc_lo, s21, v20
	v_cndmask_b32_e64 v26, 0, 1, s0
	v_cmp_ne_u32_e64 s0, v8, v5
	v_cmp_gt_u32_e64 s5, s21, v24
	s_and_b32 s1, s1, s4
	v_lshlrev_b16 v25, 8, v25
	v_cndmask_b32_e64 v20, 0, 1, s1
	s_and_b32 s0, vcc_lo, s0
	v_lshlrev_b16 v26, 8, v26
	v_cndmask_b32_e64 v24, 0, 1, s0
	s_and_b32 s0, s5, s6
	v_lshlrev_b16 v19, 8, v19
	v_cndmask_b32_e64 v27, 0, 1, s0
	v_or_b32_e32 v20, v20, v25
	v_or_b32_e32 v24, v24, v26
	v_cmp_gt_u32_e32 vcc_lo, s21, v21
	v_or_b32_e32 v19, v23, v19
	v_lshlrev_b16 v26, 8, v27
	v_and_b32_e32 v20, 0xffff, v20
	v_lshlrev_b32_e32 v23, 16, v24
	s_waitcnt lgkmcnt(0)
	v_cmp_ne_u32_e64 s0, v22, v7
	v_lshlrev_b32_e32 v25, 16, v19
	v_and_b32_e32 v24, 0xffff, v26
	s_delay_alu instid0(VALU_DEP_3) | instskip(NEXT) | instid1(VALU_DEP_2)
	s_and_b32 s0, vcc_lo, s0
	v_or_b32_e32 v20, v20, v25
	s_delay_alu instid0(VALU_DEP_2)
	v_or_b32_e32 v19, v24, v23
.LBB851_54:
	s_mov_b32 s14, -1
	s_cbranch_execnz .LBB851_63
.LBB851_55:
	s_waitcnt vmcnt(0) lgkmcnt(1)
	v_lshlrev_b32_e32 v22, 2, v0
	v_cmp_ne_u32_e64 s1, v1, v2
	v_cmp_ne_u32_e64 s4, v4, v1
	;; [unrolled: 1-line block ×7, first 2 shown]
	s_and_b32 vcc_lo, exec_lo, s19
	ds_store_b32 v22, v2
	s_cbranch_vccz .LBB851_59
; %bb.56:
	v_cndmask_b32_e64 v19, 0, 1, s1
	v_cndmask_b32_e64 v23, 0, 1, s5
	;; [unrolled: 1-line block ×7, first 2 shown]
	v_lshlrev_b16 v23, 8, v23
	v_lshlrev_b16 v19, 8, v19
	;; [unrolled: 1-line block ×4, first 2 shown]
	s_waitcnt lgkmcnt(0)
	v_or_b32_e32 v23, v24, v23
	v_or_b32_e32 v19, v20, v19
	;; [unrolled: 1-line block ×4, first 2 shown]
	s_barrier
	v_and_b32_e32 v23, 0xffff, v23
	v_lshlrev_b32_e32 v19, 16, v19
	v_lshlrev_b32_e32 v25, 16, v20
	v_and_b32_e32 v24, 0xffff, v24
	buffer_gl0_inv
                                        ; implicit-def: $sgpr0
	v_or_b32_e32 v20, v23, v19
	v_or_b32_e32 v19, v24, v25
	s_and_saveexec_b32 s1, s3
	s_delay_alu instid0(SALU_CYCLE_1)
	s_xor_b32 s1, exec_lo, s1
	s_cbranch_execz .LBB851_58
; %bb.57:
	v_add_nc_u32_e32 v23, -4, v22
	s_or_b32 s14, s14, exec_lo
	ds_load_b32 v23, v23
	s_waitcnt lgkmcnt(0)
	v_cmp_ne_u32_e32 vcc_lo, v23, v7
	s_and_b32 s0, vcc_lo, exec_lo
.LBB851_58:
	s_or_b32 exec_lo, exec_lo, s1
	s_branch .LBB851_63
.LBB851_59:
                                        ; implicit-def: $sgpr0
                                        ; implicit-def: $vgpr20
	s_cbranch_execz .LBB851_63
; %bb.60:
	v_or_b32_e32 v19, 7, v21
	v_or_b32_e32 v20, 6, v21
	v_cmp_ne_u32_e32 vcc_lo, v1, v2
	v_cmp_ne_u32_e64 s1, v4, v1
	v_or_b32_e32 v23, 5, v21
	v_cmp_gt_u32_e64 s0, s21, v19
	v_cmp_gt_u32_e64 s4, s21, v20
	v_or_b32_e32 v19, 4, v21
	v_or_b32_e32 v24, 3, v21
	v_cmp_gt_u32_e64 s5, s21, v23
	s_and_b32 s0, s0, vcc_lo
	v_cmp_ne_u32_e32 vcc_lo, v3, v4
	v_cndmask_b32_e64 v20, 0, 1, s0
	s_and_b32 s0, s4, s1
	v_cmp_ne_u32_e64 s1, v6, v3
	v_cndmask_b32_e64 v23, 0, 1, s0
	v_cmp_gt_u32_e64 s0, s21, v19
	v_or_b32_e32 v25, 1, v21
	s_and_b32 s4, s5, vcc_lo
	v_cmp_gt_u32_e32 vcc_lo, s21, v24
	v_cndmask_b32_e64 v19, 0, 1, s4
	s_and_b32 s0, s0, s1
	v_or_b32_e32 v27, 2, v21
	v_cndmask_b32_e64 v26, 0, 1, s0
	v_cmp_ne_u32_e64 s0, v5, v6
	v_cmp_gt_u32_e64 s1, s21, v25
	v_cmp_ne_u32_e64 s4, v7, v8
	v_cmp_gt_u32_e64 s5, s21, v27
	v_cmp_ne_u32_e64 s6, v8, v5
	s_and_b32 s0, vcc_lo, s0
	v_lshlrev_b16 v19, 8, v19
	v_cndmask_b32_e64 v24, 0, 1, s0
	s_and_b32 s0, s1, s4
	v_lshlrev_b16 v20, 8, v20
	v_cndmask_b32_e64 v25, 0, 1, s0
	s_and_b32 s0, s5, s6
	v_lshlrev_b16 v24, 8, v24
	v_cndmask_b32_e64 v27, 0, 1, s0
	v_or_b32_e32 v19, v26, v19
	v_lshlrev_b16 v25, 8, v25
	v_or_b32_e32 v20, v23, v20
	s_waitcnt lgkmcnt(0)
	v_or_b32_e32 v23, v27, v24
	v_and_b32_e32 v19, 0xffff, v19
	v_or_b32_e32 v24, 1, v25
	v_lshlrev_b32_e32 v20, 16, v20
	s_barrier
	v_lshlrev_b32_e32 v23, 16, v23
	buffer_gl0_inv
	v_and_b32_e32 v24, 0xffff, v24
	v_or_b32_e32 v20, v19, v20
                                        ; implicit-def: $sgpr0
	s_delay_alu instid0(VALU_DEP_2)
	v_or_b32_e32 v19, v24, v23
	s_and_saveexec_b32 s1, s3
	s_cbranch_execz .LBB851_62
; %bb.61:
	v_add_nc_u32_e32 v22, -4, v22
	v_cmp_gt_u32_e32 vcc_lo, s21, v21
	s_or_b32 s14, s14, exec_lo
	ds_load_b32 v22, v22
	s_waitcnt lgkmcnt(0)
	v_cmp_ne_u32_e64 s0, v22, v7
	s_delay_alu instid0(VALU_DEP_1) | instskip(NEXT) | instid1(SALU_CYCLE_1)
	s_and_b32 s0, vcc_lo, s0
	s_and_b32 s0, s0, exec_lo
.LBB851_62:
	s_or_b32 exec_lo, exec_lo, s1
.LBB851_63:
	s_and_saveexec_b32 s1, s14
	s_cbranch_execz .LBB851_65
; %bb.64:
	s_waitcnt vmcnt(0) lgkmcnt(1)
	v_and_b32_e32 v22, 0xffffff00, v19
	v_cndmask_b32_e64 v23, 0, 1, s0
	s_delay_alu instid0(VALU_DEP_1) | instskip(NEXT) | instid1(VALU_DEP_1)
	v_or_b32_e32 v22, v23, v22
	v_and_b32_e32 v22, 0xffff, v22
	s_delay_alu instid0(VALU_DEP_1)
	v_and_or_b32 v19, 0xffff0000, v19, v22
.LBB851_65:
	s_or_b32 exec_lo, exec_lo, s1
	s_delay_alu instid0(SALU_CYCLE_1)
	s_and_not1_b32 vcc_lo, exec_lo, s22
	s_cbranch_vccnz .LBB851_67
; %bb.66:
	v_cmp_gt_u32_e32 vcc_lo, s21, v21
	v_or_b32_e32 v23, 1, v21
	v_and_b32_e32 v24, 0xffffff00, v20
	v_or_b32_e32 v25, 2, v21
	s_waitcnt vmcnt(0) lgkmcnt(1)
	v_cndmask_b32_e32 v22, 0, v19, vcc_lo
	v_cmp_gt_u32_e32 vcc_lo, s21, v23
	v_or_b32_e32 v23, 4, v21
	v_cmp_gt_u32_e64 s0, s21, v25
	v_or_b32_e32 v25, 3, v21
	v_and_b32_e32 v22, 0xff, v22
	s_delay_alu instid0(VALU_DEP_2) | instskip(NEXT) | instid1(VALU_DEP_2)
	v_cmp_gt_u32_e64 s1, s21, v25
	v_cndmask_b32_e32 v22, v22, v19, vcc_lo
	v_cmp_gt_u32_e32 vcc_lo, s21, v23
	s_delay_alu instid0(VALU_DEP_2) | instskip(SKIP_1) | instid1(VALU_DEP_2)
	v_dual_cndmask_b32 v23, v24, v20 :: v_dual_and_b32 v22, 0xffff, v22
	v_or_b32_e32 v24, 5, v21
	v_cndmask_b32_e64 v22, v22, v19, s0
	s_delay_alu instid0(VALU_DEP_3) | instskip(NEXT) | instid1(VALU_DEP_3)
	v_and_b32_e32 v23, 0xffff00ff, v23
	v_cmp_gt_u32_e64 s0, s21, v24
	v_or_b32_e32 v24, 6, v21
	v_or_b32_e32 v21, 7, v21
	v_and_b32_e32 v22, 0xffffff, v22
	s_delay_alu instid0(VALU_DEP_4) | instskip(NEXT) | instid1(VALU_DEP_2)
	v_cndmask_b32_e64 v23, v23, v20, s0
	v_cndmask_b32_e64 v22, v22, v19, s1
	s_delay_alu instid0(VALU_DEP_2) | instskip(NEXT) | instid1(VALU_DEP_2)
	v_and_b32_e32 v23, 0xff00ffff, v23
	v_cndmask_b32_e32 v22, v22, v19, vcc_lo
	v_cmp_gt_u32_e32 vcc_lo, s21, v24
	s_delay_alu instid0(VALU_DEP_2) | instskip(NEXT) | instid1(VALU_DEP_1)
	v_cndmask_b32_e64 v22, v22, v19, s0
	v_dual_cndmask_b32 v23, v23, v20 :: v_dual_cndmask_b32 v22, v22, v19
	s_delay_alu instid0(VALU_DEP_1) | instskip(SKIP_1) | instid1(VALU_DEP_2)
	v_and_b32_e32 v23, 0xffffff, v23
	v_cmp_gt_u32_e32 vcc_lo, s21, v21
	v_dual_cndmask_b32 v20, v23, v20 :: v_dual_cndmask_b32 v19, v22, v19
.LBB851_67:
	s_delay_alu instid0(VALU_DEP_1) | instskip(NEXT) | instid1(VALU_DEP_2)
	v_and_b32_e32 v30, 0xff, v19
	v_alignbit_b32 v21, v20, v19, 24
	v_bfe_u32 v32, v19, 8, 8
	v_bfe_u32 v34, v19, 16, 8
	v_and_b32_e32 v38, 0xff, v20
	v_bfe_u32 v40, v20, 8, 8
	v_and_b32_e32 v36, 0xff, v21
	v_add_nc_u32_e32 v21, v32, v30
	s_waitcnt vmcnt(0) lgkmcnt(1)
	v_and_b32_e32 v22, 0x1e0, v0
	v_mbcnt_lo_u32_b32 v43, -1, 0
	v_bfe_u32 v42, v20, 16, 8
	v_lshrrev_b32_e32 v41, 24, v20
	v_add3_u32 v21, v21, v34, v36
	v_min_u32_e32 v22, 0x160, v22
	v_and_b32_e32 v23, 15, v43
	v_lshrrev_b32_e32 v44, 5, v0
	s_and_b32 vcc_lo, exec_lo, s9
	v_add3_u32 v21, v21, v38, v40
	v_or_b32_e32 v22, 31, v22
	v_cmp_eq_u32_e64 s3, 0, v23
	v_cmp_lt_u32_e64 s4, 1, v23
	v_cmp_lt_u32_e64 s1, 3, v23
	v_add3_u32 v45, v21, v42, v41
	v_and_b32_e32 v21, 16, v43
	v_cmp_lt_u32_e64 s0, 7, v23
	v_cmp_eq_u32_e64 s5, v22, v0
	s_mov_b32 s7, -1
	s_waitcnt lgkmcnt(0)
	v_cmp_eq_u32_e64 s6, 0, v21
	s_barrier
	buffer_gl0_inv
	s_cbranch_vccz .LBB851_93
; %bb.68:
	v_mov_b32_dpp v21, v45 row_shr:1 row_mask:0xf bank_mask:0xf
	s_delay_alu instid0(VALU_DEP_1) | instskip(NEXT) | instid1(VALU_DEP_1)
	v_cndmask_b32_e64 v21, v21, 0, s3
	v_add_nc_u32_e32 v21, v21, v45
	s_delay_alu instid0(VALU_DEP_1) | instskip(NEXT) | instid1(VALU_DEP_1)
	v_mov_b32_dpp v22, v21 row_shr:2 row_mask:0xf bank_mask:0xf
	v_cndmask_b32_e64 v22, 0, v22, s4
	s_delay_alu instid0(VALU_DEP_1) | instskip(NEXT) | instid1(VALU_DEP_1)
	v_add_nc_u32_e32 v21, v21, v22
	v_mov_b32_dpp v22, v21 row_shr:4 row_mask:0xf bank_mask:0xf
	s_delay_alu instid0(VALU_DEP_1) | instskip(NEXT) | instid1(VALU_DEP_1)
	v_cndmask_b32_e64 v22, 0, v22, s1
	v_add_nc_u32_e32 v21, v21, v22
	s_delay_alu instid0(VALU_DEP_1) | instskip(NEXT) | instid1(VALU_DEP_1)
	v_mov_b32_dpp v22, v21 row_shr:8 row_mask:0xf bank_mask:0xf
	v_cndmask_b32_e64 v22, 0, v22, s0
	s_delay_alu instid0(VALU_DEP_1) | instskip(SKIP_3) | instid1(VALU_DEP_1)
	v_add_nc_u32_e32 v21, v21, v22
	ds_swizzle_b32 v22, v21 offset:swizzle(BROADCAST,32,15)
	s_waitcnt lgkmcnt(0)
	v_cndmask_b32_e64 v22, v22, 0, s6
	v_add_nc_u32_e32 v21, v21, v22
	s_and_saveexec_b32 s7, s5
	s_cbranch_execz .LBB851_70
; %bb.69:
	v_lshlrev_b32_e32 v22, 2, v44
	ds_store_b32 v22, v21
.LBB851_70:
	s_or_b32 exec_lo, exec_lo, s7
	s_delay_alu instid0(SALU_CYCLE_1)
	s_mov_b32 s7, exec_lo
	s_waitcnt lgkmcnt(0)
	s_barrier
	buffer_gl0_inv
	v_cmpx_gt_u32_e32 12, v0
	s_cbranch_execz .LBB851_72
; %bb.71:
	v_lshlrev_b32_e32 v22, 2, v0
	ds_load_b32 v23, v22
	s_waitcnt lgkmcnt(0)
	v_mov_b32_dpp v24, v23 row_shr:1 row_mask:0xf bank_mask:0xf
	s_delay_alu instid0(VALU_DEP_1) | instskip(NEXT) | instid1(VALU_DEP_1)
	v_cndmask_b32_e64 v24, v24, 0, s3
	v_add_nc_u32_e32 v23, v24, v23
	s_delay_alu instid0(VALU_DEP_1) | instskip(NEXT) | instid1(VALU_DEP_1)
	v_mov_b32_dpp v24, v23 row_shr:2 row_mask:0xf bank_mask:0xf
	v_cndmask_b32_e64 v24, 0, v24, s4
	s_delay_alu instid0(VALU_DEP_1) | instskip(NEXT) | instid1(VALU_DEP_1)
	v_add_nc_u32_e32 v23, v23, v24
	v_mov_b32_dpp v24, v23 row_shr:4 row_mask:0xf bank_mask:0xf
	s_delay_alu instid0(VALU_DEP_1) | instskip(NEXT) | instid1(VALU_DEP_1)
	v_cndmask_b32_e64 v24, 0, v24, s1
	v_add_nc_u32_e32 v23, v23, v24
	s_delay_alu instid0(VALU_DEP_1) | instskip(NEXT) | instid1(VALU_DEP_1)
	v_mov_b32_dpp v24, v23 row_shr:8 row_mask:0xf bank_mask:0xf
	v_cndmask_b32_e64 v24, 0, v24, s0
	s_delay_alu instid0(VALU_DEP_1)
	v_add_nc_u32_e32 v23, v23, v24
	ds_store_b32 v22, v23
.LBB851_72:
	s_or_b32 exec_lo, exec_lo, s7
	v_cmp_gt_u32_e32 vcc_lo, 32, v0
	s_mov_b32 s8, exec_lo
	s_waitcnt lgkmcnt(0)
	s_barrier
	buffer_gl0_inv
                                        ; implicit-def: $vgpr29
	v_cmpx_lt_u32_e32 31, v0
	s_cbranch_execz .LBB851_74
; %bb.73:
	v_lshl_add_u32 v22, v44, 2, -4
	ds_load_b32 v29, v22
	s_waitcnt lgkmcnt(0)
	v_add_nc_u32_e32 v21, v29, v21
.LBB851_74:
	s_or_b32 exec_lo, exec_lo, s8
	v_add_nc_u32_e32 v22, -1, v43
	s_delay_alu instid0(VALU_DEP_1) | instskip(NEXT) | instid1(VALU_DEP_1)
	v_cmp_gt_i32_e64 s7, 0, v22
	v_cndmask_b32_e64 v22, v22, v43, s7
	v_cmp_eq_u32_e64 s7, 0, v43
	s_delay_alu instid0(VALU_DEP_2)
	v_lshlrev_b32_e32 v22, 2, v22
	ds_bpermute_b32 v31, v22, v21
	s_and_saveexec_b32 s8, vcc_lo
	s_cbranch_execz .LBB851_92
; %bb.75:
	v_mov_b32_e32 v25, 0
	ds_load_b32 v21, v25 offset:44
	s_and_saveexec_b32 s9, s7
	s_cbranch_execz .LBB851_77
; %bb.76:
	s_add_i32 s14, s20, 32
	s_mov_b32 s15, 0
	v_mov_b32_e32 v22, 1
	s_lshl_b64 s[14:15], s[14:15], 3
	s_delay_alu instid0(SALU_CYCLE_1)
	s_add_u32 s14, s16, s14
	s_addc_u32 s15, s17, s15
	s_waitcnt lgkmcnt(0)
	global_store_b64 v25, v[21:22], s[14:15]
.LBB851_77:
	s_or_b32 exec_lo, exec_lo, s9
	v_xad_u32 v23, v43, -1, s20
	s_mov_b32 s14, 0
	s_mov_b32 s9, exec_lo
	s_delay_alu instid0(VALU_DEP_1) | instskip(NEXT) | instid1(VALU_DEP_1)
	v_add_nc_u32_e32 v24, 32, v23
	v_lshlrev_b64 v[24:25], 3, v[24:25]
	s_delay_alu instid0(VALU_DEP_1) | instskip(NEXT) | instid1(VALU_DEP_2)
	v_add_co_u32 v27, vcc_lo, s16, v24
	v_add_co_ci_u32_e32 v28, vcc_lo, s17, v25, vcc_lo
	global_load_b64 v[25:26], v[27:28], off glc
	s_waitcnt vmcnt(0)
	v_and_b32_e32 v22, 0xff, v26
	s_delay_alu instid0(VALU_DEP_1)
	v_cmpx_eq_u16_e32 0, v22
	s_cbranch_execz .LBB851_80
.LBB851_78:                             ; =>This Inner Loop Header: Depth=1
	global_load_b64 v[25:26], v[27:28], off glc
	s_waitcnt vmcnt(0)
	v_and_b32_e32 v22, 0xff, v26
	s_delay_alu instid0(VALU_DEP_1) | instskip(SKIP_1) | instid1(SALU_CYCLE_1)
	v_cmp_ne_u16_e32 vcc_lo, 0, v22
	s_or_b32 s14, vcc_lo, s14
	s_and_not1_b32 exec_lo, exec_lo, s14
	s_cbranch_execnz .LBB851_78
; %bb.79:
	s_or_b32 exec_lo, exec_lo, s14
.LBB851_80:
	s_delay_alu instid0(SALU_CYCLE_1)
	s_or_b32 exec_lo, exec_lo, s9
	v_cmp_ne_u32_e32 vcc_lo, 31, v43
	v_lshlrev_b32_e64 v35, v43, -1
	v_add_nc_u32_e32 v39, 2, v43
	v_add_nc_u32_e32 v47, 4, v43
	;; [unrolled: 1-line block ×3, first 2 shown]
	v_add_co_ci_u32_e32 v22, vcc_lo, 0, v43, vcc_lo
	v_add_nc_u32_e32 v51, 16, v43
	s_delay_alu instid0(VALU_DEP_2)
	v_lshlrev_b32_e32 v33, 2, v22
	v_and_b32_e32 v22, 0xff, v26
	ds_bpermute_b32 v24, v33, v25
	v_cmp_eq_u16_e32 vcc_lo, 2, v22
	v_and_or_b32 v22, vcc_lo, v35, 0x80000000
	v_cmp_gt_u32_e32 vcc_lo, 30, v43
	s_delay_alu instid0(VALU_DEP_2) | instskip(SKIP_1) | instid1(VALU_DEP_2)
	v_ctz_i32_b32_e32 v22, v22
	v_cndmask_b32_e64 v27, 0, 1, vcc_lo
	v_cmp_lt_u32_e32 vcc_lo, v43, v22
	s_waitcnt lgkmcnt(0)
	s_delay_alu instid0(VALU_DEP_2) | instskip(NEXT) | instid1(VALU_DEP_1)
	v_dual_cndmask_b32 v24, 0, v24 :: v_dual_lshlrev_b32 v27, 1, v27
	v_add_lshl_u32 v37, v27, v43, 2
	v_cmp_gt_u32_e32 vcc_lo, 28, v43
	s_delay_alu instid0(VALU_DEP_3) | instskip(SKIP_4) | instid1(VALU_DEP_1)
	v_add_nc_u32_e32 v24, v24, v25
	v_cndmask_b32_e64 v27, 0, 1, vcc_lo
	v_cmp_le_u32_e32 vcc_lo, v39, v22
	ds_bpermute_b32 v25, v37, v24
	v_lshlrev_b32_e32 v27, 2, v27
	v_add_lshl_u32 v46, v27, v43, 2
	s_waitcnt lgkmcnt(0)
	v_cndmask_b32_e32 v25, 0, v25, vcc_lo
	v_cmp_gt_u32_e32 vcc_lo, 24, v43
	s_delay_alu instid0(VALU_DEP_2) | instskip(SKIP_4) | instid1(VALU_DEP_1)
	v_add_nc_u32_e32 v24, v24, v25
	v_cndmask_b32_e64 v27, 0, 1, vcc_lo
	v_cmp_le_u32_e32 vcc_lo, v47, v22
	ds_bpermute_b32 v25, v46, v24
	v_lshlrev_b32_e32 v27, 3, v27
	v_add_lshl_u32 v48, v27, v43, 2
	s_waitcnt lgkmcnt(0)
	v_cndmask_b32_e32 v25, 0, v25, vcc_lo
	v_cmp_gt_u32_e32 vcc_lo, 16, v43
	s_delay_alu instid0(VALU_DEP_2) | instskip(SKIP_4) | instid1(VALU_DEP_1)
	v_add_nc_u32_e32 v24, v24, v25
	v_cndmask_b32_e64 v27, 0, 1, vcc_lo
	v_cmp_le_u32_e32 vcc_lo, v49, v22
	ds_bpermute_b32 v25, v48, v24
	v_lshlrev_b32_e32 v27, 4, v27
	v_add_lshl_u32 v50, v27, v43, 2
	s_waitcnt lgkmcnt(0)
	v_cndmask_b32_e32 v25, 0, v25, vcc_lo
	v_cmp_le_u32_e32 vcc_lo, v51, v22
	s_delay_alu instid0(VALU_DEP_2) | instskip(SKIP_3) | instid1(VALU_DEP_1)
	v_add_nc_u32_e32 v24, v24, v25
	ds_bpermute_b32 v25, v50, v24
	s_waitcnt lgkmcnt(0)
	v_cndmask_b32_e32 v22, 0, v25, vcc_lo
	v_dual_mov_b32 v24, 0 :: v_dual_add_nc_u32 v25, v24, v22
	s_branch .LBB851_82
.LBB851_81:                             ;   in Loop: Header=BB851_82 Depth=1
	s_or_b32 exec_lo, exec_lo, s9
	ds_bpermute_b32 v28, v33, v25
	v_and_b32_e32 v27, 0xff, v26
	v_subrev_nc_u32_e32 v23, 32, v23
	s_delay_alu instid0(VALU_DEP_2) | instskip(SKIP_1) | instid1(VALU_DEP_1)
	v_cmp_eq_u16_e32 vcc_lo, 2, v27
	v_and_or_b32 v27, vcc_lo, v35, 0x80000000
	v_ctz_i32_b32_e32 v27, v27
	s_delay_alu instid0(VALU_DEP_1) | instskip(SKIP_3) | instid1(VALU_DEP_2)
	v_cmp_lt_u32_e32 vcc_lo, v43, v27
	s_waitcnt lgkmcnt(0)
	v_cndmask_b32_e32 v28, 0, v28, vcc_lo
	v_cmp_le_u32_e32 vcc_lo, v39, v27
	v_add_nc_u32_e32 v25, v28, v25
	ds_bpermute_b32 v28, v37, v25
	s_waitcnt lgkmcnt(0)
	v_cndmask_b32_e32 v28, 0, v28, vcc_lo
	v_cmp_le_u32_e32 vcc_lo, v47, v27
	s_delay_alu instid0(VALU_DEP_2) | instskip(SKIP_4) | instid1(VALU_DEP_2)
	v_add_nc_u32_e32 v25, v25, v28
	ds_bpermute_b32 v28, v46, v25
	s_waitcnt lgkmcnt(0)
	v_cndmask_b32_e32 v28, 0, v28, vcc_lo
	v_cmp_le_u32_e32 vcc_lo, v49, v27
	v_add_nc_u32_e32 v25, v25, v28
	ds_bpermute_b32 v28, v48, v25
	s_waitcnt lgkmcnt(0)
	v_cndmask_b32_e32 v28, 0, v28, vcc_lo
	v_cmp_le_u32_e32 vcc_lo, v51, v27
	s_delay_alu instid0(VALU_DEP_2) | instskip(SKIP_3) | instid1(VALU_DEP_1)
	v_add_nc_u32_e32 v25, v25, v28
	ds_bpermute_b32 v28, v50, v25
	s_waitcnt lgkmcnt(0)
	v_cndmask_b32_e32 v27, 0, v28, vcc_lo
	v_add3_u32 v25, v27, v22, v25
.LBB851_82:                             ; =>This Loop Header: Depth=1
                                        ;     Child Loop BB851_85 Depth 2
	v_and_b32_e32 v22, 0xff, v26
	s_delay_alu instid0(VALU_DEP_1) | instskip(SKIP_2) | instid1(VALU_DEP_1)
	v_cmp_ne_u16_e32 vcc_lo, 2, v22
	v_cndmask_b32_e64 v22, 0, 1, vcc_lo
	;;#ASMSTART
	;;#ASMEND
	v_cmp_ne_u32_e32 vcc_lo, 0, v22
	v_mov_b32_e32 v22, v25
	s_cmp_lg_u32 vcc_lo, exec_lo
	s_cbranch_scc1 .LBB851_87
; %bb.83:                               ;   in Loop: Header=BB851_82 Depth=1
	v_lshlrev_b64 v[25:26], 3, v[23:24]
	s_mov_b32 s9, exec_lo
	s_delay_alu instid0(VALU_DEP_1) | instskip(NEXT) | instid1(VALU_DEP_2)
	v_add_co_u32 v27, vcc_lo, s16, v25
	v_add_co_ci_u32_e32 v28, vcc_lo, s17, v26, vcc_lo
	global_load_b64 v[25:26], v[27:28], off glc
	s_waitcnt vmcnt(0)
	v_and_b32_e32 v52, 0xff, v26
	s_delay_alu instid0(VALU_DEP_1)
	v_cmpx_eq_u16_e32 0, v52
	s_cbranch_execz .LBB851_81
; %bb.84:                               ;   in Loop: Header=BB851_82 Depth=1
	s_mov_b32 s14, 0
.LBB851_85:                             ;   Parent Loop BB851_82 Depth=1
                                        ; =>  This Inner Loop Header: Depth=2
	global_load_b64 v[25:26], v[27:28], off glc
	s_waitcnt vmcnt(0)
	v_and_b32_e32 v52, 0xff, v26
	s_delay_alu instid0(VALU_DEP_1) | instskip(SKIP_1) | instid1(SALU_CYCLE_1)
	v_cmp_ne_u16_e32 vcc_lo, 0, v52
	s_or_b32 s14, vcc_lo, s14
	s_and_not1_b32 exec_lo, exec_lo, s14
	s_cbranch_execnz .LBB851_85
; %bb.86:                               ;   in Loop: Header=BB851_82 Depth=1
	s_or_b32 exec_lo, exec_lo, s14
	s_branch .LBB851_81
.LBB851_87:                             ;   in Loop: Header=BB851_82 Depth=1
                                        ; implicit-def: $vgpr25
                                        ; implicit-def: $vgpr26
	s_cbranch_execz .LBB851_82
; %bb.88:
	s_and_saveexec_b32 s9, s7
	s_cbranch_execz .LBB851_90
; %bb.89:
	s_add_i32 s14, s20, 32
	s_mov_b32 s15, 0
	v_dual_mov_b32 v24, 2 :: v_dual_add_nc_u32 v23, v22, v21
	s_lshl_b64 s[14:15], s[14:15], 3
	v_mov_b32_e32 v25, 0
	s_add_u32 s14, s16, s14
	s_addc_u32 s15, s17, s15
	global_store_b64 v25, v[23:24], s[14:15]
	ds_store_b64 v25, v[21:22] offset:12672
.LBB851_90:
	s_or_b32 exec_lo, exec_lo, s9
	s_delay_alu instid0(SALU_CYCLE_1)
	s_and_b32 exec_lo, exec_lo, s2
	s_cbranch_execz .LBB851_92
; %bb.91:
	v_mov_b32_e32 v21, 0
	ds_store_b32 v21, v22 offset:44
.LBB851_92:
	s_or_b32 exec_lo, exec_lo, s8
	v_mov_b32_e32 v21, 0
	s_waitcnt lgkmcnt(0)
	s_waitcnt_vscnt null, 0x0
	s_barrier
	buffer_gl0_inv
	v_cndmask_b32_e64 v23, v31, v29, s7
	ds_load_b32 v22, v21 offset:44
	s_waitcnt lgkmcnt(0)
	s_barrier
	buffer_gl0_inv
	v_cndmask_b32_e64 v23, v23, 0, s2
	s_delay_alu instid0(VALU_DEP_1) | instskip(SKIP_2) | instid1(VALU_DEP_1)
	v_add_nc_u32_e32 v39, v22, v23
	ds_load_b64 v[21:22], v21 offset:12672
	v_add_nc_u32_e32 v37, v39, v30
	v_add_nc_u32_e32 v35, v37, v32
	s_delay_alu instid0(VALU_DEP_1) | instskip(NEXT) | instid1(VALU_DEP_1)
	v_add_nc_u32_e32 v33, v35, v34
	v_add_nc_u32_e32 v31, v33, v36
	s_delay_alu instid0(VALU_DEP_1) | instskip(NEXT) | instid1(VALU_DEP_1)
	v_add_nc_u32_e32 v29, v31, v38
	v_add_nc_u32_e32 v27, v29, v40
	s_delay_alu instid0(VALU_DEP_1)
	v_add_nc_u32_e32 v25, v27, v42
	v_lshrrev_b64 v[23:24], 24, v[19:20]
	s_branch .LBB851_103
.LBB851_93:
                                        ; implicit-def: $vgpr25
                                        ; implicit-def: $vgpr27
                                        ; implicit-def: $vgpr29
                                        ; implicit-def: $vgpr31
                                        ; implicit-def: $vgpr33
                                        ; implicit-def: $vgpr35
                                        ; implicit-def: $vgpr37
                                        ; implicit-def: $vgpr39
                                        ; implicit-def: $vgpr22
	v_lshrrev_b64 v[23:24], 24, v[19:20]
	s_and_b32 vcc_lo, exec_lo, s7
	s_cbranch_vccz .LBB851_103
; %bb.94:
	s_waitcnt lgkmcnt(0)
	v_mov_b32_dpp v21, v45 row_shr:1 row_mask:0xf bank_mask:0xf
	s_delay_alu instid0(VALU_DEP_1) | instskip(NEXT) | instid1(VALU_DEP_1)
	v_cndmask_b32_e64 v21, v21, 0, s3
	v_add_nc_u32_e32 v21, v21, v45
	s_delay_alu instid0(VALU_DEP_1) | instskip(NEXT) | instid1(VALU_DEP_1)
	v_mov_b32_dpp v22, v21 row_shr:2 row_mask:0xf bank_mask:0xf
	v_cndmask_b32_e64 v22, 0, v22, s4
	s_delay_alu instid0(VALU_DEP_1) | instskip(NEXT) | instid1(VALU_DEP_1)
	v_add_nc_u32_e32 v21, v21, v22
	v_mov_b32_dpp v22, v21 row_shr:4 row_mask:0xf bank_mask:0xf
	s_delay_alu instid0(VALU_DEP_1) | instskip(NEXT) | instid1(VALU_DEP_1)
	v_cndmask_b32_e64 v22, 0, v22, s1
	v_add_nc_u32_e32 v21, v21, v22
	s_delay_alu instid0(VALU_DEP_1) | instskip(NEXT) | instid1(VALU_DEP_1)
	v_mov_b32_dpp v22, v21 row_shr:8 row_mask:0xf bank_mask:0xf
	v_cndmask_b32_e64 v22, 0, v22, s0
	s_delay_alu instid0(VALU_DEP_1) | instskip(SKIP_3) | instid1(VALU_DEP_1)
	v_add_nc_u32_e32 v21, v21, v22
	ds_swizzle_b32 v22, v21 offset:swizzle(BROADCAST,32,15)
	s_waitcnt lgkmcnt(0)
	v_cndmask_b32_e64 v22, v22, 0, s6
	v_add_nc_u32_e32 v21, v21, v22
	s_and_saveexec_b32 s6, s5
	s_cbranch_execz .LBB851_96
; %bb.95:
	v_lshlrev_b32_e32 v22, 2, v44
	ds_store_b32 v22, v21
.LBB851_96:
	s_or_b32 exec_lo, exec_lo, s6
	s_delay_alu instid0(SALU_CYCLE_1)
	s_mov_b32 s5, exec_lo
	s_waitcnt lgkmcnt(0)
	s_barrier
	buffer_gl0_inv
	v_cmpx_gt_u32_e32 12, v0
	s_cbranch_execz .LBB851_98
; %bb.97:
	v_lshlrev_b32_e32 v22, 2, v0
	ds_load_b32 v24, v22
	s_waitcnt lgkmcnt(0)
	v_mov_b32_dpp v25, v24 row_shr:1 row_mask:0xf bank_mask:0xf
	s_delay_alu instid0(VALU_DEP_1) | instskip(NEXT) | instid1(VALU_DEP_1)
	v_cndmask_b32_e64 v25, v25, 0, s3
	v_add_nc_u32_e32 v24, v25, v24
	s_delay_alu instid0(VALU_DEP_1) | instskip(NEXT) | instid1(VALU_DEP_1)
	v_mov_b32_dpp v25, v24 row_shr:2 row_mask:0xf bank_mask:0xf
	v_cndmask_b32_e64 v25, 0, v25, s4
	s_delay_alu instid0(VALU_DEP_1) | instskip(NEXT) | instid1(VALU_DEP_1)
	v_add_nc_u32_e32 v24, v24, v25
	v_mov_b32_dpp v25, v24 row_shr:4 row_mask:0xf bank_mask:0xf
	s_delay_alu instid0(VALU_DEP_1) | instskip(NEXT) | instid1(VALU_DEP_1)
	v_cndmask_b32_e64 v25, 0, v25, s1
	v_add_nc_u32_e32 v24, v24, v25
	s_delay_alu instid0(VALU_DEP_1) | instskip(NEXT) | instid1(VALU_DEP_1)
	v_mov_b32_dpp v25, v24 row_shr:8 row_mask:0xf bank_mask:0xf
	v_cndmask_b32_e64 v25, 0, v25, s0
	s_delay_alu instid0(VALU_DEP_1)
	v_add_nc_u32_e32 v24, v24, v25
	ds_store_b32 v22, v24
.LBB851_98:
	s_or_b32 exec_lo, exec_lo, s5
	v_mov_b32_e32 v22, 0
	v_mov_b32_e32 v24, 0
	s_mov_b32 s0, exec_lo
	s_waitcnt lgkmcnt(0)
	s_barrier
	buffer_gl0_inv
	v_cmpx_lt_u32_e32 31, v0
	s_cbranch_execz .LBB851_100
; %bb.99:
	v_lshl_add_u32 v24, v44, 2, -4
	ds_load_b32 v24, v24
.LBB851_100:
	s_or_b32 exec_lo, exec_lo, s0
	v_add_nc_u32_e32 v25, -1, v43
	s_waitcnt lgkmcnt(0)
	v_add_nc_u32_e32 v21, v24, v21
	s_delay_alu instid0(VALU_DEP_2) | instskip(SKIP_1) | instid1(VALU_DEP_1)
	v_cmp_gt_i32_e32 vcc_lo, 0, v25
	v_cndmask_b32_e32 v25, v25, v43, vcc_lo
	v_lshlrev_b32_e32 v25, 2, v25
	ds_bpermute_b32 v25, v25, v21
	ds_load_b32 v21, v22 offset:44
	s_and_saveexec_b32 s0, s2
	s_cbranch_execz .LBB851_102
; %bb.101:
	v_mov_b32_e32 v26, 0
	v_mov_b32_e32 v22, 2
	s_waitcnt lgkmcnt(0)
	global_store_b64 v26, v[21:22], s[16:17] offset:256
.LBB851_102:
	s_or_b32 exec_lo, exec_lo, s0
	v_cmp_eq_u32_e32 vcc_lo, 0, v43
	s_waitcnt lgkmcnt(0)
	s_waitcnt_vscnt null, 0x0
	s_barrier
	buffer_gl0_inv
	v_cndmask_b32_e32 v22, v25, v24, vcc_lo
	s_delay_alu instid0(VALU_DEP_1) | instskip(NEXT) | instid1(VALU_DEP_1)
	v_cndmask_b32_e64 v39, v22, 0, s2
	v_dual_mov_b32 v22, 0 :: v_dual_add_nc_u32 v37, v39, v30
	s_delay_alu instid0(VALU_DEP_1) | instskip(NEXT) | instid1(VALU_DEP_1)
	v_add_nc_u32_e32 v35, v37, v32
	v_add_nc_u32_e32 v33, v35, v34
	s_delay_alu instid0(VALU_DEP_1) | instskip(NEXT) | instid1(VALU_DEP_1)
	v_add_nc_u32_e32 v31, v33, v36
	v_add_nc_u32_e32 v29, v31, v38
	;; [unrolled: 3-line block ×3, first 2 shown]
.LBB851_103:
	s_waitcnt lgkmcnt(0)
	v_cmp_gt_u32_e32 vcc_lo, 0x181, v21
	v_lshrrev_b32_e32 v44, 8, v19
	v_lshrrev_b32_e32 v43, 16, v19
	;; [unrolled: 1-line block ×4, first 2 shown]
	v_cmp_lt_u32_e64 s0, 0x180, v21
	s_mov_b32 s1, -1
	s_cbranch_vccz .LBB851_129
; %bb.104:
	v_lshlrev_b64 v[45:46], 2, v[9:10]
	v_add_nc_u32_e32 v26, v22, v21
	s_delay_alu instid0(VALU_DEP_1) | instskip(NEXT) | instid1(VALU_DEP_3)
	v_cmp_lt_u32_e32 vcc_lo, v39, v26
	v_add_co_u32 v45, s1, s10, v45
	s_delay_alu instid0(VALU_DEP_1) | instskip(SKIP_1) | instid1(SALU_CYCLE_1)
	v_add_co_ci_u32_e64 v46, s1, s11, v46, s1
	s_or_b32 s3, s19, vcc_lo
	s_and_saveexec_b32 s1, s3
	s_cbranch_execz .LBB851_107
; %bb.105:
	v_and_b32_e32 v28, 1, v19
	s_delay_alu instid0(VALU_DEP_1)
	v_cmp_eq_u32_e32 vcc_lo, 1, v28
	s_and_b32 exec_lo, exec_lo, vcc_lo
	s_cbranch_execz .LBB851_107
; %bb.106:
	v_mov_b32_e32 v40, 0
	s_delay_alu instid0(VALU_DEP_1) | instskip(NEXT) | instid1(VALU_DEP_1)
	v_lshlrev_b64 v[47:48], 2, v[39:40]
	v_add_co_u32 v47, vcc_lo, v45, v47
	s_delay_alu instid0(VALU_DEP_2)
	v_add_co_ci_u32_e32 v48, vcc_lo, v46, v48, vcc_lo
	global_store_b32 v[47:48], v7, off
.LBB851_107:
	s_or_b32 exec_lo, exec_lo, s1
	v_cmp_lt_u32_e32 vcc_lo, v37, v26
	s_or_b32 s3, s19, vcc_lo
	s_delay_alu instid0(SALU_CYCLE_1)
	s_and_saveexec_b32 s1, s3
	s_cbranch_execz .LBB851_110
; %bb.108:
	v_and_b32_e32 v28, 1, v44
	s_delay_alu instid0(VALU_DEP_1)
	v_cmp_eq_u32_e32 vcc_lo, 1, v28
	s_and_b32 exec_lo, exec_lo, vcc_lo
	s_cbranch_execz .LBB851_110
; %bb.109:
	v_mov_b32_e32 v38, 0
	s_delay_alu instid0(VALU_DEP_1) | instskip(NEXT) | instid1(VALU_DEP_1)
	v_lshlrev_b64 v[47:48], 2, v[37:38]
	v_add_co_u32 v47, vcc_lo, v45, v47
	s_delay_alu instid0(VALU_DEP_2)
	v_add_co_ci_u32_e32 v48, vcc_lo, v46, v48, vcc_lo
	global_store_b32 v[47:48], v8, off
.LBB851_110:
	s_or_b32 exec_lo, exec_lo, s1
	v_cmp_lt_u32_e32 vcc_lo, v35, v26
	s_or_b32 s3, s19, vcc_lo
	s_delay_alu instid0(SALU_CYCLE_1)
	;; [unrolled: 21-line block ×7, first 2 shown]
	s_and_saveexec_b32 s1, s3
	s_cbranch_execz .LBB851_128
; %bb.126:
	v_and_b32_e32 v26, 1, v41
	s_delay_alu instid0(VALU_DEP_1)
	v_cmp_eq_u32_e32 vcc_lo, 1, v26
	s_and_b32 exec_lo, exec_lo, vcc_lo
	s_cbranch_execz .LBB851_128
; %bb.127:
	v_mov_b32_e32 v26, 0
	s_delay_alu instid0(VALU_DEP_1) | instskip(NEXT) | instid1(VALU_DEP_1)
	v_lshlrev_b64 v[47:48], 2, v[25:26]
	v_add_co_u32 v45, vcc_lo, v45, v47
	s_delay_alu instid0(VALU_DEP_2)
	v_add_co_ci_u32_e32 v46, vcc_lo, v46, v48, vcc_lo
	global_store_b32 v[45:46], v2, off
.LBB851_128:
	s_or_b32 exec_lo, exec_lo, s1
	s_mov_b32 s1, 0
.LBB851_129:
	v_and_b32_e32 v19, 1, v19
	s_and_b32 vcc_lo, exec_lo, s1
	s_delay_alu instid0(VALU_DEP_1)
	v_cmp_eq_u32_e64 s1, 1, v19
	s_cbranch_vccz .LBB851_150
; %bb.130:
	s_delay_alu instid0(VALU_DEP_1)
	s_and_saveexec_b32 s3, s1
	s_cbranch_execz .LBB851_132
; %bb.131:
	v_sub_nc_u32_e32 v26, v39, v22
	s_delay_alu instid0(VALU_DEP_1)
	v_lshlrev_b32_e32 v26, 2, v26
	ds_store_b32 v26, v7
.LBB851_132:
	s_or_b32 exec_lo, exec_lo, s3
	v_and_b32_e32 v7, 1, v44
	s_mov_b32 s1, exec_lo
	s_delay_alu instid0(VALU_DEP_1)
	v_cmpx_eq_u32_e32 1, v7
	s_cbranch_execz .LBB851_134
; %bb.133:
	v_sub_nc_u32_e32 v7, v37, v22
	s_delay_alu instid0(VALU_DEP_1)
	v_lshlrev_b32_e32 v7, 2, v7
	ds_store_b32 v7, v8
.LBB851_134:
	s_or_b32 exec_lo, exec_lo, s1
	v_and_b32_e32 v7, 1, v43
	s_mov_b32 s1, exec_lo
	s_delay_alu instid0(VALU_DEP_1)
	v_cmpx_eq_u32_e32 1, v7
	;; [unrolled: 12-line block ×7, first 2 shown]
	s_cbranch_execz .LBB851_146
; %bb.145:
	v_sub_nc_u32_e32 v1, v25, v22
	s_delay_alu instid0(VALU_DEP_1)
	v_lshlrev_b32_e32 v1, 2, v1
	ds_store_b32 v1, v2
.LBB851_146:
	s_or_b32 exec_lo, exec_lo, s1
	s_delay_alu instid0(SALU_CYCLE_1)
	s_mov_b32 s3, exec_lo
	s_waitcnt lgkmcnt(0)
	s_waitcnt_vscnt null, 0x0
	s_barrier
	buffer_gl0_inv
	v_cmpx_lt_u32_e64 v0, v21
	s_cbranch_execz .LBB851_149
; %bb.147:
	v_dual_mov_b32 v1, 0 :: v_dual_mov_b32 v2, v22
	v_lshlrev_b64 v[4:5], 2, v[9:10]
	s_mov_b32 s4, 0
	s_delay_alu instid0(VALU_DEP_2) | instskip(NEXT) | instid1(VALU_DEP_2)
	v_mov_b32_e32 v3, v1
	v_add_co_u32 v4, vcc_lo, s10, v4
	s_delay_alu instid0(VALU_DEP_2) | instskip(NEXT) | instid1(VALU_DEP_4)
	v_lshlrev_b64 v[2:3], 2, v[2:3]
	v_add_co_ci_u32_e32 v5, vcc_lo, s11, v5, vcc_lo
	s_delay_alu instid0(VALU_DEP_2) | instskip(SKIP_1) | instid1(VALU_DEP_3)
	v_add_co_u32 v2, vcc_lo, v4, v2
	v_lshlrev_b32_e32 v4, 2, v0
	v_add_co_ci_u32_e32 v3, vcc_lo, v5, v3, vcc_lo
	.p2align	6
.LBB851_148:                            ; =>This Inner Loop Header: Depth=1
	ds_load_b32 v7, v4
	v_lshlrev_b64 v[5:6], 2, v[0:1]
	v_add_nc_u32_e32 v0, 0x180, v0
	v_add_nc_u32_e32 v4, 0x600, v4
	s_delay_alu instid0(VALU_DEP_2) | instskip(NEXT) | instid1(VALU_DEP_4)
	v_cmp_ge_u32_e32 vcc_lo, v0, v21
	v_add_co_u32 v5, s1, v2, v5
	s_delay_alu instid0(VALU_DEP_1)
	v_add_co_ci_u32_e64 v6, s1, v3, v6, s1
	s_or_b32 s4, vcc_lo, s4
	s_waitcnt lgkmcnt(0)
	global_store_b32 v[5:6], v7, off
	s_and_not1_b32 exec_lo, exec_lo, s4
	s_cbranch_execnz .LBB851_148
.LBB851_149:
	s_or_b32 exec_lo, exec_lo, s3
.LBB851_150:
	s_delay_alu instid0(SALU_CYCLE_1)
	s_and_not1_b32 vcc_lo, exec_lo, s0
	s_waitcnt_vscnt null, 0x0
	s_barrier
	buffer_gl0_inv
	s_cbranch_vccnz .LBB851_169
; %bb.151:
	s_mov_b32 s0, exec_lo
	v_cmpx_eq_u32_e32 1, v19
	s_cbranch_execz .LBB851_153
; %bb.152:
	v_sub_nc_u32_e32 v0, v39, v22
	s_delay_alu instid0(VALU_DEP_1)
	v_lshlrev_b32_e32 v0, 2, v0
	ds_store_b32 v0, v17
.LBB851_153:
	s_or_b32 exec_lo, exec_lo, s0
	v_and_b32_e32 v0, 1, v44
	s_mov_b32 s0, exec_lo
	s_delay_alu instid0(VALU_DEP_1)
	v_cmpx_eq_u32_e32 1, v0
	s_cbranch_execz .LBB851_155
; %bb.154:
	v_sub_nc_u32_e32 v0, v37, v22
	s_delay_alu instid0(VALU_DEP_1)
	v_lshlrev_b32_e32 v0, 2, v0
	ds_store_b32 v0, v18
.LBB851_155:
	s_or_b32 exec_lo, exec_lo, s0
	v_and_b32_e32 v0, 1, v43
	s_mov_b32 s0, exec_lo
	s_delay_alu instid0(VALU_DEP_1)
	;; [unrolled: 12-line block ×7, first 2 shown]
	v_cmpx_eq_u32_e32 1, v0
	s_cbranch_execz .LBB851_167
; %bb.166:
	v_sub_nc_u32_e32 v0, v25, v22
	s_delay_alu instid0(VALU_DEP_1)
	v_lshlrev_b32_e32 v0, 2, v0
	ds_store_b32 v0, v12
.LBB851_167:
	s_or_b32 exec_lo, exec_lo, s0
	s_waitcnt lgkmcnt(0)
	s_barrier
	buffer_gl0_inv
	s_and_b32 s0, s2, s18
	s_delay_alu instid0(SALU_CYCLE_1)
	s_and_saveexec_b32 s1, s0
	s_cbranch_execnz .LBB851_170
.LBB851_168:
	s_endpgm
.LBB851_169:
	s_and_b32 s0, s2, s18
	s_delay_alu instid0(SALU_CYCLE_1)
	s_and_saveexec_b32 s1, s0
	s_cbranch_execz .LBB851_168
.LBB851_170:
	v_add_co_u32 v0, vcc_lo, v9, v21
	v_add_co_ci_u32_e32 v1, vcc_lo, 0, v10, vcc_lo
	v_mov_b32_e32 v2, 0
	s_delay_alu instid0(VALU_DEP_3) | instskip(NEXT) | instid1(VALU_DEP_3)
	v_add_co_u32 v0, vcc_lo, v0, v22
	v_add_co_ci_u32_e32 v1, vcc_lo, 0, v1, vcc_lo
	global_store_b64 v2, v[0:1], s[12:13]
	s_nop 0
	s_sendmsg sendmsg(MSG_DEALLOC_VGPRS)
	s_endpgm
	.section	.rodata,"a",@progbits
	.p2align	6, 0x0
	.amdhsa_kernel _ZN7rocprim17ROCPRIM_400000_NS6detail17trampoline_kernelINS0_14default_configENS1_25partition_config_selectorILNS1_17partition_subalgoE9EjjbEEZZNS1_14partition_implILS5_9ELb0ES3_jN6thrust23THRUST_200600_302600_NS6detail15normal_iteratorINS9_10device_ptrIjEEEESE_PNS0_10empty_typeENS0_5tupleIJSE_SF_EEENSH_IJNS9_16discard_iteratorINS9_11use_defaultEEESG_EEENS0_18inequality_wrapperINS9_8equal_toIjEEEEPmJSF_EEE10hipError_tPvRmT3_T4_T5_T6_T7_T9_mT8_P12ihipStream_tbDpT10_ENKUlT_T0_E_clISt17integral_constantIbLb0EES1A_IbLb1EEEEDaS16_S17_EUlS16_E_NS1_11comp_targetILNS1_3genE9ELNS1_11target_archE1100ELNS1_3gpuE3ELNS1_3repE0EEENS1_30default_config_static_selectorELNS0_4arch9wavefront6targetE0EEEvT1_
		.amdhsa_group_segment_fixed_size 12680
		.amdhsa_private_segment_fixed_size 0
		.amdhsa_kernarg_size 136
		.amdhsa_user_sgpr_count 15
		.amdhsa_user_sgpr_dispatch_ptr 0
		.amdhsa_user_sgpr_queue_ptr 0
		.amdhsa_user_sgpr_kernarg_segment_ptr 1
		.amdhsa_user_sgpr_dispatch_id 0
		.amdhsa_user_sgpr_private_segment_size 0
		.amdhsa_wavefront_size32 1
		.amdhsa_uses_dynamic_stack 0
		.amdhsa_enable_private_segment 0
		.amdhsa_system_sgpr_workgroup_id_x 1
		.amdhsa_system_sgpr_workgroup_id_y 0
		.amdhsa_system_sgpr_workgroup_id_z 0
		.amdhsa_system_sgpr_workgroup_info 0
		.amdhsa_system_vgpr_workitem_id 0
		.amdhsa_next_free_vgpr 53
		.amdhsa_next_free_sgpr 26
		.amdhsa_reserve_vcc 1
		.amdhsa_float_round_mode_32 0
		.amdhsa_float_round_mode_16_64 0
		.amdhsa_float_denorm_mode_32 3
		.amdhsa_float_denorm_mode_16_64 3
		.amdhsa_dx10_clamp 1
		.amdhsa_ieee_mode 1
		.amdhsa_fp16_overflow 0
		.amdhsa_workgroup_processor_mode 1
		.amdhsa_memory_ordered 1
		.amdhsa_forward_progress 0
		.amdhsa_shared_vgpr_count 0
		.amdhsa_exception_fp_ieee_invalid_op 0
		.amdhsa_exception_fp_denorm_src 0
		.amdhsa_exception_fp_ieee_div_zero 0
		.amdhsa_exception_fp_ieee_overflow 0
		.amdhsa_exception_fp_ieee_underflow 0
		.amdhsa_exception_fp_ieee_inexact 0
		.amdhsa_exception_int_div_zero 0
	.end_amdhsa_kernel
	.section	.text._ZN7rocprim17ROCPRIM_400000_NS6detail17trampoline_kernelINS0_14default_configENS1_25partition_config_selectorILNS1_17partition_subalgoE9EjjbEEZZNS1_14partition_implILS5_9ELb0ES3_jN6thrust23THRUST_200600_302600_NS6detail15normal_iteratorINS9_10device_ptrIjEEEESE_PNS0_10empty_typeENS0_5tupleIJSE_SF_EEENSH_IJNS9_16discard_iteratorINS9_11use_defaultEEESG_EEENS0_18inequality_wrapperINS9_8equal_toIjEEEEPmJSF_EEE10hipError_tPvRmT3_T4_T5_T6_T7_T9_mT8_P12ihipStream_tbDpT10_ENKUlT_T0_E_clISt17integral_constantIbLb0EES1A_IbLb1EEEEDaS16_S17_EUlS16_E_NS1_11comp_targetILNS1_3genE9ELNS1_11target_archE1100ELNS1_3gpuE3ELNS1_3repE0EEENS1_30default_config_static_selectorELNS0_4arch9wavefront6targetE0EEEvT1_,"axG",@progbits,_ZN7rocprim17ROCPRIM_400000_NS6detail17trampoline_kernelINS0_14default_configENS1_25partition_config_selectorILNS1_17partition_subalgoE9EjjbEEZZNS1_14partition_implILS5_9ELb0ES3_jN6thrust23THRUST_200600_302600_NS6detail15normal_iteratorINS9_10device_ptrIjEEEESE_PNS0_10empty_typeENS0_5tupleIJSE_SF_EEENSH_IJNS9_16discard_iteratorINS9_11use_defaultEEESG_EEENS0_18inequality_wrapperINS9_8equal_toIjEEEEPmJSF_EEE10hipError_tPvRmT3_T4_T5_T6_T7_T9_mT8_P12ihipStream_tbDpT10_ENKUlT_T0_E_clISt17integral_constantIbLb0EES1A_IbLb1EEEEDaS16_S17_EUlS16_E_NS1_11comp_targetILNS1_3genE9ELNS1_11target_archE1100ELNS1_3gpuE3ELNS1_3repE0EEENS1_30default_config_static_selectorELNS0_4arch9wavefront6targetE0EEEvT1_,comdat
.Lfunc_end851:
	.size	_ZN7rocprim17ROCPRIM_400000_NS6detail17trampoline_kernelINS0_14default_configENS1_25partition_config_selectorILNS1_17partition_subalgoE9EjjbEEZZNS1_14partition_implILS5_9ELb0ES3_jN6thrust23THRUST_200600_302600_NS6detail15normal_iteratorINS9_10device_ptrIjEEEESE_PNS0_10empty_typeENS0_5tupleIJSE_SF_EEENSH_IJNS9_16discard_iteratorINS9_11use_defaultEEESG_EEENS0_18inequality_wrapperINS9_8equal_toIjEEEEPmJSF_EEE10hipError_tPvRmT3_T4_T5_T6_T7_T9_mT8_P12ihipStream_tbDpT10_ENKUlT_T0_E_clISt17integral_constantIbLb0EES1A_IbLb1EEEEDaS16_S17_EUlS16_E_NS1_11comp_targetILNS1_3genE9ELNS1_11target_archE1100ELNS1_3gpuE3ELNS1_3repE0EEENS1_30default_config_static_selectorELNS0_4arch9wavefront6targetE0EEEvT1_, .Lfunc_end851-_ZN7rocprim17ROCPRIM_400000_NS6detail17trampoline_kernelINS0_14default_configENS1_25partition_config_selectorILNS1_17partition_subalgoE9EjjbEEZZNS1_14partition_implILS5_9ELb0ES3_jN6thrust23THRUST_200600_302600_NS6detail15normal_iteratorINS9_10device_ptrIjEEEESE_PNS0_10empty_typeENS0_5tupleIJSE_SF_EEENSH_IJNS9_16discard_iteratorINS9_11use_defaultEEESG_EEENS0_18inequality_wrapperINS9_8equal_toIjEEEEPmJSF_EEE10hipError_tPvRmT3_T4_T5_T6_T7_T9_mT8_P12ihipStream_tbDpT10_ENKUlT_T0_E_clISt17integral_constantIbLb0EES1A_IbLb1EEEEDaS16_S17_EUlS16_E_NS1_11comp_targetILNS1_3genE9ELNS1_11target_archE1100ELNS1_3gpuE3ELNS1_3repE0EEENS1_30default_config_static_selectorELNS0_4arch9wavefront6targetE0EEEvT1_
                                        ; -- End function
	.section	.AMDGPU.csdata,"",@progbits
; Kernel info:
; codeLenInByte = 8508
; NumSgprs: 28
; NumVgprs: 53
; ScratchSize: 0
; MemoryBound: 0
; FloatMode: 240
; IeeeMode: 1
; LDSByteSize: 12680 bytes/workgroup (compile time only)
; SGPRBlocks: 3
; VGPRBlocks: 6
; NumSGPRsForWavesPerEU: 28
; NumVGPRsForWavesPerEU: 53
; Occupancy: 15
; WaveLimiterHint : 1
; COMPUTE_PGM_RSRC2:SCRATCH_EN: 0
; COMPUTE_PGM_RSRC2:USER_SGPR: 15
; COMPUTE_PGM_RSRC2:TRAP_HANDLER: 0
; COMPUTE_PGM_RSRC2:TGID_X_EN: 1
; COMPUTE_PGM_RSRC2:TGID_Y_EN: 0
; COMPUTE_PGM_RSRC2:TGID_Z_EN: 0
; COMPUTE_PGM_RSRC2:TIDIG_COMP_CNT: 0
	.section	.text._ZN7rocprim17ROCPRIM_400000_NS6detail17trampoline_kernelINS0_14default_configENS1_25partition_config_selectorILNS1_17partition_subalgoE9EjjbEEZZNS1_14partition_implILS5_9ELb0ES3_jN6thrust23THRUST_200600_302600_NS6detail15normal_iteratorINS9_10device_ptrIjEEEESE_PNS0_10empty_typeENS0_5tupleIJSE_SF_EEENSH_IJNS9_16discard_iteratorINS9_11use_defaultEEESG_EEENS0_18inequality_wrapperINS9_8equal_toIjEEEEPmJSF_EEE10hipError_tPvRmT3_T4_T5_T6_T7_T9_mT8_P12ihipStream_tbDpT10_ENKUlT_T0_E_clISt17integral_constantIbLb0EES1A_IbLb1EEEEDaS16_S17_EUlS16_E_NS1_11comp_targetILNS1_3genE8ELNS1_11target_archE1030ELNS1_3gpuE2ELNS1_3repE0EEENS1_30default_config_static_selectorELNS0_4arch9wavefront6targetE0EEEvT1_,"axG",@progbits,_ZN7rocprim17ROCPRIM_400000_NS6detail17trampoline_kernelINS0_14default_configENS1_25partition_config_selectorILNS1_17partition_subalgoE9EjjbEEZZNS1_14partition_implILS5_9ELb0ES3_jN6thrust23THRUST_200600_302600_NS6detail15normal_iteratorINS9_10device_ptrIjEEEESE_PNS0_10empty_typeENS0_5tupleIJSE_SF_EEENSH_IJNS9_16discard_iteratorINS9_11use_defaultEEESG_EEENS0_18inequality_wrapperINS9_8equal_toIjEEEEPmJSF_EEE10hipError_tPvRmT3_T4_T5_T6_T7_T9_mT8_P12ihipStream_tbDpT10_ENKUlT_T0_E_clISt17integral_constantIbLb0EES1A_IbLb1EEEEDaS16_S17_EUlS16_E_NS1_11comp_targetILNS1_3genE8ELNS1_11target_archE1030ELNS1_3gpuE2ELNS1_3repE0EEENS1_30default_config_static_selectorELNS0_4arch9wavefront6targetE0EEEvT1_,comdat
	.protected	_ZN7rocprim17ROCPRIM_400000_NS6detail17trampoline_kernelINS0_14default_configENS1_25partition_config_selectorILNS1_17partition_subalgoE9EjjbEEZZNS1_14partition_implILS5_9ELb0ES3_jN6thrust23THRUST_200600_302600_NS6detail15normal_iteratorINS9_10device_ptrIjEEEESE_PNS0_10empty_typeENS0_5tupleIJSE_SF_EEENSH_IJNS9_16discard_iteratorINS9_11use_defaultEEESG_EEENS0_18inequality_wrapperINS9_8equal_toIjEEEEPmJSF_EEE10hipError_tPvRmT3_T4_T5_T6_T7_T9_mT8_P12ihipStream_tbDpT10_ENKUlT_T0_E_clISt17integral_constantIbLb0EES1A_IbLb1EEEEDaS16_S17_EUlS16_E_NS1_11comp_targetILNS1_3genE8ELNS1_11target_archE1030ELNS1_3gpuE2ELNS1_3repE0EEENS1_30default_config_static_selectorELNS0_4arch9wavefront6targetE0EEEvT1_ ; -- Begin function _ZN7rocprim17ROCPRIM_400000_NS6detail17trampoline_kernelINS0_14default_configENS1_25partition_config_selectorILNS1_17partition_subalgoE9EjjbEEZZNS1_14partition_implILS5_9ELb0ES3_jN6thrust23THRUST_200600_302600_NS6detail15normal_iteratorINS9_10device_ptrIjEEEESE_PNS0_10empty_typeENS0_5tupleIJSE_SF_EEENSH_IJNS9_16discard_iteratorINS9_11use_defaultEEESG_EEENS0_18inequality_wrapperINS9_8equal_toIjEEEEPmJSF_EEE10hipError_tPvRmT3_T4_T5_T6_T7_T9_mT8_P12ihipStream_tbDpT10_ENKUlT_T0_E_clISt17integral_constantIbLb0EES1A_IbLb1EEEEDaS16_S17_EUlS16_E_NS1_11comp_targetILNS1_3genE8ELNS1_11target_archE1030ELNS1_3gpuE2ELNS1_3repE0EEENS1_30default_config_static_selectorELNS0_4arch9wavefront6targetE0EEEvT1_
	.globl	_ZN7rocprim17ROCPRIM_400000_NS6detail17trampoline_kernelINS0_14default_configENS1_25partition_config_selectorILNS1_17partition_subalgoE9EjjbEEZZNS1_14partition_implILS5_9ELb0ES3_jN6thrust23THRUST_200600_302600_NS6detail15normal_iteratorINS9_10device_ptrIjEEEESE_PNS0_10empty_typeENS0_5tupleIJSE_SF_EEENSH_IJNS9_16discard_iteratorINS9_11use_defaultEEESG_EEENS0_18inequality_wrapperINS9_8equal_toIjEEEEPmJSF_EEE10hipError_tPvRmT3_T4_T5_T6_T7_T9_mT8_P12ihipStream_tbDpT10_ENKUlT_T0_E_clISt17integral_constantIbLb0EES1A_IbLb1EEEEDaS16_S17_EUlS16_E_NS1_11comp_targetILNS1_3genE8ELNS1_11target_archE1030ELNS1_3gpuE2ELNS1_3repE0EEENS1_30default_config_static_selectorELNS0_4arch9wavefront6targetE0EEEvT1_
	.p2align	8
	.type	_ZN7rocprim17ROCPRIM_400000_NS6detail17trampoline_kernelINS0_14default_configENS1_25partition_config_selectorILNS1_17partition_subalgoE9EjjbEEZZNS1_14partition_implILS5_9ELb0ES3_jN6thrust23THRUST_200600_302600_NS6detail15normal_iteratorINS9_10device_ptrIjEEEESE_PNS0_10empty_typeENS0_5tupleIJSE_SF_EEENSH_IJNS9_16discard_iteratorINS9_11use_defaultEEESG_EEENS0_18inequality_wrapperINS9_8equal_toIjEEEEPmJSF_EEE10hipError_tPvRmT3_T4_T5_T6_T7_T9_mT8_P12ihipStream_tbDpT10_ENKUlT_T0_E_clISt17integral_constantIbLb0EES1A_IbLb1EEEEDaS16_S17_EUlS16_E_NS1_11comp_targetILNS1_3genE8ELNS1_11target_archE1030ELNS1_3gpuE2ELNS1_3repE0EEENS1_30default_config_static_selectorELNS0_4arch9wavefront6targetE0EEEvT1_,@function
_ZN7rocprim17ROCPRIM_400000_NS6detail17trampoline_kernelINS0_14default_configENS1_25partition_config_selectorILNS1_17partition_subalgoE9EjjbEEZZNS1_14partition_implILS5_9ELb0ES3_jN6thrust23THRUST_200600_302600_NS6detail15normal_iteratorINS9_10device_ptrIjEEEESE_PNS0_10empty_typeENS0_5tupleIJSE_SF_EEENSH_IJNS9_16discard_iteratorINS9_11use_defaultEEESG_EEENS0_18inequality_wrapperINS9_8equal_toIjEEEEPmJSF_EEE10hipError_tPvRmT3_T4_T5_T6_T7_T9_mT8_P12ihipStream_tbDpT10_ENKUlT_T0_E_clISt17integral_constantIbLb0EES1A_IbLb1EEEEDaS16_S17_EUlS16_E_NS1_11comp_targetILNS1_3genE8ELNS1_11target_archE1030ELNS1_3gpuE2ELNS1_3repE0EEENS1_30default_config_static_selectorELNS0_4arch9wavefront6targetE0EEEvT1_: ; @_ZN7rocprim17ROCPRIM_400000_NS6detail17trampoline_kernelINS0_14default_configENS1_25partition_config_selectorILNS1_17partition_subalgoE9EjjbEEZZNS1_14partition_implILS5_9ELb0ES3_jN6thrust23THRUST_200600_302600_NS6detail15normal_iteratorINS9_10device_ptrIjEEEESE_PNS0_10empty_typeENS0_5tupleIJSE_SF_EEENSH_IJNS9_16discard_iteratorINS9_11use_defaultEEESG_EEENS0_18inequality_wrapperINS9_8equal_toIjEEEEPmJSF_EEE10hipError_tPvRmT3_T4_T5_T6_T7_T9_mT8_P12ihipStream_tbDpT10_ENKUlT_T0_E_clISt17integral_constantIbLb0EES1A_IbLb1EEEEDaS16_S17_EUlS16_E_NS1_11comp_targetILNS1_3genE8ELNS1_11target_archE1030ELNS1_3gpuE2ELNS1_3repE0EEENS1_30default_config_static_selectorELNS0_4arch9wavefront6targetE0EEEvT1_
; %bb.0:
	.section	.rodata,"a",@progbits
	.p2align	6, 0x0
	.amdhsa_kernel _ZN7rocprim17ROCPRIM_400000_NS6detail17trampoline_kernelINS0_14default_configENS1_25partition_config_selectorILNS1_17partition_subalgoE9EjjbEEZZNS1_14partition_implILS5_9ELb0ES3_jN6thrust23THRUST_200600_302600_NS6detail15normal_iteratorINS9_10device_ptrIjEEEESE_PNS0_10empty_typeENS0_5tupleIJSE_SF_EEENSH_IJNS9_16discard_iteratorINS9_11use_defaultEEESG_EEENS0_18inequality_wrapperINS9_8equal_toIjEEEEPmJSF_EEE10hipError_tPvRmT3_T4_T5_T6_T7_T9_mT8_P12ihipStream_tbDpT10_ENKUlT_T0_E_clISt17integral_constantIbLb0EES1A_IbLb1EEEEDaS16_S17_EUlS16_E_NS1_11comp_targetILNS1_3genE8ELNS1_11target_archE1030ELNS1_3gpuE2ELNS1_3repE0EEENS1_30default_config_static_selectorELNS0_4arch9wavefront6targetE0EEEvT1_
		.amdhsa_group_segment_fixed_size 0
		.amdhsa_private_segment_fixed_size 0
		.amdhsa_kernarg_size 136
		.amdhsa_user_sgpr_count 15
		.amdhsa_user_sgpr_dispatch_ptr 0
		.amdhsa_user_sgpr_queue_ptr 0
		.amdhsa_user_sgpr_kernarg_segment_ptr 1
		.amdhsa_user_sgpr_dispatch_id 0
		.amdhsa_user_sgpr_private_segment_size 0
		.amdhsa_wavefront_size32 1
		.amdhsa_uses_dynamic_stack 0
		.amdhsa_enable_private_segment 0
		.amdhsa_system_sgpr_workgroup_id_x 1
		.amdhsa_system_sgpr_workgroup_id_y 0
		.amdhsa_system_sgpr_workgroup_id_z 0
		.amdhsa_system_sgpr_workgroup_info 0
		.amdhsa_system_vgpr_workitem_id 0
		.amdhsa_next_free_vgpr 1
		.amdhsa_next_free_sgpr 1
		.amdhsa_reserve_vcc 0
		.amdhsa_float_round_mode_32 0
		.amdhsa_float_round_mode_16_64 0
		.amdhsa_float_denorm_mode_32 3
		.amdhsa_float_denorm_mode_16_64 3
		.amdhsa_dx10_clamp 1
		.amdhsa_ieee_mode 1
		.amdhsa_fp16_overflow 0
		.amdhsa_workgroup_processor_mode 1
		.amdhsa_memory_ordered 1
		.amdhsa_forward_progress 0
		.amdhsa_shared_vgpr_count 0
		.amdhsa_exception_fp_ieee_invalid_op 0
		.amdhsa_exception_fp_denorm_src 0
		.amdhsa_exception_fp_ieee_div_zero 0
		.amdhsa_exception_fp_ieee_overflow 0
		.amdhsa_exception_fp_ieee_underflow 0
		.amdhsa_exception_fp_ieee_inexact 0
		.amdhsa_exception_int_div_zero 0
	.end_amdhsa_kernel
	.section	.text._ZN7rocprim17ROCPRIM_400000_NS6detail17trampoline_kernelINS0_14default_configENS1_25partition_config_selectorILNS1_17partition_subalgoE9EjjbEEZZNS1_14partition_implILS5_9ELb0ES3_jN6thrust23THRUST_200600_302600_NS6detail15normal_iteratorINS9_10device_ptrIjEEEESE_PNS0_10empty_typeENS0_5tupleIJSE_SF_EEENSH_IJNS9_16discard_iteratorINS9_11use_defaultEEESG_EEENS0_18inequality_wrapperINS9_8equal_toIjEEEEPmJSF_EEE10hipError_tPvRmT3_T4_T5_T6_T7_T9_mT8_P12ihipStream_tbDpT10_ENKUlT_T0_E_clISt17integral_constantIbLb0EES1A_IbLb1EEEEDaS16_S17_EUlS16_E_NS1_11comp_targetILNS1_3genE8ELNS1_11target_archE1030ELNS1_3gpuE2ELNS1_3repE0EEENS1_30default_config_static_selectorELNS0_4arch9wavefront6targetE0EEEvT1_,"axG",@progbits,_ZN7rocprim17ROCPRIM_400000_NS6detail17trampoline_kernelINS0_14default_configENS1_25partition_config_selectorILNS1_17partition_subalgoE9EjjbEEZZNS1_14partition_implILS5_9ELb0ES3_jN6thrust23THRUST_200600_302600_NS6detail15normal_iteratorINS9_10device_ptrIjEEEESE_PNS0_10empty_typeENS0_5tupleIJSE_SF_EEENSH_IJNS9_16discard_iteratorINS9_11use_defaultEEESG_EEENS0_18inequality_wrapperINS9_8equal_toIjEEEEPmJSF_EEE10hipError_tPvRmT3_T4_T5_T6_T7_T9_mT8_P12ihipStream_tbDpT10_ENKUlT_T0_E_clISt17integral_constantIbLb0EES1A_IbLb1EEEEDaS16_S17_EUlS16_E_NS1_11comp_targetILNS1_3genE8ELNS1_11target_archE1030ELNS1_3gpuE2ELNS1_3repE0EEENS1_30default_config_static_selectorELNS0_4arch9wavefront6targetE0EEEvT1_,comdat
.Lfunc_end852:
	.size	_ZN7rocprim17ROCPRIM_400000_NS6detail17trampoline_kernelINS0_14default_configENS1_25partition_config_selectorILNS1_17partition_subalgoE9EjjbEEZZNS1_14partition_implILS5_9ELb0ES3_jN6thrust23THRUST_200600_302600_NS6detail15normal_iteratorINS9_10device_ptrIjEEEESE_PNS0_10empty_typeENS0_5tupleIJSE_SF_EEENSH_IJNS9_16discard_iteratorINS9_11use_defaultEEESG_EEENS0_18inequality_wrapperINS9_8equal_toIjEEEEPmJSF_EEE10hipError_tPvRmT3_T4_T5_T6_T7_T9_mT8_P12ihipStream_tbDpT10_ENKUlT_T0_E_clISt17integral_constantIbLb0EES1A_IbLb1EEEEDaS16_S17_EUlS16_E_NS1_11comp_targetILNS1_3genE8ELNS1_11target_archE1030ELNS1_3gpuE2ELNS1_3repE0EEENS1_30default_config_static_selectorELNS0_4arch9wavefront6targetE0EEEvT1_, .Lfunc_end852-_ZN7rocprim17ROCPRIM_400000_NS6detail17trampoline_kernelINS0_14default_configENS1_25partition_config_selectorILNS1_17partition_subalgoE9EjjbEEZZNS1_14partition_implILS5_9ELb0ES3_jN6thrust23THRUST_200600_302600_NS6detail15normal_iteratorINS9_10device_ptrIjEEEESE_PNS0_10empty_typeENS0_5tupleIJSE_SF_EEENSH_IJNS9_16discard_iteratorINS9_11use_defaultEEESG_EEENS0_18inequality_wrapperINS9_8equal_toIjEEEEPmJSF_EEE10hipError_tPvRmT3_T4_T5_T6_T7_T9_mT8_P12ihipStream_tbDpT10_ENKUlT_T0_E_clISt17integral_constantIbLb0EES1A_IbLb1EEEEDaS16_S17_EUlS16_E_NS1_11comp_targetILNS1_3genE8ELNS1_11target_archE1030ELNS1_3gpuE2ELNS1_3repE0EEENS1_30default_config_static_selectorELNS0_4arch9wavefront6targetE0EEEvT1_
                                        ; -- End function
	.section	.AMDGPU.csdata,"",@progbits
; Kernel info:
; codeLenInByte = 0
; NumSgprs: 0
; NumVgprs: 0
; ScratchSize: 0
; MemoryBound: 0
; FloatMode: 240
; IeeeMode: 1
; LDSByteSize: 0 bytes/workgroup (compile time only)
; SGPRBlocks: 0
; VGPRBlocks: 0
; NumSGPRsForWavesPerEU: 1
; NumVGPRsForWavesPerEU: 1
; Occupancy: 16
; WaveLimiterHint : 0
; COMPUTE_PGM_RSRC2:SCRATCH_EN: 0
; COMPUTE_PGM_RSRC2:USER_SGPR: 15
; COMPUTE_PGM_RSRC2:TRAP_HANDLER: 0
; COMPUTE_PGM_RSRC2:TGID_X_EN: 1
; COMPUTE_PGM_RSRC2:TGID_Y_EN: 0
; COMPUTE_PGM_RSRC2:TGID_Z_EN: 0
; COMPUTE_PGM_RSRC2:TIDIG_COMP_CNT: 0
	.section	.text._ZN7rocprim17ROCPRIM_400000_NS6detail17trampoline_kernelINS0_14default_configENS1_25partition_config_selectorILNS1_17partition_subalgoE9EjjbEEZZNS1_14partition_implILS5_9ELb0ES3_jN6thrust23THRUST_200600_302600_NS6detail15normal_iteratorINS9_10device_ptrIjEEEESE_PNS0_10empty_typeENS0_5tupleIJNS9_16discard_iteratorINS9_11use_defaultEEESF_EEENSH_IJSE_SG_EEENS0_18inequality_wrapperINS9_8equal_toIjEEEEPmJSF_EEE10hipError_tPvRmT3_T4_T5_T6_T7_T9_mT8_P12ihipStream_tbDpT10_ENKUlT_T0_E_clISt17integral_constantIbLb0EES1B_EEDaS16_S17_EUlS16_E_NS1_11comp_targetILNS1_3genE0ELNS1_11target_archE4294967295ELNS1_3gpuE0ELNS1_3repE0EEENS1_30default_config_static_selectorELNS0_4arch9wavefront6targetE0EEEvT1_,"axG",@progbits,_ZN7rocprim17ROCPRIM_400000_NS6detail17trampoline_kernelINS0_14default_configENS1_25partition_config_selectorILNS1_17partition_subalgoE9EjjbEEZZNS1_14partition_implILS5_9ELb0ES3_jN6thrust23THRUST_200600_302600_NS6detail15normal_iteratorINS9_10device_ptrIjEEEESE_PNS0_10empty_typeENS0_5tupleIJNS9_16discard_iteratorINS9_11use_defaultEEESF_EEENSH_IJSE_SG_EEENS0_18inequality_wrapperINS9_8equal_toIjEEEEPmJSF_EEE10hipError_tPvRmT3_T4_T5_T6_T7_T9_mT8_P12ihipStream_tbDpT10_ENKUlT_T0_E_clISt17integral_constantIbLb0EES1B_EEDaS16_S17_EUlS16_E_NS1_11comp_targetILNS1_3genE0ELNS1_11target_archE4294967295ELNS1_3gpuE0ELNS1_3repE0EEENS1_30default_config_static_selectorELNS0_4arch9wavefront6targetE0EEEvT1_,comdat
	.protected	_ZN7rocprim17ROCPRIM_400000_NS6detail17trampoline_kernelINS0_14default_configENS1_25partition_config_selectorILNS1_17partition_subalgoE9EjjbEEZZNS1_14partition_implILS5_9ELb0ES3_jN6thrust23THRUST_200600_302600_NS6detail15normal_iteratorINS9_10device_ptrIjEEEESE_PNS0_10empty_typeENS0_5tupleIJNS9_16discard_iteratorINS9_11use_defaultEEESF_EEENSH_IJSE_SG_EEENS0_18inequality_wrapperINS9_8equal_toIjEEEEPmJSF_EEE10hipError_tPvRmT3_T4_T5_T6_T7_T9_mT8_P12ihipStream_tbDpT10_ENKUlT_T0_E_clISt17integral_constantIbLb0EES1B_EEDaS16_S17_EUlS16_E_NS1_11comp_targetILNS1_3genE0ELNS1_11target_archE4294967295ELNS1_3gpuE0ELNS1_3repE0EEENS1_30default_config_static_selectorELNS0_4arch9wavefront6targetE0EEEvT1_ ; -- Begin function _ZN7rocprim17ROCPRIM_400000_NS6detail17trampoline_kernelINS0_14default_configENS1_25partition_config_selectorILNS1_17partition_subalgoE9EjjbEEZZNS1_14partition_implILS5_9ELb0ES3_jN6thrust23THRUST_200600_302600_NS6detail15normal_iteratorINS9_10device_ptrIjEEEESE_PNS0_10empty_typeENS0_5tupleIJNS9_16discard_iteratorINS9_11use_defaultEEESF_EEENSH_IJSE_SG_EEENS0_18inequality_wrapperINS9_8equal_toIjEEEEPmJSF_EEE10hipError_tPvRmT3_T4_T5_T6_T7_T9_mT8_P12ihipStream_tbDpT10_ENKUlT_T0_E_clISt17integral_constantIbLb0EES1B_EEDaS16_S17_EUlS16_E_NS1_11comp_targetILNS1_3genE0ELNS1_11target_archE4294967295ELNS1_3gpuE0ELNS1_3repE0EEENS1_30default_config_static_selectorELNS0_4arch9wavefront6targetE0EEEvT1_
	.globl	_ZN7rocprim17ROCPRIM_400000_NS6detail17trampoline_kernelINS0_14default_configENS1_25partition_config_selectorILNS1_17partition_subalgoE9EjjbEEZZNS1_14partition_implILS5_9ELb0ES3_jN6thrust23THRUST_200600_302600_NS6detail15normal_iteratorINS9_10device_ptrIjEEEESE_PNS0_10empty_typeENS0_5tupleIJNS9_16discard_iteratorINS9_11use_defaultEEESF_EEENSH_IJSE_SG_EEENS0_18inequality_wrapperINS9_8equal_toIjEEEEPmJSF_EEE10hipError_tPvRmT3_T4_T5_T6_T7_T9_mT8_P12ihipStream_tbDpT10_ENKUlT_T0_E_clISt17integral_constantIbLb0EES1B_EEDaS16_S17_EUlS16_E_NS1_11comp_targetILNS1_3genE0ELNS1_11target_archE4294967295ELNS1_3gpuE0ELNS1_3repE0EEENS1_30default_config_static_selectorELNS0_4arch9wavefront6targetE0EEEvT1_
	.p2align	8
	.type	_ZN7rocprim17ROCPRIM_400000_NS6detail17trampoline_kernelINS0_14default_configENS1_25partition_config_selectorILNS1_17partition_subalgoE9EjjbEEZZNS1_14partition_implILS5_9ELb0ES3_jN6thrust23THRUST_200600_302600_NS6detail15normal_iteratorINS9_10device_ptrIjEEEESE_PNS0_10empty_typeENS0_5tupleIJNS9_16discard_iteratorINS9_11use_defaultEEESF_EEENSH_IJSE_SG_EEENS0_18inequality_wrapperINS9_8equal_toIjEEEEPmJSF_EEE10hipError_tPvRmT3_T4_T5_T6_T7_T9_mT8_P12ihipStream_tbDpT10_ENKUlT_T0_E_clISt17integral_constantIbLb0EES1B_EEDaS16_S17_EUlS16_E_NS1_11comp_targetILNS1_3genE0ELNS1_11target_archE4294967295ELNS1_3gpuE0ELNS1_3repE0EEENS1_30default_config_static_selectorELNS0_4arch9wavefront6targetE0EEEvT1_,@function
_ZN7rocprim17ROCPRIM_400000_NS6detail17trampoline_kernelINS0_14default_configENS1_25partition_config_selectorILNS1_17partition_subalgoE9EjjbEEZZNS1_14partition_implILS5_9ELb0ES3_jN6thrust23THRUST_200600_302600_NS6detail15normal_iteratorINS9_10device_ptrIjEEEESE_PNS0_10empty_typeENS0_5tupleIJNS9_16discard_iteratorINS9_11use_defaultEEESF_EEENSH_IJSE_SG_EEENS0_18inequality_wrapperINS9_8equal_toIjEEEEPmJSF_EEE10hipError_tPvRmT3_T4_T5_T6_T7_T9_mT8_P12ihipStream_tbDpT10_ENKUlT_T0_E_clISt17integral_constantIbLb0EES1B_EEDaS16_S17_EUlS16_E_NS1_11comp_targetILNS1_3genE0ELNS1_11target_archE4294967295ELNS1_3gpuE0ELNS1_3repE0EEENS1_30default_config_static_selectorELNS0_4arch9wavefront6targetE0EEEvT1_: ; @_ZN7rocprim17ROCPRIM_400000_NS6detail17trampoline_kernelINS0_14default_configENS1_25partition_config_selectorILNS1_17partition_subalgoE9EjjbEEZZNS1_14partition_implILS5_9ELb0ES3_jN6thrust23THRUST_200600_302600_NS6detail15normal_iteratorINS9_10device_ptrIjEEEESE_PNS0_10empty_typeENS0_5tupleIJNS9_16discard_iteratorINS9_11use_defaultEEESF_EEENSH_IJSE_SG_EEENS0_18inequality_wrapperINS9_8equal_toIjEEEEPmJSF_EEE10hipError_tPvRmT3_T4_T5_T6_T7_T9_mT8_P12ihipStream_tbDpT10_ENKUlT_T0_E_clISt17integral_constantIbLb0EES1B_EEDaS16_S17_EUlS16_E_NS1_11comp_targetILNS1_3genE0ELNS1_11target_archE4294967295ELNS1_3gpuE0ELNS1_3repE0EEENS1_30default_config_static_selectorELNS0_4arch9wavefront6targetE0EEEvT1_
; %bb.0:
	.section	.rodata,"a",@progbits
	.p2align	6, 0x0
	.amdhsa_kernel _ZN7rocprim17ROCPRIM_400000_NS6detail17trampoline_kernelINS0_14default_configENS1_25partition_config_selectorILNS1_17partition_subalgoE9EjjbEEZZNS1_14partition_implILS5_9ELb0ES3_jN6thrust23THRUST_200600_302600_NS6detail15normal_iteratorINS9_10device_ptrIjEEEESE_PNS0_10empty_typeENS0_5tupleIJNS9_16discard_iteratorINS9_11use_defaultEEESF_EEENSH_IJSE_SG_EEENS0_18inequality_wrapperINS9_8equal_toIjEEEEPmJSF_EEE10hipError_tPvRmT3_T4_T5_T6_T7_T9_mT8_P12ihipStream_tbDpT10_ENKUlT_T0_E_clISt17integral_constantIbLb0EES1B_EEDaS16_S17_EUlS16_E_NS1_11comp_targetILNS1_3genE0ELNS1_11target_archE4294967295ELNS1_3gpuE0ELNS1_3repE0EEENS1_30default_config_static_selectorELNS0_4arch9wavefront6targetE0EEEvT1_
		.amdhsa_group_segment_fixed_size 0
		.amdhsa_private_segment_fixed_size 0
		.amdhsa_kernarg_size 120
		.amdhsa_user_sgpr_count 15
		.amdhsa_user_sgpr_dispatch_ptr 0
		.amdhsa_user_sgpr_queue_ptr 0
		.amdhsa_user_sgpr_kernarg_segment_ptr 1
		.amdhsa_user_sgpr_dispatch_id 0
		.amdhsa_user_sgpr_private_segment_size 0
		.amdhsa_wavefront_size32 1
		.amdhsa_uses_dynamic_stack 0
		.amdhsa_enable_private_segment 0
		.amdhsa_system_sgpr_workgroup_id_x 1
		.amdhsa_system_sgpr_workgroup_id_y 0
		.amdhsa_system_sgpr_workgroup_id_z 0
		.amdhsa_system_sgpr_workgroup_info 0
		.amdhsa_system_vgpr_workitem_id 0
		.amdhsa_next_free_vgpr 1
		.amdhsa_next_free_sgpr 1
		.amdhsa_reserve_vcc 0
		.amdhsa_float_round_mode_32 0
		.amdhsa_float_round_mode_16_64 0
		.amdhsa_float_denorm_mode_32 3
		.amdhsa_float_denorm_mode_16_64 3
		.amdhsa_dx10_clamp 1
		.amdhsa_ieee_mode 1
		.amdhsa_fp16_overflow 0
		.amdhsa_workgroup_processor_mode 1
		.amdhsa_memory_ordered 1
		.amdhsa_forward_progress 0
		.amdhsa_shared_vgpr_count 0
		.amdhsa_exception_fp_ieee_invalid_op 0
		.amdhsa_exception_fp_denorm_src 0
		.amdhsa_exception_fp_ieee_div_zero 0
		.amdhsa_exception_fp_ieee_overflow 0
		.amdhsa_exception_fp_ieee_underflow 0
		.amdhsa_exception_fp_ieee_inexact 0
		.amdhsa_exception_int_div_zero 0
	.end_amdhsa_kernel
	.section	.text._ZN7rocprim17ROCPRIM_400000_NS6detail17trampoline_kernelINS0_14default_configENS1_25partition_config_selectorILNS1_17partition_subalgoE9EjjbEEZZNS1_14partition_implILS5_9ELb0ES3_jN6thrust23THRUST_200600_302600_NS6detail15normal_iteratorINS9_10device_ptrIjEEEESE_PNS0_10empty_typeENS0_5tupleIJNS9_16discard_iteratorINS9_11use_defaultEEESF_EEENSH_IJSE_SG_EEENS0_18inequality_wrapperINS9_8equal_toIjEEEEPmJSF_EEE10hipError_tPvRmT3_T4_T5_T6_T7_T9_mT8_P12ihipStream_tbDpT10_ENKUlT_T0_E_clISt17integral_constantIbLb0EES1B_EEDaS16_S17_EUlS16_E_NS1_11comp_targetILNS1_3genE0ELNS1_11target_archE4294967295ELNS1_3gpuE0ELNS1_3repE0EEENS1_30default_config_static_selectorELNS0_4arch9wavefront6targetE0EEEvT1_,"axG",@progbits,_ZN7rocprim17ROCPRIM_400000_NS6detail17trampoline_kernelINS0_14default_configENS1_25partition_config_selectorILNS1_17partition_subalgoE9EjjbEEZZNS1_14partition_implILS5_9ELb0ES3_jN6thrust23THRUST_200600_302600_NS6detail15normal_iteratorINS9_10device_ptrIjEEEESE_PNS0_10empty_typeENS0_5tupleIJNS9_16discard_iteratorINS9_11use_defaultEEESF_EEENSH_IJSE_SG_EEENS0_18inequality_wrapperINS9_8equal_toIjEEEEPmJSF_EEE10hipError_tPvRmT3_T4_T5_T6_T7_T9_mT8_P12ihipStream_tbDpT10_ENKUlT_T0_E_clISt17integral_constantIbLb0EES1B_EEDaS16_S17_EUlS16_E_NS1_11comp_targetILNS1_3genE0ELNS1_11target_archE4294967295ELNS1_3gpuE0ELNS1_3repE0EEENS1_30default_config_static_selectorELNS0_4arch9wavefront6targetE0EEEvT1_,comdat
.Lfunc_end853:
	.size	_ZN7rocprim17ROCPRIM_400000_NS6detail17trampoline_kernelINS0_14default_configENS1_25partition_config_selectorILNS1_17partition_subalgoE9EjjbEEZZNS1_14partition_implILS5_9ELb0ES3_jN6thrust23THRUST_200600_302600_NS6detail15normal_iteratorINS9_10device_ptrIjEEEESE_PNS0_10empty_typeENS0_5tupleIJNS9_16discard_iteratorINS9_11use_defaultEEESF_EEENSH_IJSE_SG_EEENS0_18inequality_wrapperINS9_8equal_toIjEEEEPmJSF_EEE10hipError_tPvRmT3_T4_T5_T6_T7_T9_mT8_P12ihipStream_tbDpT10_ENKUlT_T0_E_clISt17integral_constantIbLb0EES1B_EEDaS16_S17_EUlS16_E_NS1_11comp_targetILNS1_3genE0ELNS1_11target_archE4294967295ELNS1_3gpuE0ELNS1_3repE0EEENS1_30default_config_static_selectorELNS0_4arch9wavefront6targetE0EEEvT1_, .Lfunc_end853-_ZN7rocprim17ROCPRIM_400000_NS6detail17trampoline_kernelINS0_14default_configENS1_25partition_config_selectorILNS1_17partition_subalgoE9EjjbEEZZNS1_14partition_implILS5_9ELb0ES3_jN6thrust23THRUST_200600_302600_NS6detail15normal_iteratorINS9_10device_ptrIjEEEESE_PNS0_10empty_typeENS0_5tupleIJNS9_16discard_iteratorINS9_11use_defaultEEESF_EEENSH_IJSE_SG_EEENS0_18inequality_wrapperINS9_8equal_toIjEEEEPmJSF_EEE10hipError_tPvRmT3_T4_T5_T6_T7_T9_mT8_P12ihipStream_tbDpT10_ENKUlT_T0_E_clISt17integral_constantIbLb0EES1B_EEDaS16_S17_EUlS16_E_NS1_11comp_targetILNS1_3genE0ELNS1_11target_archE4294967295ELNS1_3gpuE0ELNS1_3repE0EEENS1_30default_config_static_selectorELNS0_4arch9wavefront6targetE0EEEvT1_
                                        ; -- End function
	.section	.AMDGPU.csdata,"",@progbits
; Kernel info:
; codeLenInByte = 0
; NumSgprs: 0
; NumVgprs: 0
; ScratchSize: 0
; MemoryBound: 0
; FloatMode: 240
; IeeeMode: 1
; LDSByteSize: 0 bytes/workgroup (compile time only)
; SGPRBlocks: 0
; VGPRBlocks: 0
; NumSGPRsForWavesPerEU: 1
; NumVGPRsForWavesPerEU: 1
; Occupancy: 16
; WaveLimiterHint : 0
; COMPUTE_PGM_RSRC2:SCRATCH_EN: 0
; COMPUTE_PGM_RSRC2:USER_SGPR: 15
; COMPUTE_PGM_RSRC2:TRAP_HANDLER: 0
; COMPUTE_PGM_RSRC2:TGID_X_EN: 1
; COMPUTE_PGM_RSRC2:TGID_Y_EN: 0
; COMPUTE_PGM_RSRC2:TGID_Z_EN: 0
; COMPUTE_PGM_RSRC2:TIDIG_COMP_CNT: 0
	.section	.text._ZN7rocprim17ROCPRIM_400000_NS6detail17trampoline_kernelINS0_14default_configENS1_25partition_config_selectorILNS1_17partition_subalgoE9EjjbEEZZNS1_14partition_implILS5_9ELb0ES3_jN6thrust23THRUST_200600_302600_NS6detail15normal_iteratorINS9_10device_ptrIjEEEESE_PNS0_10empty_typeENS0_5tupleIJNS9_16discard_iteratorINS9_11use_defaultEEESF_EEENSH_IJSE_SG_EEENS0_18inequality_wrapperINS9_8equal_toIjEEEEPmJSF_EEE10hipError_tPvRmT3_T4_T5_T6_T7_T9_mT8_P12ihipStream_tbDpT10_ENKUlT_T0_E_clISt17integral_constantIbLb0EES1B_EEDaS16_S17_EUlS16_E_NS1_11comp_targetILNS1_3genE5ELNS1_11target_archE942ELNS1_3gpuE9ELNS1_3repE0EEENS1_30default_config_static_selectorELNS0_4arch9wavefront6targetE0EEEvT1_,"axG",@progbits,_ZN7rocprim17ROCPRIM_400000_NS6detail17trampoline_kernelINS0_14default_configENS1_25partition_config_selectorILNS1_17partition_subalgoE9EjjbEEZZNS1_14partition_implILS5_9ELb0ES3_jN6thrust23THRUST_200600_302600_NS6detail15normal_iteratorINS9_10device_ptrIjEEEESE_PNS0_10empty_typeENS0_5tupleIJNS9_16discard_iteratorINS9_11use_defaultEEESF_EEENSH_IJSE_SG_EEENS0_18inequality_wrapperINS9_8equal_toIjEEEEPmJSF_EEE10hipError_tPvRmT3_T4_T5_T6_T7_T9_mT8_P12ihipStream_tbDpT10_ENKUlT_T0_E_clISt17integral_constantIbLb0EES1B_EEDaS16_S17_EUlS16_E_NS1_11comp_targetILNS1_3genE5ELNS1_11target_archE942ELNS1_3gpuE9ELNS1_3repE0EEENS1_30default_config_static_selectorELNS0_4arch9wavefront6targetE0EEEvT1_,comdat
	.protected	_ZN7rocprim17ROCPRIM_400000_NS6detail17trampoline_kernelINS0_14default_configENS1_25partition_config_selectorILNS1_17partition_subalgoE9EjjbEEZZNS1_14partition_implILS5_9ELb0ES3_jN6thrust23THRUST_200600_302600_NS6detail15normal_iteratorINS9_10device_ptrIjEEEESE_PNS0_10empty_typeENS0_5tupleIJNS9_16discard_iteratorINS9_11use_defaultEEESF_EEENSH_IJSE_SG_EEENS0_18inequality_wrapperINS9_8equal_toIjEEEEPmJSF_EEE10hipError_tPvRmT3_T4_T5_T6_T7_T9_mT8_P12ihipStream_tbDpT10_ENKUlT_T0_E_clISt17integral_constantIbLb0EES1B_EEDaS16_S17_EUlS16_E_NS1_11comp_targetILNS1_3genE5ELNS1_11target_archE942ELNS1_3gpuE9ELNS1_3repE0EEENS1_30default_config_static_selectorELNS0_4arch9wavefront6targetE0EEEvT1_ ; -- Begin function _ZN7rocprim17ROCPRIM_400000_NS6detail17trampoline_kernelINS0_14default_configENS1_25partition_config_selectorILNS1_17partition_subalgoE9EjjbEEZZNS1_14partition_implILS5_9ELb0ES3_jN6thrust23THRUST_200600_302600_NS6detail15normal_iteratorINS9_10device_ptrIjEEEESE_PNS0_10empty_typeENS0_5tupleIJNS9_16discard_iteratorINS9_11use_defaultEEESF_EEENSH_IJSE_SG_EEENS0_18inequality_wrapperINS9_8equal_toIjEEEEPmJSF_EEE10hipError_tPvRmT3_T4_T5_T6_T7_T9_mT8_P12ihipStream_tbDpT10_ENKUlT_T0_E_clISt17integral_constantIbLb0EES1B_EEDaS16_S17_EUlS16_E_NS1_11comp_targetILNS1_3genE5ELNS1_11target_archE942ELNS1_3gpuE9ELNS1_3repE0EEENS1_30default_config_static_selectorELNS0_4arch9wavefront6targetE0EEEvT1_
	.globl	_ZN7rocprim17ROCPRIM_400000_NS6detail17trampoline_kernelINS0_14default_configENS1_25partition_config_selectorILNS1_17partition_subalgoE9EjjbEEZZNS1_14partition_implILS5_9ELb0ES3_jN6thrust23THRUST_200600_302600_NS6detail15normal_iteratorINS9_10device_ptrIjEEEESE_PNS0_10empty_typeENS0_5tupleIJNS9_16discard_iteratorINS9_11use_defaultEEESF_EEENSH_IJSE_SG_EEENS0_18inequality_wrapperINS9_8equal_toIjEEEEPmJSF_EEE10hipError_tPvRmT3_T4_T5_T6_T7_T9_mT8_P12ihipStream_tbDpT10_ENKUlT_T0_E_clISt17integral_constantIbLb0EES1B_EEDaS16_S17_EUlS16_E_NS1_11comp_targetILNS1_3genE5ELNS1_11target_archE942ELNS1_3gpuE9ELNS1_3repE0EEENS1_30default_config_static_selectorELNS0_4arch9wavefront6targetE0EEEvT1_
	.p2align	8
	.type	_ZN7rocprim17ROCPRIM_400000_NS6detail17trampoline_kernelINS0_14default_configENS1_25partition_config_selectorILNS1_17partition_subalgoE9EjjbEEZZNS1_14partition_implILS5_9ELb0ES3_jN6thrust23THRUST_200600_302600_NS6detail15normal_iteratorINS9_10device_ptrIjEEEESE_PNS0_10empty_typeENS0_5tupleIJNS9_16discard_iteratorINS9_11use_defaultEEESF_EEENSH_IJSE_SG_EEENS0_18inequality_wrapperINS9_8equal_toIjEEEEPmJSF_EEE10hipError_tPvRmT3_T4_T5_T6_T7_T9_mT8_P12ihipStream_tbDpT10_ENKUlT_T0_E_clISt17integral_constantIbLb0EES1B_EEDaS16_S17_EUlS16_E_NS1_11comp_targetILNS1_3genE5ELNS1_11target_archE942ELNS1_3gpuE9ELNS1_3repE0EEENS1_30default_config_static_selectorELNS0_4arch9wavefront6targetE0EEEvT1_,@function
_ZN7rocprim17ROCPRIM_400000_NS6detail17trampoline_kernelINS0_14default_configENS1_25partition_config_selectorILNS1_17partition_subalgoE9EjjbEEZZNS1_14partition_implILS5_9ELb0ES3_jN6thrust23THRUST_200600_302600_NS6detail15normal_iteratorINS9_10device_ptrIjEEEESE_PNS0_10empty_typeENS0_5tupleIJNS9_16discard_iteratorINS9_11use_defaultEEESF_EEENSH_IJSE_SG_EEENS0_18inequality_wrapperINS9_8equal_toIjEEEEPmJSF_EEE10hipError_tPvRmT3_T4_T5_T6_T7_T9_mT8_P12ihipStream_tbDpT10_ENKUlT_T0_E_clISt17integral_constantIbLb0EES1B_EEDaS16_S17_EUlS16_E_NS1_11comp_targetILNS1_3genE5ELNS1_11target_archE942ELNS1_3gpuE9ELNS1_3repE0EEENS1_30default_config_static_selectorELNS0_4arch9wavefront6targetE0EEEvT1_: ; @_ZN7rocprim17ROCPRIM_400000_NS6detail17trampoline_kernelINS0_14default_configENS1_25partition_config_selectorILNS1_17partition_subalgoE9EjjbEEZZNS1_14partition_implILS5_9ELb0ES3_jN6thrust23THRUST_200600_302600_NS6detail15normal_iteratorINS9_10device_ptrIjEEEESE_PNS0_10empty_typeENS0_5tupleIJNS9_16discard_iteratorINS9_11use_defaultEEESF_EEENSH_IJSE_SG_EEENS0_18inequality_wrapperINS9_8equal_toIjEEEEPmJSF_EEE10hipError_tPvRmT3_T4_T5_T6_T7_T9_mT8_P12ihipStream_tbDpT10_ENKUlT_T0_E_clISt17integral_constantIbLb0EES1B_EEDaS16_S17_EUlS16_E_NS1_11comp_targetILNS1_3genE5ELNS1_11target_archE942ELNS1_3gpuE9ELNS1_3repE0EEENS1_30default_config_static_selectorELNS0_4arch9wavefront6targetE0EEEvT1_
; %bb.0:
	.section	.rodata,"a",@progbits
	.p2align	6, 0x0
	.amdhsa_kernel _ZN7rocprim17ROCPRIM_400000_NS6detail17trampoline_kernelINS0_14default_configENS1_25partition_config_selectorILNS1_17partition_subalgoE9EjjbEEZZNS1_14partition_implILS5_9ELb0ES3_jN6thrust23THRUST_200600_302600_NS6detail15normal_iteratorINS9_10device_ptrIjEEEESE_PNS0_10empty_typeENS0_5tupleIJNS9_16discard_iteratorINS9_11use_defaultEEESF_EEENSH_IJSE_SG_EEENS0_18inequality_wrapperINS9_8equal_toIjEEEEPmJSF_EEE10hipError_tPvRmT3_T4_T5_T6_T7_T9_mT8_P12ihipStream_tbDpT10_ENKUlT_T0_E_clISt17integral_constantIbLb0EES1B_EEDaS16_S17_EUlS16_E_NS1_11comp_targetILNS1_3genE5ELNS1_11target_archE942ELNS1_3gpuE9ELNS1_3repE0EEENS1_30default_config_static_selectorELNS0_4arch9wavefront6targetE0EEEvT1_
		.amdhsa_group_segment_fixed_size 0
		.amdhsa_private_segment_fixed_size 0
		.amdhsa_kernarg_size 120
		.amdhsa_user_sgpr_count 15
		.amdhsa_user_sgpr_dispatch_ptr 0
		.amdhsa_user_sgpr_queue_ptr 0
		.amdhsa_user_sgpr_kernarg_segment_ptr 1
		.amdhsa_user_sgpr_dispatch_id 0
		.amdhsa_user_sgpr_private_segment_size 0
		.amdhsa_wavefront_size32 1
		.amdhsa_uses_dynamic_stack 0
		.amdhsa_enable_private_segment 0
		.amdhsa_system_sgpr_workgroup_id_x 1
		.amdhsa_system_sgpr_workgroup_id_y 0
		.amdhsa_system_sgpr_workgroup_id_z 0
		.amdhsa_system_sgpr_workgroup_info 0
		.amdhsa_system_vgpr_workitem_id 0
		.amdhsa_next_free_vgpr 1
		.amdhsa_next_free_sgpr 1
		.amdhsa_reserve_vcc 0
		.amdhsa_float_round_mode_32 0
		.amdhsa_float_round_mode_16_64 0
		.amdhsa_float_denorm_mode_32 3
		.amdhsa_float_denorm_mode_16_64 3
		.amdhsa_dx10_clamp 1
		.amdhsa_ieee_mode 1
		.amdhsa_fp16_overflow 0
		.amdhsa_workgroup_processor_mode 1
		.amdhsa_memory_ordered 1
		.amdhsa_forward_progress 0
		.amdhsa_shared_vgpr_count 0
		.amdhsa_exception_fp_ieee_invalid_op 0
		.amdhsa_exception_fp_denorm_src 0
		.amdhsa_exception_fp_ieee_div_zero 0
		.amdhsa_exception_fp_ieee_overflow 0
		.amdhsa_exception_fp_ieee_underflow 0
		.amdhsa_exception_fp_ieee_inexact 0
		.amdhsa_exception_int_div_zero 0
	.end_amdhsa_kernel
	.section	.text._ZN7rocprim17ROCPRIM_400000_NS6detail17trampoline_kernelINS0_14default_configENS1_25partition_config_selectorILNS1_17partition_subalgoE9EjjbEEZZNS1_14partition_implILS5_9ELb0ES3_jN6thrust23THRUST_200600_302600_NS6detail15normal_iteratorINS9_10device_ptrIjEEEESE_PNS0_10empty_typeENS0_5tupleIJNS9_16discard_iteratorINS9_11use_defaultEEESF_EEENSH_IJSE_SG_EEENS0_18inequality_wrapperINS9_8equal_toIjEEEEPmJSF_EEE10hipError_tPvRmT3_T4_T5_T6_T7_T9_mT8_P12ihipStream_tbDpT10_ENKUlT_T0_E_clISt17integral_constantIbLb0EES1B_EEDaS16_S17_EUlS16_E_NS1_11comp_targetILNS1_3genE5ELNS1_11target_archE942ELNS1_3gpuE9ELNS1_3repE0EEENS1_30default_config_static_selectorELNS0_4arch9wavefront6targetE0EEEvT1_,"axG",@progbits,_ZN7rocprim17ROCPRIM_400000_NS6detail17trampoline_kernelINS0_14default_configENS1_25partition_config_selectorILNS1_17partition_subalgoE9EjjbEEZZNS1_14partition_implILS5_9ELb0ES3_jN6thrust23THRUST_200600_302600_NS6detail15normal_iteratorINS9_10device_ptrIjEEEESE_PNS0_10empty_typeENS0_5tupleIJNS9_16discard_iteratorINS9_11use_defaultEEESF_EEENSH_IJSE_SG_EEENS0_18inequality_wrapperINS9_8equal_toIjEEEEPmJSF_EEE10hipError_tPvRmT3_T4_T5_T6_T7_T9_mT8_P12ihipStream_tbDpT10_ENKUlT_T0_E_clISt17integral_constantIbLb0EES1B_EEDaS16_S17_EUlS16_E_NS1_11comp_targetILNS1_3genE5ELNS1_11target_archE942ELNS1_3gpuE9ELNS1_3repE0EEENS1_30default_config_static_selectorELNS0_4arch9wavefront6targetE0EEEvT1_,comdat
.Lfunc_end854:
	.size	_ZN7rocprim17ROCPRIM_400000_NS6detail17trampoline_kernelINS0_14default_configENS1_25partition_config_selectorILNS1_17partition_subalgoE9EjjbEEZZNS1_14partition_implILS5_9ELb0ES3_jN6thrust23THRUST_200600_302600_NS6detail15normal_iteratorINS9_10device_ptrIjEEEESE_PNS0_10empty_typeENS0_5tupleIJNS9_16discard_iteratorINS9_11use_defaultEEESF_EEENSH_IJSE_SG_EEENS0_18inequality_wrapperINS9_8equal_toIjEEEEPmJSF_EEE10hipError_tPvRmT3_T4_T5_T6_T7_T9_mT8_P12ihipStream_tbDpT10_ENKUlT_T0_E_clISt17integral_constantIbLb0EES1B_EEDaS16_S17_EUlS16_E_NS1_11comp_targetILNS1_3genE5ELNS1_11target_archE942ELNS1_3gpuE9ELNS1_3repE0EEENS1_30default_config_static_selectorELNS0_4arch9wavefront6targetE0EEEvT1_, .Lfunc_end854-_ZN7rocprim17ROCPRIM_400000_NS6detail17trampoline_kernelINS0_14default_configENS1_25partition_config_selectorILNS1_17partition_subalgoE9EjjbEEZZNS1_14partition_implILS5_9ELb0ES3_jN6thrust23THRUST_200600_302600_NS6detail15normal_iteratorINS9_10device_ptrIjEEEESE_PNS0_10empty_typeENS0_5tupleIJNS9_16discard_iteratorINS9_11use_defaultEEESF_EEENSH_IJSE_SG_EEENS0_18inequality_wrapperINS9_8equal_toIjEEEEPmJSF_EEE10hipError_tPvRmT3_T4_T5_T6_T7_T9_mT8_P12ihipStream_tbDpT10_ENKUlT_T0_E_clISt17integral_constantIbLb0EES1B_EEDaS16_S17_EUlS16_E_NS1_11comp_targetILNS1_3genE5ELNS1_11target_archE942ELNS1_3gpuE9ELNS1_3repE0EEENS1_30default_config_static_selectorELNS0_4arch9wavefront6targetE0EEEvT1_
                                        ; -- End function
	.section	.AMDGPU.csdata,"",@progbits
; Kernel info:
; codeLenInByte = 0
; NumSgprs: 0
; NumVgprs: 0
; ScratchSize: 0
; MemoryBound: 0
; FloatMode: 240
; IeeeMode: 1
; LDSByteSize: 0 bytes/workgroup (compile time only)
; SGPRBlocks: 0
; VGPRBlocks: 0
; NumSGPRsForWavesPerEU: 1
; NumVGPRsForWavesPerEU: 1
; Occupancy: 16
; WaveLimiterHint : 0
; COMPUTE_PGM_RSRC2:SCRATCH_EN: 0
; COMPUTE_PGM_RSRC2:USER_SGPR: 15
; COMPUTE_PGM_RSRC2:TRAP_HANDLER: 0
; COMPUTE_PGM_RSRC2:TGID_X_EN: 1
; COMPUTE_PGM_RSRC2:TGID_Y_EN: 0
; COMPUTE_PGM_RSRC2:TGID_Z_EN: 0
; COMPUTE_PGM_RSRC2:TIDIG_COMP_CNT: 0
	.section	.text._ZN7rocprim17ROCPRIM_400000_NS6detail17trampoline_kernelINS0_14default_configENS1_25partition_config_selectorILNS1_17partition_subalgoE9EjjbEEZZNS1_14partition_implILS5_9ELb0ES3_jN6thrust23THRUST_200600_302600_NS6detail15normal_iteratorINS9_10device_ptrIjEEEESE_PNS0_10empty_typeENS0_5tupleIJNS9_16discard_iteratorINS9_11use_defaultEEESF_EEENSH_IJSE_SG_EEENS0_18inequality_wrapperINS9_8equal_toIjEEEEPmJSF_EEE10hipError_tPvRmT3_T4_T5_T6_T7_T9_mT8_P12ihipStream_tbDpT10_ENKUlT_T0_E_clISt17integral_constantIbLb0EES1B_EEDaS16_S17_EUlS16_E_NS1_11comp_targetILNS1_3genE4ELNS1_11target_archE910ELNS1_3gpuE8ELNS1_3repE0EEENS1_30default_config_static_selectorELNS0_4arch9wavefront6targetE0EEEvT1_,"axG",@progbits,_ZN7rocprim17ROCPRIM_400000_NS6detail17trampoline_kernelINS0_14default_configENS1_25partition_config_selectorILNS1_17partition_subalgoE9EjjbEEZZNS1_14partition_implILS5_9ELb0ES3_jN6thrust23THRUST_200600_302600_NS6detail15normal_iteratorINS9_10device_ptrIjEEEESE_PNS0_10empty_typeENS0_5tupleIJNS9_16discard_iteratorINS9_11use_defaultEEESF_EEENSH_IJSE_SG_EEENS0_18inequality_wrapperINS9_8equal_toIjEEEEPmJSF_EEE10hipError_tPvRmT3_T4_T5_T6_T7_T9_mT8_P12ihipStream_tbDpT10_ENKUlT_T0_E_clISt17integral_constantIbLb0EES1B_EEDaS16_S17_EUlS16_E_NS1_11comp_targetILNS1_3genE4ELNS1_11target_archE910ELNS1_3gpuE8ELNS1_3repE0EEENS1_30default_config_static_selectorELNS0_4arch9wavefront6targetE0EEEvT1_,comdat
	.protected	_ZN7rocprim17ROCPRIM_400000_NS6detail17trampoline_kernelINS0_14default_configENS1_25partition_config_selectorILNS1_17partition_subalgoE9EjjbEEZZNS1_14partition_implILS5_9ELb0ES3_jN6thrust23THRUST_200600_302600_NS6detail15normal_iteratorINS9_10device_ptrIjEEEESE_PNS0_10empty_typeENS0_5tupleIJNS9_16discard_iteratorINS9_11use_defaultEEESF_EEENSH_IJSE_SG_EEENS0_18inequality_wrapperINS9_8equal_toIjEEEEPmJSF_EEE10hipError_tPvRmT3_T4_T5_T6_T7_T9_mT8_P12ihipStream_tbDpT10_ENKUlT_T0_E_clISt17integral_constantIbLb0EES1B_EEDaS16_S17_EUlS16_E_NS1_11comp_targetILNS1_3genE4ELNS1_11target_archE910ELNS1_3gpuE8ELNS1_3repE0EEENS1_30default_config_static_selectorELNS0_4arch9wavefront6targetE0EEEvT1_ ; -- Begin function _ZN7rocprim17ROCPRIM_400000_NS6detail17trampoline_kernelINS0_14default_configENS1_25partition_config_selectorILNS1_17partition_subalgoE9EjjbEEZZNS1_14partition_implILS5_9ELb0ES3_jN6thrust23THRUST_200600_302600_NS6detail15normal_iteratorINS9_10device_ptrIjEEEESE_PNS0_10empty_typeENS0_5tupleIJNS9_16discard_iteratorINS9_11use_defaultEEESF_EEENSH_IJSE_SG_EEENS0_18inequality_wrapperINS9_8equal_toIjEEEEPmJSF_EEE10hipError_tPvRmT3_T4_T5_T6_T7_T9_mT8_P12ihipStream_tbDpT10_ENKUlT_T0_E_clISt17integral_constantIbLb0EES1B_EEDaS16_S17_EUlS16_E_NS1_11comp_targetILNS1_3genE4ELNS1_11target_archE910ELNS1_3gpuE8ELNS1_3repE0EEENS1_30default_config_static_selectorELNS0_4arch9wavefront6targetE0EEEvT1_
	.globl	_ZN7rocprim17ROCPRIM_400000_NS6detail17trampoline_kernelINS0_14default_configENS1_25partition_config_selectorILNS1_17partition_subalgoE9EjjbEEZZNS1_14partition_implILS5_9ELb0ES3_jN6thrust23THRUST_200600_302600_NS6detail15normal_iteratorINS9_10device_ptrIjEEEESE_PNS0_10empty_typeENS0_5tupleIJNS9_16discard_iteratorINS9_11use_defaultEEESF_EEENSH_IJSE_SG_EEENS0_18inequality_wrapperINS9_8equal_toIjEEEEPmJSF_EEE10hipError_tPvRmT3_T4_T5_T6_T7_T9_mT8_P12ihipStream_tbDpT10_ENKUlT_T0_E_clISt17integral_constantIbLb0EES1B_EEDaS16_S17_EUlS16_E_NS1_11comp_targetILNS1_3genE4ELNS1_11target_archE910ELNS1_3gpuE8ELNS1_3repE0EEENS1_30default_config_static_selectorELNS0_4arch9wavefront6targetE0EEEvT1_
	.p2align	8
	.type	_ZN7rocprim17ROCPRIM_400000_NS6detail17trampoline_kernelINS0_14default_configENS1_25partition_config_selectorILNS1_17partition_subalgoE9EjjbEEZZNS1_14partition_implILS5_9ELb0ES3_jN6thrust23THRUST_200600_302600_NS6detail15normal_iteratorINS9_10device_ptrIjEEEESE_PNS0_10empty_typeENS0_5tupleIJNS9_16discard_iteratorINS9_11use_defaultEEESF_EEENSH_IJSE_SG_EEENS0_18inequality_wrapperINS9_8equal_toIjEEEEPmJSF_EEE10hipError_tPvRmT3_T4_T5_T6_T7_T9_mT8_P12ihipStream_tbDpT10_ENKUlT_T0_E_clISt17integral_constantIbLb0EES1B_EEDaS16_S17_EUlS16_E_NS1_11comp_targetILNS1_3genE4ELNS1_11target_archE910ELNS1_3gpuE8ELNS1_3repE0EEENS1_30default_config_static_selectorELNS0_4arch9wavefront6targetE0EEEvT1_,@function
_ZN7rocprim17ROCPRIM_400000_NS6detail17trampoline_kernelINS0_14default_configENS1_25partition_config_selectorILNS1_17partition_subalgoE9EjjbEEZZNS1_14partition_implILS5_9ELb0ES3_jN6thrust23THRUST_200600_302600_NS6detail15normal_iteratorINS9_10device_ptrIjEEEESE_PNS0_10empty_typeENS0_5tupleIJNS9_16discard_iteratorINS9_11use_defaultEEESF_EEENSH_IJSE_SG_EEENS0_18inequality_wrapperINS9_8equal_toIjEEEEPmJSF_EEE10hipError_tPvRmT3_T4_T5_T6_T7_T9_mT8_P12ihipStream_tbDpT10_ENKUlT_T0_E_clISt17integral_constantIbLb0EES1B_EEDaS16_S17_EUlS16_E_NS1_11comp_targetILNS1_3genE4ELNS1_11target_archE910ELNS1_3gpuE8ELNS1_3repE0EEENS1_30default_config_static_selectorELNS0_4arch9wavefront6targetE0EEEvT1_: ; @_ZN7rocprim17ROCPRIM_400000_NS6detail17trampoline_kernelINS0_14default_configENS1_25partition_config_selectorILNS1_17partition_subalgoE9EjjbEEZZNS1_14partition_implILS5_9ELb0ES3_jN6thrust23THRUST_200600_302600_NS6detail15normal_iteratorINS9_10device_ptrIjEEEESE_PNS0_10empty_typeENS0_5tupleIJNS9_16discard_iteratorINS9_11use_defaultEEESF_EEENSH_IJSE_SG_EEENS0_18inequality_wrapperINS9_8equal_toIjEEEEPmJSF_EEE10hipError_tPvRmT3_T4_T5_T6_T7_T9_mT8_P12ihipStream_tbDpT10_ENKUlT_T0_E_clISt17integral_constantIbLb0EES1B_EEDaS16_S17_EUlS16_E_NS1_11comp_targetILNS1_3genE4ELNS1_11target_archE910ELNS1_3gpuE8ELNS1_3repE0EEENS1_30default_config_static_selectorELNS0_4arch9wavefront6targetE0EEEvT1_
; %bb.0:
	.section	.rodata,"a",@progbits
	.p2align	6, 0x0
	.amdhsa_kernel _ZN7rocprim17ROCPRIM_400000_NS6detail17trampoline_kernelINS0_14default_configENS1_25partition_config_selectorILNS1_17partition_subalgoE9EjjbEEZZNS1_14partition_implILS5_9ELb0ES3_jN6thrust23THRUST_200600_302600_NS6detail15normal_iteratorINS9_10device_ptrIjEEEESE_PNS0_10empty_typeENS0_5tupleIJNS9_16discard_iteratorINS9_11use_defaultEEESF_EEENSH_IJSE_SG_EEENS0_18inequality_wrapperINS9_8equal_toIjEEEEPmJSF_EEE10hipError_tPvRmT3_T4_T5_T6_T7_T9_mT8_P12ihipStream_tbDpT10_ENKUlT_T0_E_clISt17integral_constantIbLb0EES1B_EEDaS16_S17_EUlS16_E_NS1_11comp_targetILNS1_3genE4ELNS1_11target_archE910ELNS1_3gpuE8ELNS1_3repE0EEENS1_30default_config_static_selectorELNS0_4arch9wavefront6targetE0EEEvT1_
		.amdhsa_group_segment_fixed_size 0
		.amdhsa_private_segment_fixed_size 0
		.amdhsa_kernarg_size 120
		.amdhsa_user_sgpr_count 15
		.amdhsa_user_sgpr_dispatch_ptr 0
		.amdhsa_user_sgpr_queue_ptr 0
		.amdhsa_user_sgpr_kernarg_segment_ptr 1
		.amdhsa_user_sgpr_dispatch_id 0
		.amdhsa_user_sgpr_private_segment_size 0
		.amdhsa_wavefront_size32 1
		.amdhsa_uses_dynamic_stack 0
		.amdhsa_enable_private_segment 0
		.amdhsa_system_sgpr_workgroup_id_x 1
		.amdhsa_system_sgpr_workgroup_id_y 0
		.amdhsa_system_sgpr_workgroup_id_z 0
		.amdhsa_system_sgpr_workgroup_info 0
		.amdhsa_system_vgpr_workitem_id 0
		.amdhsa_next_free_vgpr 1
		.amdhsa_next_free_sgpr 1
		.amdhsa_reserve_vcc 0
		.amdhsa_float_round_mode_32 0
		.amdhsa_float_round_mode_16_64 0
		.amdhsa_float_denorm_mode_32 3
		.amdhsa_float_denorm_mode_16_64 3
		.amdhsa_dx10_clamp 1
		.amdhsa_ieee_mode 1
		.amdhsa_fp16_overflow 0
		.amdhsa_workgroup_processor_mode 1
		.amdhsa_memory_ordered 1
		.amdhsa_forward_progress 0
		.amdhsa_shared_vgpr_count 0
		.amdhsa_exception_fp_ieee_invalid_op 0
		.amdhsa_exception_fp_denorm_src 0
		.amdhsa_exception_fp_ieee_div_zero 0
		.amdhsa_exception_fp_ieee_overflow 0
		.amdhsa_exception_fp_ieee_underflow 0
		.amdhsa_exception_fp_ieee_inexact 0
		.amdhsa_exception_int_div_zero 0
	.end_amdhsa_kernel
	.section	.text._ZN7rocprim17ROCPRIM_400000_NS6detail17trampoline_kernelINS0_14default_configENS1_25partition_config_selectorILNS1_17partition_subalgoE9EjjbEEZZNS1_14partition_implILS5_9ELb0ES3_jN6thrust23THRUST_200600_302600_NS6detail15normal_iteratorINS9_10device_ptrIjEEEESE_PNS0_10empty_typeENS0_5tupleIJNS9_16discard_iteratorINS9_11use_defaultEEESF_EEENSH_IJSE_SG_EEENS0_18inequality_wrapperINS9_8equal_toIjEEEEPmJSF_EEE10hipError_tPvRmT3_T4_T5_T6_T7_T9_mT8_P12ihipStream_tbDpT10_ENKUlT_T0_E_clISt17integral_constantIbLb0EES1B_EEDaS16_S17_EUlS16_E_NS1_11comp_targetILNS1_3genE4ELNS1_11target_archE910ELNS1_3gpuE8ELNS1_3repE0EEENS1_30default_config_static_selectorELNS0_4arch9wavefront6targetE0EEEvT1_,"axG",@progbits,_ZN7rocprim17ROCPRIM_400000_NS6detail17trampoline_kernelINS0_14default_configENS1_25partition_config_selectorILNS1_17partition_subalgoE9EjjbEEZZNS1_14partition_implILS5_9ELb0ES3_jN6thrust23THRUST_200600_302600_NS6detail15normal_iteratorINS9_10device_ptrIjEEEESE_PNS0_10empty_typeENS0_5tupleIJNS9_16discard_iteratorINS9_11use_defaultEEESF_EEENSH_IJSE_SG_EEENS0_18inequality_wrapperINS9_8equal_toIjEEEEPmJSF_EEE10hipError_tPvRmT3_T4_T5_T6_T7_T9_mT8_P12ihipStream_tbDpT10_ENKUlT_T0_E_clISt17integral_constantIbLb0EES1B_EEDaS16_S17_EUlS16_E_NS1_11comp_targetILNS1_3genE4ELNS1_11target_archE910ELNS1_3gpuE8ELNS1_3repE0EEENS1_30default_config_static_selectorELNS0_4arch9wavefront6targetE0EEEvT1_,comdat
.Lfunc_end855:
	.size	_ZN7rocprim17ROCPRIM_400000_NS6detail17trampoline_kernelINS0_14default_configENS1_25partition_config_selectorILNS1_17partition_subalgoE9EjjbEEZZNS1_14partition_implILS5_9ELb0ES3_jN6thrust23THRUST_200600_302600_NS6detail15normal_iteratorINS9_10device_ptrIjEEEESE_PNS0_10empty_typeENS0_5tupleIJNS9_16discard_iteratorINS9_11use_defaultEEESF_EEENSH_IJSE_SG_EEENS0_18inequality_wrapperINS9_8equal_toIjEEEEPmJSF_EEE10hipError_tPvRmT3_T4_T5_T6_T7_T9_mT8_P12ihipStream_tbDpT10_ENKUlT_T0_E_clISt17integral_constantIbLb0EES1B_EEDaS16_S17_EUlS16_E_NS1_11comp_targetILNS1_3genE4ELNS1_11target_archE910ELNS1_3gpuE8ELNS1_3repE0EEENS1_30default_config_static_selectorELNS0_4arch9wavefront6targetE0EEEvT1_, .Lfunc_end855-_ZN7rocprim17ROCPRIM_400000_NS6detail17trampoline_kernelINS0_14default_configENS1_25partition_config_selectorILNS1_17partition_subalgoE9EjjbEEZZNS1_14partition_implILS5_9ELb0ES3_jN6thrust23THRUST_200600_302600_NS6detail15normal_iteratorINS9_10device_ptrIjEEEESE_PNS0_10empty_typeENS0_5tupleIJNS9_16discard_iteratorINS9_11use_defaultEEESF_EEENSH_IJSE_SG_EEENS0_18inequality_wrapperINS9_8equal_toIjEEEEPmJSF_EEE10hipError_tPvRmT3_T4_T5_T6_T7_T9_mT8_P12ihipStream_tbDpT10_ENKUlT_T0_E_clISt17integral_constantIbLb0EES1B_EEDaS16_S17_EUlS16_E_NS1_11comp_targetILNS1_3genE4ELNS1_11target_archE910ELNS1_3gpuE8ELNS1_3repE0EEENS1_30default_config_static_selectorELNS0_4arch9wavefront6targetE0EEEvT1_
                                        ; -- End function
	.section	.AMDGPU.csdata,"",@progbits
; Kernel info:
; codeLenInByte = 0
; NumSgprs: 0
; NumVgprs: 0
; ScratchSize: 0
; MemoryBound: 0
; FloatMode: 240
; IeeeMode: 1
; LDSByteSize: 0 bytes/workgroup (compile time only)
; SGPRBlocks: 0
; VGPRBlocks: 0
; NumSGPRsForWavesPerEU: 1
; NumVGPRsForWavesPerEU: 1
; Occupancy: 15
; WaveLimiterHint : 0
; COMPUTE_PGM_RSRC2:SCRATCH_EN: 0
; COMPUTE_PGM_RSRC2:USER_SGPR: 15
; COMPUTE_PGM_RSRC2:TRAP_HANDLER: 0
; COMPUTE_PGM_RSRC2:TGID_X_EN: 1
; COMPUTE_PGM_RSRC2:TGID_Y_EN: 0
; COMPUTE_PGM_RSRC2:TGID_Z_EN: 0
; COMPUTE_PGM_RSRC2:TIDIG_COMP_CNT: 0
	.section	.text._ZN7rocprim17ROCPRIM_400000_NS6detail17trampoline_kernelINS0_14default_configENS1_25partition_config_selectorILNS1_17partition_subalgoE9EjjbEEZZNS1_14partition_implILS5_9ELb0ES3_jN6thrust23THRUST_200600_302600_NS6detail15normal_iteratorINS9_10device_ptrIjEEEESE_PNS0_10empty_typeENS0_5tupleIJNS9_16discard_iteratorINS9_11use_defaultEEESF_EEENSH_IJSE_SG_EEENS0_18inequality_wrapperINS9_8equal_toIjEEEEPmJSF_EEE10hipError_tPvRmT3_T4_T5_T6_T7_T9_mT8_P12ihipStream_tbDpT10_ENKUlT_T0_E_clISt17integral_constantIbLb0EES1B_EEDaS16_S17_EUlS16_E_NS1_11comp_targetILNS1_3genE3ELNS1_11target_archE908ELNS1_3gpuE7ELNS1_3repE0EEENS1_30default_config_static_selectorELNS0_4arch9wavefront6targetE0EEEvT1_,"axG",@progbits,_ZN7rocprim17ROCPRIM_400000_NS6detail17trampoline_kernelINS0_14default_configENS1_25partition_config_selectorILNS1_17partition_subalgoE9EjjbEEZZNS1_14partition_implILS5_9ELb0ES3_jN6thrust23THRUST_200600_302600_NS6detail15normal_iteratorINS9_10device_ptrIjEEEESE_PNS0_10empty_typeENS0_5tupleIJNS9_16discard_iteratorINS9_11use_defaultEEESF_EEENSH_IJSE_SG_EEENS0_18inequality_wrapperINS9_8equal_toIjEEEEPmJSF_EEE10hipError_tPvRmT3_T4_T5_T6_T7_T9_mT8_P12ihipStream_tbDpT10_ENKUlT_T0_E_clISt17integral_constantIbLb0EES1B_EEDaS16_S17_EUlS16_E_NS1_11comp_targetILNS1_3genE3ELNS1_11target_archE908ELNS1_3gpuE7ELNS1_3repE0EEENS1_30default_config_static_selectorELNS0_4arch9wavefront6targetE0EEEvT1_,comdat
	.protected	_ZN7rocprim17ROCPRIM_400000_NS6detail17trampoline_kernelINS0_14default_configENS1_25partition_config_selectorILNS1_17partition_subalgoE9EjjbEEZZNS1_14partition_implILS5_9ELb0ES3_jN6thrust23THRUST_200600_302600_NS6detail15normal_iteratorINS9_10device_ptrIjEEEESE_PNS0_10empty_typeENS0_5tupleIJNS9_16discard_iteratorINS9_11use_defaultEEESF_EEENSH_IJSE_SG_EEENS0_18inequality_wrapperINS9_8equal_toIjEEEEPmJSF_EEE10hipError_tPvRmT3_T4_T5_T6_T7_T9_mT8_P12ihipStream_tbDpT10_ENKUlT_T0_E_clISt17integral_constantIbLb0EES1B_EEDaS16_S17_EUlS16_E_NS1_11comp_targetILNS1_3genE3ELNS1_11target_archE908ELNS1_3gpuE7ELNS1_3repE0EEENS1_30default_config_static_selectorELNS0_4arch9wavefront6targetE0EEEvT1_ ; -- Begin function _ZN7rocprim17ROCPRIM_400000_NS6detail17trampoline_kernelINS0_14default_configENS1_25partition_config_selectorILNS1_17partition_subalgoE9EjjbEEZZNS1_14partition_implILS5_9ELb0ES3_jN6thrust23THRUST_200600_302600_NS6detail15normal_iteratorINS9_10device_ptrIjEEEESE_PNS0_10empty_typeENS0_5tupleIJNS9_16discard_iteratorINS9_11use_defaultEEESF_EEENSH_IJSE_SG_EEENS0_18inequality_wrapperINS9_8equal_toIjEEEEPmJSF_EEE10hipError_tPvRmT3_T4_T5_T6_T7_T9_mT8_P12ihipStream_tbDpT10_ENKUlT_T0_E_clISt17integral_constantIbLb0EES1B_EEDaS16_S17_EUlS16_E_NS1_11comp_targetILNS1_3genE3ELNS1_11target_archE908ELNS1_3gpuE7ELNS1_3repE0EEENS1_30default_config_static_selectorELNS0_4arch9wavefront6targetE0EEEvT1_
	.globl	_ZN7rocprim17ROCPRIM_400000_NS6detail17trampoline_kernelINS0_14default_configENS1_25partition_config_selectorILNS1_17partition_subalgoE9EjjbEEZZNS1_14partition_implILS5_9ELb0ES3_jN6thrust23THRUST_200600_302600_NS6detail15normal_iteratorINS9_10device_ptrIjEEEESE_PNS0_10empty_typeENS0_5tupleIJNS9_16discard_iteratorINS9_11use_defaultEEESF_EEENSH_IJSE_SG_EEENS0_18inequality_wrapperINS9_8equal_toIjEEEEPmJSF_EEE10hipError_tPvRmT3_T4_T5_T6_T7_T9_mT8_P12ihipStream_tbDpT10_ENKUlT_T0_E_clISt17integral_constantIbLb0EES1B_EEDaS16_S17_EUlS16_E_NS1_11comp_targetILNS1_3genE3ELNS1_11target_archE908ELNS1_3gpuE7ELNS1_3repE0EEENS1_30default_config_static_selectorELNS0_4arch9wavefront6targetE0EEEvT1_
	.p2align	8
	.type	_ZN7rocprim17ROCPRIM_400000_NS6detail17trampoline_kernelINS0_14default_configENS1_25partition_config_selectorILNS1_17partition_subalgoE9EjjbEEZZNS1_14partition_implILS5_9ELb0ES3_jN6thrust23THRUST_200600_302600_NS6detail15normal_iteratorINS9_10device_ptrIjEEEESE_PNS0_10empty_typeENS0_5tupleIJNS9_16discard_iteratorINS9_11use_defaultEEESF_EEENSH_IJSE_SG_EEENS0_18inequality_wrapperINS9_8equal_toIjEEEEPmJSF_EEE10hipError_tPvRmT3_T4_T5_T6_T7_T9_mT8_P12ihipStream_tbDpT10_ENKUlT_T0_E_clISt17integral_constantIbLb0EES1B_EEDaS16_S17_EUlS16_E_NS1_11comp_targetILNS1_3genE3ELNS1_11target_archE908ELNS1_3gpuE7ELNS1_3repE0EEENS1_30default_config_static_selectorELNS0_4arch9wavefront6targetE0EEEvT1_,@function
_ZN7rocprim17ROCPRIM_400000_NS6detail17trampoline_kernelINS0_14default_configENS1_25partition_config_selectorILNS1_17partition_subalgoE9EjjbEEZZNS1_14partition_implILS5_9ELb0ES3_jN6thrust23THRUST_200600_302600_NS6detail15normal_iteratorINS9_10device_ptrIjEEEESE_PNS0_10empty_typeENS0_5tupleIJNS9_16discard_iteratorINS9_11use_defaultEEESF_EEENSH_IJSE_SG_EEENS0_18inequality_wrapperINS9_8equal_toIjEEEEPmJSF_EEE10hipError_tPvRmT3_T4_T5_T6_T7_T9_mT8_P12ihipStream_tbDpT10_ENKUlT_T0_E_clISt17integral_constantIbLb0EES1B_EEDaS16_S17_EUlS16_E_NS1_11comp_targetILNS1_3genE3ELNS1_11target_archE908ELNS1_3gpuE7ELNS1_3repE0EEENS1_30default_config_static_selectorELNS0_4arch9wavefront6targetE0EEEvT1_: ; @_ZN7rocprim17ROCPRIM_400000_NS6detail17trampoline_kernelINS0_14default_configENS1_25partition_config_selectorILNS1_17partition_subalgoE9EjjbEEZZNS1_14partition_implILS5_9ELb0ES3_jN6thrust23THRUST_200600_302600_NS6detail15normal_iteratorINS9_10device_ptrIjEEEESE_PNS0_10empty_typeENS0_5tupleIJNS9_16discard_iteratorINS9_11use_defaultEEESF_EEENSH_IJSE_SG_EEENS0_18inequality_wrapperINS9_8equal_toIjEEEEPmJSF_EEE10hipError_tPvRmT3_T4_T5_T6_T7_T9_mT8_P12ihipStream_tbDpT10_ENKUlT_T0_E_clISt17integral_constantIbLb0EES1B_EEDaS16_S17_EUlS16_E_NS1_11comp_targetILNS1_3genE3ELNS1_11target_archE908ELNS1_3gpuE7ELNS1_3repE0EEENS1_30default_config_static_selectorELNS0_4arch9wavefront6targetE0EEEvT1_
; %bb.0:
	.section	.rodata,"a",@progbits
	.p2align	6, 0x0
	.amdhsa_kernel _ZN7rocprim17ROCPRIM_400000_NS6detail17trampoline_kernelINS0_14default_configENS1_25partition_config_selectorILNS1_17partition_subalgoE9EjjbEEZZNS1_14partition_implILS5_9ELb0ES3_jN6thrust23THRUST_200600_302600_NS6detail15normal_iteratorINS9_10device_ptrIjEEEESE_PNS0_10empty_typeENS0_5tupleIJNS9_16discard_iteratorINS9_11use_defaultEEESF_EEENSH_IJSE_SG_EEENS0_18inequality_wrapperINS9_8equal_toIjEEEEPmJSF_EEE10hipError_tPvRmT3_T4_T5_T6_T7_T9_mT8_P12ihipStream_tbDpT10_ENKUlT_T0_E_clISt17integral_constantIbLb0EES1B_EEDaS16_S17_EUlS16_E_NS1_11comp_targetILNS1_3genE3ELNS1_11target_archE908ELNS1_3gpuE7ELNS1_3repE0EEENS1_30default_config_static_selectorELNS0_4arch9wavefront6targetE0EEEvT1_
		.amdhsa_group_segment_fixed_size 0
		.amdhsa_private_segment_fixed_size 0
		.amdhsa_kernarg_size 120
		.amdhsa_user_sgpr_count 15
		.amdhsa_user_sgpr_dispatch_ptr 0
		.amdhsa_user_sgpr_queue_ptr 0
		.amdhsa_user_sgpr_kernarg_segment_ptr 1
		.amdhsa_user_sgpr_dispatch_id 0
		.amdhsa_user_sgpr_private_segment_size 0
		.amdhsa_wavefront_size32 1
		.amdhsa_uses_dynamic_stack 0
		.amdhsa_enable_private_segment 0
		.amdhsa_system_sgpr_workgroup_id_x 1
		.amdhsa_system_sgpr_workgroup_id_y 0
		.amdhsa_system_sgpr_workgroup_id_z 0
		.amdhsa_system_sgpr_workgroup_info 0
		.amdhsa_system_vgpr_workitem_id 0
		.amdhsa_next_free_vgpr 1
		.amdhsa_next_free_sgpr 1
		.amdhsa_reserve_vcc 0
		.amdhsa_float_round_mode_32 0
		.amdhsa_float_round_mode_16_64 0
		.amdhsa_float_denorm_mode_32 3
		.amdhsa_float_denorm_mode_16_64 3
		.amdhsa_dx10_clamp 1
		.amdhsa_ieee_mode 1
		.amdhsa_fp16_overflow 0
		.amdhsa_workgroup_processor_mode 1
		.amdhsa_memory_ordered 1
		.amdhsa_forward_progress 0
		.amdhsa_shared_vgpr_count 0
		.amdhsa_exception_fp_ieee_invalid_op 0
		.amdhsa_exception_fp_denorm_src 0
		.amdhsa_exception_fp_ieee_div_zero 0
		.amdhsa_exception_fp_ieee_overflow 0
		.amdhsa_exception_fp_ieee_underflow 0
		.amdhsa_exception_fp_ieee_inexact 0
		.amdhsa_exception_int_div_zero 0
	.end_amdhsa_kernel
	.section	.text._ZN7rocprim17ROCPRIM_400000_NS6detail17trampoline_kernelINS0_14default_configENS1_25partition_config_selectorILNS1_17partition_subalgoE9EjjbEEZZNS1_14partition_implILS5_9ELb0ES3_jN6thrust23THRUST_200600_302600_NS6detail15normal_iteratorINS9_10device_ptrIjEEEESE_PNS0_10empty_typeENS0_5tupleIJNS9_16discard_iteratorINS9_11use_defaultEEESF_EEENSH_IJSE_SG_EEENS0_18inequality_wrapperINS9_8equal_toIjEEEEPmJSF_EEE10hipError_tPvRmT3_T4_T5_T6_T7_T9_mT8_P12ihipStream_tbDpT10_ENKUlT_T0_E_clISt17integral_constantIbLb0EES1B_EEDaS16_S17_EUlS16_E_NS1_11comp_targetILNS1_3genE3ELNS1_11target_archE908ELNS1_3gpuE7ELNS1_3repE0EEENS1_30default_config_static_selectorELNS0_4arch9wavefront6targetE0EEEvT1_,"axG",@progbits,_ZN7rocprim17ROCPRIM_400000_NS6detail17trampoline_kernelINS0_14default_configENS1_25partition_config_selectorILNS1_17partition_subalgoE9EjjbEEZZNS1_14partition_implILS5_9ELb0ES3_jN6thrust23THRUST_200600_302600_NS6detail15normal_iteratorINS9_10device_ptrIjEEEESE_PNS0_10empty_typeENS0_5tupleIJNS9_16discard_iteratorINS9_11use_defaultEEESF_EEENSH_IJSE_SG_EEENS0_18inequality_wrapperINS9_8equal_toIjEEEEPmJSF_EEE10hipError_tPvRmT3_T4_T5_T6_T7_T9_mT8_P12ihipStream_tbDpT10_ENKUlT_T0_E_clISt17integral_constantIbLb0EES1B_EEDaS16_S17_EUlS16_E_NS1_11comp_targetILNS1_3genE3ELNS1_11target_archE908ELNS1_3gpuE7ELNS1_3repE0EEENS1_30default_config_static_selectorELNS0_4arch9wavefront6targetE0EEEvT1_,comdat
.Lfunc_end856:
	.size	_ZN7rocprim17ROCPRIM_400000_NS6detail17trampoline_kernelINS0_14default_configENS1_25partition_config_selectorILNS1_17partition_subalgoE9EjjbEEZZNS1_14partition_implILS5_9ELb0ES3_jN6thrust23THRUST_200600_302600_NS6detail15normal_iteratorINS9_10device_ptrIjEEEESE_PNS0_10empty_typeENS0_5tupleIJNS9_16discard_iteratorINS9_11use_defaultEEESF_EEENSH_IJSE_SG_EEENS0_18inequality_wrapperINS9_8equal_toIjEEEEPmJSF_EEE10hipError_tPvRmT3_T4_T5_T6_T7_T9_mT8_P12ihipStream_tbDpT10_ENKUlT_T0_E_clISt17integral_constantIbLb0EES1B_EEDaS16_S17_EUlS16_E_NS1_11comp_targetILNS1_3genE3ELNS1_11target_archE908ELNS1_3gpuE7ELNS1_3repE0EEENS1_30default_config_static_selectorELNS0_4arch9wavefront6targetE0EEEvT1_, .Lfunc_end856-_ZN7rocprim17ROCPRIM_400000_NS6detail17trampoline_kernelINS0_14default_configENS1_25partition_config_selectorILNS1_17partition_subalgoE9EjjbEEZZNS1_14partition_implILS5_9ELb0ES3_jN6thrust23THRUST_200600_302600_NS6detail15normal_iteratorINS9_10device_ptrIjEEEESE_PNS0_10empty_typeENS0_5tupleIJNS9_16discard_iteratorINS9_11use_defaultEEESF_EEENSH_IJSE_SG_EEENS0_18inequality_wrapperINS9_8equal_toIjEEEEPmJSF_EEE10hipError_tPvRmT3_T4_T5_T6_T7_T9_mT8_P12ihipStream_tbDpT10_ENKUlT_T0_E_clISt17integral_constantIbLb0EES1B_EEDaS16_S17_EUlS16_E_NS1_11comp_targetILNS1_3genE3ELNS1_11target_archE908ELNS1_3gpuE7ELNS1_3repE0EEENS1_30default_config_static_selectorELNS0_4arch9wavefront6targetE0EEEvT1_
                                        ; -- End function
	.section	.AMDGPU.csdata,"",@progbits
; Kernel info:
; codeLenInByte = 0
; NumSgprs: 0
; NumVgprs: 0
; ScratchSize: 0
; MemoryBound: 0
; FloatMode: 240
; IeeeMode: 1
; LDSByteSize: 0 bytes/workgroup (compile time only)
; SGPRBlocks: 0
; VGPRBlocks: 0
; NumSGPRsForWavesPerEU: 1
; NumVGPRsForWavesPerEU: 1
; Occupancy: 16
; WaveLimiterHint : 0
; COMPUTE_PGM_RSRC2:SCRATCH_EN: 0
; COMPUTE_PGM_RSRC2:USER_SGPR: 15
; COMPUTE_PGM_RSRC2:TRAP_HANDLER: 0
; COMPUTE_PGM_RSRC2:TGID_X_EN: 1
; COMPUTE_PGM_RSRC2:TGID_Y_EN: 0
; COMPUTE_PGM_RSRC2:TGID_Z_EN: 0
; COMPUTE_PGM_RSRC2:TIDIG_COMP_CNT: 0
	.section	.text._ZN7rocprim17ROCPRIM_400000_NS6detail17trampoline_kernelINS0_14default_configENS1_25partition_config_selectorILNS1_17partition_subalgoE9EjjbEEZZNS1_14partition_implILS5_9ELb0ES3_jN6thrust23THRUST_200600_302600_NS6detail15normal_iteratorINS9_10device_ptrIjEEEESE_PNS0_10empty_typeENS0_5tupleIJNS9_16discard_iteratorINS9_11use_defaultEEESF_EEENSH_IJSE_SG_EEENS0_18inequality_wrapperINS9_8equal_toIjEEEEPmJSF_EEE10hipError_tPvRmT3_T4_T5_T6_T7_T9_mT8_P12ihipStream_tbDpT10_ENKUlT_T0_E_clISt17integral_constantIbLb0EES1B_EEDaS16_S17_EUlS16_E_NS1_11comp_targetILNS1_3genE2ELNS1_11target_archE906ELNS1_3gpuE6ELNS1_3repE0EEENS1_30default_config_static_selectorELNS0_4arch9wavefront6targetE0EEEvT1_,"axG",@progbits,_ZN7rocprim17ROCPRIM_400000_NS6detail17trampoline_kernelINS0_14default_configENS1_25partition_config_selectorILNS1_17partition_subalgoE9EjjbEEZZNS1_14partition_implILS5_9ELb0ES3_jN6thrust23THRUST_200600_302600_NS6detail15normal_iteratorINS9_10device_ptrIjEEEESE_PNS0_10empty_typeENS0_5tupleIJNS9_16discard_iteratorINS9_11use_defaultEEESF_EEENSH_IJSE_SG_EEENS0_18inequality_wrapperINS9_8equal_toIjEEEEPmJSF_EEE10hipError_tPvRmT3_T4_T5_T6_T7_T9_mT8_P12ihipStream_tbDpT10_ENKUlT_T0_E_clISt17integral_constantIbLb0EES1B_EEDaS16_S17_EUlS16_E_NS1_11comp_targetILNS1_3genE2ELNS1_11target_archE906ELNS1_3gpuE6ELNS1_3repE0EEENS1_30default_config_static_selectorELNS0_4arch9wavefront6targetE0EEEvT1_,comdat
	.protected	_ZN7rocprim17ROCPRIM_400000_NS6detail17trampoline_kernelINS0_14default_configENS1_25partition_config_selectorILNS1_17partition_subalgoE9EjjbEEZZNS1_14partition_implILS5_9ELb0ES3_jN6thrust23THRUST_200600_302600_NS6detail15normal_iteratorINS9_10device_ptrIjEEEESE_PNS0_10empty_typeENS0_5tupleIJNS9_16discard_iteratorINS9_11use_defaultEEESF_EEENSH_IJSE_SG_EEENS0_18inequality_wrapperINS9_8equal_toIjEEEEPmJSF_EEE10hipError_tPvRmT3_T4_T5_T6_T7_T9_mT8_P12ihipStream_tbDpT10_ENKUlT_T0_E_clISt17integral_constantIbLb0EES1B_EEDaS16_S17_EUlS16_E_NS1_11comp_targetILNS1_3genE2ELNS1_11target_archE906ELNS1_3gpuE6ELNS1_3repE0EEENS1_30default_config_static_selectorELNS0_4arch9wavefront6targetE0EEEvT1_ ; -- Begin function _ZN7rocprim17ROCPRIM_400000_NS6detail17trampoline_kernelINS0_14default_configENS1_25partition_config_selectorILNS1_17partition_subalgoE9EjjbEEZZNS1_14partition_implILS5_9ELb0ES3_jN6thrust23THRUST_200600_302600_NS6detail15normal_iteratorINS9_10device_ptrIjEEEESE_PNS0_10empty_typeENS0_5tupleIJNS9_16discard_iteratorINS9_11use_defaultEEESF_EEENSH_IJSE_SG_EEENS0_18inequality_wrapperINS9_8equal_toIjEEEEPmJSF_EEE10hipError_tPvRmT3_T4_T5_T6_T7_T9_mT8_P12ihipStream_tbDpT10_ENKUlT_T0_E_clISt17integral_constantIbLb0EES1B_EEDaS16_S17_EUlS16_E_NS1_11comp_targetILNS1_3genE2ELNS1_11target_archE906ELNS1_3gpuE6ELNS1_3repE0EEENS1_30default_config_static_selectorELNS0_4arch9wavefront6targetE0EEEvT1_
	.globl	_ZN7rocprim17ROCPRIM_400000_NS6detail17trampoline_kernelINS0_14default_configENS1_25partition_config_selectorILNS1_17partition_subalgoE9EjjbEEZZNS1_14partition_implILS5_9ELb0ES3_jN6thrust23THRUST_200600_302600_NS6detail15normal_iteratorINS9_10device_ptrIjEEEESE_PNS0_10empty_typeENS0_5tupleIJNS9_16discard_iteratorINS9_11use_defaultEEESF_EEENSH_IJSE_SG_EEENS0_18inequality_wrapperINS9_8equal_toIjEEEEPmJSF_EEE10hipError_tPvRmT3_T4_T5_T6_T7_T9_mT8_P12ihipStream_tbDpT10_ENKUlT_T0_E_clISt17integral_constantIbLb0EES1B_EEDaS16_S17_EUlS16_E_NS1_11comp_targetILNS1_3genE2ELNS1_11target_archE906ELNS1_3gpuE6ELNS1_3repE0EEENS1_30default_config_static_selectorELNS0_4arch9wavefront6targetE0EEEvT1_
	.p2align	8
	.type	_ZN7rocprim17ROCPRIM_400000_NS6detail17trampoline_kernelINS0_14default_configENS1_25partition_config_selectorILNS1_17partition_subalgoE9EjjbEEZZNS1_14partition_implILS5_9ELb0ES3_jN6thrust23THRUST_200600_302600_NS6detail15normal_iteratorINS9_10device_ptrIjEEEESE_PNS0_10empty_typeENS0_5tupleIJNS9_16discard_iteratorINS9_11use_defaultEEESF_EEENSH_IJSE_SG_EEENS0_18inequality_wrapperINS9_8equal_toIjEEEEPmJSF_EEE10hipError_tPvRmT3_T4_T5_T6_T7_T9_mT8_P12ihipStream_tbDpT10_ENKUlT_T0_E_clISt17integral_constantIbLb0EES1B_EEDaS16_S17_EUlS16_E_NS1_11comp_targetILNS1_3genE2ELNS1_11target_archE906ELNS1_3gpuE6ELNS1_3repE0EEENS1_30default_config_static_selectorELNS0_4arch9wavefront6targetE0EEEvT1_,@function
_ZN7rocprim17ROCPRIM_400000_NS6detail17trampoline_kernelINS0_14default_configENS1_25partition_config_selectorILNS1_17partition_subalgoE9EjjbEEZZNS1_14partition_implILS5_9ELb0ES3_jN6thrust23THRUST_200600_302600_NS6detail15normal_iteratorINS9_10device_ptrIjEEEESE_PNS0_10empty_typeENS0_5tupleIJNS9_16discard_iteratorINS9_11use_defaultEEESF_EEENSH_IJSE_SG_EEENS0_18inequality_wrapperINS9_8equal_toIjEEEEPmJSF_EEE10hipError_tPvRmT3_T4_T5_T6_T7_T9_mT8_P12ihipStream_tbDpT10_ENKUlT_T0_E_clISt17integral_constantIbLb0EES1B_EEDaS16_S17_EUlS16_E_NS1_11comp_targetILNS1_3genE2ELNS1_11target_archE906ELNS1_3gpuE6ELNS1_3repE0EEENS1_30default_config_static_selectorELNS0_4arch9wavefront6targetE0EEEvT1_: ; @_ZN7rocprim17ROCPRIM_400000_NS6detail17trampoline_kernelINS0_14default_configENS1_25partition_config_selectorILNS1_17partition_subalgoE9EjjbEEZZNS1_14partition_implILS5_9ELb0ES3_jN6thrust23THRUST_200600_302600_NS6detail15normal_iteratorINS9_10device_ptrIjEEEESE_PNS0_10empty_typeENS0_5tupleIJNS9_16discard_iteratorINS9_11use_defaultEEESF_EEENSH_IJSE_SG_EEENS0_18inequality_wrapperINS9_8equal_toIjEEEEPmJSF_EEE10hipError_tPvRmT3_T4_T5_T6_T7_T9_mT8_P12ihipStream_tbDpT10_ENKUlT_T0_E_clISt17integral_constantIbLb0EES1B_EEDaS16_S17_EUlS16_E_NS1_11comp_targetILNS1_3genE2ELNS1_11target_archE906ELNS1_3gpuE6ELNS1_3repE0EEENS1_30default_config_static_selectorELNS0_4arch9wavefront6targetE0EEEvT1_
; %bb.0:
	.section	.rodata,"a",@progbits
	.p2align	6, 0x0
	.amdhsa_kernel _ZN7rocprim17ROCPRIM_400000_NS6detail17trampoline_kernelINS0_14default_configENS1_25partition_config_selectorILNS1_17partition_subalgoE9EjjbEEZZNS1_14partition_implILS5_9ELb0ES3_jN6thrust23THRUST_200600_302600_NS6detail15normal_iteratorINS9_10device_ptrIjEEEESE_PNS0_10empty_typeENS0_5tupleIJNS9_16discard_iteratorINS9_11use_defaultEEESF_EEENSH_IJSE_SG_EEENS0_18inequality_wrapperINS9_8equal_toIjEEEEPmJSF_EEE10hipError_tPvRmT3_T4_T5_T6_T7_T9_mT8_P12ihipStream_tbDpT10_ENKUlT_T0_E_clISt17integral_constantIbLb0EES1B_EEDaS16_S17_EUlS16_E_NS1_11comp_targetILNS1_3genE2ELNS1_11target_archE906ELNS1_3gpuE6ELNS1_3repE0EEENS1_30default_config_static_selectorELNS0_4arch9wavefront6targetE0EEEvT1_
		.amdhsa_group_segment_fixed_size 0
		.amdhsa_private_segment_fixed_size 0
		.amdhsa_kernarg_size 120
		.amdhsa_user_sgpr_count 15
		.amdhsa_user_sgpr_dispatch_ptr 0
		.amdhsa_user_sgpr_queue_ptr 0
		.amdhsa_user_sgpr_kernarg_segment_ptr 1
		.amdhsa_user_sgpr_dispatch_id 0
		.amdhsa_user_sgpr_private_segment_size 0
		.amdhsa_wavefront_size32 1
		.amdhsa_uses_dynamic_stack 0
		.amdhsa_enable_private_segment 0
		.amdhsa_system_sgpr_workgroup_id_x 1
		.amdhsa_system_sgpr_workgroup_id_y 0
		.amdhsa_system_sgpr_workgroup_id_z 0
		.amdhsa_system_sgpr_workgroup_info 0
		.amdhsa_system_vgpr_workitem_id 0
		.amdhsa_next_free_vgpr 1
		.amdhsa_next_free_sgpr 1
		.amdhsa_reserve_vcc 0
		.amdhsa_float_round_mode_32 0
		.amdhsa_float_round_mode_16_64 0
		.amdhsa_float_denorm_mode_32 3
		.amdhsa_float_denorm_mode_16_64 3
		.amdhsa_dx10_clamp 1
		.amdhsa_ieee_mode 1
		.amdhsa_fp16_overflow 0
		.amdhsa_workgroup_processor_mode 1
		.amdhsa_memory_ordered 1
		.amdhsa_forward_progress 0
		.amdhsa_shared_vgpr_count 0
		.amdhsa_exception_fp_ieee_invalid_op 0
		.amdhsa_exception_fp_denorm_src 0
		.amdhsa_exception_fp_ieee_div_zero 0
		.amdhsa_exception_fp_ieee_overflow 0
		.amdhsa_exception_fp_ieee_underflow 0
		.amdhsa_exception_fp_ieee_inexact 0
		.amdhsa_exception_int_div_zero 0
	.end_amdhsa_kernel
	.section	.text._ZN7rocprim17ROCPRIM_400000_NS6detail17trampoline_kernelINS0_14default_configENS1_25partition_config_selectorILNS1_17partition_subalgoE9EjjbEEZZNS1_14partition_implILS5_9ELb0ES3_jN6thrust23THRUST_200600_302600_NS6detail15normal_iteratorINS9_10device_ptrIjEEEESE_PNS0_10empty_typeENS0_5tupleIJNS9_16discard_iteratorINS9_11use_defaultEEESF_EEENSH_IJSE_SG_EEENS0_18inequality_wrapperINS9_8equal_toIjEEEEPmJSF_EEE10hipError_tPvRmT3_T4_T5_T6_T7_T9_mT8_P12ihipStream_tbDpT10_ENKUlT_T0_E_clISt17integral_constantIbLb0EES1B_EEDaS16_S17_EUlS16_E_NS1_11comp_targetILNS1_3genE2ELNS1_11target_archE906ELNS1_3gpuE6ELNS1_3repE0EEENS1_30default_config_static_selectorELNS0_4arch9wavefront6targetE0EEEvT1_,"axG",@progbits,_ZN7rocprim17ROCPRIM_400000_NS6detail17trampoline_kernelINS0_14default_configENS1_25partition_config_selectorILNS1_17partition_subalgoE9EjjbEEZZNS1_14partition_implILS5_9ELb0ES3_jN6thrust23THRUST_200600_302600_NS6detail15normal_iteratorINS9_10device_ptrIjEEEESE_PNS0_10empty_typeENS0_5tupleIJNS9_16discard_iteratorINS9_11use_defaultEEESF_EEENSH_IJSE_SG_EEENS0_18inequality_wrapperINS9_8equal_toIjEEEEPmJSF_EEE10hipError_tPvRmT3_T4_T5_T6_T7_T9_mT8_P12ihipStream_tbDpT10_ENKUlT_T0_E_clISt17integral_constantIbLb0EES1B_EEDaS16_S17_EUlS16_E_NS1_11comp_targetILNS1_3genE2ELNS1_11target_archE906ELNS1_3gpuE6ELNS1_3repE0EEENS1_30default_config_static_selectorELNS0_4arch9wavefront6targetE0EEEvT1_,comdat
.Lfunc_end857:
	.size	_ZN7rocprim17ROCPRIM_400000_NS6detail17trampoline_kernelINS0_14default_configENS1_25partition_config_selectorILNS1_17partition_subalgoE9EjjbEEZZNS1_14partition_implILS5_9ELb0ES3_jN6thrust23THRUST_200600_302600_NS6detail15normal_iteratorINS9_10device_ptrIjEEEESE_PNS0_10empty_typeENS0_5tupleIJNS9_16discard_iteratorINS9_11use_defaultEEESF_EEENSH_IJSE_SG_EEENS0_18inequality_wrapperINS9_8equal_toIjEEEEPmJSF_EEE10hipError_tPvRmT3_T4_T5_T6_T7_T9_mT8_P12ihipStream_tbDpT10_ENKUlT_T0_E_clISt17integral_constantIbLb0EES1B_EEDaS16_S17_EUlS16_E_NS1_11comp_targetILNS1_3genE2ELNS1_11target_archE906ELNS1_3gpuE6ELNS1_3repE0EEENS1_30default_config_static_selectorELNS0_4arch9wavefront6targetE0EEEvT1_, .Lfunc_end857-_ZN7rocprim17ROCPRIM_400000_NS6detail17trampoline_kernelINS0_14default_configENS1_25partition_config_selectorILNS1_17partition_subalgoE9EjjbEEZZNS1_14partition_implILS5_9ELb0ES3_jN6thrust23THRUST_200600_302600_NS6detail15normal_iteratorINS9_10device_ptrIjEEEESE_PNS0_10empty_typeENS0_5tupleIJNS9_16discard_iteratorINS9_11use_defaultEEESF_EEENSH_IJSE_SG_EEENS0_18inequality_wrapperINS9_8equal_toIjEEEEPmJSF_EEE10hipError_tPvRmT3_T4_T5_T6_T7_T9_mT8_P12ihipStream_tbDpT10_ENKUlT_T0_E_clISt17integral_constantIbLb0EES1B_EEDaS16_S17_EUlS16_E_NS1_11comp_targetILNS1_3genE2ELNS1_11target_archE906ELNS1_3gpuE6ELNS1_3repE0EEENS1_30default_config_static_selectorELNS0_4arch9wavefront6targetE0EEEvT1_
                                        ; -- End function
	.section	.AMDGPU.csdata,"",@progbits
; Kernel info:
; codeLenInByte = 0
; NumSgprs: 0
; NumVgprs: 0
; ScratchSize: 0
; MemoryBound: 0
; FloatMode: 240
; IeeeMode: 1
; LDSByteSize: 0 bytes/workgroup (compile time only)
; SGPRBlocks: 0
; VGPRBlocks: 0
; NumSGPRsForWavesPerEU: 1
; NumVGPRsForWavesPerEU: 1
; Occupancy: 16
; WaveLimiterHint : 0
; COMPUTE_PGM_RSRC2:SCRATCH_EN: 0
; COMPUTE_PGM_RSRC2:USER_SGPR: 15
; COMPUTE_PGM_RSRC2:TRAP_HANDLER: 0
; COMPUTE_PGM_RSRC2:TGID_X_EN: 1
; COMPUTE_PGM_RSRC2:TGID_Y_EN: 0
; COMPUTE_PGM_RSRC2:TGID_Z_EN: 0
; COMPUTE_PGM_RSRC2:TIDIG_COMP_CNT: 0
	.section	.text._ZN7rocprim17ROCPRIM_400000_NS6detail17trampoline_kernelINS0_14default_configENS1_25partition_config_selectorILNS1_17partition_subalgoE9EjjbEEZZNS1_14partition_implILS5_9ELb0ES3_jN6thrust23THRUST_200600_302600_NS6detail15normal_iteratorINS9_10device_ptrIjEEEESE_PNS0_10empty_typeENS0_5tupleIJNS9_16discard_iteratorINS9_11use_defaultEEESF_EEENSH_IJSE_SG_EEENS0_18inequality_wrapperINS9_8equal_toIjEEEEPmJSF_EEE10hipError_tPvRmT3_T4_T5_T6_T7_T9_mT8_P12ihipStream_tbDpT10_ENKUlT_T0_E_clISt17integral_constantIbLb0EES1B_EEDaS16_S17_EUlS16_E_NS1_11comp_targetILNS1_3genE10ELNS1_11target_archE1200ELNS1_3gpuE4ELNS1_3repE0EEENS1_30default_config_static_selectorELNS0_4arch9wavefront6targetE0EEEvT1_,"axG",@progbits,_ZN7rocprim17ROCPRIM_400000_NS6detail17trampoline_kernelINS0_14default_configENS1_25partition_config_selectorILNS1_17partition_subalgoE9EjjbEEZZNS1_14partition_implILS5_9ELb0ES3_jN6thrust23THRUST_200600_302600_NS6detail15normal_iteratorINS9_10device_ptrIjEEEESE_PNS0_10empty_typeENS0_5tupleIJNS9_16discard_iteratorINS9_11use_defaultEEESF_EEENSH_IJSE_SG_EEENS0_18inequality_wrapperINS9_8equal_toIjEEEEPmJSF_EEE10hipError_tPvRmT3_T4_T5_T6_T7_T9_mT8_P12ihipStream_tbDpT10_ENKUlT_T0_E_clISt17integral_constantIbLb0EES1B_EEDaS16_S17_EUlS16_E_NS1_11comp_targetILNS1_3genE10ELNS1_11target_archE1200ELNS1_3gpuE4ELNS1_3repE0EEENS1_30default_config_static_selectorELNS0_4arch9wavefront6targetE0EEEvT1_,comdat
	.protected	_ZN7rocprim17ROCPRIM_400000_NS6detail17trampoline_kernelINS0_14default_configENS1_25partition_config_selectorILNS1_17partition_subalgoE9EjjbEEZZNS1_14partition_implILS5_9ELb0ES3_jN6thrust23THRUST_200600_302600_NS6detail15normal_iteratorINS9_10device_ptrIjEEEESE_PNS0_10empty_typeENS0_5tupleIJNS9_16discard_iteratorINS9_11use_defaultEEESF_EEENSH_IJSE_SG_EEENS0_18inequality_wrapperINS9_8equal_toIjEEEEPmJSF_EEE10hipError_tPvRmT3_T4_T5_T6_T7_T9_mT8_P12ihipStream_tbDpT10_ENKUlT_T0_E_clISt17integral_constantIbLb0EES1B_EEDaS16_S17_EUlS16_E_NS1_11comp_targetILNS1_3genE10ELNS1_11target_archE1200ELNS1_3gpuE4ELNS1_3repE0EEENS1_30default_config_static_selectorELNS0_4arch9wavefront6targetE0EEEvT1_ ; -- Begin function _ZN7rocprim17ROCPRIM_400000_NS6detail17trampoline_kernelINS0_14default_configENS1_25partition_config_selectorILNS1_17partition_subalgoE9EjjbEEZZNS1_14partition_implILS5_9ELb0ES3_jN6thrust23THRUST_200600_302600_NS6detail15normal_iteratorINS9_10device_ptrIjEEEESE_PNS0_10empty_typeENS0_5tupleIJNS9_16discard_iteratorINS9_11use_defaultEEESF_EEENSH_IJSE_SG_EEENS0_18inequality_wrapperINS9_8equal_toIjEEEEPmJSF_EEE10hipError_tPvRmT3_T4_T5_T6_T7_T9_mT8_P12ihipStream_tbDpT10_ENKUlT_T0_E_clISt17integral_constantIbLb0EES1B_EEDaS16_S17_EUlS16_E_NS1_11comp_targetILNS1_3genE10ELNS1_11target_archE1200ELNS1_3gpuE4ELNS1_3repE0EEENS1_30default_config_static_selectorELNS0_4arch9wavefront6targetE0EEEvT1_
	.globl	_ZN7rocprim17ROCPRIM_400000_NS6detail17trampoline_kernelINS0_14default_configENS1_25partition_config_selectorILNS1_17partition_subalgoE9EjjbEEZZNS1_14partition_implILS5_9ELb0ES3_jN6thrust23THRUST_200600_302600_NS6detail15normal_iteratorINS9_10device_ptrIjEEEESE_PNS0_10empty_typeENS0_5tupleIJNS9_16discard_iteratorINS9_11use_defaultEEESF_EEENSH_IJSE_SG_EEENS0_18inequality_wrapperINS9_8equal_toIjEEEEPmJSF_EEE10hipError_tPvRmT3_T4_T5_T6_T7_T9_mT8_P12ihipStream_tbDpT10_ENKUlT_T0_E_clISt17integral_constantIbLb0EES1B_EEDaS16_S17_EUlS16_E_NS1_11comp_targetILNS1_3genE10ELNS1_11target_archE1200ELNS1_3gpuE4ELNS1_3repE0EEENS1_30default_config_static_selectorELNS0_4arch9wavefront6targetE0EEEvT1_
	.p2align	8
	.type	_ZN7rocprim17ROCPRIM_400000_NS6detail17trampoline_kernelINS0_14default_configENS1_25partition_config_selectorILNS1_17partition_subalgoE9EjjbEEZZNS1_14partition_implILS5_9ELb0ES3_jN6thrust23THRUST_200600_302600_NS6detail15normal_iteratorINS9_10device_ptrIjEEEESE_PNS0_10empty_typeENS0_5tupleIJNS9_16discard_iteratorINS9_11use_defaultEEESF_EEENSH_IJSE_SG_EEENS0_18inequality_wrapperINS9_8equal_toIjEEEEPmJSF_EEE10hipError_tPvRmT3_T4_T5_T6_T7_T9_mT8_P12ihipStream_tbDpT10_ENKUlT_T0_E_clISt17integral_constantIbLb0EES1B_EEDaS16_S17_EUlS16_E_NS1_11comp_targetILNS1_3genE10ELNS1_11target_archE1200ELNS1_3gpuE4ELNS1_3repE0EEENS1_30default_config_static_selectorELNS0_4arch9wavefront6targetE0EEEvT1_,@function
_ZN7rocprim17ROCPRIM_400000_NS6detail17trampoline_kernelINS0_14default_configENS1_25partition_config_selectorILNS1_17partition_subalgoE9EjjbEEZZNS1_14partition_implILS5_9ELb0ES3_jN6thrust23THRUST_200600_302600_NS6detail15normal_iteratorINS9_10device_ptrIjEEEESE_PNS0_10empty_typeENS0_5tupleIJNS9_16discard_iteratorINS9_11use_defaultEEESF_EEENSH_IJSE_SG_EEENS0_18inequality_wrapperINS9_8equal_toIjEEEEPmJSF_EEE10hipError_tPvRmT3_T4_T5_T6_T7_T9_mT8_P12ihipStream_tbDpT10_ENKUlT_T0_E_clISt17integral_constantIbLb0EES1B_EEDaS16_S17_EUlS16_E_NS1_11comp_targetILNS1_3genE10ELNS1_11target_archE1200ELNS1_3gpuE4ELNS1_3repE0EEENS1_30default_config_static_selectorELNS0_4arch9wavefront6targetE0EEEvT1_: ; @_ZN7rocprim17ROCPRIM_400000_NS6detail17trampoline_kernelINS0_14default_configENS1_25partition_config_selectorILNS1_17partition_subalgoE9EjjbEEZZNS1_14partition_implILS5_9ELb0ES3_jN6thrust23THRUST_200600_302600_NS6detail15normal_iteratorINS9_10device_ptrIjEEEESE_PNS0_10empty_typeENS0_5tupleIJNS9_16discard_iteratorINS9_11use_defaultEEESF_EEENSH_IJSE_SG_EEENS0_18inequality_wrapperINS9_8equal_toIjEEEEPmJSF_EEE10hipError_tPvRmT3_T4_T5_T6_T7_T9_mT8_P12ihipStream_tbDpT10_ENKUlT_T0_E_clISt17integral_constantIbLb0EES1B_EEDaS16_S17_EUlS16_E_NS1_11comp_targetILNS1_3genE10ELNS1_11target_archE1200ELNS1_3gpuE4ELNS1_3repE0EEENS1_30default_config_static_selectorELNS0_4arch9wavefront6targetE0EEEvT1_
; %bb.0:
	.section	.rodata,"a",@progbits
	.p2align	6, 0x0
	.amdhsa_kernel _ZN7rocprim17ROCPRIM_400000_NS6detail17trampoline_kernelINS0_14default_configENS1_25partition_config_selectorILNS1_17partition_subalgoE9EjjbEEZZNS1_14partition_implILS5_9ELb0ES3_jN6thrust23THRUST_200600_302600_NS6detail15normal_iteratorINS9_10device_ptrIjEEEESE_PNS0_10empty_typeENS0_5tupleIJNS9_16discard_iteratorINS9_11use_defaultEEESF_EEENSH_IJSE_SG_EEENS0_18inequality_wrapperINS9_8equal_toIjEEEEPmJSF_EEE10hipError_tPvRmT3_T4_T5_T6_T7_T9_mT8_P12ihipStream_tbDpT10_ENKUlT_T0_E_clISt17integral_constantIbLb0EES1B_EEDaS16_S17_EUlS16_E_NS1_11comp_targetILNS1_3genE10ELNS1_11target_archE1200ELNS1_3gpuE4ELNS1_3repE0EEENS1_30default_config_static_selectorELNS0_4arch9wavefront6targetE0EEEvT1_
		.amdhsa_group_segment_fixed_size 0
		.amdhsa_private_segment_fixed_size 0
		.amdhsa_kernarg_size 120
		.amdhsa_user_sgpr_count 15
		.amdhsa_user_sgpr_dispatch_ptr 0
		.amdhsa_user_sgpr_queue_ptr 0
		.amdhsa_user_sgpr_kernarg_segment_ptr 1
		.amdhsa_user_sgpr_dispatch_id 0
		.amdhsa_user_sgpr_private_segment_size 0
		.amdhsa_wavefront_size32 1
		.amdhsa_uses_dynamic_stack 0
		.amdhsa_enable_private_segment 0
		.amdhsa_system_sgpr_workgroup_id_x 1
		.amdhsa_system_sgpr_workgroup_id_y 0
		.amdhsa_system_sgpr_workgroup_id_z 0
		.amdhsa_system_sgpr_workgroup_info 0
		.amdhsa_system_vgpr_workitem_id 0
		.amdhsa_next_free_vgpr 1
		.amdhsa_next_free_sgpr 1
		.amdhsa_reserve_vcc 0
		.amdhsa_float_round_mode_32 0
		.amdhsa_float_round_mode_16_64 0
		.amdhsa_float_denorm_mode_32 3
		.amdhsa_float_denorm_mode_16_64 3
		.amdhsa_dx10_clamp 1
		.amdhsa_ieee_mode 1
		.amdhsa_fp16_overflow 0
		.amdhsa_workgroup_processor_mode 1
		.amdhsa_memory_ordered 1
		.amdhsa_forward_progress 0
		.amdhsa_shared_vgpr_count 0
		.amdhsa_exception_fp_ieee_invalid_op 0
		.amdhsa_exception_fp_denorm_src 0
		.amdhsa_exception_fp_ieee_div_zero 0
		.amdhsa_exception_fp_ieee_overflow 0
		.amdhsa_exception_fp_ieee_underflow 0
		.amdhsa_exception_fp_ieee_inexact 0
		.amdhsa_exception_int_div_zero 0
	.end_amdhsa_kernel
	.section	.text._ZN7rocprim17ROCPRIM_400000_NS6detail17trampoline_kernelINS0_14default_configENS1_25partition_config_selectorILNS1_17partition_subalgoE9EjjbEEZZNS1_14partition_implILS5_9ELb0ES3_jN6thrust23THRUST_200600_302600_NS6detail15normal_iteratorINS9_10device_ptrIjEEEESE_PNS0_10empty_typeENS0_5tupleIJNS9_16discard_iteratorINS9_11use_defaultEEESF_EEENSH_IJSE_SG_EEENS0_18inequality_wrapperINS9_8equal_toIjEEEEPmJSF_EEE10hipError_tPvRmT3_T4_T5_T6_T7_T9_mT8_P12ihipStream_tbDpT10_ENKUlT_T0_E_clISt17integral_constantIbLb0EES1B_EEDaS16_S17_EUlS16_E_NS1_11comp_targetILNS1_3genE10ELNS1_11target_archE1200ELNS1_3gpuE4ELNS1_3repE0EEENS1_30default_config_static_selectorELNS0_4arch9wavefront6targetE0EEEvT1_,"axG",@progbits,_ZN7rocprim17ROCPRIM_400000_NS6detail17trampoline_kernelINS0_14default_configENS1_25partition_config_selectorILNS1_17partition_subalgoE9EjjbEEZZNS1_14partition_implILS5_9ELb0ES3_jN6thrust23THRUST_200600_302600_NS6detail15normal_iteratorINS9_10device_ptrIjEEEESE_PNS0_10empty_typeENS0_5tupleIJNS9_16discard_iteratorINS9_11use_defaultEEESF_EEENSH_IJSE_SG_EEENS0_18inequality_wrapperINS9_8equal_toIjEEEEPmJSF_EEE10hipError_tPvRmT3_T4_T5_T6_T7_T9_mT8_P12ihipStream_tbDpT10_ENKUlT_T0_E_clISt17integral_constantIbLb0EES1B_EEDaS16_S17_EUlS16_E_NS1_11comp_targetILNS1_3genE10ELNS1_11target_archE1200ELNS1_3gpuE4ELNS1_3repE0EEENS1_30default_config_static_selectorELNS0_4arch9wavefront6targetE0EEEvT1_,comdat
.Lfunc_end858:
	.size	_ZN7rocprim17ROCPRIM_400000_NS6detail17trampoline_kernelINS0_14default_configENS1_25partition_config_selectorILNS1_17partition_subalgoE9EjjbEEZZNS1_14partition_implILS5_9ELb0ES3_jN6thrust23THRUST_200600_302600_NS6detail15normal_iteratorINS9_10device_ptrIjEEEESE_PNS0_10empty_typeENS0_5tupleIJNS9_16discard_iteratorINS9_11use_defaultEEESF_EEENSH_IJSE_SG_EEENS0_18inequality_wrapperINS9_8equal_toIjEEEEPmJSF_EEE10hipError_tPvRmT3_T4_T5_T6_T7_T9_mT8_P12ihipStream_tbDpT10_ENKUlT_T0_E_clISt17integral_constantIbLb0EES1B_EEDaS16_S17_EUlS16_E_NS1_11comp_targetILNS1_3genE10ELNS1_11target_archE1200ELNS1_3gpuE4ELNS1_3repE0EEENS1_30default_config_static_selectorELNS0_4arch9wavefront6targetE0EEEvT1_, .Lfunc_end858-_ZN7rocprim17ROCPRIM_400000_NS6detail17trampoline_kernelINS0_14default_configENS1_25partition_config_selectorILNS1_17partition_subalgoE9EjjbEEZZNS1_14partition_implILS5_9ELb0ES3_jN6thrust23THRUST_200600_302600_NS6detail15normal_iteratorINS9_10device_ptrIjEEEESE_PNS0_10empty_typeENS0_5tupleIJNS9_16discard_iteratorINS9_11use_defaultEEESF_EEENSH_IJSE_SG_EEENS0_18inequality_wrapperINS9_8equal_toIjEEEEPmJSF_EEE10hipError_tPvRmT3_T4_T5_T6_T7_T9_mT8_P12ihipStream_tbDpT10_ENKUlT_T0_E_clISt17integral_constantIbLb0EES1B_EEDaS16_S17_EUlS16_E_NS1_11comp_targetILNS1_3genE10ELNS1_11target_archE1200ELNS1_3gpuE4ELNS1_3repE0EEENS1_30default_config_static_selectorELNS0_4arch9wavefront6targetE0EEEvT1_
                                        ; -- End function
	.section	.AMDGPU.csdata,"",@progbits
; Kernel info:
; codeLenInByte = 0
; NumSgprs: 0
; NumVgprs: 0
; ScratchSize: 0
; MemoryBound: 0
; FloatMode: 240
; IeeeMode: 1
; LDSByteSize: 0 bytes/workgroup (compile time only)
; SGPRBlocks: 0
; VGPRBlocks: 0
; NumSGPRsForWavesPerEU: 1
; NumVGPRsForWavesPerEU: 1
; Occupancy: 15
; WaveLimiterHint : 0
; COMPUTE_PGM_RSRC2:SCRATCH_EN: 0
; COMPUTE_PGM_RSRC2:USER_SGPR: 15
; COMPUTE_PGM_RSRC2:TRAP_HANDLER: 0
; COMPUTE_PGM_RSRC2:TGID_X_EN: 1
; COMPUTE_PGM_RSRC2:TGID_Y_EN: 0
; COMPUTE_PGM_RSRC2:TGID_Z_EN: 0
; COMPUTE_PGM_RSRC2:TIDIG_COMP_CNT: 0
	.section	.text._ZN7rocprim17ROCPRIM_400000_NS6detail17trampoline_kernelINS0_14default_configENS1_25partition_config_selectorILNS1_17partition_subalgoE9EjjbEEZZNS1_14partition_implILS5_9ELb0ES3_jN6thrust23THRUST_200600_302600_NS6detail15normal_iteratorINS9_10device_ptrIjEEEESE_PNS0_10empty_typeENS0_5tupleIJNS9_16discard_iteratorINS9_11use_defaultEEESF_EEENSH_IJSE_SG_EEENS0_18inequality_wrapperINS9_8equal_toIjEEEEPmJSF_EEE10hipError_tPvRmT3_T4_T5_T6_T7_T9_mT8_P12ihipStream_tbDpT10_ENKUlT_T0_E_clISt17integral_constantIbLb0EES1B_EEDaS16_S17_EUlS16_E_NS1_11comp_targetILNS1_3genE9ELNS1_11target_archE1100ELNS1_3gpuE3ELNS1_3repE0EEENS1_30default_config_static_selectorELNS0_4arch9wavefront6targetE0EEEvT1_,"axG",@progbits,_ZN7rocprim17ROCPRIM_400000_NS6detail17trampoline_kernelINS0_14default_configENS1_25partition_config_selectorILNS1_17partition_subalgoE9EjjbEEZZNS1_14partition_implILS5_9ELb0ES3_jN6thrust23THRUST_200600_302600_NS6detail15normal_iteratorINS9_10device_ptrIjEEEESE_PNS0_10empty_typeENS0_5tupleIJNS9_16discard_iteratorINS9_11use_defaultEEESF_EEENSH_IJSE_SG_EEENS0_18inequality_wrapperINS9_8equal_toIjEEEEPmJSF_EEE10hipError_tPvRmT3_T4_T5_T6_T7_T9_mT8_P12ihipStream_tbDpT10_ENKUlT_T0_E_clISt17integral_constantIbLb0EES1B_EEDaS16_S17_EUlS16_E_NS1_11comp_targetILNS1_3genE9ELNS1_11target_archE1100ELNS1_3gpuE3ELNS1_3repE0EEENS1_30default_config_static_selectorELNS0_4arch9wavefront6targetE0EEEvT1_,comdat
	.protected	_ZN7rocprim17ROCPRIM_400000_NS6detail17trampoline_kernelINS0_14default_configENS1_25partition_config_selectorILNS1_17partition_subalgoE9EjjbEEZZNS1_14partition_implILS5_9ELb0ES3_jN6thrust23THRUST_200600_302600_NS6detail15normal_iteratorINS9_10device_ptrIjEEEESE_PNS0_10empty_typeENS0_5tupleIJNS9_16discard_iteratorINS9_11use_defaultEEESF_EEENSH_IJSE_SG_EEENS0_18inequality_wrapperINS9_8equal_toIjEEEEPmJSF_EEE10hipError_tPvRmT3_T4_T5_T6_T7_T9_mT8_P12ihipStream_tbDpT10_ENKUlT_T0_E_clISt17integral_constantIbLb0EES1B_EEDaS16_S17_EUlS16_E_NS1_11comp_targetILNS1_3genE9ELNS1_11target_archE1100ELNS1_3gpuE3ELNS1_3repE0EEENS1_30default_config_static_selectorELNS0_4arch9wavefront6targetE0EEEvT1_ ; -- Begin function _ZN7rocprim17ROCPRIM_400000_NS6detail17trampoline_kernelINS0_14default_configENS1_25partition_config_selectorILNS1_17partition_subalgoE9EjjbEEZZNS1_14partition_implILS5_9ELb0ES3_jN6thrust23THRUST_200600_302600_NS6detail15normal_iteratorINS9_10device_ptrIjEEEESE_PNS0_10empty_typeENS0_5tupleIJNS9_16discard_iteratorINS9_11use_defaultEEESF_EEENSH_IJSE_SG_EEENS0_18inequality_wrapperINS9_8equal_toIjEEEEPmJSF_EEE10hipError_tPvRmT3_T4_T5_T6_T7_T9_mT8_P12ihipStream_tbDpT10_ENKUlT_T0_E_clISt17integral_constantIbLb0EES1B_EEDaS16_S17_EUlS16_E_NS1_11comp_targetILNS1_3genE9ELNS1_11target_archE1100ELNS1_3gpuE3ELNS1_3repE0EEENS1_30default_config_static_selectorELNS0_4arch9wavefront6targetE0EEEvT1_
	.globl	_ZN7rocprim17ROCPRIM_400000_NS6detail17trampoline_kernelINS0_14default_configENS1_25partition_config_selectorILNS1_17partition_subalgoE9EjjbEEZZNS1_14partition_implILS5_9ELb0ES3_jN6thrust23THRUST_200600_302600_NS6detail15normal_iteratorINS9_10device_ptrIjEEEESE_PNS0_10empty_typeENS0_5tupleIJNS9_16discard_iteratorINS9_11use_defaultEEESF_EEENSH_IJSE_SG_EEENS0_18inequality_wrapperINS9_8equal_toIjEEEEPmJSF_EEE10hipError_tPvRmT3_T4_T5_T6_T7_T9_mT8_P12ihipStream_tbDpT10_ENKUlT_T0_E_clISt17integral_constantIbLb0EES1B_EEDaS16_S17_EUlS16_E_NS1_11comp_targetILNS1_3genE9ELNS1_11target_archE1100ELNS1_3gpuE3ELNS1_3repE0EEENS1_30default_config_static_selectorELNS0_4arch9wavefront6targetE0EEEvT1_
	.p2align	8
	.type	_ZN7rocprim17ROCPRIM_400000_NS6detail17trampoline_kernelINS0_14default_configENS1_25partition_config_selectorILNS1_17partition_subalgoE9EjjbEEZZNS1_14partition_implILS5_9ELb0ES3_jN6thrust23THRUST_200600_302600_NS6detail15normal_iteratorINS9_10device_ptrIjEEEESE_PNS0_10empty_typeENS0_5tupleIJNS9_16discard_iteratorINS9_11use_defaultEEESF_EEENSH_IJSE_SG_EEENS0_18inequality_wrapperINS9_8equal_toIjEEEEPmJSF_EEE10hipError_tPvRmT3_T4_T5_T6_T7_T9_mT8_P12ihipStream_tbDpT10_ENKUlT_T0_E_clISt17integral_constantIbLb0EES1B_EEDaS16_S17_EUlS16_E_NS1_11comp_targetILNS1_3genE9ELNS1_11target_archE1100ELNS1_3gpuE3ELNS1_3repE0EEENS1_30default_config_static_selectorELNS0_4arch9wavefront6targetE0EEEvT1_,@function
_ZN7rocprim17ROCPRIM_400000_NS6detail17trampoline_kernelINS0_14default_configENS1_25partition_config_selectorILNS1_17partition_subalgoE9EjjbEEZZNS1_14partition_implILS5_9ELb0ES3_jN6thrust23THRUST_200600_302600_NS6detail15normal_iteratorINS9_10device_ptrIjEEEESE_PNS0_10empty_typeENS0_5tupleIJNS9_16discard_iteratorINS9_11use_defaultEEESF_EEENSH_IJSE_SG_EEENS0_18inequality_wrapperINS9_8equal_toIjEEEEPmJSF_EEE10hipError_tPvRmT3_T4_T5_T6_T7_T9_mT8_P12ihipStream_tbDpT10_ENKUlT_T0_E_clISt17integral_constantIbLb0EES1B_EEDaS16_S17_EUlS16_E_NS1_11comp_targetILNS1_3genE9ELNS1_11target_archE1100ELNS1_3gpuE3ELNS1_3repE0EEENS1_30default_config_static_selectorELNS0_4arch9wavefront6targetE0EEEvT1_: ; @_ZN7rocprim17ROCPRIM_400000_NS6detail17trampoline_kernelINS0_14default_configENS1_25partition_config_selectorILNS1_17partition_subalgoE9EjjbEEZZNS1_14partition_implILS5_9ELb0ES3_jN6thrust23THRUST_200600_302600_NS6detail15normal_iteratorINS9_10device_ptrIjEEEESE_PNS0_10empty_typeENS0_5tupleIJNS9_16discard_iteratorINS9_11use_defaultEEESF_EEENSH_IJSE_SG_EEENS0_18inequality_wrapperINS9_8equal_toIjEEEEPmJSF_EEE10hipError_tPvRmT3_T4_T5_T6_T7_T9_mT8_P12ihipStream_tbDpT10_ENKUlT_T0_E_clISt17integral_constantIbLb0EES1B_EEDaS16_S17_EUlS16_E_NS1_11comp_targetILNS1_3genE9ELNS1_11target_archE1100ELNS1_3gpuE3ELNS1_3repE0EEENS1_30default_config_static_selectorELNS0_4arch9wavefront6targetE0EEEvT1_
; %bb.0:
	s_clause 0x4
	s_load_b128 s[4:7], s[0:1], 0x8
	s_load_b32 s14, s[0:1], 0x70
	s_load_b128 s[16:19], s[0:1], 0x48
	s_load_b64 s[2:3], s[0:1], 0x58
	s_load_b64 s[8:9], s[0:1], 0x18
	s_mov_b32 s23, 0
	s_mul_i32 s22, s15, 0xc00
	v_lshrrev_b32_e32 v12, 3, v0
	v_add_nc_u32_e32 v21, 0x180, v0
	v_add_nc_u32_e32 v20, 0x300, v0
	;; [unrolled: 1-line block ×3, first 2 shown]
	v_or_b32_e32 v22, 0x600, v0
	v_add_nc_u32_e32 v17, 0x780, v0
	v_add_nc_u32_e32 v11, 0x900, v0
	;; [unrolled: 1-line block ×3, first 2 shown]
	s_waitcnt lgkmcnt(0)
	s_lshl_b64 s[12:13], s[6:7], 2
	s_mul_i32 s20, s14, 0xc00
	s_add_u32 s21, s4, s12
	s_addc_u32 s24, s5, s13
	s_add_i32 s4, s20, s6
	s_load_b64 s[10:11], s[18:19], 0x0
	s_sub_i32 s19, s2, s4
	s_add_i32 s14, s14, -1
	s_addk_i32 s19, 0xc00
	s_add_u32 s4, s6, s20
	s_addc_u32 s5, s7, 0
	s_cmp_eq_u32 s15, s14
	v_cmp_ge_u64_e64 s2, s[4:5], s[2:3]
	s_cselect_b32 s14, -1, 0
	s_lshl_b64 s[4:5], s[22:23], 2
	s_mov_b32 s22, -1
	s_delay_alu instid0(VALU_DEP_1) | instskip(NEXT) | instid1(SALU_CYCLE_1)
	s_and_b32 s20, s14, s2
	s_xor_b32 s18, s20, -1
	s_add_u32 s21, s21, s4
	s_addc_u32 s3, s24, s5
	s_and_b32 vcc_lo, exec_lo, s18
	s_cbranch_vccz .LBB859_2
; %bb.1:
	v_lshlrev_b32_e32 v7, 2, v0
	v_lshrrev_b32_e32 v13, 3, v21
	v_lshrrev_b32_e32 v14, 3, v20
	;; [unrolled: 1-line block ×4, first 2 shown]
	v_add_co_u32 v1, s2, s21, v7
	s_delay_alu instid0(VALU_DEP_1) | instskip(SKIP_1) | instid1(VALU_DEP_3)
	v_add_co_ci_u32_e64 v2, null, s3, 0, s2
	v_lshrrev_b32_e32 v19, 3, v17
	v_add_co_u32 v3, vcc_lo, 0x1000, v1
	s_delay_alu instid0(VALU_DEP_3)
	v_add_co_ci_u32_e32 v4, vcc_lo, 0, v2, vcc_lo
	v_add_co_u32 v5, vcc_lo, 0x2000, v1
	v_add_co_ci_u32_e32 v6, vcc_lo, 0, v2, vcc_lo
	s_clause 0x7
	flat_load_b32 v8, v[1:2]
	flat_load_b32 v9, v[1:2] offset:1536
	flat_load_b32 v1, v[1:2] offset:3072
	;; [unrolled: 1-line block ×7, first 2 shown]
	v_and_b32_e32 v6, 60, v12
	v_lshrrev_b32_e32 v24, 3, v11
	v_lshrrev_b32_e32 v25, 3, v18
	v_and_b32_e32 v13, 0x7c, v13
	v_and_b32_e32 v14, 0xfc, v14
	;; [unrolled: 1-line block ×4, first 2 shown]
	v_add_nc_u32_e32 v6, v6, v7
	v_and_b32_e32 v19, 0x1fc, v19
	v_and_b32_e32 v24, 0x17c, v24
	;; [unrolled: 1-line block ×3, first 2 shown]
	v_add_nc_u32_e32 v13, v13, v7
	v_add_nc_u32_e32 v14, v14, v7
	;; [unrolled: 1-line block ×4, first 2 shown]
	s_mov_b32 s22, 0
	v_add_nc_u32_e32 v19, v19, v7
	v_add_nc_u32_e32 v24, v24, v7
	;; [unrolled: 1-line block ×3, first 2 shown]
	s_waitcnt vmcnt(7) lgkmcnt(0)
	ds_store_b32 v6, v8
	s_waitcnt vmcnt(6)
	ds_store_b32 v13, v9 offset:1536
	s_waitcnt vmcnt(5)
	ds_store_b32 v14, v1 offset:3072
	;; [unrolled: 2-line block ×7, first 2 shown]
	s_waitcnt lgkmcnt(0)
	s_barrier
.LBB859_2:
	v_cmp_gt_u32_e64 s2, s19, v0
	s_and_not1_b32 vcc_lo, exec_lo, s22
	s_cbranch_vccnz .LBB859_20
; %bb.3:
                                        ; implicit-def: $vgpr1_vgpr2_vgpr3_vgpr4_vgpr5_vgpr6_vgpr7_vgpr8
	s_delay_alu instid0(VALU_DEP_1)
	s_and_saveexec_b32 s22, s2
	s_cbranch_execz .LBB859_11
; %bb.4:
	v_lshlrev_b32_e32 v1, 2, v0
	s_delay_alu instid0(VALU_DEP_1) | instskip(NEXT) | instid1(VALU_DEP_1)
	v_add_co_u32 v1, s2, s21, v1
	v_add_co_ci_u32_e64 v2, null, s3, 0, s2
	flat_load_b32 v1, v[1:2]
	s_or_b32 exec_lo, exec_lo, s22
	s_delay_alu instid0(SALU_CYCLE_1)
	s_mov_b32 s2, exec_lo
	v_cmpx_gt_u32_e64 s19, v21
	s_cbranch_execnz .LBB859_12
.LBB859_5:
	s_or_b32 exec_lo, exec_lo, s2
	s_delay_alu instid0(SALU_CYCLE_1)
	s_mov_b32 s2, exec_lo
	v_cmpx_gt_u32_e64 s19, v20
	s_cbranch_execz .LBB859_13
.LBB859_6:
	v_lshlrev_b32_e32 v3, 2, v0
	s_delay_alu instid0(VALU_DEP_1) | instskip(NEXT) | instid1(VALU_DEP_1)
	v_add_co_u32 v9, s22, s21, v3
	v_add_co_ci_u32_e64 v10, null, s3, 0, s22
	flat_load_b32 v3, v[9:10] offset:3072
	s_or_b32 exec_lo, exec_lo, s2
	s_delay_alu instid0(SALU_CYCLE_1)
	s_mov_b32 s2, exec_lo
	v_cmpx_gt_u32_e64 s19, v23
	s_cbranch_execnz .LBB859_14
.LBB859_7:
	s_or_b32 exec_lo, exec_lo, s2
	s_delay_alu instid0(SALU_CYCLE_1)
	s_mov_b32 s2, exec_lo
	v_cmpx_gt_u32_e64 s19, v22
	s_cbranch_execz .LBB859_15
.LBB859_8:
	v_lshlrev_b32_e32 v5, 2, v22
	s_delay_alu instid0(VALU_DEP_1) | instskip(NEXT) | instid1(VALU_DEP_1)
	v_add_co_u32 v9, s22, s21, v5
	v_add_co_ci_u32_e64 v10, null, s3, 0, s22
	flat_load_b32 v5, v[9:10]
	s_or_b32 exec_lo, exec_lo, s2
	s_delay_alu instid0(SALU_CYCLE_1)
	s_mov_b32 s2, exec_lo
	v_cmpx_gt_u32_e64 s19, v17
	s_cbranch_execnz .LBB859_16
.LBB859_9:
	s_or_b32 exec_lo, exec_lo, s2
	s_delay_alu instid0(SALU_CYCLE_1)
	s_mov_b32 s2, exec_lo
	v_cmpx_gt_u32_e64 s19, v11
	s_cbranch_execz .LBB859_17
.LBB859_10:
	v_lshlrev_b32_e32 v7, 2, v11
	s_delay_alu instid0(VALU_DEP_1) | instskip(NEXT) | instid1(VALU_DEP_1)
	v_add_co_u32 v9, s22, s21, v7
	v_add_co_ci_u32_e64 v10, null, s3, 0, s22
	flat_load_b32 v7, v[9:10]
	s_or_b32 exec_lo, exec_lo, s2
	s_delay_alu instid0(SALU_CYCLE_1)
	s_mov_b32 s2, exec_lo
	v_cmpx_gt_u32_e64 s19, v18
	s_cbranch_execnz .LBB859_18
	s_branch .LBB859_19
.LBB859_11:
	s_or_b32 exec_lo, exec_lo, s22
	s_delay_alu instid0(SALU_CYCLE_1)
	s_mov_b32 s2, exec_lo
	v_cmpx_gt_u32_e64 s19, v21
	s_cbranch_execz .LBB859_5
.LBB859_12:
	v_lshlrev_b32_e32 v2, 2, v0
	s_delay_alu instid0(VALU_DEP_1) | instskip(NEXT) | instid1(VALU_DEP_1)
	v_add_co_u32 v9, s22, s21, v2
	v_add_co_ci_u32_e64 v10, null, s3, 0, s22
	flat_load_b32 v2, v[9:10] offset:1536
	s_or_b32 exec_lo, exec_lo, s2
	s_delay_alu instid0(SALU_CYCLE_1)
	s_mov_b32 s2, exec_lo
	v_cmpx_gt_u32_e64 s19, v20
	s_cbranch_execnz .LBB859_6
.LBB859_13:
	s_or_b32 exec_lo, exec_lo, s2
	s_delay_alu instid0(SALU_CYCLE_1)
	s_mov_b32 s2, exec_lo
	v_cmpx_gt_u32_e64 s19, v23
	s_cbranch_execz .LBB859_7
.LBB859_14:
	v_lshlrev_b32_e32 v4, 2, v23
	s_delay_alu instid0(VALU_DEP_1) | instskip(NEXT) | instid1(VALU_DEP_1)
	v_add_co_u32 v9, s22, s21, v4
	v_add_co_ci_u32_e64 v10, null, s3, 0, s22
	flat_load_b32 v4, v[9:10]
	s_or_b32 exec_lo, exec_lo, s2
	s_delay_alu instid0(SALU_CYCLE_1)
	s_mov_b32 s2, exec_lo
	v_cmpx_gt_u32_e64 s19, v22
	s_cbranch_execnz .LBB859_8
.LBB859_15:
	s_or_b32 exec_lo, exec_lo, s2
	s_delay_alu instid0(SALU_CYCLE_1)
	s_mov_b32 s2, exec_lo
	v_cmpx_gt_u32_e64 s19, v17
	s_cbranch_execz .LBB859_9
.LBB859_16:
	v_lshlrev_b32_e32 v6, 2, v17
	s_delay_alu instid0(VALU_DEP_1) | instskip(NEXT) | instid1(VALU_DEP_1)
	v_add_co_u32 v9, s22, s21, v6
	v_add_co_ci_u32_e64 v10, null, s3, 0, s22
	flat_load_b32 v6, v[9:10]
	s_or_b32 exec_lo, exec_lo, s2
	s_delay_alu instid0(SALU_CYCLE_1)
	s_mov_b32 s2, exec_lo
	v_cmpx_gt_u32_e64 s19, v11
	s_cbranch_execnz .LBB859_10
.LBB859_17:
	s_or_b32 exec_lo, exec_lo, s2
	s_delay_alu instid0(SALU_CYCLE_1)
	s_mov_b32 s2, exec_lo
	v_cmpx_gt_u32_e64 s19, v18
	s_cbranch_execz .LBB859_19
.LBB859_18:
	v_lshlrev_b32_e32 v8, 2, v18
	s_delay_alu instid0(VALU_DEP_1) | instskip(NEXT) | instid1(VALU_DEP_1)
	v_add_co_u32 v8, s22, s21, v8
	v_add_co_ci_u32_e64 v9, null, s3, 0, s22
	flat_load_b32 v8, v[8:9]
.LBB859_19:
	s_or_b32 exec_lo, exec_lo, s2
	v_lshrrev_b32_e32 v9, 3, v21
	v_lshrrev_b32_e32 v10, 3, v20
	;; [unrolled: 1-line block ×4, first 2 shown]
	v_and_b32_e32 v13, 60, v12
	v_lshlrev_b32_e32 v14, 2, v0
	v_lshrrev_b32_e32 v19, 3, v17
	v_lshrrev_b32_e32 v24, 3, v11
	;; [unrolled: 1-line block ×3, first 2 shown]
	v_and_b32_e32 v9, 0x7c, v9
	v_and_b32_e32 v10, 0xfc, v10
	;; [unrolled: 1-line block ×4, first 2 shown]
	v_add_nc_u32_e32 v13, v13, v14
	v_and_b32_e32 v19, 0x1fc, v19
	v_and_b32_e32 v24, 0x1fc, v24
	;; [unrolled: 1-line block ×3, first 2 shown]
	v_add_nc_u32_e32 v9, v9, v14
	v_add_nc_u32_e32 v10, v10, v14
	;; [unrolled: 1-line block ×7, first 2 shown]
	s_waitcnt vmcnt(0) lgkmcnt(0)
	ds_store_b32 v13, v1
	ds_store_b32 v9, v2 offset:1536
	ds_store_b32 v10, v3 offset:3072
	;; [unrolled: 1-line block ×7, first 2 shown]
	s_waitcnt lgkmcnt(0)
	s_barrier
.LBB859_20:
	v_lshlrev_b32_e32 v19, 3, v0
	v_lshrrev_b32_e32 v1, 2, v0
	s_waitcnt lgkmcnt(0)
	buffer_gl0_inv
	s_add_u32 s2, s8, s12
	s_addc_u32 s8, s9, s13
	s_add_u32 s2, s2, s4
	v_add_lshl_u32 v1, v1, v19, 2
	s_addc_u32 s4, s8, s5
	s_and_b32 vcc_lo, exec_lo, s18
	s_mov_b32 s5, -1
	ds_load_2addr_b32 v[15:16], v1 offset1:1
	ds_load_2addr_b32 v[13:14], v1 offset0:2 offset1:3
	ds_load_2addr_b32 v[9:10], v1 offset0:4 offset1:5
	;; [unrolled: 1-line block ×3, first 2 shown]
	s_waitcnt lgkmcnt(0)
	s_barrier
	buffer_gl0_inv
	s_cbranch_vccz .LBB859_22
; %bb.21:
	v_lshlrev_b32_e32 v4, 2, v0
	v_lshrrev_b32_e32 v29, 3, v21
	v_lshrrev_b32_e32 v30, 3, v20
	;; [unrolled: 1-line block ×4, first 2 shown]
	v_add_co_u32 v2, s5, s2, v4
	s_delay_alu instid0(VALU_DEP_1) | instskip(SKIP_1) | instid1(VALU_DEP_3)
	v_add_co_ci_u32_e64 v3, null, s4, 0, s5
	v_lshrrev_b32_e32 v33, 3, v17
	v_add_co_u32 v7, vcc_lo, 0x1000, v2
	s_delay_alu instid0(VALU_DEP_3)
	v_add_co_ci_u32_e32 v8, vcc_lo, 0, v3, vcc_lo
	v_add_co_u32 v24, vcc_lo, 0x2000, v2
	v_add_co_ci_u32_e32 v25, vcc_lo, 0, v3, vcc_lo
	s_clause 0x7
	flat_load_b32 v26, v[2:3]
	flat_load_b32 v27, v[2:3] offset:1536
	flat_load_b32 v2, v[2:3] offset:3072
	;; [unrolled: 1-line block ×7, first 2 shown]
	v_and_b32_e32 v25, 60, v12
	v_lshrrev_b32_e32 v34, 3, v11
	v_lshrrev_b32_e32 v35, 3, v18
	v_and_b32_e32 v29, 0x7c, v29
	v_and_b32_e32 v30, 0xfc, v30
	;; [unrolled: 1-line block ×4, first 2 shown]
	v_add_nc_u32_e32 v25, v25, v4
	v_and_b32_e32 v33, 0x1fc, v33
	v_and_b32_e32 v34, 0x17c, v34
	;; [unrolled: 1-line block ×3, first 2 shown]
	v_add_nc_u32_e32 v29, v29, v4
	v_add_nc_u32_e32 v30, v30, v4
	;; [unrolled: 1-line block ×4, first 2 shown]
	s_mov_b32 s5, 0
	v_add_nc_u32_e32 v33, v33, v4
	v_add_nc_u32_e32 v34, v34, v4
	;; [unrolled: 1-line block ×3, first 2 shown]
	s_waitcnt vmcnt(7) lgkmcnt(7)
	ds_store_b32 v25, v26
	s_waitcnt vmcnt(6) lgkmcnt(7)
	ds_store_b32 v29, v27 offset:1536
	s_waitcnt vmcnt(5) lgkmcnt(7)
	ds_store_b32 v30, v2 offset:3072
	;; [unrolled: 2-line block ×7, first 2 shown]
	s_waitcnt lgkmcnt(0)
	s_barrier
.LBB859_22:
	s_and_not1_b32 vcc_lo, exec_lo, s5
	s_cbranch_vccnz .LBB859_40
; %bb.23:
	s_mov_b32 s5, exec_lo
                                        ; implicit-def: $vgpr2
	v_cmpx_gt_u32_e64 s19, v0
	s_cbranch_execz .LBB859_25
; %bb.24:
	v_lshlrev_b32_e32 v2, 2, v0
	s_delay_alu instid0(VALU_DEP_1) | instskip(NEXT) | instid1(VALU_DEP_1)
	v_add_co_u32 v2, s8, s2, v2
	v_add_co_ci_u32_e64 v3, null, s4, 0, s8
	flat_load_b32 v2, v[2:3]
.LBB859_25:
	s_or_b32 exec_lo, exec_lo, s5
	s_delay_alu instid0(SALU_CYCLE_1)
	s_mov_b32 s5, exec_lo
                                        ; implicit-def: $vgpr3
	v_cmpx_gt_u32_e64 s19, v21
	s_cbranch_execz .LBB859_27
; %bb.26:
	v_lshlrev_b32_e32 v3, 2, v0
	s_delay_alu instid0(VALU_DEP_1) | instskip(NEXT) | instid1(VALU_DEP_1)
	v_add_co_u32 v3, s8, s2, v3
	v_add_co_ci_u32_e64 v4, null, s4, 0, s8
	flat_load_b32 v3, v[3:4] offset:1536
.LBB859_27:
	s_or_b32 exec_lo, exec_lo, s5
	s_delay_alu instid0(SALU_CYCLE_1)
	s_mov_b32 s5, exec_lo
                                        ; implicit-def: $vgpr4
	v_cmpx_gt_u32_e64 s19, v20
	s_cbranch_execz .LBB859_29
; %bb.28:
	v_lshlrev_b32_e32 v4, 2, v0
	s_delay_alu instid0(VALU_DEP_1) | instskip(NEXT) | instid1(VALU_DEP_1)
	v_add_co_u32 v7, s8, s2, v4
	v_add_co_ci_u32_e64 v8, null, s4, 0, s8
	flat_load_b32 v4, v[7:8] offset:3072
.LBB859_29:
	s_or_b32 exec_lo, exec_lo, s5
	s_delay_alu instid0(SALU_CYCLE_1)
	s_mov_b32 s5, exec_lo
                                        ; implicit-def: $vgpr7
	v_cmpx_gt_u32_e64 s19, v23
	s_cbranch_execz .LBB859_31
; %bb.30:
	v_lshlrev_b32_e32 v7, 2, v23
	s_delay_alu instid0(VALU_DEP_1) | instskip(NEXT) | instid1(VALU_DEP_1)
	v_add_co_u32 v7, s8, s2, v7
	v_add_co_ci_u32_e64 v8, null, s4, 0, s8
	flat_load_b32 v7, v[7:8]
.LBB859_31:
	s_or_b32 exec_lo, exec_lo, s5
	s_delay_alu instid0(SALU_CYCLE_1)
	s_mov_b32 s5, exec_lo
                                        ; implicit-def: $vgpr8
	v_cmpx_gt_u32_e64 s19, v22
	s_cbranch_execz .LBB859_33
; %bb.32:
	v_lshlrev_b32_e32 v8, 2, v22
	s_delay_alu instid0(VALU_DEP_1) | instskip(NEXT) | instid1(VALU_DEP_1)
	v_add_co_u32 v24, s8, s2, v8
	v_add_co_ci_u32_e64 v25, null, s4, 0, s8
	flat_load_b32 v8, v[24:25]
.LBB859_33:
	s_or_b32 exec_lo, exec_lo, s5
	s_delay_alu instid0(SALU_CYCLE_1)
	s_mov_b32 s5, exec_lo
                                        ; implicit-def: $vgpr24
	v_cmpx_gt_u32_e64 s19, v17
	s_cbranch_execz .LBB859_35
; %bb.34:
	v_lshlrev_b32_e32 v24, 2, v17
	s_delay_alu instid0(VALU_DEP_1) | instskip(NEXT) | instid1(VALU_DEP_1)
	v_add_co_u32 v24, s8, s2, v24
	v_add_co_ci_u32_e64 v25, null, s4, 0, s8
	flat_load_b32 v24, v[24:25]
.LBB859_35:
	s_or_b32 exec_lo, exec_lo, s5
	s_delay_alu instid0(SALU_CYCLE_1)
	s_mov_b32 s5, exec_lo
                                        ; implicit-def: $vgpr25
	v_cmpx_gt_u32_e64 s19, v11
	s_cbranch_execz .LBB859_37
; %bb.36:
	v_lshlrev_b32_e32 v25, 2, v11
	s_delay_alu instid0(VALU_DEP_1) | instskip(NEXT) | instid1(VALU_DEP_1)
	v_add_co_u32 v25, s8, s2, v25
	v_add_co_ci_u32_e64 v26, null, s4, 0, s8
	flat_load_b32 v25, v[25:26]
.LBB859_37:
	s_or_b32 exec_lo, exec_lo, s5
	s_delay_alu instid0(SALU_CYCLE_1)
	s_mov_b32 s5, exec_lo
                                        ; implicit-def: $vgpr26
	v_cmpx_gt_u32_e64 s19, v18
	s_cbranch_execz .LBB859_39
; %bb.38:
	v_lshlrev_b32_e32 v26, 2, v18
	s_delay_alu instid0(VALU_DEP_1) | instskip(NEXT) | instid1(VALU_DEP_1)
	v_add_co_u32 v26, s2, s2, v26
	v_add_co_ci_u32_e64 v27, null, s4, 0, s2
	flat_load_b32 v26, v[26:27]
.LBB859_39:
	s_or_b32 exec_lo, exec_lo, s5
	v_lshrrev_b32_e32 v21, 3, v21
	v_lshrrev_b32_e32 v20, 3, v20
	;; [unrolled: 1-line block ×4, first 2 shown]
	v_and_b32_e32 v12, 60, v12
	v_lshlrev_b32_e32 v27, 2, v0
	v_lshrrev_b32_e32 v17, 3, v17
	v_lshrrev_b32_e32 v11, 3, v11
	;; [unrolled: 1-line block ×3, first 2 shown]
	v_and_b32_e32 v21, 0x7c, v21
	v_and_b32_e32 v20, 0xfc, v20
	;; [unrolled: 1-line block ×4, first 2 shown]
	v_add_nc_u32_e32 v12, v12, v27
	v_and_b32_e32 v17, 0x1fc, v17
	v_and_b32_e32 v11, 0x1fc, v11
	;; [unrolled: 1-line block ×3, first 2 shown]
	v_add_nc_u32_e32 v21, v21, v27
	v_add_nc_u32_e32 v20, v20, v27
	;; [unrolled: 1-line block ×7, first 2 shown]
	s_waitcnt vmcnt(0) lgkmcnt(0)
	ds_store_b32 v12, v2
	ds_store_b32 v21, v3 offset:1536
	ds_store_b32 v20, v4 offset:3072
	;; [unrolled: 1-line block ×7, first 2 shown]
	s_waitcnt lgkmcnt(0)
	s_barrier
.LBB859_40:
	buffer_gl0_inv
	ds_load_2addr_b32 v[11:12], v1 offset1:1
	ds_load_2addr_b32 v[7:8], v1 offset0:2 offset1:3
	ds_load_2addr_b32 v[3:4], v1 offset0:4 offset1:5
	;; [unrolled: 1-line block ×3, first 2 shown]
	s_cmp_lg_u32 s15, 0
	s_mov_b32 s12, 0
	s_cselect_b32 s9, -1, 0
	s_cmp_lg_u64 s[6:7], 0
	s_waitcnt lgkmcnt(0)
	s_cselect_b32 s2, -1, 0
	s_barrier
	s_or_b32 s2, s9, s2
	buffer_gl0_inv
	s_and_b32 vcc_lo, exec_lo, s2
	s_cbranch_vccz .LBB859_45
; %bb.41:
	v_add_co_u32 v17, s2, -4, s21
	s_delay_alu instid0(VALU_DEP_1)
	v_add_co_ci_u32_e64 v18, null, -1, s3, s2
	v_lshlrev_b32_e32 v21, 2, v0
	s_mov_b32 s3, -1
	s_and_b32 vcc_lo, exec_lo, s18
	flat_load_b32 v20, v[17:18]
	ds_store_b32 v21, v6
	s_cbranch_vccz .LBB859_46
; %bb.42:
	s_waitcnt vmcnt(0) lgkmcnt(1)
	v_mov_b32_e32 v17, v20
	s_mov_b32 s3, 0
	s_mov_b32 s2, exec_lo
	s_waitcnt lgkmcnt(0)
	s_barrier
	buffer_gl0_inv
	v_cmpx_ne_u32_e32 0, v0
	s_cbranch_execz .LBB859_44
; %bb.43:
	v_add_nc_u32_e32 v17, -4, v21
	ds_load_b32 v17, v17
.LBB859_44:
	s_or_b32 exec_lo, exec_lo, s2
	v_cmp_ne_u32_e32 vcc_lo, v5, v6
	s_waitcnt lgkmcnt(0)
	v_cmp_ne_u32_e64 s2, v17, v15
	v_cndmask_b32_e64 v18, 0, 1, vcc_lo
	v_cmp_ne_u32_e32 vcc_lo, v10, v5
	s_delay_alu instid0(VALU_DEP_2) | instskip(SKIP_2) | instid1(VALU_DEP_2)
	v_lshlrev_b16 v18, 8, v18
	v_cndmask_b32_e64 v22, 0, 1, vcc_lo
	v_cmp_ne_u32_e32 vcc_lo, v9, v10
	v_or_b32_e32 v18, v22, v18
	v_cndmask_b32_e64 v23, 0, 1, vcc_lo
	v_cmp_ne_u32_e32 vcc_lo, v13, v14
	s_delay_alu instid0(VALU_DEP_3) | instskip(NEXT) | instid1(VALU_DEP_3)
	v_lshlrev_b32_e32 v18, 16, v18
	v_lshlrev_b16 v23, 8, v23
	v_cndmask_b32_e64 v24, 0, 1, vcc_lo
	v_cmp_ne_u32_e32 vcc_lo, v14, v9
	s_delay_alu instid0(VALU_DEP_2) | instskip(SKIP_2) | instid1(VALU_DEP_2)
	v_lshlrev_b16 v24, 8, v24
	v_cndmask_b32_e64 v25, 0, 1, vcc_lo
	v_cmp_ne_u32_e32 vcc_lo, v16, v13
	v_or_b32_e32 v23, v25, v23
	v_cndmask_b32_e64 v26, 0, 1, vcc_lo
	v_cmp_ne_u32_e32 vcc_lo, v15, v16
	s_delay_alu instid0(VALU_DEP_3) | instskip(NEXT) | instid1(VALU_DEP_3)
	v_and_b32_e32 v23, 0xffff, v23
	v_or_b32_e32 v24, v26, v24
	v_cndmask_b32_e64 v27, 0, 1, vcc_lo
	s_delay_alu instid0(VALU_DEP_3) | instskip(NEXT) | instid1(VALU_DEP_3)
	v_or_b32_e32 v18, v23, v18
	v_lshlrev_b32_e32 v22, 16, v24
	s_delay_alu instid0(VALU_DEP_3) | instskip(NEXT) | instid1(VALU_DEP_1)
	v_lshlrev_b16 v26, 8, v27
	v_and_b32_e32 v24, 0xffff, v26
	s_delay_alu instid0(VALU_DEP_1)
	v_or_b32_e32 v17, v24, v22
	s_and_b32 vcc_lo, exec_lo, s3
	s_cbranch_vccnz .LBB859_47
	s_branch .LBB859_50
.LBB859_45:
                                        ; implicit-def: $sgpr2
                                        ; implicit-def: $vgpr18
	s_branch .LBB859_51
.LBB859_46:
                                        ; implicit-def: $sgpr2
                                        ; implicit-def: $vgpr18
	s_and_b32 vcc_lo, exec_lo, s3
	s_cbranch_vccz .LBB859_50
.LBB859_47:
	s_mov_b32 s2, exec_lo
	s_waitcnt vmcnt(0) lgkmcnt(0)
	s_barrier
	buffer_gl0_inv
	v_cmpx_ne_u32_e32 0, v0
	s_cbranch_execz .LBB859_49
; %bb.48:
	v_add_nc_u32_e32 v17, -4, v21
	ds_load_b32 v20, v17
.LBB859_49:
	s_or_b32 exec_lo, exec_lo, s2
	v_or_b32_e32 v17, 7, v19
	v_or_b32_e32 v18, 6, v19
	;; [unrolled: 1-line block ×3, first 2 shown]
	v_cmp_ne_u32_e32 vcc_lo, v5, v6
	v_cmp_ne_u32_e64 s3, v10, v5
	v_cmp_gt_u32_e64 s2, s19, v17
	v_cmp_gt_u32_e64 s5, s19, v18
	v_cmp_ne_u32_e64 s4, v9, v10
	v_cmp_gt_u32_e64 s6, s19, v21
	v_or_b32_e32 v18, 3, v19
	s_and_b32 s2, s2, vcc_lo
	v_or_b32_e32 v22, 4, v19
	v_cndmask_b32_e64 v17, 0, 1, s2
	s_and_b32 s2, s5, s3
	v_cmp_gt_u32_e32 vcc_lo, s19, v18
	v_cndmask_b32_e64 v21, 0, 1, s2
	s_and_b32 s2, s6, s4
	v_or_b32_e32 v18, 2, v19
	v_cndmask_b32_e64 v23, 0, 1, s2
	v_cmp_ne_u32_e64 s2, v13, v14
	v_cmp_gt_u32_e64 s3, s19, v22
	v_or_b32_e32 v22, 1, v19
	v_cmp_ne_u32_e64 s4, v14, v9
	v_cmp_ne_u32_e64 s6, v15, v16
	s_and_b32 s2, vcc_lo, s2
	v_cmp_gt_u32_e32 vcc_lo, s19, v18
	v_cndmask_b32_e64 v24, 0, 1, s2
	v_cmp_ne_u32_e64 s2, v16, v13
	v_cmp_gt_u32_e64 s5, s19, v22
	s_and_b32 s3, s3, s4
	v_lshlrev_b16 v23, 8, v23
	v_cndmask_b32_e64 v18, 0, 1, s3
	s_and_b32 s2, vcc_lo, s2
	v_lshlrev_b16 v24, 8, v24
	v_cndmask_b32_e64 v22, 0, 1, s2
	s_and_b32 s2, s5, s6
	v_lshlrev_b16 v17, 8, v17
	v_cndmask_b32_e64 v25, 0, 1, s2
	v_or_b32_e32 v18, v18, v23
	v_or_b32_e32 v22, v22, v24
	v_cmp_gt_u32_e32 vcc_lo, s19, v19
	v_or_b32_e32 v17, v21, v17
	v_lshlrev_b16 v24, 8, v25
	v_and_b32_e32 v18, 0xffff, v18
	v_lshlrev_b32_e32 v21, 16, v22
	s_waitcnt lgkmcnt(0)
	v_cmp_ne_u32_e64 s2, v20, v15
	v_lshlrev_b32_e32 v23, 16, v17
	v_and_b32_e32 v22, 0xffff, v24
	s_delay_alu instid0(VALU_DEP_3) | instskip(NEXT) | instid1(VALU_DEP_2)
	s_and_b32 s2, vcc_lo, s2
	v_or_b32_e32 v18, v18, v23
	s_delay_alu instid0(VALU_DEP_2)
	v_or_b32_e32 v17, v22, v21
.LBB859_50:
	s_mov_b32 s12, -1
	s_cbranch_execnz .LBB859_59
.LBB859_51:
	s_waitcnt vmcnt(0) lgkmcnt(1)
	v_lshlrev_b32_e32 v20, 2, v0
	v_cmp_ne_u32_e64 s3, v5, v6
	v_cmp_ne_u32_e64 s4, v10, v5
	;; [unrolled: 1-line block ×7, first 2 shown]
	s_and_b32 vcc_lo, exec_lo, s18
	ds_store_b32 v20, v6
	s_cbranch_vccz .LBB859_55
; %bb.52:
	v_cndmask_b32_e64 v17, 0, 1, s3
	v_cndmask_b32_e64 v21, 0, 1, s5
	;; [unrolled: 1-line block ×7, first 2 shown]
	v_lshlrev_b16 v21, 8, v21
	v_lshlrev_b16 v17, 8, v17
	;; [unrolled: 1-line block ×4, first 2 shown]
	s_mov_b32 s3, 0
	v_or_b32_e32 v21, v22, v21
	v_or_b32_e32 v17, v18, v17
	;; [unrolled: 1-line block ×4, first 2 shown]
	s_mov_b32 s4, exec_lo
	v_and_b32_e32 v21, 0xffff, v21
	v_lshlrev_b32_e32 v17, 16, v17
	v_lshlrev_b32_e32 v23, 16, v18
	v_and_b32_e32 v22, 0xffff, v22
	s_waitcnt lgkmcnt(0)
	s_barrier
	v_or_b32_e32 v18, v21, v17
	buffer_gl0_inv
	v_or_b32_e32 v17, v22, v23
                                        ; implicit-def: $sgpr2
	v_cmpx_ne_u32_e32 0, v0
	s_xor_b32 s4, exec_lo, s4
	s_cbranch_execz .LBB859_54
; %bb.53:
	v_add_nc_u32_e32 v21, -4, v20
	s_or_b32 s12, s12, exec_lo
	ds_load_b32 v21, v21
	s_waitcnt lgkmcnt(0)
	v_cmp_ne_u32_e32 vcc_lo, v21, v15
	s_and_b32 s2, vcc_lo, exec_lo
.LBB859_54:
	s_or_b32 exec_lo, exec_lo, s4
	s_delay_alu instid0(SALU_CYCLE_1)
	s_and_b32 vcc_lo, exec_lo, s3
	s_cbranch_vccnz .LBB859_56
	s_branch .LBB859_59
.LBB859_55:
                                        ; implicit-def: $sgpr2
                                        ; implicit-def: $vgpr18
	s_cbranch_execz .LBB859_59
.LBB859_56:
	v_or_b32_e32 v17, 7, v19
	v_or_b32_e32 v18, 6, v19
	v_cmp_ne_u32_e32 vcc_lo, v5, v6
	v_cmp_ne_u32_e64 s3, v10, v5
	v_or_b32_e32 v21, 5, v19
	v_cmp_gt_u32_e64 s2, s19, v17
	v_cmp_gt_u32_e64 s4, s19, v18
	v_or_b32_e32 v17, 4, v19
	v_or_b32_e32 v22, 3, v19
	v_cmp_gt_u32_e64 s5, s19, v21
	s_and_b32 s2, s2, vcc_lo
	v_cmp_ne_u32_e32 vcc_lo, v9, v10
	v_cndmask_b32_e64 v18, 0, 1, s2
	s_and_b32 s2, s4, s3
	v_cmp_ne_u32_e64 s3, v14, v9
	v_cndmask_b32_e64 v21, 0, 1, s2
	v_cmp_gt_u32_e64 s2, s19, v17
	v_or_b32_e32 v23, 1, v19
	s_and_b32 s4, s5, vcc_lo
	v_cmp_gt_u32_e32 vcc_lo, s19, v22
	v_cndmask_b32_e64 v17, 0, 1, s4
	s_and_b32 s2, s2, s3
	v_or_b32_e32 v25, 2, v19
	v_cndmask_b32_e64 v24, 0, 1, s2
	v_cmp_ne_u32_e64 s2, v13, v14
	v_cmp_gt_u32_e64 s3, s19, v23
	v_cmp_ne_u32_e64 s4, v15, v16
	v_cmp_gt_u32_e64 s5, s19, v25
	v_cmp_ne_u32_e64 s6, v16, v13
	s_and_b32 s2, vcc_lo, s2
	v_lshlrev_b16 v17, 8, v17
	v_cndmask_b32_e64 v22, 0, 1, s2
	s_and_b32 s2, s3, s4
	v_lshlrev_b16 v18, 8, v18
	v_cndmask_b32_e64 v23, 0, 1, s2
	s_and_b32 s2, s5, s6
	v_lshlrev_b16 v22, 8, v22
	v_cndmask_b32_e64 v25, 0, 1, s2
	v_or_b32_e32 v17, v24, v17
	v_lshlrev_b16 v23, 8, v23
	v_or_b32_e32 v18, v21, v18
	s_mov_b32 s3, exec_lo
	v_or_b32_e32 v21, v25, v22
	v_and_b32_e32 v17, 0xffff, v17
	v_or_b32_e32 v22, 1, v23
	v_lshlrev_b32_e32 v18, 16, v18
	s_waitcnt lgkmcnt(0)
	v_lshlrev_b32_e32 v21, 16, v21
	s_barrier
	v_and_b32_e32 v22, 0xffff, v22
	v_or_b32_e32 v18, v17, v18
	buffer_gl0_inv
                                        ; implicit-def: $sgpr2
	v_or_b32_e32 v17, v22, v21
	v_cmpx_ne_u32_e32 0, v0
	s_cbranch_execz .LBB859_58
; %bb.57:
	v_add_nc_u32_e32 v20, -4, v20
	v_cmp_gt_u32_e32 vcc_lo, s19, v19
	s_or_b32 s12, s12, exec_lo
	ds_load_b32 v20, v20
	s_waitcnt lgkmcnt(0)
	v_cmp_ne_u32_e64 s2, v20, v15
	s_delay_alu instid0(VALU_DEP_1) | instskip(NEXT) | instid1(SALU_CYCLE_1)
	s_and_b32 s2, vcc_lo, s2
	s_and_b32 s2, s2, exec_lo
.LBB859_58:
	s_or_b32 exec_lo, exec_lo, s3
.LBB859_59:
	s_and_saveexec_b32 s3, s12
	s_cbranch_execz .LBB859_61
; %bb.60:
	s_waitcnt vmcnt(0) lgkmcnt(1)
	v_and_b32_e32 v20, 0xffffff00, v17
	v_cndmask_b32_e64 v21, 0, 1, s2
	s_delay_alu instid0(VALU_DEP_1) | instskip(NEXT) | instid1(VALU_DEP_1)
	v_or_b32_e32 v20, v21, v20
	v_and_b32_e32 v20, 0xffff, v20
	s_delay_alu instid0(VALU_DEP_1)
	v_and_or_b32 v17, 0xffff0000, v17, v20
.LBB859_61:
	s_or_b32 exec_lo, exec_lo, s3
	s_load_b64 s[12:13], s[0:1], 0x68
	s_and_not1_b32 vcc_lo, exec_lo, s20
	s_cbranch_vccnz .LBB859_63
; %bb.62:
	v_cmp_gt_u32_e32 vcc_lo, s19, v19
	v_or_b32_e32 v21, 1, v19
	v_and_b32_e32 v22, 0xffffff00, v18
	v_or_b32_e32 v23, 2, v19
	s_waitcnt vmcnt(0) lgkmcnt(0)
	v_cndmask_b32_e32 v20, 0, v17, vcc_lo
	v_cmp_gt_u32_e32 vcc_lo, s19, v21
	v_or_b32_e32 v21, 4, v19
	v_cmp_gt_u32_e64 s2, s19, v23
	v_or_b32_e32 v23, 3, v19
	v_and_b32_e32 v20, 0xff, v20
	s_delay_alu instid0(VALU_DEP_2) | instskip(NEXT) | instid1(VALU_DEP_2)
	v_cmp_gt_u32_e64 s3, s19, v23
	v_cndmask_b32_e32 v20, v20, v17, vcc_lo
	v_cmp_gt_u32_e32 vcc_lo, s19, v21
	s_delay_alu instid0(VALU_DEP_2) | instskip(SKIP_1) | instid1(VALU_DEP_2)
	v_dual_cndmask_b32 v21, v22, v18 :: v_dual_and_b32 v20, 0xffff, v20
	v_or_b32_e32 v22, 5, v19
	v_cndmask_b32_e64 v20, v20, v17, s2
	s_delay_alu instid0(VALU_DEP_3) | instskip(NEXT) | instid1(VALU_DEP_3)
	v_and_b32_e32 v21, 0xffff00ff, v21
	v_cmp_gt_u32_e64 s2, s19, v22
	v_or_b32_e32 v22, 6, v19
	v_or_b32_e32 v19, 7, v19
	v_and_b32_e32 v20, 0xffffff, v20
	s_delay_alu instid0(VALU_DEP_4) | instskip(NEXT) | instid1(VALU_DEP_2)
	v_cndmask_b32_e64 v21, v21, v18, s2
	v_cndmask_b32_e64 v20, v20, v17, s3
	s_delay_alu instid0(VALU_DEP_2) | instskip(NEXT) | instid1(VALU_DEP_2)
	v_and_b32_e32 v21, 0xff00ffff, v21
	v_cndmask_b32_e32 v20, v20, v17, vcc_lo
	v_cmp_gt_u32_e32 vcc_lo, s19, v22
	s_delay_alu instid0(VALU_DEP_2) | instskip(NEXT) | instid1(VALU_DEP_1)
	v_cndmask_b32_e64 v20, v20, v17, s2
	v_dual_cndmask_b32 v21, v21, v18 :: v_dual_cndmask_b32 v20, v20, v17
	s_delay_alu instid0(VALU_DEP_1) | instskip(SKIP_1) | instid1(VALU_DEP_2)
	v_and_b32_e32 v21, 0xffffff, v21
	v_cmp_gt_u32_e32 vcc_lo, s19, v19
	v_dual_cndmask_b32 v18, v21, v18 :: v_dual_cndmask_b32 v17, v20, v17
.LBB859_63:
	s_delay_alu instid0(VALU_DEP_1) | instskip(NEXT) | instid1(VALU_DEP_2)
	v_and_b32_e32 v28, 0xff, v17
	v_alignbit_b32 v19, v18, v17, 24
	v_bfe_u32 v30, v17, 8, 8
	v_bfe_u32 v32, v17, 16, 8
	v_and_b32_e32 v36, 0xff, v18
	v_bfe_u32 v38, v18, 8, 8
	v_and_b32_e32 v34, 0xff, v19
	v_add_nc_u32_e32 v19, v30, v28
	s_waitcnt vmcnt(0) lgkmcnt(0)
	v_and_b32_e32 v20, 0x1e0, v0
	v_mbcnt_lo_u32_b32 v41, -1, 0
	v_bfe_u32 v40, v18, 16, 8
	v_lshrrev_b32_e32 v39, 24, v18
	v_add3_u32 v19, v19, v32, v34
	v_min_u32_e32 v20, 0x160, v20
	v_and_b32_e32 v21, 15, v41
	v_lshrrev_b32_e32 v42, 5, v0
	s_and_b32 vcc_lo, exec_lo, s9
	v_add3_u32 v19, v19, v36, v38
	v_or_b32_e32 v20, 31, v20
	v_cmp_eq_u32_e64 s4, 0, v21
	v_cmp_lt_u32_e64 s5, 1, v21
	v_cmp_lt_u32_e64 s3, 3, v21
	v_add3_u32 v43, v19, v40, v39
	v_and_b32_e32 v19, 16, v41
	v_cmp_lt_u32_e64 s2, 7, v21
	v_cmp_eq_u32_e64 s6, v20, v0
	s_mov_b32 s19, -1
	s_delay_alu instid0(VALU_DEP_3)
	v_cmp_eq_u32_e64 s7, 0, v19
	s_barrier
	buffer_gl0_inv
	s_cbranch_vccz .LBB859_89
; %bb.64:
	v_mov_b32_dpp v19, v43 row_shr:1 row_mask:0xf bank_mask:0xf
	s_delay_alu instid0(VALU_DEP_1) | instskip(NEXT) | instid1(VALU_DEP_1)
	v_cndmask_b32_e64 v19, v19, 0, s4
	v_add_nc_u32_e32 v19, v19, v43
	s_delay_alu instid0(VALU_DEP_1) | instskip(NEXT) | instid1(VALU_DEP_1)
	v_mov_b32_dpp v20, v19 row_shr:2 row_mask:0xf bank_mask:0xf
	v_cndmask_b32_e64 v20, 0, v20, s5
	s_delay_alu instid0(VALU_DEP_1) | instskip(NEXT) | instid1(VALU_DEP_1)
	v_add_nc_u32_e32 v19, v19, v20
	v_mov_b32_dpp v20, v19 row_shr:4 row_mask:0xf bank_mask:0xf
	s_delay_alu instid0(VALU_DEP_1) | instskip(NEXT) | instid1(VALU_DEP_1)
	v_cndmask_b32_e64 v20, 0, v20, s3
	v_add_nc_u32_e32 v19, v19, v20
	s_delay_alu instid0(VALU_DEP_1) | instskip(NEXT) | instid1(VALU_DEP_1)
	v_mov_b32_dpp v20, v19 row_shr:8 row_mask:0xf bank_mask:0xf
	v_cndmask_b32_e64 v20, 0, v20, s2
	s_delay_alu instid0(VALU_DEP_1) | instskip(SKIP_3) | instid1(VALU_DEP_1)
	v_add_nc_u32_e32 v19, v19, v20
	ds_swizzle_b32 v20, v19 offset:swizzle(BROADCAST,32,15)
	s_waitcnt lgkmcnt(0)
	v_cndmask_b32_e64 v20, v20, 0, s7
	v_add_nc_u32_e32 v19, v19, v20
	s_and_saveexec_b32 s8, s6
	s_cbranch_execz .LBB859_66
; %bb.65:
	v_lshlrev_b32_e32 v20, 2, v42
	ds_store_b32 v20, v19
.LBB859_66:
	s_or_b32 exec_lo, exec_lo, s8
	s_delay_alu instid0(SALU_CYCLE_1)
	s_mov_b32 s8, exec_lo
	s_waitcnt lgkmcnt(0)
	s_barrier
	buffer_gl0_inv
	v_cmpx_gt_u32_e32 12, v0
	s_cbranch_execz .LBB859_68
; %bb.67:
	v_lshlrev_b32_e32 v20, 2, v0
	ds_load_b32 v21, v20
	s_waitcnt lgkmcnt(0)
	v_mov_b32_dpp v22, v21 row_shr:1 row_mask:0xf bank_mask:0xf
	s_delay_alu instid0(VALU_DEP_1) | instskip(NEXT) | instid1(VALU_DEP_1)
	v_cndmask_b32_e64 v22, v22, 0, s4
	v_add_nc_u32_e32 v21, v22, v21
	s_delay_alu instid0(VALU_DEP_1) | instskip(NEXT) | instid1(VALU_DEP_1)
	v_mov_b32_dpp v22, v21 row_shr:2 row_mask:0xf bank_mask:0xf
	v_cndmask_b32_e64 v22, 0, v22, s5
	s_delay_alu instid0(VALU_DEP_1) | instskip(NEXT) | instid1(VALU_DEP_1)
	v_add_nc_u32_e32 v21, v21, v22
	v_mov_b32_dpp v22, v21 row_shr:4 row_mask:0xf bank_mask:0xf
	s_delay_alu instid0(VALU_DEP_1) | instskip(NEXT) | instid1(VALU_DEP_1)
	v_cndmask_b32_e64 v22, 0, v22, s3
	v_add_nc_u32_e32 v21, v21, v22
	s_delay_alu instid0(VALU_DEP_1) | instskip(NEXT) | instid1(VALU_DEP_1)
	v_mov_b32_dpp v22, v21 row_shr:8 row_mask:0xf bank_mask:0xf
	v_cndmask_b32_e64 v22, 0, v22, s2
	s_delay_alu instid0(VALU_DEP_1)
	v_add_nc_u32_e32 v21, v21, v22
	ds_store_b32 v20, v21
.LBB859_68:
	s_or_b32 exec_lo, exec_lo, s8
	v_cmp_gt_u32_e32 vcc_lo, 32, v0
	s_mov_b32 s9, exec_lo
	s_waitcnt lgkmcnt(0)
	s_barrier
	buffer_gl0_inv
                                        ; implicit-def: $vgpr27
	v_cmpx_lt_u32_e32 31, v0
	s_cbranch_execz .LBB859_70
; %bb.69:
	v_lshl_add_u32 v20, v42, 2, -4
	ds_load_b32 v27, v20
	s_waitcnt lgkmcnt(0)
	v_add_nc_u32_e32 v19, v27, v19
.LBB859_70:
	s_or_b32 exec_lo, exec_lo, s9
	v_add_nc_u32_e32 v20, -1, v41
	s_delay_alu instid0(VALU_DEP_1) | instskip(NEXT) | instid1(VALU_DEP_1)
	v_cmp_gt_i32_e64 s8, 0, v20
	v_cndmask_b32_e64 v20, v20, v41, s8
	v_cmp_eq_u32_e64 s8, 0, v41
	s_delay_alu instid0(VALU_DEP_2)
	v_lshlrev_b32_e32 v20, 2, v20
	ds_bpermute_b32 v29, v20, v19
	s_and_saveexec_b32 s9, vcc_lo
	s_cbranch_execz .LBB859_88
; %bb.71:
	v_mov_b32_e32 v23, 0
	ds_load_b32 v19, v23 offset:44
	s_and_saveexec_b32 s19, s8
	s_cbranch_execz .LBB859_73
; %bb.72:
	s_add_i32 s20, s15, 32
	s_mov_b32 s21, 0
	v_mov_b32_e32 v20, 1
	s_lshl_b64 s[20:21], s[20:21], 3
	s_delay_alu instid0(SALU_CYCLE_1)
	s_add_u32 s20, s12, s20
	s_addc_u32 s21, s13, s21
	s_waitcnt lgkmcnt(0)
	global_store_b64 v23, v[19:20], s[20:21]
.LBB859_73:
	s_or_b32 exec_lo, exec_lo, s19
	v_xad_u32 v21, v41, -1, s15
	s_mov_b32 s20, 0
	s_mov_b32 s19, exec_lo
	s_delay_alu instid0(VALU_DEP_1) | instskip(NEXT) | instid1(VALU_DEP_1)
	v_add_nc_u32_e32 v22, 32, v21
	v_lshlrev_b64 v[22:23], 3, v[22:23]
	s_delay_alu instid0(VALU_DEP_1) | instskip(NEXT) | instid1(VALU_DEP_2)
	v_add_co_u32 v25, vcc_lo, s12, v22
	v_add_co_ci_u32_e32 v26, vcc_lo, s13, v23, vcc_lo
	global_load_b64 v[23:24], v[25:26], off glc
	s_waitcnt vmcnt(0)
	v_and_b32_e32 v20, 0xff, v24
	s_delay_alu instid0(VALU_DEP_1)
	v_cmpx_eq_u16_e32 0, v20
	s_cbranch_execz .LBB859_76
.LBB859_74:                             ; =>This Inner Loop Header: Depth=1
	global_load_b64 v[23:24], v[25:26], off glc
	s_waitcnt vmcnt(0)
	v_and_b32_e32 v20, 0xff, v24
	s_delay_alu instid0(VALU_DEP_1) | instskip(SKIP_1) | instid1(SALU_CYCLE_1)
	v_cmp_ne_u16_e32 vcc_lo, 0, v20
	s_or_b32 s20, vcc_lo, s20
	s_and_not1_b32 exec_lo, exec_lo, s20
	s_cbranch_execnz .LBB859_74
; %bb.75:
	s_or_b32 exec_lo, exec_lo, s20
.LBB859_76:
	s_delay_alu instid0(SALU_CYCLE_1)
	s_or_b32 exec_lo, exec_lo, s19
	v_cmp_ne_u32_e32 vcc_lo, 31, v41
	v_lshlrev_b32_e64 v33, v41, -1
	v_add_nc_u32_e32 v37, 2, v41
	v_add_nc_u32_e32 v45, 4, v41
	;; [unrolled: 1-line block ×3, first 2 shown]
	v_add_co_ci_u32_e32 v20, vcc_lo, 0, v41, vcc_lo
	v_add_nc_u32_e32 v49, 16, v41
	s_delay_alu instid0(VALU_DEP_2)
	v_lshlrev_b32_e32 v31, 2, v20
	v_and_b32_e32 v20, 0xff, v24
	ds_bpermute_b32 v22, v31, v23
	v_cmp_eq_u16_e32 vcc_lo, 2, v20
	v_and_or_b32 v20, vcc_lo, v33, 0x80000000
	v_cmp_gt_u32_e32 vcc_lo, 30, v41
	s_delay_alu instid0(VALU_DEP_2) | instskip(SKIP_1) | instid1(VALU_DEP_2)
	v_ctz_i32_b32_e32 v20, v20
	v_cndmask_b32_e64 v25, 0, 1, vcc_lo
	v_cmp_lt_u32_e32 vcc_lo, v41, v20
	s_waitcnt lgkmcnt(0)
	s_delay_alu instid0(VALU_DEP_2) | instskip(NEXT) | instid1(VALU_DEP_1)
	v_dual_cndmask_b32 v22, 0, v22 :: v_dual_lshlrev_b32 v25, 1, v25
	v_add_lshl_u32 v35, v25, v41, 2
	v_cmp_gt_u32_e32 vcc_lo, 28, v41
	s_delay_alu instid0(VALU_DEP_3) | instskip(SKIP_4) | instid1(VALU_DEP_1)
	v_add_nc_u32_e32 v22, v22, v23
	v_cndmask_b32_e64 v25, 0, 1, vcc_lo
	v_cmp_le_u32_e32 vcc_lo, v37, v20
	ds_bpermute_b32 v23, v35, v22
	v_lshlrev_b32_e32 v25, 2, v25
	v_add_lshl_u32 v44, v25, v41, 2
	s_waitcnt lgkmcnt(0)
	v_cndmask_b32_e32 v23, 0, v23, vcc_lo
	v_cmp_gt_u32_e32 vcc_lo, 24, v41
	s_delay_alu instid0(VALU_DEP_2) | instskip(SKIP_4) | instid1(VALU_DEP_1)
	v_add_nc_u32_e32 v22, v22, v23
	v_cndmask_b32_e64 v25, 0, 1, vcc_lo
	v_cmp_le_u32_e32 vcc_lo, v45, v20
	ds_bpermute_b32 v23, v44, v22
	v_lshlrev_b32_e32 v25, 3, v25
	v_add_lshl_u32 v46, v25, v41, 2
	s_waitcnt lgkmcnt(0)
	v_cndmask_b32_e32 v23, 0, v23, vcc_lo
	v_cmp_gt_u32_e32 vcc_lo, 16, v41
	s_delay_alu instid0(VALU_DEP_2) | instskip(SKIP_4) | instid1(VALU_DEP_1)
	v_add_nc_u32_e32 v22, v22, v23
	v_cndmask_b32_e64 v25, 0, 1, vcc_lo
	v_cmp_le_u32_e32 vcc_lo, v47, v20
	ds_bpermute_b32 v23, v46, v22
	v_lshlrev_b32_e32 v25, 4, v25
	v_add_lshl_u32 v48, v25, v41, 2
	s_waitcnt lgkmcnt(0)
	v_cndmask_b32_e32 v23, 0, v23, vcc_lo
	v_cmp_le_u32_e32 vcc_lo, v49, v20
	s_delay_alu instid0(VALU_DEP_2) | instskip(SKIP_3) | instid1(VALU_DEP_1)
	v_add_nc_u32_e32 v22, v22, v23
	ds_bpermute_b32 v23, v48, v22
	s_waitcnt lgkmcnt(0)
	v_cndmask_b32_e32 v20, 0, v23, vcc_lo
	v_dual_mov_b32 v22, 0 :: v_dual_add_nc_u32 v23, v22, v20
	s_branch .LBB859_78
.LBB859_77:                             ;   in Loop: Header=BB859_78 Depth=1
	s_or_b32 exec_lo, exec_lo, s19
	ds_bpermute_b32 v26, v31, v23
	v_and_b32_e32 v25, 0xff, v24
	v_subrev_nc_u32_e32 v21, 32, v21
	s_delay_alu instid0(VALU_DEP_2) | instskip(SKIP_1) | instid1(VALU_DEP_1)
	v_cmp_eq_u16_e32 vcc_lo, 2, v25
	v_and_or_b32 v25, vcc_lo, v33, 0x80000000
	v_ctz_i32_b32_e32 v25, v25
	s_delay_alu instid0(VALU_DEP_1) | instskip(SKIP_3) | instid1(VALU_DEP_2)
	v_cmp_lt_u32_e32 vcc_lo, v41, v25
	s_waitcnt lgkmcnt(0)
	v_cndmask_b32_e32 v26, 0, v26, vcc_lo
	v_cmp_le_u32_e32 vcc_lo, v37, v25
	v_add_nc_u32_e32 v23, v26, v23
	ds_bpermute_b32 v26, v35, v23
	s_waitcnt lgkmcnt(0)
	v_cndmask_b32_e32 v26, 0, v26, vcc_lo
	v_cmp_le_u32_e32 vcc_lo, v45, v25
	s_delay_alu instid0(VALU_DEP_2) | instskip(SKIP_4) | instid1(VALU_DEP_2)
	v_add_nc_u32_e32 v23, v23, v26
	ds_bpermute_b32 v26, v44, v23
	s_waitcnt lgkmcnt(0)
	v_cndmask_b32_e32 v26, 0, v26, vcc_lo
	v_cmp_le_u32_e32 vcc_lo, v47, v25
	v_add_nc_u32_e32 v23, v23, v26
	ds_bpermute_b32 v26, v46, v23
	s_waitcnt lgkmcnt(0)
	v_cndmask_b32_e32 v26, 0, v26, vcc_lo
	v_cmp_le_u32_e32 vcc_lo, v49, v25
	s_delay_alu instid0(VALU_DEP_2) | instskip(SKIP_3) | instid1(VALU_DEP_1)
	v_add_nc_u32_e32 v23, v23, v26
	ds_bpermute_b32 v26, v48, v23
	s_waitcnt lgkmcnt(0)
	v_cndmask_b32_e32 v25, 0, v26, vcc_lo
	v_add3_u32 v23, v25, v20, v23
.LBB859_78:                             ; =>This Loop Header: Depth=1
                                        ;     Child Loop BB859_81 Depth 2
	v_and_b32_e32 v20, 0xff, v24
	s_delay_alu instid0(VALU_DEP_1) | instskip(SKIP_2) | instid1(VALU_DEP_1)
	v_cmp_ne_u16_e32 vcc_lo, 2, v20
	v_cndmask_b32_e64 v20, 0, 1, vcc_lo
	;;#ASMSTART
	;;#ASMEND
	v_cmp_ne_u32_e32 vcc_lo, 0, v20
	v_mov_b32_e32 v20, v23
	s_cmp_lg_u32 vcc_lo, exec_lo
	s_cbranch_scc1 .LBB859_83
; %bb.79:                               ;   in Loop: Header=BB859_78 Depth=1
	v_lshlrev_b64 v[23:24], 3, v[21:22]
	s_mov_b32 s19, exec_lo
	s_delay_alu instid0(VALU_DEP_1) | instskip(NEXT) | instid1(VALU_DEP_2)
	v_add_co_u32 v25, vcc_lo, s12, v23
	v_add_co_ci_u32_e32 v26, vcc_lo, s13, v24, vcc_lo
	global_load_b64 v[23:24], v[25:26], off glc
	s_waitcnt vmcnt(0)
	v_and_b32_e32 v50, 0xff, v24
	s_delay_alu instid0(VALU_DEP_1)
	v_cmpx_eq_u16_e32 0, v50
	s_cbranch_execz .LBB859_77
; %bb.80:                               ;   in Loop: Header=BB859_78 Depth=1
	s_mov_b32 s20, 0
.LBB859_81:                             ;   Parent Loop BB859_78 Depth=1
                                        ; =>  This Inner Loop Header: Depth=2
	global_load_b64 v[23:24], v[25:26], off glc
	s_waitcnt vmcnt(0)
	v_and_b32_e32 v50, 0xff, v24
	s_delay_alu instid0(VALU_DEP_1) | instskip(SKIP_1) | instid1(SALU_CYCLE_1)
	v_cmp_ne_u16_e32 vcc_lo, 0, v50
	s_or_b32 s20, vcc_lo, s20
	s_and_not1_b32 exec_lo, exec_lo, s20
	s_cbranch_execnz .LBB859_81
; %bb.82:                               ;   in Loop: Header=BB859_78 Depth=1
	s_or_b32 exec_lo, exec_lo, s20
	s_branch .LBB859_77
.LBB859_83:                             ;   in Loop: Header=BB859_78 Depth=1
                                        ; implicit-def: $vgpr23
                                        ; implicit-def: $vgpr24
	s_cbranch_execz .LBB859_78
; %bb.84:
	s_and_saveexec_b32 s19, s8
	s_cbranch_execz .LBB859_86
; %bb.85:
	s_add_i32 s20, s15, 32
	s_mov_b32 s21, 0
	v_dual_mov_b32 v22, 2 :: v_dual_add_nc_u32 v21, v20, v19
	s_lshl_b64 s[20:21], s[20:21], 3
	v_mov_b32_e32 v23, 0
	s_add_u32 s20, s12, s20
	s_addc_u32 s21, s13, s21
	global_store_b64 v23, v[21:22], s[20:21]
	ds_store_b64 v23, v[19:20] offset:12672
.LBB859_86:
	s_or_b32 exec_lo, exec_lo, s19
	v_cmp_eq_u32_e32 vcc_lo, 0, v0
	s_and_b32 exec_lo, exec_lo, vcc_lo
	s_cbranch_execz .LBB859_88
; %bb.87:
	v_mov_b32_e32 v19, 0
	ds_store_b32 v19, v20 offset:44
.LBB859_88:
	s_or_b32 exec_lo, exec_lo, s9
	v_mov_b32_e32 v19, 0
	s_waitcnt lgkmcnt(0)
	s_waitcnt_vscnt null, 0x0
	s_barrier
	buffer_gl0_inv
	v_cndmask_b32_e64 v21, v29, v27, s8
	ds_load_b32 v20, v19 offset:44
	v_cmp_ne_u32_e32 vcc_lo, 0, v0
	s_waitcnt lgkmcnt(0)
	s_barrier
	buffer_gl0_inv
	v_cndmask_b32_e32 v21, 0, v21, vcc_lo
	s_delay_alu instid0(VALU_DEP_1) | instskip(SKIP_2) | instid1(VALU_DEP_1)
	v_add_nc_u32_e32 v37, v20, v21
	ds_load_b64 v[19:20], v19 offset:12672
	v_add_nc_u32_e32 v35, v37, v28
	v_add_nc_u32_e32 v33, v35, v30
	s_delay_alu instid0(VALU_DEP_1) | instskip(NEXT) | instid1(VALU_DEP_1)
	v_add_nc_u32_e32 v31, v33, v32
	v_add_nc_u32_e32 v29, v31, v34
	s_delay_alu instid0(VALU_DEP_1) | instskip(NEXT) | instid1(VALU_DEP_1)
	v_add_nc_u32_e32 v27, v29, v36
	v_add_nc_u32_e32 v25, v27, v38
	s_delay_alu instid0(VALU_DEP_1)
	v_add_nc_u32_e32 v23, v25, v40
	s_load_b64 s[8:9], s[0:1], 0x38
	v_lshrrev_b64 v[21:22], 24, v[17:18]
	s_branch .LBB859_99
.LBB859_89:
                                        ; implicit-def: $vgpr23
                                        ; implicit-def: $vgpr25
                                        ; implicit-def: $vgpr27
                                        ; implicit-def: $vgpr29
                                        ; implicit-def: $vgpr31
                                        ; implicit-def: $vgpr33
                                        ; implicit-def: $vgpr35
                                        ; implicit-def: $vgpr37
                                        ; implicit-def: $vgpr20
	s_load_b64 s[8:9], s[0:1], 0x38
	v_lshrrev_b64 v[21:22], 24, v[17:18]
	s_and_b32 vcc_lo, exec_lo, s19
	s_cbranch_vccz .LBB859_99
; %bb.90:
	s_waitcnt lgkmcnt(0)
	v_mov_b32_dpp v19, v43 row_shr:1 row_mask:0xf bank_mask:0xf
	s_delay_alu instid0(VALU_DEP_1) | instskip(NEXT) | instid1(VALU_DEP_1)
	v_cndmask_b32_e64 v19, v19, 0, s4
	v_add_nc_u32_e32 v19, v19, v43
	s_delay_alu instid0(VALU_DEP_1) | instskip(NEXT) | instid1(VALU_DEP_1)
	v_mov_b32_dpp v20, v19 row_shr:2 row_mask:0xf bank_mask:0xf
	v_cndmask_b32_e64 v20, 0, v20, s5
	s_delay_alu instid0(VALU_DEP_1) | instskip(NEXT) | instid1(VALU_DEP_1)
	v_add_nc_u32_e32 v19, v19, v20
	v_mov_b32_dpp v20, v19 row_shr:4 row_mask:0xf bank_mask:0xf
	s_delay_alu instid0(VALU_DEP_1) | instskip(NEXT) | instid1(VALU_DEP_1)
	v_cndmask_b32_e64 v20, 0, v20, s3
	v_add_nc_u32_e32 v19, v19, v20
	s_delay_alu instid0(VALU_DEP_1) | instskip(NEXT) | instid1(VALU_DEP_1)
	v_mov_b32_dpp v20, v19 row_shr:8 row_mask:0xf bank_mask:0xf
	v_cndmask_b32_e64 v20, 0, v20, s2
	s_delay_alu instid0(VALU_DEP_1) | instskip(SKIP_3) | instid1(VALU_DEP_1)
	v_add_nc_u32_e32 v19, v19, v20
	ds_swizzle_b32 v20, v19 offset:swizzle(BROADCAST,32,15)
	s_waitcnt lgkmcnt(0)
	v_cndmask_b32_e64 v20, v20, 0, s7
	v_add_nc_u32_e32 v19, v19, v20
	s_and_saveexec_b32 s0, s6
	s_cbranch_execz .LBB859_92
; %bb.91:
	v_lshlrev_b32_e32 v20, 2, v42
	ds_store_b32 v20, v19
.LBB859_92:
	s_or_b32 exec_lo, exec_lo, s0
	s_delay_alu instid0(SALU_CYCLE_1)
	s_mov_b32 s0, exec_lo
	s_waitcnt lgkmcnt(0)
	s_barrier
	buffer_gl0_inv
	v_cmpx_gt_u32_e32 12, v0
	s_cbranch_execz .LBB859_94
; %bb.93:
	v_lshlrev_b32_e32 v20, 2, v0
	ds_load_b32 v22, v20
	s_waitcnt lgkmcnt(0)
	v_mov_b32_dpp v23, v22 row_shr:1 row_mask:0xf bank_mask:0xf
	s_delay_alu instid0(VALU_DEP_1) | instskip(NEXT) | instid1(VALU_DEP_1)
	v_cndmask_b32_e64 v23, v23, 0, s4
	v_add_nc_u32_e32 v22, v23, v22
	s_delay_alu instid0(VALU_DEP_1) | instskip(NEXT) | instid1(VALU_DEP_1)
	v_mov_b32_dpp v23, v22 row_shr:2 row_mask:0xf bank_mask:0xf
	v_cndmask_b32_e64 v23, 0, v23, s5
	s_delay_alu instid0(VALU_DEP_1) | instskip(NEXT) | instid1(VALU_DEP_1)
	v_add_nc_u32_e32 v22, v22, v23
	v_mov_b32_dpp v23, v22 row_shr:4 row_mask:0xf bank_mask:0xf
	s_delay_alu instid0(VALU_DEP_1) | instskip(NEXT) | instid1(VALU_DEP_1)
	v_cndmask_b32_e64 v23, 0, v23, s3
	v_add_nc_u32_e32 v22, v22, v23
	s_delay_alu instid0(VALU_DEP_1) | instskip(NEXT) | instid1(VALU_DEP_1)
	v_mov_b32_dpp v23, v22 row_shr:8 row_mask:0xf bank_mask:0xf
	v_cndmask_b32_e64 v23, 0, v23, s2
	s_delay_alu instid0(VALU_DEP_1)
	v_add_nc_u32_e32 v22, v22, v23
	ds_store_b32 v20, v22
.LBB859_94:
	s_or_b32 exec_lo, exec_lo, s0
	v_mov_b32_e32 v20, 0
	v_mov_b32_e32 v22, 0
	s_mov_b32 s0, exec_lo
	s_waitcnt lgkmcnt(0)
	s_barrier
	buffer_gl0_inv
	v_cmpx_lt_u32_e32 31, v0
	s_cbranch_execz .LBB859_96
; %bb.95:
	v_lshl_add_u32 v22, v42, 2, -4
	ds_load_b32 v22, v22
.LBB859_96:
	s_or_b32 exec_lo, exec_lo, s0
	v_add_nc_u32_e32 v23, -1, v41
	s_waitcnt lgkmcnt(0)
	v_add_nc_u32_e32 v19, v22, v19
	s_delay_alu instid0(VALU_DEP_2) | instskip(SKIP_2) | instid1(VALU_DEP_2)
	v_cmp_gt_i32_e32 vcc_lo, 0, v23
	v_cndmask_b32_e32 v23, v23, v41, vcc_lo
	v_cmp_eq_u32_e32 vcc_lo, 0, v0
	v_lshlrev_b32_e32 v23, 2, v23
	ds_bpermute_b32 v23, v23, v19
	ds_load_b32 v19, v20 offset:44
	s_and_saveexec_b32 s0, vcc_lo
	s_cbranch_execz .LBB859_98
; %bb.97:
	v_mov_b32_e32 v24, 0
	v_mov_b32_e32 v20, 2
	s_waitcnt lgkmcnt(0)
	global_store_b64 v24, v[19:20], s[12:13] offset:256
.LBB859_98:
	s_or_b32 exec_lo, exec_lo, s0
	v_cmp_eq_u32_e64 s0, 0, v41
	s_waitcnt lgkmcnt(0)
	s_waitcnt_vscnt null, 0x0
	s_barrier
	buffer_gl0_inv
	v_cndmask_b32_e64 v20, v23, v22, s0
	s_delay_alu instid0(VALU_DEP_1) | instskip(NEXT) | instid1(VALU_DEP_1)
	v_cndmask_b32_e64 v37, v20, 0, vcc_lo
	v_dual_mov_b32 v20, 0 :: v_dual_add_nc_u32 v35, v37, v28
	s_delay_alu instid0(VALU_DEP_1) | instskip(NEXT) | instid1(VALU_DEP_1)
	v_add_nc_u32_e32 v33, v35, v30
	v_add_nc_u32_e32 v31, v33, v32
	s_delay_alu instid0(VALU_DEP_1) | instskip(NEXT) | instid1(VALU_DEP_1)
	v_add_nc_u32_e32 v29, v31, v34
	v_add_nc_u32_e32 v27, v29, v36
	;; [unrolled: 3-line block ×3, first 2 shown]
.LBB859_99:
	v_lshrrev_b32_e32 v42, 8, v17
	v_lshrrev_b32_e32 v41, 16, v17
	v_and_b32_e32 v17, 1, v17
	s_waitcnt lgkmcnt(0)
	v_cmp_gt_u32_e64 s0, 0x181, v19
	v_lshrrev_b32_e32 v40, 8, v18
	v_lshrrev_b32_e32 v22, 16, v18
	v_cmp_eq_u32_e64 s1, 1, v17
	s_delay_alu instid0(VALU_DEP_4)
	s_and_b32 vcc_lo, exec_lo, s0
	s_cbranch_vccnz .LBB859_117
; %bb.100:
	s_delay_alu instid0(VALU_DEP_1)
	s_and_saveexec_b32 s2, s1
	s_cbranch_execz .LBB859_102
; %bb.101:
	v_sub_nc_u32_e32 v24, v37, v20
	s_delay_alu instid0(VALU_DEP_1)
	v_lshlrev_b32_e32 v24, 2, v24
	ds_store_b32 v24, v15
.LBB859_102:
	s_or_b32 exec_lo, exec_lo, s2
	v_and_b32_e32 v15, 1, v42
	s_mov_b32 s1, exec_lo
	s_delay_alu instid0(VALU_DEP_1)
	v_cmpx_eq_u32_e32 1, v15
	s_cbranch_execz .LBB859_104
; %bb.103:
	v_sub_nc_u32_e32 v15, v35, v20
	s_delay_alu instid0(VALU_DEP_1)
	v_lshlrev_b32_e32 v15, 2, v15
	ds_store_b32 v15, v16
.LBB859_104:
	s_or_b32 exec_lo, exec_lo, s1
	v_and_b32_e32 v15, 1, v41
	s_mov_b32 s1, exec_lo
	s_delay_alu instid0(VALU_DEP_1)
	v_cmpx_eq_u32_e32 1, v15
	;; [unrolled: 12-line block ×7, first 2 shown]
	s_cbranch_execz .LBB859_116
; %bb.115:
	v_sub_nc_u32_e32 v5, v23, v20
	s_delay_alu instid0(VALU_DEP_1)
	v_lshlrev_b32_e32 v5, 2, v5
	ds_store_b32 v5, v6
.LBB859_116:
	s_or_b32 exec_lo, exec_lo, s1
	s_waitcnt lgkmcnt(0)
	s_barrier
	buffer_gl0_inv
.LBB859_117:
	s_and_b32 vcc_lo, exec_lo, s0
	s_mov_b32 s0, -1
	s_barrier
	buffer_gl0_inv
	s_cbranch_vccz .LBB859_145
; %bb.118:
	v_add_nc_u32_e32 v5, v20, v19
	s_lshl_b64 s[0:1], s[10:11], 2
	s_delay_alu instid0(SALU_CYCLE_1) | instskip(SKIP_1) | instid1(VALU_DEP_1)
	s_add_u32 s0, s8, s0
	s_addc_u32 s1, s9, s1
	v_cmp_lt_u32_e32 vcc_lo, v37, v5
	s_or_b32 s3, s18, vcc_lo
	s_delay_alu instid0(SALU_CYCLE_1)
	s_and_saveexec_b32 s2, s3
	s_cbranch_execz .LBB859_121
; %bb.119:
	v_cmp_eq_u32_e32 vcc_lo, 1, v17
	s_and_b32 exec_lo, exec_lo, vcc_lo
	s_cbranch_execz .LBB859_121
; %bb.120:
	v_mov_b32_e32 v38, 0
	s_delay_alu instid0(VALU_DEP_1) | instskip(NEXT) | instid1(VALU_DEP_1)
	v_lshlrev_b64 v[9:10], 2, v[37:38]
	v_add_co_u32 v9, vcc_lo, s0, v9
	s_delay_alu instid0(VALU_DEP_2)
	v_add_co_ci_u32_e32 v10, vcc_lo, s1, v10, vcc_lo
	global_store_b32 v[9:10], v11, off
.LBB859_121:
	s_or_b32 exec_lo, exec_lo, s2
	v_cmp_lt_u32_e32 vcc_lo, v35, v5
	s_or_b32 s3, s18, vcc_lo
	s_delay_alu instid0(SALU_CYCLE_1)
	s_and_saveexec_b32 s2, s3
	s_cbranch_execz .LBB859_124
; %bb.122:
	v_and_b32_e32 v6, 1, v42
	s_delay_alu instid0(VALU_DEP_1)
	v_cmp_eq_u32_e32 vcc_lo, 1, v6
	s_and_b32 exec_lo, exec_lo, vcc_lo
	s_cbranch_execz .LBB859_124
; %bb.123:
	v_mov_b32_e32 v36, 0
	s_delay_alu instid0(VALU_DEP_1) | instskip(NEXT) | instid1(VALU_DEP_1)
	v_lshlrev_b64 v[9:10], 2, v[35:36]
	v_add_co_u32 v9, vcc_lo, s0, v9
	s_delay_alu instid0(VALU_DEP_2)
	v_add_co_ci_u32_e32 v10, vcc_lo, s1, v10, vcc_lo
	global_store_b32 v[9:10], v12, off
.LBB859_124:
	s_or_b32 exec_lo, exec_lo, s2
	v_cmp_lt_u32_e32 vcc_lo, v33, v5
	s_or_b32 s3, s18, vcc_lo
	s_delay_alu instid0(SALU_CYCLE_1)
	s_and_saveexec_b32 s2, s3
	s_cbranch_execz .LBB859_127
; %bb.125:
	v_and_b32_e32 v6, 1, v41
	s_delay_alu instid0(VALU_DEP_1)
	v_cmp_eq_u32_e32 vcc_lo, 1, v6
	s_and_b32 exec_lo, exec_lo, vcc_lo
	s_cbranch_execz .LBB859_127
; %bb.126:
	v_mov_b32_e32 v34, 0
	s_delay_alu instid0(VALU_DEP_1) | instskip(NEXT) | instid1(VALU_DEP_1)
	v_lshlrev_b64 v[9:10], 2, v[33:34]
	v_add_co_u32 v9, vcc_lo, s0, v9
	s_delay_alu instid0(VALU_DEP_2)
	v_add_co_ci_u32_e32 v10, vcc_lo, s1, v10, vcc_lo
	global_store_b32 v[9:10], v7, off
.LBB859_127:
	;; [unrolled: 21-line block ×7, first 2 shown]
	s_or_b32 exec_lo, exec_lo, s2
.LBB859_143:
	v_cmp_eq_u32_e32 vcc_lo, 0, v0
	s_and_b32 s0, vcc_lo, s14
	s_delay_alu instid0(SALU_CYCLE_1)
	s_and_saveexec_b32 s1, s0
	s_cbranch_execz .LBB859_166
.LBB859_144:
	v_add_co_u32 v0, s0, s10, v19
	s_delay_alu instid0(VALU_DEP_1) | instskip(SKIP_1) | instid1(VALU_DEP_3)
	v_add_co_ci_u32_e64 v1, null, s11, 0, s0
	v_mov_b32_e32 v2, 0
	v_add_co_u32 v0, vcc_lo, v0, v20
	s_delay_alu instid0(VALU_DEP_3)
	v_add_co_ci_u32_e32 v1, vcc_lo, 0, v1, vcc_lo
	global_store_b64 v2, v[0:1], s[16:17]
	s_nop 0
	s_sendmsg sendmsg(MSG_DEALLOC_VGPRS)
	s_endpgm
.LBB859_145:
	s_and_b32 vcc_lo, exec_lo, s0
	s_cbranch_vccz .LBB859_143
; %bb.146:
	s_mov_b32 s0, exec_lo
	v_cmpx_eq_u32_e32 1, v17
	s_cbranch_execz .LBB859_148
; %bb.147:
	v_sub_nc_u32_e32 v5, v37, v20
	s_delay_alu instid0(VALU_DEP_1)
	v_lshlrev_b32_e32 v5, 2, v5
	ds_store_b32 v5, v11
.LBB859_148:
	s_or_b32 exec_lo, exec_lo, s0
	v_and_b32_e32 v5, 1, v42
	s_mov_b32 s0, exec_lo
	s_delay_alu instid0(VALU_DEP_1)
	v_cmpx_eq_u32_e32 1, v5
	s_cbranch_execz .LBB859_150
; %bb.149:
	v_sub_nc_u32_e32 v5, v35, v20
	s_delay_alu instid0(VALU_DEP_1)
	v_lshlrev_b32_e32 v5, 2, v5
	ds_store_b32 v5, v12
.LBB859_150:
	s_or_b32 exec_lo, exec_lo, s0
	v_and_b32_e32 v5, 1, v41
	s_mov_b32 s0, exec_lo
	s_delay_alu instid0(VALU_DEP_1)
	;; [unrolled: 12-line block ×7, first 2 shown]
	v_cmpx_eq_u32_e32 1, v1
	s_cbranch_execz .LBB859_162
; %bb.161:
	v_sub_nc_u32_e32 v1, v23, v20
	s_delay_alu instid0(VALU_DEP_1)
	v_lshlrev_b32_e32 v1, 2, v1
	ds_store_b32 v1, v2
.LBB859_162:
	s_or_b32 exec_lo, exec_lo, s0
	s_delay_alu instid0(SALU_CYCLE_1)
	s_mov_b32 s1, exec_lo
	s_waitcnt lgkmcnt(0)
	s_waitcnt_vscnt null, 0x0
	s_barrier
	buffer_gl0_inv
	v_cmpx_lt_u32_e64 v0, v19
	s_cbranch_execz .LBB859_165
; %bb.163:
	v_dual_mov_b32 v2, 0 :: v_dual_mov_b32 v1, v20
	s_lshl_b64 s[2:3], s[10:11], 2
	v_lshlrev_b32_e32 v3, 2, v0
	s_add_u32 s0, s8, s2
	s_addc_u32 s2, s9, s3
	v_lshlrev_b64 v[4:5], 2, v[1:2]
	v_mov_b32_e32 v1, v0
	s_delay_alu instid0(VALU_DEP_2) | instskip(NEXT) | instid1(VALU_DEP_3)
	v_add_co_u32 v4, vcc_lo, s0, v4
	v_add_co_ci_u32_e32 v5, vcc_lo, s2, v5, vcc_lo
	s_mov_b32 s2, 0
	.p2align	6
.LBB859_164:                            ; =>This Inner Loop Header: Depth=1
	ds_load_b32 v8, v3
	v_lshlrev_b64 v[6:7], 2, v[1:2]
	v_add_nc_u32_e32 v1, 0x180, v1
	v_add_nc_u32_e32 v3, 0x600, v3
	s_delay_alu instid0(VALU_DEP_2) | instskip(NEXT) | instid1(VALU_DEP_4)
	v_cmp_ge_u32_e32 vcc_lo, v1, v19
	v_add_co_u32 v6, s0, v4, v6
	s_delay_alu instid0(VALU_DEP_1)
	v_add_co_ci_u32_e64 v7, s0, v5, v7, s0
	s_or_b32 s2, vcc_lo, s2
	s_waitcnt lgkmcnt(0)
	global_store_b32 v[6:7], v8, off
	s_and_not1_b32 exec_lo, exec_lo, s2
	s_cbranch_execnz .LBB859_164
.LBB859_165:
	s_or_b32 exec_lo, exec_lo, s1
	v_cmp_eq_u32_e32 vcc_lo, 0, v0
	s_and_b32 s0, vcc_lo, s14
	s_delay_alu instid0(SALU_CYCLE_1)
	s_and_saveexec_b32 s1, s0
	s_cbranch_execnz .LBB859_144
.LBB859_166:
	s_nop 0
	s_sendmsg sendmsg(MSG_DEALLOC_VGPRS)
	s_endpgm
	.section	.rodata,"a",@progbits
	.p2align	6, 0x0
	.amdhsa_kernel _ZN7rocprim17ROCPRIM_400000_NS6detail17trampoline_kernelINS0_14default_configENS1_25partition_config_selectorILNS1_17partition_subalgoE9EjjbEEZZNS1_14partition_implILS5_9ELb0ES3_jN6thrust23THRUST_200600_302600_NS6detail15normal_iteratorINS9_10device_ptrIjEEEESE_PNS0_10empty_typeENS0_5tupleIJNS9_16discard_iteratorINS9_11use_defaultEEESF_EEENSH_IJSE_SG_EEENS0_18inequality_wrapperINS9_8equal_toIjEEEEPmJSF_EEE10hipError_tPvRmT3_T4_T5_T6_T7_T9_mT8_P12ihipStream_tbDpT10_ENKUlT_T0_E_clISt17integral_constantIbLb0EES1B_EEDaS16_S17_EUlS16_E_NS1_11comp_targetILNS1_3genE9ELNS1_11target_archE1100ELNS1_3gpuE3ELNS1_3repE0EEENS1_30default_config_static_selectorELNS0_4arch9wavefront6targetE0EEEvT1_
		.amdhsa_group_segment_fixed_size 12680
		.amdhsa_private_segment_fixed_size 0
		.amdhsa_kernarg_size 120
		.amdhsa_user_sgpr_count 15
		.amdhsa_user_sgpr_dispatch_ptr 0
		.amdhsa_user_sgpr_queue_ptr 0
		.amdhsa_user_sgpr_kernarg_segment_ptr 1
		.amdhsa_user_sgpr_dispatch_id 0
		.amdhsa_user_sgpr_private_segment_size 0
		.amdhsa_wavefront_size32 1
		.amdhsa_uses_dynamic_stack 0
		.amdhsa_enable_private_segment 0
		.amdhsa_system_sgpr_workgroup_id_x 1
		.amdhsa_system_sgpr_workgroup_id_y 0
		.amdhsa_system_sgpr_workgroup_id_z 0
		.amdhsa_system_sgpr_workgroup_info 0
		.amdhsa_system_vgpr_workitem_id 0
		.amdhsa_next_free_vgpr 51
		.amdhsa_next_free_sgpr 25
		.amdhsa_reserve_vcc 1
		.amdhsa_float_round_mode_32 0
		.amdhsa_float_round_mode_16_64 0
		.amdhsa_float_denorm_mode_32 3
		.amdhsa_float_denorm_mode_16_64 3
		.amdhsa_dx10_clamp 1
		.amdhsa_ieee_mode 1
		.amdhsa_fp16_overflow 0
		.amdhsa_workgroup_processor_mode 1
		.amdhsa_memory_ordered 1
		.amdhsa_forward_progress 0
		.amdhsa_shared_vgpr_count 0
		.amdhsa_exception_fp_ieee_invalid_op 0
		.amdhsa_exception_fp_denorm_src 0
		.amdhsa_exception_fp_ieee_div_zero 0
		.amdhsa_exception_fp_ieee_overflow 0
		.amdhsa_exception_fp_ieee_underflow 0
		.amdhsa_exception_fp_ieee_inexact 0
		.amdhsa_exception_int_div_zero 0
	.end_amdhsa_kernel
	.section	.text._ZN7rocprim17ROCPRIM_400000_NS6detail17trampoline_kernelINS0_14default_configENS1_25partition_config_selectorILNS1_17partition_subalgoE9EjjbEEZZNS1_14partition_implILS5_9ELb0ES3_jN6thrust23THRUST_200600_302600_NS6detail15normal_iteratorINS9_10device_ptrIjEEEESE_PNS0_10empty_typeENS0_5tupleIJNS9_16discard_iteratorINS9_11use_defaultEEESF_EEENSH_IJSE_SG_EEENS0_18inequality_wrapperINS9_8equal_toIjEEEEPmJSF_EEE10hipError_tPvRmT3_T4_T5_T6_T7_T9_mT8_P12ihipStream_tbDpT10_ENKUlT_T0_E_clISt17integral_constantIbLb0EES1B_EEDaS16_S17_EUlS16_E_NS1_11comp_targetILNS1_3genE9ELNS1_11target_archE1100ELNS1_3gpuE3ELNS1_3repE0EEENS1_30default_config_static_selectorELNS0_4arch9wavefront6targetE0EEEvT1_,"axG",@progbits,_ZN7rocprim17ROCPRIM_400000_NS6detail17trampoline_kernelINS0_14default_configENS1_25partition_config_selectorILNS1_17partition_subalgoE9EjjbEEZZNS1_14partition_implILS5_9ELb0ES3_jN6thrust23THRUST_200600_302600_NS6detail15normal_iteratorINS9_10device_ptrIjEEEESE_PNS0_10empty_typeENS0_5tupleIJNS9_16discard_iteratorINS9_11use_defaultEEESF_EEENSH_IJSE_SG_EEENS0_18inequality_wrapperINS9_8equal_toIjEEEEPmJSF_EEE10hipError_tPvRmT3_T4_T5_T6_T7_T9_mT8_P12ihipStream_tbDpT10_ENKUlT_T0_E_clISt17integral_constantIbLb0EES1B_EEDaS16_S17_EUlS16_E_NS1_11comp_targetILNS1_3genE9ELNS1_11target_archE1100ELNS1_3gpuE3ELNS1_3repE0EEENS1_30default_config_static_selectorELNS0_4arch9wavefront6targetE0EEEvT1_,comdat
.Lfunc_end859:
	.size	_ZN7rocprim17ROCPRIM_400000_NS6detail17trampoline_kernelINS0_14default_configENS1_25partition_config_selectorILNS1_17partition_subalgoE9EjjbEEZZNS1_14partition_implILS5_9ELb0ES3_jN6thrust23THRUST_200600_302600_NS6detail15normal_iteratorINS9_10device_ptrIjEEEESE_PNS0_10empty_typeENS0_5tupleIJNS9_16discard_iteratorINS9_11use_defaultEEESF_EEENSH_IJSE_SG_EEENS0_18inequality_wrapperINS9_8equal_toIjEEEEPmJSF_EEE10hipError_tPvRmT3_T4_T5_T6_T7_T9_mT8_P12ihipStream_tbDpT10_ENKUlT_T0_E_clISt17integral_constantIbLb0EES1B_EEDaS16_S17_EUlS16_E_NS1_11comp_targetILNS1_3genE9ELNS1_11target_archE1100ELNS1_3gpuE3ELNS1_3repE0EEENS1_30default_config_static_selectorELNS0_4arch9wavefront6targetE0EEEvT1_, .Lfunc_end859-_ZN7rocprim17ROCPRIM_400000_NS6detail17trampoline_kernelINS0_14default_configENS1_25partition_config_selectorILNS1_17partition_subalgoE9EjjbEEZZNS1_14partition_implILS5_9ELb0ES3_jN6thrust23THRUST_200600_302600_NS6detail15normal_iteratorINS9_10device_ptrIjEEEESE_PNS0_10empty_typeENS0_5tupleIJNS9_16discard_iteratorINS9_11use_defaultEEESF_EEENSH_IJSE_SG_EEENS0_18inequality_wrapperINS9_8equal_toIjEEEEPmJSF_EEE10hipError_tPvRmT3_T4_T5_T6_T7_T9_mT8_P12ihipStream_tbDpT10_ENKUlT_T0_E_clISt17integral_constantIbLb0EES1B_EEDaS16_S17_EUlS16_E_NS1_11comp_targetILNS1_3genE9ELNS1_11target_archE1100ELNS1_3gpuE3ELNS1_3repE0EEENS1_30default_config_static_selectorELNS0_4arch9wavefront6targetE0EEEvT1_
                                        ; -- End function
	.section	.AMDGPU.csdata,"",@progbits
; Kernel info:
; codeLenInByte = 8352
; NumSgprs: 27
; NumVgprs: 51
; ScratchSize: 0
; MemoryBound: 0
; FloatMode: 240
; IeeeMode: 1
; LDSByteSize: 12680 bytes/workgroup (compile time only)
; SGPRBlocks: 3
; VGPRBlocks: 6
; NumSGPRsForWavesPerEU: 27
; NumVGPRsForWavesPerEU: 51
; Occupancy: 15
; WaveLimiterHint : 1
; COMPUTE_PGM_RSRC2:SCRATCH_EN: 0
; COMPUTE_PGM_RSRC2:USER_SGPR: 15
; COMPUTE_PGM_RSRC2:TRAP_HANDLER: 0
; COMPUTE_PGM_RSRC2:TGID_X_EN: 1
; COMPUTE_PGM_RSRC2:TGID_Y_EN: 0
; COMPUTE_PGM_RSRC2:TGID_Z_EN: 0
; COMPUTE_PGM_RSRC2:TIDIG_COMP_CNT: 0
	.section	.text._ZN7rocprim17ROCPRIM_400000_NS6detail17trampoline_kernelINS0_14default_configENS1_25partition_config_selectorILNS1_17partition_subalgoE9EjjbEEZZNS1_14partition_implILS5_9ELb0ES3_jN6thrust23THRUST_200600_302600_NS6detail15normal_iteratorINS9_10device_ptrIjEEEESE_PNS0_10empty_typeENS0_5tupleIJNS9_16discard_iteratorINS9_11use_defaultEEESF_EEENSH_IJSE_SG_EEENS0_18inequality_wrapperINS9_8equal_toIjEEEEPmJSF_EEE10hipError_tPvRmT3_T4_T5_T6_T7_T9_mT8_P12ihipStream_tbDpT10_ENKUlT_T0_E_clISt17integral_constantIbLb0EES1B_EEDaS16_S17_EUlS16_E_NS1_11comp_targetILNS1_3genE8ELNS1_11target_archE1030ELNS1_3gpuE2ELNS1_3repE0EEENS1_30default_config_static_selectorELNS0_4arch9wavefront6targetE0EEEvT1_,"axG",@progbits,_ZN7rocprim17ROCPRIM_400000_NS6detail17trampoline_kernelINS0_14default_configENS1_25partition_config_selectorILNS1_17partition_subalgoE9EjjbEEZZNS1_14partition_implILS5_9ELb0ES3_jN6thrust23THRUST_200600_302600_NS6detail15normal_iteratorINS9_10device_ptrIjEEEESE_PNS0_10empty_typeENS0_5tupleIJNS9_16discard_iteratorINS9_11use_defaultEEESF_EEENSH_IJSE_SG_EEENS0_18inequality_wrapperINS9_8equal_toIjEEEEPmJSF_EEE10hipError_tPvRmT3_T4_T5_T6_T7_T9_mT8_P12ihipStream_tbDpT10_ENKUlT_T0_E_clISt17integral_constantIbLb0EES1B_EEDaS16_S17_EUlS16_E_NS1_11comp_targetILNS1_3genE8ELNS1_11target_archE1030ELNS1_3gpuE2ELNS1_3repE0EEENS1_30default_config_static_selectorELNS0_4arch9wavefront6targetE0EEEvT1_,comdat
	.protected	_ZN7rocprim17ROCPRIM_400000_NS6detail17trampoline_kernelINS0_14default_configENS1_25partition_config_selectorILNS1_17partition_subalgoE9EjjbEEZZNS1_14partition_implILS5_9ELb0ES3_jN6thrust23THRUST_200600_302600_NS6detail15normal_iteratorINS9_10device_ptrIjEEEESE_PNS0_10empty_typeENS0_5tupleIJNS9_16discard_iteratorINS9_11use_defaultEEESF_EEENSH_IJSE_SG_EEENS0_18inequality_wrapperINS9_8equal_toIjEEEEPmJSF_EEE10hipError_tPvRmT3_T4_T5_T6_T7_T9_mT8_P12ihipStream_tbDpT10_ENKUlT_T0_E_clISt17integral_constantIbLb0EES1B_EEDaS16_S17_EUlS16_E_NS1_11comp_targetILNS1_3genE8ELNS1_11target_archE1030ELNS1_3gpuE2ELNS1_3repE0EEENS1_30default_config_static_selectorELNS0_4arch9wavefront6targetE0EEEvT1_ ; -- Begin function _ZN7rocprim17ROCPRIM_400000_NS6detail17trampoline_kernelINS0_14default_configENS1_25partition_config_selectorILNS1_17partition_subalgoE9EjjbEEZZNS1_14partition_implILS5_9ELb0ES3_jN6thrust23THRUST_200600_302600_NS6detail15normal_iteratorINS9_10device_ptrIjEEEESE_PNS0_10empty_typeENS0_5tupleIJNS9_16discard_iteratorINS9_11use_defaultEEESF_EEENSH_IJSE_SG_EEENS0_18inequality_wrapperINS9_8equal_toIjEEEEPmJSF_EEE10hipError_tPvRmT3_T4_T5_T6_T7_T9_mT8_P12ihipStream_tbDpT10_ENKUlT_T0_E_clISt17integral_constantIbLb0EES1B_EEDaS16_S17_EUlS16_E_NS1_11comp_targetILNS1_3genE8ELNS1_11target_archE1030ELNS1_3gpuE2ELNS1_3repE0EEENS1_30default_config_static_selectorELNS0_4arch9wavefront6targetE0EEEvT1_
	.globl	_ZN7rocprim17ROCPRIM_400000_NS6detail17trampoline_kernelINS0_14default_configENS1_25partition_config_selectorILNS1_17partition_subalgoE9EjjbEEZZNS1_14partition_implILS5_9ELb0ES3_jN6thrust23THRUST_200600_302600_NS6detail15normal_iteratorINS9_10device_ptrIjEEEESE_PNS0_10empty_typeENS0_5tupleIJNS9_16discard_iteratorINS9_11use_defaultEEESF_EEENSH_IJSE_SG_EEENS0_18inequality_wrapperINS9_8equal_toIjEEEEPmJSF_EEE10hipError_tPvRmT3_T4_T5_T6_T7_T9_mT8_P12ihipStream_tbDpT10_ENKUlT_T0_E_clISt17integral_constantIbLb0EES1B_EEDaS16_S17_EUlS16_E_NS1_11comp_targetILNS1_3genE8ELNS1_11target_archE1030ELNS1_3gpuE2ELNS1_3repE0EEENS1_30default_config_static_selectorELNS0_4arch9wavefront6targetE0EEEvT1_
	.p2align	8
	.type	_ZN7rocprim17ROCPRIM_400000_NS6detail17trampoline_kernelINS0_14default_configENS1_25partition_config_selectorILNS1_17partition_subalgoE9EjjbEEZZNS1_14partition_implILS5_9ELb0ES3_jN6thrust23THRUST_200600_302600_NS6detail15normal_iteratorINS9_10device_ptrIjEEEESE_PNS0_10empty_typeENS0_5tupleIJNS9_16discard_iteratorINS9_11use_defaultEEESF_EEENSH_IJSE_SG_EEENS0_18inequality_wrapperINS9_8equal_toIjEEEEPmJSF_EEE10hipError_tPvRmT3_T4_T5_T6_T7_T9_mT8_P12ihipStream_tbDpT10_ENKUlT_T0_E_clISt17integral_constantIbLb0EES1B_EEDaS16_S17_EUlS16_E_NS1_11comp_targetILNS1_3genE8ELNS1_11target_archE1030ELNS1_3gpuE2ELNS1_3repE0EEENS1_30default_config_static_selectorELNS0_4arch9wavefront6targetE0EEEvT1_,@function
_ZN7rocprim17ROCPRIM_400000_NS6detail17trampoline_kernelINS0_14default_configENS1_25partition_config_selectorILNS1_17partition_subalgoE9EjjbEEZZNS1_14partition_implILS5_9ELb0ES3_jN6thrust23THRUST_200600_302600_NS6detail15normal_iteratorINS9_10device_ptrIjEEEESE_PNS0_10empty_typeENS0_5tupleIJNS9_16discard_iteratorINS9_11use_defaultEEESF_EEENSH_IJSE_SG_EEENS0_18inequality_wrapperINS9_8equal_toIjEEEEPmJSF_EEE10hipError_tPvRmT3_T4_T5_T6_T7_T9_mT8_P12ihipStream_tbDpT10_ENKUlT_T0_E_clISt17integral_constantIbLb0EES1B_EEDaS16_S17_EUlS16_E_NS1_11comp_targetILNS1_3genE8ELNS1_11target_archE1030ELNS1_3gpuE2ELNS1_3repE0EEENS1_30default_config_static_selectorELNS0_4arch9wavefront6targetE0EEEvT1_: ; @_ZN7rocprim17ROCPRIM_400000_NS6detail17trampoline_kernelINS0_14default_configENS1_25partition_config_selectorILNS1_17partition_subalgoE9EjjbEEZZNS1_14partition_implILS5_9ELb0ES3_jN6thrust23THRUST_200600_302600_NS6detail15normal_iteratorINS9_10device_ptrIjEEEESE_PNS0_10empty_typeENS0_5tupleIJNS9_16discard_iteratorINS9_11use_defaultEEESF_EEENSH_IJSE_SG_EEENS0_18inequality_wrapperINS9_8equal_toIjEEEEPmJSF_EEE10hipError_tPvRmT3_T4_T5_T6_T7_T9_mT8_P12ihipStream_tbDpT10_ENKUlT_T0_E_clISt17integral_constantIbLb0EES1B_EEDaS16_S17_EUlS16_E_NS1_11comp_targetILNS1_3genE8ELNS1_11target_archE1030ELNS1_3gpuE2ELNS1_3repE0EEENS1_30default_config_static_selectorELNS0_4arch9wavefront6targetE0EEEvT1_
; %bb.0:
	.section	.rodata,"a",@progbits
	.p2align	6, 0x0
	.amdhsa_kernel _ZN7rocprim17ROCPRIM_400000_NS6detail17trampoline_kernelINS0_14default_configENS1_25partition_config_selectorILNS1_17partition_subalgoE9EjjbEEZZNS1_14partition_implILS5_9ELb0ES3_jN6thrust23THRUST_200600_302600_NS6detail15normal_iteratorINS9_10device_ptrIjEEEESE_PNS0_10empty_typeENS0_5tupleIJNS9_16discard_iteratorINS9_11use_defaultEEESF_EEENSH_IJSE_SG_EEENS0_18inequality_wrapperINS9_8equal_toIjEEEEPmJSF_EEE10hipError_tPvRmT3_T4_T5_T6_T7_T9_mT8_P12ihipStream_tbDpT10_ENKUlT_T0_E_clISt17integral_constantIbLb0EES1B_EEDaS16_S17_EUlS16_E_NS1_11comp_targetILNS1_3genE8ELNS1_11target_archE1030ELNS1_3gpuE2ELNS1_3repE0EEENS1_30default_config_static_selectorELNS0_4arch9wavefront6targetE0EEEvT1_
		.amdhsa_group_segment_fixed_size 0
		.amdhsa_private_segment_fixed_size 0
		.amdhsa_kernarg_size 120
		.amdhsa_user_sgpr_count 15
		.amdhsa_user_sgpr_dispatch_ptr 0
		.amdhsa_user_sgpr_queue_ptr 0
		.amdhsa_user_sgpr_kernarg_segment_ptr 1
		.amdhsa_user_sgpr_dispatch_id 0
		.amdhsa_user_sgpr_private_segment_size 0
		.amdhsa_wavefront_size32 1
		.amdhsa_uses_dynamic_stack 0
		.amdhsa_enable_private_segment 0
		.amdhsa_system_sgpr_workgroup_id_x 1
		.amdhsa_system_sgpr_workgroup_id_y 0
		.amdhsa_system_sgpr_workgroup_id_z 0
		.amdhsa_system_sgpr_workgroup_info 0
		.amdhsa_system_vgpr_workitem_id 0
		.amdhsa_next_free_vgpr 1
		.amdhsa_next_free_sgpr 1
		.amdhsa_reserve_vcc 0
		.amdhsa_float_round_mode_32 0
		.amdhsa_float_round_mode_16_64 0
		.amdhsa_float_denorm_mode_32 3
		.amdhsa_float_denorm_mode_16_64 3
		.amdhsa_dx10_clamp 1
		.amdhsa_ieee_mode 1
		.amdhsa_fp16_overflow 0
		.amdhsa_workgroup_processor_mode 1
		.amdhsa_memory_ordered 1
		.amdhsa_forward_progress 0
		.amdhsa_shared_vgpr_count 0
		.amdhsa_exception_fp_ieee_invalid_op 0
		.amdhsa_exception_fp_denorm_src 0
		.amdhsa_exception_fp_ieee_div_zero 0
		.amdhsa_exception_fp_ieee_overflow 0
		.amdhsa_exception_fp_ieee_underflow 0
		.amdhsa_exception_fp_ieee_inexact 0
		.amdhsa_exception_int_div_zero 0
	.end_amdhsa_kernel
	.section	.text._ZN7rocprim17ROCPRIM_400000_NS6detail17trampoline_kernelINS0_14default_configENS1_25partition_config_selectorILNS1_17partition_subalgoE9EjjbEEZZNS1_14partition_implILS5_9ELb0ES3_jN6thrust23THRUST_200600_302600_NS6detail15normal_iteratorINS9_10device_ptrIjEEEESE_PNS0_10empty_typeENS0_5tupleIJNS9_16discard_iteratorINS9_11use_defaultEEESF_EEENSH_IJSE_SG_EEENS0_18inequality_wrapperINS9_8equal_toIjEEEEPmJSF_EEE10hipError_tPvRmT3_T4_T5_T6_T7_T9_mT8_P12ihipStream_tbDpT10_ENKUlT_T0_E_clISt17integral_constantIbLb0EES1B_EEDaS16_S17_EUlS16_E_NS1_11comp_targetILNS1_3genE8ELNS1_11target_archE1030ELNS1_3gpuE2ELNS1_3repE0EEENS1_30default_config_static_selectorELNS0_4arch9wavefront6targetE0EEEvT1_,"axG",@progbits,_ZN7rocprim17ROCPRIM_400000_NS6detail17trampoline_kernelINS0_14default_configENS1_25partition_config_selectorILNS1_17partition_subalgoE9EjjbEEZZNS1_14partition_implILS5_9ELb0ES3_jN6thrust23THRUST_200600_302600_NS6detail15normal_iteratorINS9_10device_ptrIjEEEESE_PNS0_10empty_typeENS0_5tupleIJNS9_16discard_iteratorINS9_11use_defaultEEESF_EEENSH_IJSE_SG_EEENS0_18inequality_wrapperINS9_8equal_toIjEEEEPmJSF_EEE10hipError_tPvRmT3_T4_T5_T6_T7_T9_mT8_P12ihipStream_tbDpT10_ENKUlT_T0_E_clISt17integral_constantIbLb0EES1B_EEDaS16_S17_EUlS16_E_NS1_11comp_targetILNS1_3genE8ELNS1_11target_archE1030ELNS1_3gpuE2ELNS1_3repE0EEENS1_30default_config_static_selectorELNS0_4arch9wavefront6targetE0EEEvT1_,comdat
.Lfunc_end860:
	.size	_ZN7rocprim17ROCPRIM_400000_NS6detail17trampoline_kernelINS0_14default_configENS1_25partition_config_selectorILNS1_17partition_subalgoE9EjjbEEZZNS1_14partition_implILS5_9ELb0ES3_jN6thrust23THRUST_200600_302600_NS6detail15normal_iteratorINS9_10device_ptrIjEEEESE_PNS0_10empty_typeENS0_5tupleIJNS9_16discard_iteratorINS9_11use_defaultEEESF_EEENSH_IJSE_SG_EEENS0_18inequality_wrapperINS9_8equal_toIjEEEEPmJSF_EEE10hipError_tPvRmT3_T4_T5_T6_T7_T9_mT8_P12ihipStream_tbDpT10_ENKUlT_T0_E_clISt17integral_constantIbLb0EES1B_EEDaS16_S17_EUlS16_E_NS1_11comp_targetILNS1_3genE8ELNS1_11target_archE1030ELNS1_3gpuE2ELNS1_3repE0EEENS1_30default_config_static_selectorELNS0_4arch9wavefront6targetE0EEEvT1_, .Lfunc_end860-_ZN7rocprim17ROCPRIM_400000_NS6detail17trampoline_kernelINS0_14default_configENS1_25partition_config_selectorILNS1_17partition_subalgoE9EjjbEEZZNS1_14partition_implILS5_9ELb0ES3_jN6thrust23THRUST_200600_302600_NS6detail15normal_iteratorINS9_10device_ptrIjEEEESE_PNS0_10empty_typeENS0_5tupleIJNS9_16discard_iteratorINS9_11use_defaultEEESF_EEENSH_IJSE_SG_EEENS0_18inequality_wrapperINS9_8equal_toIjEEEEPmJSF_EEE10hipError_tPvRmT3_T4_T5_T6_T7_T9_mT8_P12ihipStream_tbDpT10_ENKUlT_T0_E_clISt17integral_constantIbLb0EES1B_EEDaS16_S17_EUlS16_E_NS1_11comp_targetILNS1_3genE8ELNS1_11target_archE1030ELNS1_3gpuE2ELNS1_3repE0EEENS1_30default_config_static_selectorELNS0_4arch9wavefront6targetE0EEEvT1_
                                        ; -- End function
	.section	.AMDGPU.csdata,"",@progbits
; Kernel info:
; codeLenInByte = 0
; NumSgprs: 0
; NumVgprs: 0
; ScratchSize: 0
; MemoryBound: 0
; FloatMode: 240
; IeeeMode: 1
; LDSByteSize: 0 bytes/workgroup (compile time only)
; SGPRBlocks: 0
; VGPRBlocks: 0
; NumSGPRsForWavesPerEU: 1
; NumVGPRsForWavesPerEU: 1
; Occupancy: 16
; WaveLimiterHint : 0
; COMPUTE_PGM_RSRC2:SCRATCH_EN: 0
; COMPUTE_PGM_RSRC2:USER_SGPR: 15
; COMPUTE_PGM_RSRC2:TRAP_HANDLER: 0
; COMPUTE_PGM_RSRC2:TGID_X_EN: 1
; COMPUTE_PGM_RSRC2:TGID_Y_EN: 0
; COMPUTE_PGM_RSRC2:TGID_Z_EN: 0
; COMPUTE_PGM_RSRC2:TIDIG_COMP_CNT: 0
	.section	.text._ZN7rocprim17ROCPRIM_400000_NS6detail17trampoline_kernelINS0_14default_configENS1_25partition_config_selectorILNS1_17partition_subalgoE9EjjbEEZZNS1_14partition_implILS5_9ELb0ES3_jN6thrust23THRUST_200600_302600_NS6detail15normal_iteratorINS9_10device_ptrIjEEEESE_PNS0_10empty_typeENS0_5tupleIJNS9_16discard_iteratorINS9_11use_defaultEEESF_EEENSH_IJSE_SG_EEENS0_18inequality_wrapperINS9_8equal_toIjEEEEPmJSF_EEE10hipError_tPvRmT3_T4_T5_T6_T7_T9_mT8_P12ihipStream_tbDpT10_ENKUlT_T0_E_clISt17integral_constantIbLb1EES1B_EEDaS16_S17_EUlS16_E_NS1_11comp_targetILNS1_3genE0ELNS1_11target_archE4294967295ELNS1_3gpuE0ELNS1_3repE0EEENS1_30default_config_static_selectorELNS0_4arch9wavefront6targetE0EEEvT1_,"axG",@progbits,_ZN7rocprim17ROCPRIM_400000_NS6detail17trampoline_kernelINS0_14default_configENS1_25partition_config_selectorILNS1_17partition_subalgoE9EjjbEEZZNS1_14partition_implILS5_9ELb0ES3_jN6thrust23THRUST_200600_302600_NS6detail15normal_iteratorINS9_10device_ptrIjEEEESE_PNS0_10empty_typeENS0_5tupleIJNS9_16discard_iteratorINS9_11use_defaultEEESF_EEENSH_IJSE_SG_EEENS0_18inequality_wrapperINS9_8equal_toIjEEEEPmJSF_EEE10hipError_tPvRmT3_T4_T5_T6_T7_T9_mT8_P12ihipStream_tbDpT10_ENKUlT_T0_E_clISt17integral_constantIbLb1EES1B_EEDaS16_S17_EUlS16_E_NS1_11comp_targetILNS1_3genE0ELNS1_11target_archE4294967295ELNS1_3gpuE0ELNS1_3repE0EEENS1_30default_config_static_selectorELNS0_4arch9wavefront6targetE0EEEvT1_,comdat
	.protected	_ZN7rocprim17ROCPRIM_400000_NS6detail17trampoline_kernelINS0_14default_configENS1_25partition_config_selectorILNS1_17partition_subalgoE9EjjbEEZZNS1_14partition_implILS5_9ELb0ES3_jN6thrust23THRUST_200600_302600_NS6detail15normal_iteratorINS9_10device_ptrIjEEEESE_PNS0_10empty_typeENS0_5tupleIJNS9_16discard_iteratorINS9_11use_defaultEEESF_EEENSH_IJSE_SG_EEENS0_18inequality_wrapperINS9_8equal_toIjEEEEPmJSF_EEE10hipError_tPvRmT3_T4_T5_T6_T7_T9_mT8_P12ihipStream_tbDpT10_ENKUlT_T0_E_clISt17integral_constantIbLb1EES1B_EEDaS16_S17_EUlS16_E_NS1_11comp_targetILNS1_3genE0ELNS1_11target_archE4294967295ELNS1_3gpuE0ELNS1_3repE0EEENS1_30default_config_static_selectorELNS0_4arch9wavefront6targetE0EEEvT1_ ; -- Begin function _ZN7rocprim17ROCPRIM_400000_NS6detail17trampoline_kernelINS0_14default_configENS1_25partition_config_selectorILNS1_17partition_subalgoE9EjjbEEZZNS1_14partition_implILS5_9ELb0ES3_jN6thrust23THRUST_200600_302600_NS6detail15normal_iteratorINS9_10device_ptrIjEEEESE_PNS0_10empty_typeENS0_5tupleIJNS9_16discard_iteratorINS9_11use_defaultEEESF_EEENSH_IJSE_SG_EEENS0_18inequality_wrapperINS9_8equal_toIjEEEEPmJSF_EEE10hipError_tPvRmT3_T4_T5_T6_T7_T9_mT8_P12ihipStream_tbDpT10_ENKUlT_T0_E_clISt17integral_constantIbLb1EES1B_EEDaS16_S17_EUlS16_E_NS1_11comp_targetILNS1_3genE0ELNS1_11target_archE4294967295ELNS1_3gpuE0ELNS1_3repE0EEENS1_30default_config_static_selectorELNS0_4arch9wavefront6targetE0EEEvT1_
	.globl	_ZN7rocprim17ROCPRIM_400000_NS6detail17trampoline_kernelINS0_14default_configENS1_25partition_config_selectorILNS1_17partition_subalgoE9EjjbEEZZNS1_14partition_implILS5_9ELb0ES3_jN6thrust23THRUST_200600_302600_NS6detail15normal_iteratorINS9_10device_ptrIjEEEESE_PNS0_10empty_typeENS0_5tupleIJNS9_16discard_iteratorINS9_11use_defaultEEESF_EEENSH_IJSE_SG_EEENS0_18inequality_wrapperINS9_8equal_toIjEEEEPmJSF_EEE10hipError_tPvRmT3_T4_T5_T6_T7_T9_mT8_P12ihipStream_tbDpT10_ENKUlT_T0_E_clISt17integral_constantIbLb1EES1B_EEDaS16_S17_EUlS16_E_NS1_11comp_targetILNS1_3genE0ELNS1_11target_archE4294967295ELNS1_3gpuE0ELNS1_3repE0EEENS1_30default_config_static_selectorELNS0_4arch9wavefront6targetE0EEEvT1_
	.p2align	8
	.type	_ZN7rocprim17ROCPRIM_400000_NS6detail17trampoline_kernelINS0_14default_configENS1_25partition_config_selectorILNS1_17partition_subalgoE9EjjbEEZZNS1_14partition_implILS5_9ELb0ES3_jN6thrust23THRUST_200600_302600_NS6detail15normal_iteratorINS9_10device_ptrIjEEEESE_PNS0_10empty_typeENS0_5tupleIJNS9_16discard_iteratorINS9_11use_defaultEEESF_EEENSH_IJSE_SG_EEENS0_18inequality_wrapperINS9_8equal_toIjEEEEPmJSF_EEE10hipError_tPvRmT3_T4_T5_T6_T7_T9_mT8_P12ihipStream_tbDpT10_ENKUlT_T0_E_clISt17integral_constantIbLb1EES1B_EEDaS16_S17_EUlS16_E_NS1_11comp_targetILNS1_3genE0ELNS1_11target_archE4294967295ELNS1_3gpuE0ELNS1_3repE0EEENS1_30default_config_static_selectorELNS0_4arch9wavefront6targetE0EEEvT1_,@function
_ZN7rocprim17ROCPRIM_400000_NS6detail17trampoline_kernelINS0_14default_configENS1_25partition_config_selectorILNS1_17partition_subalgoE9EjjbEEZZNS1_14partition_implILS5_9ELb0ES3_jN6thrust23THRUST_200600_302600_NS6detail15normal_iteratorINS9_10device_ptrIjEEEESE_PNS0_10empty_typeENS0_5tupleIJNS9_16discard_iteratorINS9_11use_defaultEEESF_EEENSH_IJSE_SG_EEENS0_18inequality_wrapperINS9_8equal_toIjEEEEPmJSF_EEE10hipError_tPvRmT3_T4_T5_T6_T7_T9_mT8_P12ihipStream_tbDpT10_ENKUlT_T0_E_clISt17integral_constantIbLb1EES1B_EEDaS16_S17_EUlS16_E_NS1_11comp_targetILNS1_3genE0ELNS1_11target_archE4294967295ELNS1_3gpuE0ELNS1_3repE0EEENS1_30default_config_static_selectorELNS0_4arch9wavefront6targetE0EEEvT1_: ; @_ZN7rocprim17ROCPRIM_400000_NS6detail17trampoline_kernelINS0_14default_configENS1_25partition_config_selectorILNS1_17partition_subalgoE9EjjbEEZZNS1_14partition_implILS5_9ELb0ES3_jN6thrust23THRUST_200600_302600_NS6detail15normal_iteratorINS9_10device_ptrIjEEEESE_PNS0_10empty_typeENS0_5tupleIJNS9_16discard_iteratorINS9_11use_defaultEEESF_EEENSH_IJSE_SG_EEENS0_18inequality_wrapperINS9_8equal_toIjEEEEPmJSF_EEE10hipError_tPvRmT3_T4_T5_T6_T7_T9_mT8_P12ihipStream_tbDpT10_ENKUlT_T0_E_clISt17integral_constantIbLb1EES1B_EEDaS16_S17_EUlS16_E_NS1_11comp_targetILNS1_3genE0ELNS1_11target_archE4294967295ELNS1_3gpuE0ELNS1_3repE0EEENS1_30default_config_static_selectorELNS0_4arch9wavefront6targetE0EEEvT1_
; %bb.0:
	.section	.rodata,"a",@progbits
	.p2align	6, 0x0
	.amdhsa_kernel _ZN7rocprim17ROCPRIM_400000_NS6detail17trampoline_kernelINS0_14default_configENS1_25partition_config_selectorILNS1_17partition_subalgoE9EjjbEEZZNS1_14partition_implILS5_9ELb0ES3_jN6thrust23THRUST_200600_302600_NS6detail15normal_iteratorINS9_10device_ptrIjEEEESE_PNS0_10empty_typeENS0_5tupleIJNS9_16discard_iteratorINS9_11use_defaultEEESF_EEENSH_IJSE_SG_EEENS0_18inequality_wrapperINS9_8equal_toIjEEEEPmJSF_EEE10hipError_tPvRmT3_T4_T5_T6_T7_T9_mT8_P12ihipStream_tbDpT10_ENKUlT_T0_E_clISt17integral_constantIbLb1EES1B_EEDaS16_S17_EUlS16_E_NS1_11comp_targetILNS1_3genE0ELNS1_11target_archE4294967295ELNS1_3gpuE0ELNS1_3repE0EEENS1_30default_config_static_selectorELNS0_4arch9wavefront6targetE0EEEvT1_
		.amdhsa_group_segment_fixed_size 0
		.amdhsa_private_segment_fixed_size 0
		.amdhsa_kernarg_size 136
		.amdhsa_user_sgpr_count 15
		.amdhsa_user_sgpr_dispatch_ptr 0
		.amdhsa_user_sgpr_queue_ptr 0
		.amdhsa_user_sgpr_kernarg_segment_ptr 1
		.amdhsa_user_sgpr_dispatch_id 0
		.amdhsa_user_sgpr_private_segment_size 0
		.amdhsa_wavefront_size32 1
		.amdhsa_uses_dynamic_stack 0
		.amdhsa_enable_private_segment 0
		.amdhsa_system_sgpr_workgroup_id_x 1
		.amdhsa_system_sgpr_workgroup_id_y 0
		.amdhsa_system_sgpr_workgroup_id_z 0
		.amdhsa_system_sgpr_workgroup_info 0
		.amdhsa_system_vgpr_workitem_id 0
		.amdhsa_next_free_vgpr 1
		.amdhsa_next_free_sgpr 1
		.amdhsa_reserve_vcc 0
		.amdhsa_float_round_mode_32 0
		.amdhsa_float_round_mode_16_64 0
		.amdhsa_float_denorm_mode_32 3
		.amdhsa_float_denorm_mode_16_64 3
		.amdhsa_dx10_clamp 1
		.amdhsa_ieee_mode 1
		.amdhsa_fp16_overflow 0
		.amdhsa_workgroup_processor_mode 1
		.amdhsa_memory_ordered 1
		.amdhsa_forward_progress 0
		.amdhsa_shared_vgpr_count 0
		.amdhsa_exception_fp_ieee_invalid_op 0
		.amdhsa_exception_fp_denorm_src 0
		.amdhsa_exception_fp_ieee_div_zero 0
		.amdhsa_exception_fp_ieee_overflow 0
		.amdhsa_exception_fp_ieee_underflow 0
		.amdhsa_exception_fp_ieee_inexact 0
		.amdhsa_exception_int_div_zero 0
	.end_amdhsa_kernel
	.section	.text._ZN7rocprim17ROCPRIM_400000_NS6detail17trampoline_kernelINS0_14default_configENS1_25partition_config_selectorILNS1_17partition_subalgoE9EjjbEEZZNS1_14partition_implILS5_9ELb0ES3_jN6thrust23THRUST_200600_302600_NS6detail15normal_iteratorINS9_10device_ptrIjEEEESE_PNS0_10empty_typeENS0_5tupleIJNS9_16discard_iteratorINS9_11use_defaultEEESF_EEENSH_IJSE_SG_EEENS0_18inequality_wrapperINS9_8equal_toIjEEEEPmJSF_EEE10hipError_tPvRmT3_T4_T5_T6_T7_T9_mT8_P12ihipStream_tbDpT10_ENKUlT_T0_E_clISt17integral_constantIbLb1EES1B_EEDaS16_S17_EUlS16_E_NS1_11comp_targetILNS1_3genE0ELNS1_11target_archE4294967295ELNS1_3gpuE0ELNS1_3repE0EEENS1_30default_config_static_selectorELNS0_4arch9wavefront6targetE0EEEvT1_,"axG",@progbits,_ZN7rocprim17ROCPRIM_400000_NS6detail17trampoline_kernelINS0_14default_configENS1_25partition_config_selectorILNS1_17partition_subalgoE9EjjbEEZZNS1_14partition_implILS5_9ELb0ES3_jN6thrust23THRUST_200600_302600_NS6detail15normal_iteratorINS9_10device_ptrIjEEEESE_PNS0_10empty_typeENS0_5tupleIJNS9_16discard_iteratorINS9_11use_defaultEEESF_EEENSH_IJSE_SG_EEENS0_18inequality_wrapperINS9_8equal_toIjEEEEPmJSF_EEE10hipError_tPvRmT3_T4_T5_T6_T7_T9_mT8_P12ihipStream_tbDpT10_ENKUlT_T0_E_clISt17integral_constantIbLb1EES1B_EEDaS16_S17_EUlS16_E_NS1_11comp_targetILNS1_3genE0ELNS1_11target_archE4294967295ELNS1_3gpuE0ELNS1_3repE0EEENS1_30default_config_static_selectorELNS0_4arch9wavefront6targetE0EEEvT1_,comdat
.Lfunc_end861:
	.size	_ZN7rocprim17ROCPRIM_400000_NS6detail17trampoline_kernelINS0_14default_configENS1_25partition_config_selectorILNS1_17partition_subalgoE9EjjbEEZZNS1_14partition_implILS5_9ELb0ES3_jN6thrust23THRUST_200600_302600_NS6detail15normal_iteratorINS9_10device_ptrIjEEEESE_PNS0_10empty_typeENS0_5tupleIJNS9_16discard_iteratorINS9_11use_defaultEEESF_EEENSH_IJSE_SG_EEENS0_18inequality_wrapperINS9_8equal_toIjEEEEPmJSF_EEE10hipError_tPvRmT3_T4_T5_T6_T7_T9_mT8_P12ihipStream_tbDpT10_ENKUlT_T0_E_clISt17integral_constantIbLb1EES1B_EEDaS16_S17_EUlS16_E_NS1_11comp_targetILNS1_3genE0ELNS1_11target_archE4294967295ELNS1_3gpuE0ELNS1_3repE0EEENS1_30default_config_static_selectorELNS0_4arch9wavefront6targetE0EEEvT1_, .Lfunc_end861-_ZN7rocprim17ROCPRIM_400000_NS6detail17trampoline_kernelINS0_14default_configENS1_25partition_config_selectorILNS1_17partition_subalgoE9EjjbEEZZNS1_14partition_implILS5_9ELb0ES3_jN6thrust23THRUST_200600_302600_NS6detail15normal_iteratorINS9_10device_ptrIjEEEESE_PNS0_10empty_typeENS0_5tupleIJNS9_16discard_iteratorINS9_11use_defaultEEESF_EEENSH_IJSE_SG_EEENS0_18inequality_wrapperINS9_8equal_toIjEEEEPmJSF_EEE10hipError_tPvRmT3_T4_T5_T6_T7_T9_mT8_P12ihipStream_tbDpT10_ENKUlT_T0_E_clISt17integral_constantIbLb1EES1B_EEDaS16_S17_EUlS16_E_NS1_11comp_targetILNS1_3genE0ELNS1_11target_archE4294967295ELNS1_3gpuE0ELNS1_3repE0EEENS1_30default_config_static_selectorELNS0_4arch9wavefront6targetE0EEEvT1_
                                        ; -- End function
	.section	.AMDGPU.csdata,"",@progbits
; Kernel info:
; codeLenInByte = 0
; NumSgprs: 0
; NumVgprs: 0
; ScratchSize: 0
; MemoryBound: 0
; FloatMode: 240
; IeeeMode: 1
; LDSByteSize: 0 bytes/workgroup (compile time only)
; SGPRBlocks: 0
; VGPRBlocks: 0
; NumSGPRsForWavesPerEU: 1
; NumVGPRsForWavesPerEU: 1
; Occupancy: 16
; WaveLimiterHint : 0
; COMPUTE_PGM_RSRC2:SCRATCH_EN: 0
; COMPUTE_PGM_RSRC2:USER_SGPR: 15
; COMPUTE_PGM_RSRC2:TRAP_HANDLER: 0
; COMPUTE_PGM_RSRC2:TGID_X_EN: 1
; COMPUTE_PGM_RSRC2:TGID_Y_EN: 0
; COMPUTE_PGM_RSRC2:TGID_Z_EN: 0
; COMPUTE_PGM_RSRC2:TIDIG_COMP_CNT: 0
	.section	.text._ZN7rocprim17ROCPRIM_400000_NS6detail17trampoline_kernelINS0_14default_configENS1_25partition_config_selectorILNS1_17partition_subalgoE9EjjbEEZZNS1_14partition_implILS5_9ELb0ES3_jN6thrust23THRUST_200600_302600_NS6detail15normal_iteratorINS9_10device_ptrIjEEEESE_PNS0_10empty_typeENS0_5tupleIJNS9_16discard_iteratorINS9_11use_defaultEEESF_EEENSH_IJSE_SG_EEENS0_18inequality_wrapperINS9_8equal_toIjEEEEPmJSF_EEE10hipError_tPvRmT3_T4_T5_T6_T7_T9_mT8_P12ihipStream_tbDpT10_ENKUlT_T0_E_clISt17integral_constantIbLb1EES1B_EEDaS16_S17_EUlS16_E_NS1_11comp_targetILNS1_3genE5ELNS1_11target_archE942ELNS1_3gpuE9ELNS1_3repE0EEENS1_30default_config_static_selectorELNS0_4arch9wavefront6targetE0EEEvT1_,"axG",@progbits,_ZN7rocprim17ROCPRIM_400000_NS6detail17trampoline_kernelINS0_14default_configENS1_25partition_config_selectorILNS1_17partition_subalgoE9EjjbEEZZNS1_14partition_implILS5_9ELb0ES3_jN6thrust23THRUST_200600_302600_NS6detail15normal_iteratorINS9_10device_ptrIjEEEESE_PNS0_10empty_typeENS0_5tupleIJNS9_16discard_iteratorINS9_11use_defaultEEESF_EEENSH_IJSE_SG_EEENS0_18inequality_wrapperINS9_8equal_toIjEEEEPmJSF_EEE10hipError_tPvRmT3_T4_T5_T6_T7_T9_mT8_P12ihipStream_tbDpT10_ENKUlT_T0_E_clISt17integral_constantIbLb1EES1B_EEDaS16_S17_EUlS16_E_NS1_11comp_targetILNS1_3genE5ELNS1_11target_archE942ELNS1_3gpuE9ELNS1_3repE0EEENS1_30default_config_static_selectorELNS0_4arch9wavefront6targetE0EEEvT1_,comdat
	.protected	_ZN7rocprim17ROCPRIM_400000_NS6detail17trampoline_kernelINS0_14default_configENS1_25partition_config_selectorILNS1_17partition_subalgoE9EjjbEEZZNS1_14partition_implILS5_9ELb0ES3_jN6thrust23THRUST_200600_302600_NS6detail15normal_iteratorINS9_10device_ptrIjEEEESE_PNS0_10empty_typeENS0_5tupleIJNS9_16discard_iteratorINS9_11use_defaultEEESF_EEENSH_IJSE_SG_EEENS0_18inequality_wrapperINS9_8equal_toIjEEEEPmJSF_EEE10hipError_tPvRmT3_T4_T5_T6_T7_T9_mT8_P12ihipStream_tbDpT10_ENKUlT_T0_E_clISt17integral_constantIbLb1EES1B_EEDaS16_S17_EUlS16_E_NS1_11comp_targetILNS1_3genE5ELNS1_11target_archE942ELNS1_3gpuE9ELNS1_3repE0EEENS1_30default_config_static_selectorELNS0_4arch9wavefront6targetE0EEEvT1_ ; -- Begin function _ZN7rocprim17ROCPRIM_400000_NS6detail17trampoline_kernelINS0_14default_configENS1_25partition_config_selectorILNS1_17partition_subalgoE9EjjbEEZZNS1_14partition_implILS5_9ELb0ES3_jN6thrust23THRUST_200600_302600_NS6detail15normal_iteratorINS9_10device_ptrIjEEEESE_PNS0_10empty_typeENS0_5tupleIJNS9_16discard_iteratorINS9_11use_defaultEEESF_EEENSH_IJSE_SG_EEENS0_18inequality_wrapperINS9_8equal_toIjEEEEPmJSF_EEE10hipError_tPvRmT3_T4_T5_T6_T7_T9_mT8_P12ihipStream_tbDpT10_ENKUlT_T0_E_clISt17integral_constantIbLb1EES1B_EEDaS16_S17_EUlS16_E_NS1_11comp_targetILNS1_3genE5ELNS1_11target_archE942ELNS1_3gpuE9ELNS1_3repE0EEENS1_30default_config_static_selectorELNS0_4arch9wavefront6targetE0EEEvT1_
	.globl	_ZN7rocprim17ROCPRIM_400000_NS6detail17trampoline_kernelINS0_14default_configENS1_25partition_config_selectorILNS1_17partition_subalgoE9EjjbEEZZNS1_14partition_implILS5_9ELb0ES3_jN6thrust23THRUST_200600_302600_NS6detail15normal_iteratorINS9_10device_ptrIjEEEESE_PNS0_10empty_typeENS0_5tupleIJNS9_16discard_iteratorINS9_11use_defaultEEESF_EEENSH_IJSE_SG_EEENS0_18inequality_wrapperINS9_8equal_toIjEEEEPmJSF_EEE10hipError_tPvRmT3_T4_T5_T6_T7_T9_mT8_P12ihipStream_tbDpT10_ENKUlT_T0_E_clISt17integral_constantIbLb1EES1B_EEDaS16_S17_EUlS16_E_NS1_11comp_targetILNS1_3genE5ELNS1_11target_archE942ELNS1_3gpuE9ELNS1_3repE0EEENS1_30default_config_static_selectorELNS0_4arch9wavefront6targetE0EEEvT1_
	.p2align	8
	.type	_ZN7rocprim17ROCPRIM_400000_NS6detail17trampoline_kernelINS0_14default_configENS1_25partition_config_selectorILNS1_17partition_subalgoE9EjjbEEZZNS1_14partition_implILS5_9ELb0ES3_jN6thrust23THRUST_200600_302600_NS6detail15normal_iteratorINS9_10device_ptrIjEEEESE_PNS0_10empty_typeENS0_5tupleIJNS9_16discard_iteratorINS9_11use_defaultEEESF_EEENSH_IJSE_SG_EEENS0_18inequality_wrapperINS9_8equal_toIjEEEEPmJSF_EEE10hipError_tPvRmT3_T4_T5_T6_T7_T9_mT8_P12ihipStream_tbDpT10_ENKUlT_T0_E_clISt17integral_constantIbLb1EES1B_EEDaS16_S17_EUlS16_E_NS1_11comp_targetILNS1_3genE5ELNS1_11target_archE942ELNS1_3gpuE9ELNS1_3repE0EEENS1_30default_config_static_selectorELNS0_4arch9wavefront6targetE0EEEvT1_,@function
_ZN7rocprim17ROCPRIM_400000_NS6detail17trampoline_kernelINS0_14default_configENS1_25partition_config_selectorILNS1_17partition_subalgoE9EjjbEEZZNS1_14partition_implILS5_9ELb0ES3_jN6thrust23THRUST_200600_302600_NS6detail15normal_iteratorINS9_10device_ptrIjEEEESE_PNS0_10empty_typeENS0_5tupleIJNS9_16discard_iteratorINS9_11use_defaultEEESF_EEENSH_IJSE_SG_EEENS0_18inequality_wrapperINS9_8equal_toIjEEEEPmJSF_EEE10hipError_tPvRmT3_T4_T5_T6_T7_T9_mT8_P12ihipStream_tbDpT10_ENKUlT_T0_E_clISt17integral_constantIbLb1EES1B_EEDaS16_S17_EUlS16_E_NS1_11comp_targetILNS1_3genE5ELNS1_11target_archE942ELNS1_3gpuE9ELNS1_3repE0EEENS1_30default_config_static_selectorELNS0_4arch9wavefront6targetE0EEEvT1_: ; @_ZN7rocprim17ROCPRIM_400000_NS6detail17trampoline_kernelINS0_14default_configENS1_25partition_config_selectorILNS1_17partition_subalgoE9EjjbEEZZNS1_14partition_implILS5_9ELb0ES3_jN6thrust23THRUST_200600_302600_NS6detail15normal_iteratorINS9_10device_ptrIjEEEESE_PNS0_10empty_typeENS0_5tupleIJNS9_16discard_iteratorINS9_11use_defaultEEESF_EEENSH_IJSE_SG_EEENS0_18inequality_wrapperINS9_8equal_toIjEEEEPmJSF_EEE10hipError_tPvRmT3_T4_T5_T6_T7_T9_mT8_P12ihipStream_tbDpT10_ENKUlT_T0_E_clISt17integral_constantIbLb1EES1B_EEDaS16_S17_EUlS16_E_NS1_11comp_targetILNS1_3genE5ELNS1_11target_archE942ELNS1_3gpuE9ELNS1_3repE0EEENS1_30default_config_static_selectorELNS0_4arch9wavefront6targetE0EEEvT1_
; %bb.0:
	.section	.rodata,"a",@progbits
	.p2align	6, 0x0
	.amdhsa_kernel _ZN7rocprim17ROCPRIM_400000_NS6detail17trampoline_kernelINS0_14default_configENS1_25partition_config_selectorILNS1_17partition_subalgoE9EjjbEEZZNS1_14partition_implILS5_9ELb0ES3_jN6thrust23THRUST_200600_302600_NS6detail15normal_iteratorINS9_10device_ptrIjEEEESE_PNS0_10empty_typeENS0_5tupleIJNS9_16discard_iteratorINS9_11use_defaultEEESF_EEENSH_IJSE_SG_EEENS0_18inequality_wrapperINS9_8equal_toIjEEEEPmJSF_EEE10hipError_tPvRmT3_T4_T5_T6_T7_T9_mT8_P12ihipStream_tbDpT10_ENKUlT_T0_E_clISt17integral_constantIbLb1EES1B_EEDaS16_S17_EUlS16_E_NS1_11comp_targetILNS1_3genE5ELNS1_11target_archE942ELNS1_3gpuE9ELNS1_3repE0EEENS1_30default_config_static_selectorELNS0_4arch9wavefront6targetE0EEEvT1_
		.amdhsa_group_segment_fixed_size 0
		.amdhsa_private_segment_fixed_size 0
		.amdhsa_kernarg_size 136
		.amdhsa_user_sgpr_count 15
		.amdhsa_user_sgpr_dispatch_ptr 0
		.amdhsa_user_sgpr_queue_ptr 0
		.amdhsa_user_sgpr_kernarg_segment_ptr 1
		.amdhsa_user_sgpr_dispatch_id 0
		.amdhsa_user_sgpr_private_segment_size 0
		.amdhsa_wavefront_size32 1
		.amdhsa_uses_dynamic_stack 0
		.amdhsa_enable_private_segment 0
		.amdhsa_system_sgpr_workgroup_id_x 1
		.amdhsa_system_sgpr_workgroup_id_y 0
		.amdhsa_system_sgpr_workgroup_id_z 0
		.amdhsa_system_sgpr_workgroup_info 0
		.amdhsa_system_vgpr_workitem_id 0
		.amdhsa_next_free_vgpr 1
		.amdhsa_next_free_sgpr 1
		.amdhsa_reserve_vcc 0
		.amdhsa_float_round_mode_32 0
		.amdhsa_float_round_mode_16_64 0
		.amdhsa_float_denorm_mode_32 3
		.amdhsa_float_denorm_mode_16_64 3
		.amdhsa_dx10_clamp 1
		.amdhsa_ieee_mode 1
		.amdhsa_fp16_overflow 0
		.amdhsa_workgroup_processor_mode 1
		.amdhsa_memory_ordered 1
		.amdhsa_forward_progress 0
		.amdhsa_shared_vgpr_count 0
		.amdhsa_exception_fp_ieee_invalid_op 0
		.amdhsa_exception_fp_denorm_src 0
		.amdhsa_exception_fp_ieee_div_zero 0
		.amdhsa_exception_fp_ieee_overflow 0
		.amdhsa_exception_fp_ieee_underflow 0
		.amdhsa_exception_fp_ieee_inexact 0
		.amdhsa_exception_int_div_zero 0
	.end_amdhsa_kernel
	.section	.text._ZN7rocprim17ROCPRIM_400000_NS6detail17trampoline_kernelINS0_14default_configENS1_25partition_config_selectorILNS1_17partition_subalgoE9EjjbEEZZNS1_14partition_implILS5_9ELb0ES3_jN6thrust23THRUST_200600_302600_NS6detail15normal_iteratorINS9_10device_ptrIjEEEESE_PNS0_10empty_typeENS0_5tupleIJNS9_16discard_iteratorINS9_11use_defaultEEESF_EEENSH_IJSE_SG_EEENS0_18inequality_wrapperINS9_8equal_toIjEEEEPmJSF_EEE10hipError_tPvRmT3_T4_T5_T6_T7_T9_mT8_P12ihipStream_tbDpT10_ENKUlT_T0_E_clISt17integral_constantIbLb1EES1B_EEDaS16_S17_EUlS16_E_NS1_11comp_targetILNS1_3genE5ELNS1_11target_archE942ELNS1_3gpuE9ELNS1_3repE0EEENS1_30default_config_static_selectorELNS0_4arch9wavefront6targetE0EEEvT1_,"axG",@progbits,_ZN7rocprim17ROCPRIM_400000_NS6detail17trampoline_kernelINS0_14default_configENS1_25partition_config_selectorILNS1_17partition_subalgoE9EjjbEEZZNS1_14partition_implILS5_9ELb0ES3_jN6thrust23THRUST_200600_302600_NS6detail15normal_iteratorINS9_10device_ptrIjEEEESE_PNS0_10empty_typeENS0_5tupleIJNS9_16discard_iteratorINS9_11use_defaultEEESF_EEENSH_IJSE_SG_EEENS0_18inequality_wrapperINS9_8equal_toIjEEEEPmJSF_EEE10hipError_tPvRmT3_T4_T5_T6_T7_T9_mT8_P12ihipStream_tbDpT10_ENKUlT_T0_E_clISt17integral_constantIbLb1EES1B_EEDaS16_S17_EUlS16_E_NS1_11comp_targetILNS1_3genE5ELNS1_11target_archE942ELNS1_3gpuE9ELNS1_3repE0EEENS1_30default_config_static_selectorELNS0_4arch9wavefront6targetE0EEEvT1_,comdat
.Lfunc_end862:
	.size	_ZN7rocprim17ROCPRIM_400000_NS6detail17trampoline_kernelINS0_14default_configENS1_25partition_config_selectorILNS1_17partition_subalgoE9EjjbEEZZNS1_14partition_implILS5_9ELb0ES3_jN6thrust23THRUST_200600_302600_NS6detail15normal_iteratorINS9_10device_ptrIjEEEESE_PNS0_10empty_typeENS0_5tupleIJNS9_16discard_iteratorINS9_11use_defaultEEESF_EEENSH_IJSE_SG_EEENS0_18inequality_wrapperINS9_8equal_toIjEEEEPmJSF_EEE10hipError_tPvRmT3_T4_T5_T6_T7_T9_mT8_P12ihipStream_tbDpT10_ENKUlT_T0_E_clISt17integral_constantIbLb1EES1B_EEDaS16_S17_EUlS16_E_NS1_11comp_targetILNS1_3genE5ELNS1_11target_archE942ELNS1_3gpuE9ELNS1_3repE0EEENS1_30default_config_static_selectorELNS0_4arch9wavefront6targetE0EEEvT1_, .Lfunc_end862-_ZN7rocprim17ROCPRIM_400000_NS6detail17trampoline_kernelINS0_14default_configENS1_25partition_config_selectorILNS1_17partition_subalgoE9EjjbEEZZNS1_14partition_implILS5_9ELb0ES3_jN6thrust23THRUST_200600_302600_NS6detail15normal_iteratorINS9_10device_ptrIjEEEESE_PNS0_10empty_typeENS0_5tupleIJNS9_16discard_iteratorINS9_11use_defaultEEESF_EEENSH_IJSE_SG_EEENS0_18inequality_wrapperINS9_8equal_toIjEEEEPmJSF_EEE10hipError_tPvRmT3_T4_T5_T6_T7_T9_mT8_P12ihipStream_tbDpT10_ENKUlT_T0_E_clISt17integral_constantIbLb1EES1B_EEDaS16_S17_EUlS16_E_NS1_11comp_targetILNS1_3genE5ELNS1_11target_archE942ELNS1_3gpuE9ELNS1_3repE0EEENS1_30default_config_static_selectorELNS0_4arch9wavefront6targetE0EEEvT1_
                                        ; -- End function
	.section	.AMDGPU.csdata,"",@progbits
; Kernel info:
; codeLenInByte = 0
; NumSgprs: 0
; NumVgprs: 0
; ScratchSize: 0
; MemoryBound: 0
; FloatMode: 240
; IeeeMode: 1
; LDSByteSize: 0 bytes/workgroup (compile time only)
; SGPRBlocks: 0
; VGPRBlocks: 0
; NumSGPRsForWavesPerEU: 1
; NumVGPRsForWavesPerEU: 1
; Occupancy: 16
; WaveLimiterHint : 0
; COMPUTE_PGM_RSRC2:SCRATCH_EN: 0
; COMPUTE_PGM_RSRC2:USER_SGPR: 15
; COMPUTE_PGM_RSRC2:TRAP_HANDLER: 0
; COMPUTE_PGM_RSRC2:TGID_X_EN: 1
; COMPUTE_PGM_RSRC2:TGID_Y_EN: 0
; COMPUTE_PGM_RSRC2:TGID_Z_EN: 0
; COMPUTE_PGM_RSRC2:TIDIG_COMP_CNT: 0
	.section	.text._ZN7rocprim17ROCPRIM_400000_NS6detail17trampoline_kernelINS0_14default_configENS1_25partition_config_selectorILNS1_17partition_subalgoE9EjjbEEZZNS1_14partition_implILS5_9ELb0ES3_jN6thrust23THRUST_200600_302600_NS6detail15normal_iteratorINS9_10device_ptrIjEEEESE_PNS0_10empty_typeENS0_5tupleIJNS9_16discard_iteratorINS9_11use_defaultEEESF_EEENSH_IJSE_SG_EEENS0_18inequality_wrapperINS9_8equal_toIjEEEEPmJSF_EEE10hipError_tPvRmT3_T4_T5_T6_T7_T9_mT8_P12ihipStream_tbDpT10_ENKUlT_T0_E_clISt17integral_constantIbLb1EES1B_EEDaS16_S17_EUlS16_E_NS1_11comp_targetILNS1_3genE4ELNS1_11target_archE910ELNS1_3gpuE8ELNS1_3repE0EEENS1_30default_config_static_selectorELNS0_4arch9wavefront6targetE0EEEvT1_,"axG",@progbits,_ZN7rocprim17ROCPRIM_400000_NS6detail17trampoline_kernelINS0_14default_configENS1_25partition_config_selectorILNS1_17partition_subalgoE9EjjbEEZZNS1_14partition_implILS5_9ELb0ES3_jN6thrust23THRUST_200600_302600_NS6detail15normal_iteratorINS9_10device_ptrIjEEEESE_PNS0_10empty_typeENS0_5tupleIJNS9_16discard_iteratorINS9_11use_defaultEEESF_EEENSH_IJSE_SG_EEENS0_18inequality_wrapperINS9_8equal_toIjEEEEPmJSF_EEE10hipError_tPvRmT3_T4_T5_T6_T7_T9_mT8_P12ihipStream_tbDpT10_ENKUlT_T0_E_clISt17integral_constantIbLb1EES1B_EEDaS16_S17_EUlS16_E_NS1_11comp_targetILNS1_3genE4ELNS1_11target_archE910ELNS1_3gpuE8ELNS1_3repE0EEENS1_30default_config_static_selectorELNS0_4arch9wavefront6targetE0EEEvT1_,comdat
	.protected	_ZN7rocprim17ROCPRIM_400000_NS6detail17trampoline_kernelINS0_14default_configENS1_25partition_config_selectorILNS1_17partition_subalgoE9EjjbEEZZNS1_14partition_implILS5_9ELb0ES3_jN6thrust23THRUST_200600_302600_NS6detail15normal_iteratorINS9_10device_ptrIjEEEESE_PNS0_10empty_typeENS0_5tupleIJNS9_16discard_iteratorINS9_11use_defaultEEESF_EEENSH_IJSE_SG_EEENS0_18inequality_wrapperINS9_8equal_toIjEEEEPmJSF_EEE10hipError_tPvRmT3_T4_T5_T6_T7_T9_mT8_P12ihipStream_tbDpT10_ENKUlT_T0_E_clISt17integral_constantIbLb1EES1B_EEDaS16_S17_EUlS16_E_NS1_11comp_targetILNS1_3genE4ELNS1_11target_archE910ELNS1_3gpuE8ELNS1_3repE0EEENS1_30default_config_static_selectorELNS0_4arch9wavefront6targetE0EEEvT1_ ; -- Begin function _ZN7rocprim17ROCPRIM_400000_NS6detail17trampoline_kernelINS0_14default_configENS1_25partition_config_selectorILNS1_17partition_subalgoE9EjjbEEZZNS1_14partition_implILS5_9ELb0ES3_jN6thrust23THRUST_200600_302600_NS6detail15normal_iteratorINS9_10device_ptrIjEEEESE_PNS0_10empty_typeENS0_5tupleIJNS9_16discard_iteratorINS9_11use_defaultEEESF_EEENSH_IJSE_SG_EEENS0_18inequality_wrapperINS9_8equal_toIjEEEEPmJSF_EEE10hipError_tPvRmT3_T4_T5_T6_T7_T9_mT8_P12ihipStream_tbDpT10_ENKUlT_T0_E_clISt17integral_constantIbLb1EES1B_EEDaS16_S17_EUlS16_E_NS1_11comp_targetILNS1_3genE4ELNS1_11target_archE910ELNS1_3gpuE8ELNS1_3repE0EEENS1_30default_config_static_selectorELNS0_4arch9wavefront6targetE0EEEvT1_
	.globl	_ZN7rocprim17ROCPRIM_400000_NS6detail17trampoline_kernelINS0_14default_configENS1_25partition_config_selectorILNS1_17partition_subalgoE9EjjbEEZZNS1_14partition_implILS5_9ELb0ES3_jN6thrust23THRUST_200600_302600_NS6detail15normal_iteratorINS9_10device_ptrIjEEEESE_PNS0_10empty_typeENS0_5tupleIJNS9_16discard_iteratorINS9_11use_defaultEEESF_EEENSH_IJSE_SG_EEENS0_18inequality_wrapperINS9_8equal_toIjEEEEPmJSF_EEE10hipError_tPvRmT3_T4_T5_T6_T7_T9_mT8_P12ihipStream_tbDpT10_ENKUlT_T0_E_clISt17integral_constantIbLb1EES1B_EEDaS16_S17_EUlS16_E_NS1_11comp_targetILNS1_3genE4ELNS1_11target_archE910ELNS1_3gpuE8ELNS1_3repE0EEENS1_30default_config_static_selectorELNS0_4arch9wavefront6targetE0EEEvT1_
	.p2align	8
	.type	_ZN7rocprim17ROCPRIM_400000_NS6detail17trampoline_kernelINS0_14default_configENS1_25partition_config_selectorILNS1_17partition_subalgoE9EjjbEEZZNS1_14partition_implILS5_9ELb0ES3_jN6thrust23THRUST_200600_302600_NS6detail15normal_iteratorINS9_10device_ptrIjEEEESE_PNS0_10empty_typeENS0_5tupleIJNS9_16discard_iteratorINS9_11use_defaultEEESF_EEENSH_IJSE_SG_EEENS0_18inequality_wrapperINS9_8equal_toIjEEEEPmJSF_EEE10hipError_tPvRmT3_T4_T5_T6_T7_T9_mT8_P12ihipStream_tbDpT10_ENKUlT_T0_E_clISt17integral_constantIbLb1EES1B_EEDaS16_S17_EUlS16_E_NS1_11comp_targetILNS1_3genE4ELNS1_11target_archE910ELNS1_3gpuE8ELNS1_3repE0EEENS1_30default_config_static_selectorELNS0_4arch9wavefront6targetE0EEEvT1_,@function
_ZN7rocprim17ROCPRIM_400000_NS6detail17trampoline_kernelINS0_14default_configENS1_25partition_config_selectorILNS1_17partition_subalgoE9EjjbEEZZNS1_14partition_implILS5_9ELb0ES3_jN6thrust23THRUST_200600_302600_NS6detail15normal_iteratorINS9_10device_ptrIjEEEESE_PNS0_10empty_typeENS0_5tupleIJNS9_16discard_iteratorINS9_11use_defaultEEESF_EEENSH_IJSE_SG_EEENS0_18inequality_wrapperINS9_8equal_toIjEEEEPmJSF_EEE10hipError_tPvRmT3_T4_T5_T6_T7_T9_mT8_P12ihipStream_tbDpT10_ENKUlT_T0_E_clISt17integral_constantIbLb1EES1B_EEDaS16_S17_EUlS16_E_NS1_11comp_targetILNS1_3genE4ELNS1_11target_archE910ELNS1_3gpuE8ELNS1_3repE0EEENS1_30default_config_static_selectorELNS0_4arch9wavefront6targetE0EEEvT1_: ; @_ZN7rocprim17ROCPRIM_400000_NS6detail17trampoline_kernelINS0_14default_configENS1_25partition_config_selectorILNS1_17partition_subalgoE9EjjbEEZZNS1_14partition_implILS5_9ELb0ES3_jN6thrust23THRUST_200600_302600_NS6detail15normal_iteratorINS9_10device_ptrIjEEEESE_PNS0_10empty_typeENS0_5tupleIJNS9_16discard_iteratorINS9_11use_defaultEEESF_EEENSH_IJSE_SG_EEENS0_18inequality_wrapperINS9_8equal_toIjEEEEPmJSF_EEE10hipError_tPvRmT3_T4_T5_T6_T7_T9_mT8_P12ihipStream_tbDpT10_ENKUlT_T0_E_clISt17integral_constantIbLb1EES1B_EEDaS16_S17_EUlS16_E_NS1_11comp_targetILNS1_3genE4ELNS1_11target_archE910ELNS1_3gpuE8ELNS1_3repE0EEENS1_30default_config_static_selectorELNS0_4arch9wavefront6targetE0EEEvT1_
; %bb.0:
	.section	.rodata,"a",@progbits
	.p2align	6, 0x0
	.amdhsa_kernel _ZN7rocprim17ROCPRIM_400000_NS6detail17trampoline_kernelINS0_14default_configENS1_25partition_config_selectorILNS1_17partition_subalgoE9EjjbEEZZNS1_14partition_implILS5_9ELb0ES3_jN6thrust23THRUST_200600_302600_NS6detail15normal_iteratorINS9_10device_ptrIjEEEESE_PNS0_10empty_typeENS0_5tupleIJNS9_16discard_iteratorINS9_11use_defaultEEESF_EEENSH_IJSE_SG_EEENS0_18inequality_wrapperINS9_8equal_toIjEEEEPmJSF_EEE10hipError_tPvRmT3_T4_T5_T6_T7_T9_mT8_P12ihipStream_tbDpT10_ENKUlT_T0_E_clISt17integral_constantIbLb1EES1B_EEDaS16_S17_EUlS16_E_NS1_11comp_targetILNS1_3genE4ELNS1_11target_archE910ELNS1_3gpuE8ELNS1_3repE0EEENS1_30default_config_static_selectorELNS0_4arch9wavefront6targetE0EEEvT1_
		.amdhsa_group_segment_fixed_size 0
		.amdhsa_private_segment_fixed_size 0
		.amdhsa_kernarg_size 136
		.amdhsa_user_sgpr_count 15
		.amdhsa_user_sgpr_dispatch_ptr 0
		.amdhsa_user_sgpr_queue_ptr 0
		.amdhsa_user_sgpr_kernarg_segment_ptr 1
		.amdhsa_user_sgpr_dispatch_id 0
		.amdhsa_user_sgpr_private_segment_size 0
		.amdhsa_wavefront_size32 1
		.amdhsa_uses_dynamic_stack 0
		.amdhsa_enable_private_segment 0
		.amdhsa_system_sgpr_workgroup_id_x 1
		.amdhsa_system_sgpr_workgroup_id_y 0
		.amdhsa_system_sgpr_workgroup_id_z 0
		.amdhsa_system_sgpr_workgroup_info 0
		.amdhsa_system_vgpr_workitem_id 0
		.amdhsa_next_free_vgpr 1
		.amdhsa_next_free_sgpr 1
		.amdhsa_reserve_vcc 0
		.amdhsa_float_round_mode_32 0
		.amdhsa_float_round_mode_16_64 0
		.amdhsa_float_denorm_mode_32 3
		.amdhsa_float_denorm_mode_16_64 3
		.amdhsa_dx10_clamp 1
		.amdhsa_ieee_mode 1
		.amdhsa_fp16_overflow 0
		.amdhsa_workgroup_processor_mode 1
		.amdhsa_memory_ordered 1
		.amdhsa_forward_progress 0
		.amdhsa_shared_vgpr_count 0
		.amdhsa_exception_fp_ieee_invalid_op 0
		.amdhsa_exception_fp_denorm_src 0
		.amdhsa_exception_fp_ieee_div_zero 0
		.amdhsa_exception_fp_ieee_overflow 0
		.amdhsa_exception_fp_ieee_underflow 0
		.amdhsa_exception_fp_ieee_inexact 0
		.amdhsa_exception_int_div_zero 0
	.end_amdhsa_kernel
	.section	.text._ZN7rocprim17ROCPRIM_400000_NS6detail17trampoline_kernelINS0_14default_configENS1_25partition_config_selectorILNS1_17partition_subalgoE9EjjbEEZZNS1_14partition_implILS5_9ELb0ES3_jN6thrust23THRUST_200600_302600_NS6detail15normal_iteratorINS9_10device_ptrIjEEEESE_PNS0_10empty_typeENS0_5tupleIJNS9_16discard_iteratorINS9_11use_defaultEEESF_EEENSH_IJSE_SG_EEENS0_18inequality_wrapperINS9_8equal_toIjEEEEPmJSF_EEE10hipError_tPvRmT3_T4_T5_T6_T7_T9_mT8_P12ihipStream_tbDpT10_ENKUlT_T0_E_clISt17integral_constantIbLb1EES1B_EEDaS16_S17_EUlS16_E_NS1_11comp_targetILNS1_3genE4ELNS1_11target_archE910ELNS1_3gpuE8ELNS1_3repE0EEENS1_30default_config_static_selectorELNS0_4arch9wavefront6targetE0EEEvT1_,"axG",@progbits,_ZN7rocprim17ROCPRIM_400000_NS6detail17trampoline_kernelINS0_14default_configENS1_25partition_config_selectorILNS1_17partition_subalgoE9EjjbEEZZNS1_14partition_implILS5_9ELb0ES3_jN6thrust23THRUST_200600_302600_NS6detail15normal_iteratorINS9_10device_ptrIjEEEESE_PNS0_10empty_typeENS0_5tupleIJNS9_16discard_iteratorINS9_11use_defaultEEESF_EEENSH_IJSE_SG_EEENS0_18inequality_wrapperINS9_8equal_toIjEEEEPmJSF_EEE10hipError_tPvRmT3_T4_T5_T6_T7_T9_mT8_P12ihipStream_tbDpT10_ENKUlT_T0_E_clISt17integral_constantIbLb1EES1B_EEDaS16_S17_EUlS16_E_NS1_11comp_targetILNS1_3genE4ELNS1_11target_archE910ELNS1_3gpuE8ELNS1_3repE0EEENS1_30default_config_static_selectorELNS0_4arch9wavefront6targetE0EEEvT1_,comdat
.Lfunc_end863:
	.size	_ZN7rocprim17ROCPRIM_400000_NS6detail17trampoline_kernelINS0_14default_configENS1_25partition_config_selectorILNS1_17partition_subalgoE9EjjbEEZZNS1_14partition_implILS5_9ELb0ES3_jN6thrust23THRUST_200600_302600_NS6detail15normal_iteratorINS9_10device_ptrIjEEEESE_PNS0_10empty_typeENS0_5tupleIJNS9_16discard_iteratorINS9_11use_defaultEEESF_EEENSH_IJSE_SG_EEENS0_18inequality_wrapperINS9_8equal_toIjEEEEPmJSF_EEE10hipError_tPvRmT3_T4_T5_T6_T7_T9_mT8_P12ihipStream_tbDpT10_ENKUlT_T0_E_clISt17integral_constantIbLb1EES1B_EEDaS16_S17_EUlS16_E_NS1_11comp_targetILNS1_3genE4ELNS1_11target_archE910ELNS1_3gpuE8ELNS1_3repE0EEENS1_30default_config_static_selectorELNS0_4arch9wavefront6targetE0EEEvT1_, .Lfunc_end863-_ZN7rocprim17ROCPRIM_400000_NS6detail17trampoline_kernelINS0_14default_configENS1_25partition_config_selectorILNS1_17partition_subalgoE9EjjbEEZZNS1_14partition_implILS5_9ELb0ES3_jN6thrust23THRUST_200600_302600_NS6detail15normal_iteratorINS9_10device_ptrIjEEEESE_PNS0_10empty_typeENS0_5tupleIJNS9_16discard_iteratorINS9_11use_defaultEEESF_EEENSH_IJSE_SG_EEENS0_18inequality_wrapperINS9_8equal_toIjEEEEPmJSF_EEE10hipError_tPvRmT3_T4_T5_T6_T7_T9_mT8_P12ihipStream_tbDpT10_ENKUlT_T0_E_clISt17integral_constantIbLb1EES1B_EEDaS16_S17_EUlS16_E_NS1_11comp_targetILNS1_3genE4ELNS1_11target_archE910ELNS1_3gpuE8ELNS1_3repE0EEENS1_30default_config_static_selectorELNS0_4arch9wavefront6targetE0EEEvT1_
                                        ; -- End function
	.section	.AMDGPU.csdata,"",@progbits
; Kernel info:
; codeLenInByte = 0
; NumSgprs: 0
; NumVgprs: 0
; ScratchSize: 0
; MemoryBound: 0
; FloatMode: 240
; IeeeMode: 1
; LDSByteSize: 0 bytes/workgroup (compile time only)
; SGPRBlocks: 0
; VGPRBlocks: 0
; NumSGPRsForWavesPerEU: 1
; NumVGPRsForWavesPerEU: 1
; Occupancy: 15
; WaveLimiterHint : 0
; COMPUTE_PGM_RSRC2:SCRATCH_EN: 0
; COMPUTE_PGM_RSRC2:USER_SGPR: 15
; COMPUTE_PGM_RSRC2:TRAP_HANDLER: 0
; COMPUTE_PGM_RSRC2:TGID_X_EN: 1
; COMPUTE_PGM_RSRC2:TGID_Y_EN: 0
; COMPUTE_PGM_RSRC2:TGID_Z_EN: 0
; COMPUTE_PGM_RSRC2:TIDIG_COMP_CNT: 0
	.section	.text._ZN7rocprim17ROCPRIM_400000_NS6detail17trampoline_kernelINS0_14default_configENS1_25partition_config_selectorILNS1_17partition_subalgoE9EjjbEEZZNS1_14partition_implILS5_9ELb0ES3_jN6thrust23THRUST_200600_302600_NS6detail15normal_iteratorINS9_10device_ptrIjEEEESE_PNS0_10empty_typeENS0_5tupleIJNS9_16discard_iteratorINS9_11use_defaultEEESF_EEENSH_IJSE_SG_EEENS0_18inequality_wrapperINS9_8equal_toIjEEEEPmJSF_EEE10hipError_tPvRmT3_T4_T5_T6_T7_T9_mT8_P12ihipStream_tbDpT10_ENKUlT_T0_E_clISt17integral_constantIbLb1EES1B_EEDaS16_S17_EUlS16_E_NS1_11comp_targetILNS1_3genE3ELNS1_11target_archE908ELNS1_3gpuE7ELNS1_3repE0EEENS1_30default_config_static_selectorELNS0_4arch9wavefront6targetE0EEEvT1_,"axG",@progbits,_ZN7rocprim17ROCPRIM_400000_NS6detail17trampoline_kernelINS0_14default_configENS1_25partition_config_selectorILNS1_17partition_subalgoE9EjjbEEZZNS1_14partition_implILS5_9ELb0ES3_jN6thrust23THRUST_200600_302600_NS6detail15normal_iteratorINS9_10device_ptrIjEEEESE_PNS0_10empty_typeENS0_5tupleIJNS9_16discard_iteratorINS9_11use_defaultEEESF_EEENSH_IJSE_SG_EEENS0_18inequality_wrapperINS9_8equal_toIjEEEEPmJSF_EEE10hipError_tPvRmT3_T4_T5_T6_T7_T9_mT8_P12ihipStream_tbDpT10_ENKUlT_T0_E_clISt17integral_constantIbLb1EES1B_EEDaS16_S17_EUlS16_E_NS1_11comp_targetILNS1_3genE3ELNS1_11target_archE908ELNS1_3gpuE7ELNS1_3repE0EEENS1_30default_config_static_selectorELNS0_4arch9wavefront6targetE0EEEvT1_,comdat
	.protected	_ZN7rocprim17ROCPRIM_400000_NS6detail17trampoline_kernelINS0_14default_configENS1_25partition_config_selectorILNS1_17partition_subalgoE9EjjbEEZZNS1_14partition_implILS5_9ELb0ES3_jN6thrust23THRUST_200600_302600_NS6detail15normal_iteratorINS9_10device_ptrIjEEEESE_PNS0_10empty_typeENS0_5tupleIJNS9_16discard_iteratorINS9_11use_defaultEEESF_EEENSH_IJSE_SG_EEENS0_18inequality_wrapperINS9_8equal_toIjEEEEPmJSF_EEE10hipError_tPvRmT3_T4_T5_T6_T7_T9_mT8_P12ihipStream_tbDpT10_ENKUlT_T0_E_clISt17integral_constantIbLb1EES1B_EEDaS16_S17_EUlS16_E_NS1_11comp_targetILNS1_3genE3ELNS1_11target_archE908ELNS1_3gpuE7ELNS1_3repE0EEENS1_30default_config_static_selectorELNS0_4arch9wavefront6targetE0EEEvT1_ ; -- Begin function _ZN7rocprim17ROCPRIM_400000_NS6detail17trampoline_kernelINS0_14default_configENS1_25partition_config_selectorILNS1_17partition_subalgoE9EjjbEEZZNS1_14partition_implILS5_9ELb0ES3_jN6thrust23THRUST_200600_302600_NS6detail15normal_iteratorINS9_10device_ptrIjEEEESE_PNS0_10empty_typeENS0_5tupleIJNS9_16discard_iteratorINS9_11use_defaultEEESF_EEENSH_IJSE_SG_EEENS0_18inequality_wrapperINS9_8equal_toIjEEEEPmJSF_EEE10hipError_tPvRmT3_T4_T5_T6_T7_T9_mT8_P12ihipStream_tbDpT10_ENKUlT_T0_E_clISt17integral_constantIbLb1EES1B_EEDaS16_S17_EUlS16_E_NS1_11comp_targetILNS1_3genE3ELNS1_11target_archE908ELNS1_3gpuE7ELNS1_3repE0EEENS1_30default_config_static_selectorELNS0_4arch9wavefront6targetE0EEEvT1_
	.globl	_ZN7rocprim17ROCPRIM_400000_NS6detail17trampoline_kernelINS0_14default_configENS1_25partition_config_selectorILNS1_17partition_subalgoE9EjjbEEZZNS1_14partition_implILS5_9ELb0ES3_jN6thrust23THRUST_200600_302600_NS6detail15normal_iteratorINS9_10device_ptrIjEEEESE_PNS0_10empty_typeENS0_5tupleIJNS9_16discard_iteratorINS9_11use_defaultEEESF_EEENSH_IJSE_SG_EEENS0_18inequality_wrapperINS9_8equal_toIjEEEEPmJSF_EEE10hipError_tPvRmT3_T4_T5_T6_T7_T9_mT8_P12ihipStream_tbDpT10_ENKUlT_T0_E_clISt17integral_constantIbLb1EES1B_EEDaS16_S17_EUlS16_E_NS1_11comp_targetILNS1_3genE3ELNS1_11target_archE908ELNS1_3gpuE7ELNS1_3repE0EEENS1_30default_config_static_selectorELNS0_4arch9wavefront6targetE0EEEvT1_
	.p2align	8
	.type	_ZN7rocprim17ROCPRIM_400000_NS6detail17trampoline_kernelINS0_14default_configENS1_25partition_config_selectorILNS1_17partition_subalgoE9EjjbEEZZNS1_14partition_implILS5_9ELb0ES3_jN6thrust23THRUST_200600_302600_NS6detail15normal_iteratorINS9_10device_ptrIjEEEESE_PNS0_10empty_typeENS0_5tupleIJNS9_16discard_iteratorINS9_11use_defaultEEESF_EEENSH_IJSE_SG_EEENS0_18inequality_wrapperINS9_8equal_toIjEEEEPmJSF_EEE10hipError_tPvRmT3_T4_T5_T6_T7_T9_mT8_P12ihipStream_tbDpT10_ENKUlT_T0_E_clISt17integral_constantIbLb1EES1B_EEDaS16_S17_EUlS16_E_NS1_11comp_targetILNS1_3genE3ELNS1_11target_archE908ELNS1_3gpuE7ELNS1_3repE0EEENS1_30default_config_static_selectorELNS0_4arch9wavefront6targetE0EEEvT1_,@function
_ZN7rocprim17ROCPRIM_400000_NS6detail17trampoline_kernelINS0_14default_configENS1_25partition_config_selectorILNS1_17partition_subalgoE9EjjbEEZZNS1_14partition_implILS5_9ELb0ES3_jN6thrust23THRUST_200600_302600_NS6detail15normal_iteratorINS9_10device_ptrIjEEEESE_PNS0_10empty_typeENS0_5tupleIJNS9_16discard_iteratorINS9_11use_defaultEEESF_EEENSH_IJSE_SG_EEENS0_18inequality_wrapperINS9_8equal_toIjEEEEPmJSF_EEE10hipError_tPvRmT3_T4_T5_T6_T7_T9_mT8_P12ihipStream_tbDpT10_ENKUlT_T0_E_clISt17integral_constantIbLb1EES1B_EEDaS16_S17_EUlS16_E_NS1_11comp_targetILNS1_3genE3ELNS1_11target_archE908ELNS1_3gpuE7ELNS1_3repE0EEENS1_30default_config_static_selectorELNS0_4arch9wavefront6targetE0EEEvT1_: ; @_ZN7rocprim17ROCPRIM_400000_NS6detail17trampoline_kernelINS0_14default_configENS1_25partition_config_selectorILNS1_17partition_subalgoE9EjjbEEZZNS1_14partition_implILS5_9ELb0ES3_jN6thrust23THRUST_200600_302600_NS6detail15normal_iteratorINS9_10device_ptrIjEEEESE_PNS0_10empty_typeENS0_5tupleIJNS9_16discard_iteratorINS9_11use_defaultEEESF_EEENSH_IJSE_SG_EEENS0_18inequality_wrapperINS9_8equal_toIjEEEEPmJSF_EEE10hipError_tPvRmT3_T4_T5_T6_T7_T9_mT8_P12ihipStream_tbDpT10_ENKUlT_T0_E_clISt17integral_constantIbLb1EES1B_EEDaS16_S17_EUlS16_E_NS1_11comp_targetILNS1_3genE3ELNS1_11target_archE908ELNS1_3gpuE7ELNS1_3repE0EEENS1_30default_config_static_selectorELNS0_4arch9wavefront6targetE0EEEvT1_
; %bb.0:
	.section	.rodata,"a",@progbits
	.p2align	6, 0x0
	.amdhsa_kernel _ZN7rocprim17ROCPRIM_400000_NS6detail17trampoline_kernelINS0_14default_configENS1_25partition_config_selectorILNS1_17partition_subalgoE9EjjbEEZZNS1_14partition_implILS5_9ELb0ES3_jN6thrust23THRUST_200600_302600_NS6detail15normal_iteratorINS9_10device_ptrIjEEEESE_PNS0_10empty_typeENS0_5tupleIJNS9_16discard_iteratorINS9_11use_defaultEEESF_EEENSH_IJSE_SG_EEENS0_18inequality_wrapperINS9_8equal_toIjEEEEPmJSF_EEE10hipError_tPvRmT3_T4_T5_T6_T7_T9_mT8_P12ihipStream_tbDpT10_ENKUlT_T0_E_clISt17integral_constantIbLb1EES1B_EEDaS16_S17_EUlS16_E_NS1_11comp_targetILNS1_3genE3ELNS1_11target_archE908ELNS1_3gpuE7ELNS1_3repE0EEENS1_30default_config_static_selectorELNS0_4arch9wavefront6targetE0EEEvT1_
		.amdhsa_group_segment_fixed_size 0
		.amdhsa_private_segment_fixed_size 0
		.amdhsa_kernarg_size 136
		.amdhsa_user_sgpr_count 15
		.amdhsa_user_sgpr_dispatch_ptr 0
		.amdhsa_user_sgpr_queue_ptr 0
		.amdhsa_user_sgpr_kernarg_segment_ptr 1
		.amdhsa_user_sgpr_dispatch_id 0
		.amdhsa_user_sgpr_private_segment_size 0
		.amdhsa_wavefront_size32 1
		.amdhsa_uses_dynamic_stack 0
		.amdhsa_enable_private_segment 0
		.amdhsa_system_sgpr_workgroup_id_x 1
		.amdhsa_system_sgpr_workgroup_id_y 0
		.amdhsa_system_sgpr_workgroup_id_z 0
		.amdhsa_system_sgpr_workgroup_info 0
		.amdhsa_system_vgpr_workitem_id 0
		.amdhsa_next_free_vgpr 1
		.amdhsa_next_free_sgpr 1
		.amdhsa_reserve_vcc 0
		.amdhsa_float_round_mode_32 0
		.amdhsa_float_round_mode_16_64 0
		.amdhsa_float_denorm_mode_32 3
		.amdhsa_float_denorm_mode_16_64 3
		.amdhsa_dx10_clamp 1
		.amdhsa_ieee_mode 1
		.amdhsa_fp16_overflow 0
		.amdhsa_workgroup_processor_mode 1
		.amdhsa_memory_ordered 1
		.amdhsa_forward_progress 0
		.amdhsa_shared_vgpr_count 0
		.amdhsa_exception_fp_ieee_invalid_op 0
		.amdhsa_exception_fp_denorm_src 0
		.amdhsa_exception_fp_ieee_div_zero 0
		.amdhsa_exception_fp_ieee_overflow 0
		.amdhsa_exception_fp_ieee_underflow 0
		.amdhsa_exception_fp_ieee_inexact 0
		.amdhsa_exception_int_div_zero 0
	.end_amdhsa_kernel
	.section	.text._ZN7rocprim17ROCPRIM_400000_NS6detail17trampoline_kernelINS0_14default_configENS1_25partition_config_selectorILNS1_17partition_subalgoE9EjjbEEZZNS1_14partition_implILS5_9ELb0ES3_jN6thrust23THRUST_200600_302600_NS6detail15normal_iteratorINS9_10device_ptrIjEEEESE_PNS0_10empty_typeENS0_5tupleIJNS9_16discard_iteratorINS9_11use_defaultEEESF_EEENSH_IJSE_SG_EEENS0_18inequality_wrapperINS9_8equal_toIjEEEEPmJSF_EEE10hipError_tPvRmT3_T4_T5_T6_T7_T9_mT8_P12ihipStream_tbDpT10_ENKUlT_T0_E_clISt17integral_constantIbLb1EES1B_EEDaS16_S17_EUlS16_E_NS1_11comp_targetILNS1_3genE3ELNS1_11target_archE908ELNS1_3gpuE7ELNS1_3repE0EEENS1_30default_config_static_selectorELNS0_4arch9wavefront6targetE0EEEvT1_,"axG",@progbits,_ZN7rocprim17ROCPRIM_400000_NS6detail17trampoline_kernelINS0_14default_configENS1_25partition_config_selectorILNS1_17partition_subalgoE9EjjbEEZZNS1_14partition_implILS5_9ELb0ES3_jN6thrust23THRUST_200600_302600_NS6detail15normal_iteratorINS9_10device_ptrIjEEEESE_PNS0_10empty_typeENS0_5tupleIJNS9_16discard_iteratorINS9_11use_defaultEEESF_EEENSH_IJSE_SG_EEENS0_18inequality_wrapperINS9_8equal_toIjEEEEPmJSF_EEE10hipError_tPvRmT3_T4_T5_T6_T7_T9_mT8_P12ihipStream_tbDpT10_ENKUlT_T0_E_clISt17integral_constantIbLb1EES1B_EEDaS16_S17_EUlS16_E_NS1_11comp_targetILNS1_3genE3ELNS1_11target_archE908ELNS1_3gpuE7ELNS1_3repE0EEENS1_30default_config_static_selectorELNS0_4arch9wavefront6targetE0EEEvT1_,comdat
.Lfunc_end864:
	.size	_ZN7rocprim17ROCPRIM_400000_NS6detail17trampoline_kernelINS0_14default_configENS1_25partition_config_selectorILNS1_17partition_subalgoE9EjjbEEZZNS1_14partition_implILS5_9ELb0ES3_jN6thrust23THRUST_200600_302600_NS6detail15normal_iteratorINS9_10device_ptrIjEEEESE_PNS0_10empty_typeENS0_5tupleIJNS9_16discard_iteratorINS9_11use_defaultEEESF_EEENSH_IJSE_SG_EEENS0_18inequality_wrapperINS9_8equal_toIjEEEEPmJSF_EEE10hipError_tPvRmT3_T4_T5_T6_T7_T9_mT8_P12ihipStream_tbDpT10_ENKUlT_T0_E_clISt17integral_constantIbLb1EES1B_EEDaS16_S17_EUlS16_E_NS1_11comp_targetILNS1_3genE3ELNS1_11target_archE908ELNS1_3gpuE7ELNS1_3repE0EEENS1_30default_config_static_selectorELNS0_4arch9wavefront6targetE0EEEvT1_, .Lfunc_end864-_ZN7rocprim17ROCPRIM_400000_NS6detail17trampoline_kernelINS0_14default_configENS1_25partition_config_selectorILNS1_17partition_subalgoE9EjjbEEZZNS1_14partition_implILS5_9ELb0ES3_jN6thrust23THRUST_200600_302600_NS6detail15normal_iteratorINS9_10device_ptrIjEEEESE_PNS0_10empty_typeENS0_5tupleIJNS9_16discard_iteratorINS9_11use_defaultEEESF_EEENSH_IJSE_SG_EEENS0_18inequality_wrapperINS9_8equal_toIjEEEEPmJSF_EEE10hipError_tPvRmT3_T4_T5_T6_T7_T9_mT8_P12ihipStream_tbDpT10_ENKUlT_T0_E_clISt17integral_constantIbLb1EES1B_EEDaS16_S17_EUlS16_E_NS1_11comp_targetILNS1_3genE3ELNS1_11target_archE908ELNS1_3gpuE7ELNS1_3repE0EEENS1_30default_config_static_selectorELNS0_4arch9wavefront6targetE0EEEvT1_
                                        ; -- End function
	.section	.AMDGPU.csdata,"",@progbits
; Kernel info:
; codeLenInByte = 0
; NumSgprs: 0
; NumVgprs: 0
; ScratchSize: 0
; MemoryBound: 0
; FloatMode: 240
; IeeeMode: 1
; LDSByteSize: 0 bytes/workgroup (compile time only)
; SGPRBlocks: 0
; VGPRBlocks: 0
; NumSGPRsForWavesPerEU: 1
; NumVGPRsForWavesPerEU: 1
; Occupancy: 16
; WaveLimiterHint : 0
; COMPUTE_PGM_RSRC2:SCRATCH_EN: 0
; COMPUTE_PGM_RSRC2:USER_SGPR: 15
; COMPUTE_PGM_RSRC2:TRAP_HANDLER: 0
; COMPUTE_PGM_RSRC2:TGID_X_EN: 1
; COMPUTE_PGM_RSRC2:TGID_Y_EN: 0
; COMPUTE_PGM_RSRC2:TGID_Z_EN: 0
; COMPUTE_PGM_RSRC2:TIDIG_COMP_CNT: 0
	.section	.text._ZN7rocprim17ROCPRIM_400000_NS6detail17trampoline_kernelINS0_14default_configENS1_25partition_config_selectorILNS1_17partition_subalgoE9EjjbEEZZNS1_14partition_implILS5_9ELb0ES3_jN6thrust23THRUST_200600_302600_NS6detail15normal_iteratorINS9_10device_ptrIjEEEESE_PNS0_10empty_typeENS0_5tupleIJNS9_16discard_iteratorINS9_11use_defaultEEESF_EEENSH_IJSE_SG_EEENS0_18inequality_wrapperINS9_8equal_toIjEEEEPmJSF_EEE10hipError_tPvRmT3_T4_T5_T6_T7_T9_mT8_P12ihipStream_tbDpT10_ENKUlT_T0_E_clISt17integral_constantIbLb1EES1B_EEDaS16_S17_EUlS16_E_NS1_11comp_targetILNS1_3genE2ELNS1_11target_archE906ELNS1_3gpuE6ELNS1_3repE0EEENS1_30default_config_static_selectorELNS0_4arch9wavefront6targetE0EEEvT1_,"axG",@progbits,_ZN7rocprim17ROCPRIM_400000_NS6detail17trampoline_kernelINS0_14default_configENS1_25partition_config_selectorILNS1_17partition_subalgoE9EjjbEEZZNS1_14partition_implILS5_9ELb0ES3_jN6thrust23THRUST_200600_302600_NS6detail15normal_iteratorINS9_10device_ptrIjEEEESE_PNS0_10empty_typeENS0_5tupleIJNS9_16discard_iteratorINS9_11use_defaultEEESF_EEENSH_IJSE_SG_EEENS0_18inequality_wrapperINS9_8equal_toIjEEEEPmJSF_EEE10hipError_tPvRmT3_T4_T5_T6_T7_T9_mT8_P12ihipStream_tbDpT10_ENKUlT_T0_E_clISt17integral_constantIbLb1EES1B_EEDaS16_S17_EUlS16_E_NS1_11comp_targetILNS1_3genE2ELNS1_11target_archE906ELNS1_3gpuE6ELNS1_3repE0EEENS1_30default_config_static_selectorELNS0_4arch9wavefront6targetE0EEEvT1_,comdat
	.protected	_ZN7rocprim17ROCPRIM_400000_NS6detail17trampoline_kernelINS0_14default_configENS1_25partition_config_selectorILNS1_17partition_subalgoE9EjjbEEZZNS1_14partition_implILS5_9ELb0ES3_jN6thrust23THRUST_200600_302600_NS6detail15normal_iteratorINS9_10device_ptrIjEEEESE_PNS0_10empty_typeENS0_5tupleIJNS9_16discard_iteratorINS9_11use_defaultEEESF_EEENSH_IJSE_SG_EEENS0_18inequality_wrapperINS9_8equal_toIjEEEEPmJSF_EEE10hipError_tPvRmT3_T4_T5_T6_T7_T9_mT8_P12ihipStream_tbDpT10_ENKUlT_T0_E_clISt17integral_constantIbLb1EES1B_EEDaS16_S17_EUlS16_E_NS1_11comp_targetILNS1_3genE2ELNS1_11target_archE906ELNS1_3gpuE6ELNS1_3repE0EEENS1_30default_config_static_selectorELNS0_4arch9wavefront6targetE0EEEvT1_ ; -- Begin function _ZN7rocprim17ROCPRIM_400000_NS6detail17trampoline_kernelINS0_14default_configENS1_25partition_config_selectorILNS1_17partition_subalgoE9EjjbEEZZNS1_14partition_implILS5_9ELb0ES3_jN6thrust23THRUST_200600_302600_NS6detail15normal_iteratorINS9_10device_ptrIjEEEESE_PNS0_10empty_typeENS0_5tupleIJNS9_16discard_iteratorINS9_11use_defaultEEESF_EEENSH_IJSE_SG_EEENS0_18inequality_wrapperINS9_8equal_toIjEEEEPmJSF_EEE10hipError_tPvRmT3_T4_T5_T6_T7_T9_mT8_P12ihipStream_tbDpT10_ENKUlT_T0_E_clISt17integral_constantIbLb1EES1B_EEDaS16_S17_EUlS16_E_NS1_11comp_targetILNS1_3genE2ELNS1_11target_archE906ELNS1_3gpuE6ELNS1_3repE0EEENS1_30default_config_static_selectorELNS0_4arch9wavefront6targetE0EEEvT1_
	.globl	_ZN7rocprim17ROCPRIM_400000_NS6detail17trampoline_kernelINS0_14default_configENS1_25partition_config_selectorILNS1_17partition_subalgoE9EjjbEEZZNS1_14partition_implILS5_9ELb0ES3_jN6thrust23THRUST_200600_302600_NS6detail15normal_iteratorINS9_10device_ptrIjEEEESE_PNS0_10empty_typeENS0_5tupleIJNS9_16discard_iteratorINS9_11use_defaultEEESF_EEENSH_IJSE_SG_EEENS0_18inequality_wrapperINS9_8equal_toIjEEEEPmJSF_EEE10hipError_tPvRmT3_T4_T5_T6_T7_T9_mT8_P12ihipStream_tbDpT10_ENKUlT_T0_E_clISt17integral_constantIbLb1EES1B_EEDaS16_S17_EUlS16_E_NS1_11comp_targetILNS1_3genE2ELNS1_11target_archE906ELNS1_3gpuE6ELNS1_3repE0EEENS1_30default_config_static_selectorELNS0_4arch9wavefront6targetE0EEEvT1_
	.p2align	8
	.type	_ZN7rocprim17ROCPRIM_400000_NS6detail17trampoline_kernelINS0_14default_configENS1_25partition_config_selectorILNS1_17partition_subalgoE9EjjbEEZZNS1_14partition_implILS5_9ELb0ES3_jN6thrust23THRUST_200600_302600_NS6detail15normal_iteratorINS9_10device_ptrIjEEEESE_PNS0_10empty_typeENS0_5tupleIJNS9_16discard_iteratorINS9_11use_defaultEEESF_EEENSH_IJSE_SG_EEENS0_18inequality_wrapperINS9_8equal_toIjEEEEPmJSF_EEE10hipError_tPvRmT3_T4_T5_T6_T7_T9_mT8_P12ihipStream_tbDpT10_ENKUlT_T0_E_clISt17integral_constantIbLb1EES1B_EEDaS16_S17_EUlS16_E_NS1_11comp_targetILNS1_3genE2ELNS1_11target_archE906ELNS1_3gpuE6ELNS1_3repE0EEENS1_30default_config_static_selectorELNS0_4arch9wavefront6targetE0EEEvT1_,@function
_ZN7rocprim17ROCPRIM_400000_NS6detail17trampoline_kernelINS0_14default_configENS1_25partition_config_selectorILNS1_17partition_subalgoE9EjjbEEZZNS1_14partition_implILS5_9ELb0ES3_jN6thrust23THRUST_200600_302600_NS6detail15normal_iteratorINS9_10device_ptrIjEEEESE_PNS0_10empty_typeENS0_5tupleIJNS9_16discard_iteratorINS9_11use_defaultEEESF_EEENSH_IJSE_SG_EEENS0_18inequality_wrapperINS9_8equal_toIjEEEEPmJSF_EEE10hipError_tPvRmT3_T4_T5_T6_T7_T9_mT8_P12ihipStream_tbDpT10_ENKUlT_T0_E_clISt17integral_constantIbLb1EES1B_EEDaS16_S17_EUlS16_E_NS1_11comp_targetILNS1_3genE2ELNS1_11target_archE906ELNS1_3gpuE6ELNS1_3repE0EEENS1_30default_config_static_selectorELNS0_4arch9wavefront6targetE0EEEvT1_: ; @_ZN7rocprim17ROCPRIM_400000_NS6detail17trampoline_kernelINS0_14default_configENS1_25partition_config_selectorILNS1_17partition_subalgoE9EjjbEEZZNS1_14partition_implILS5_9ELb0ES3_jN6thrust23THRUST_200600_302600_NS6detail15normal_iteratorINS9_10device_ptrIjEEEESE_PNS0_10empty_typeENS0_5tupleIJNS9_16discard_iteratorINS9_11use_defaultEEESF_EEENSH_IJSE_SG_EEENS0_18inequality_wrapperINS9_8equal_toIjEEEEPmJSF_EEE10hipError_tPvRmT3_T4_T5_T6_T7_T9_mT8_P12ihipStream_tbDpT10_ENKUlT_T0_E_clISt17integral_constantIbLb1EES1B_EEDaS16_S17_EUlS16_E_NS1_11comp_targetILNS1_3genE2ELNS1_11target_archE906ELNS1_3gpuE6ELNS1_3repE0EEENS1_30default_config_static_selectorELNS0_4arch9wavefront6targetE0EEEvT1_
; %bb.0:
	.section	.rodata,"a",@progbits
	.p2align	6, 0x0
	.amdhsa_kernel _ZN7rocprim17ROCPRIM_400000_NS6detail17trampoline_kernelINS0_14default_configENS1_25partition_config_selectorILNS1_17partition_subalgoE9EjjbEEZZNS1_14partition_implILS5_9ELb0ES3_jN6thrust23THRUST_200600_302600_NS6detail15normal_iteratorINS9_10device_ptrIjEEEESE_PNS0_10empty_typeENS0_5tupleIJNS9_16discard_iteratorINS9_11use_defaultEEESF_EEENSH_IJSE_SG_EEENS0_18inequality_wrapperINS9_8equal_toIjEEEEPmJSF_EEE10hipError_tPvRmT3_T4_T5_T6_T7_T9_mT8_P12ihipStream_tbDpT10_ENKUlT_T0_E_clISt17integral_constantIbLb1EES1B_EEDaS16_S17_EUlS16_E_NS1_11comp_targetILNS1_3genE2ELNS1_11target_archE906ELNS1_3gpuE6ELNS1_3repE0EEENS1_30default_config_static_selectorELNS0_4arch9wavefront6targetE0EEEvT1_
		.amdhsa_group_segment_fixed_size 0
		.amdhsa_private_segment_fixed_size 0
		.amdhsa_kernarg_size 136
		.amdhsa_user_sgpr_count 15
		.amdhsa_user_sgpr_dispatch_ptr 0
		.amdhsa_user_sgpr_queue_ptr 0
		.amdhsa_user_sgpr_kernarg_segment_ptr 1
		.amdhsa_user_sgpr_dispatch_id 0
		.amdhsa_user_sgpr_private_segment_size 0
		.amdhsa_wavefront_size32 1
		.amdhsa_uses_dynamic_stack 0
		.amdhsa_enable_private_segment 0
		.amdhsa_system_sgpr_workgroup_id_x 1
		.amdhsa_system_sgpr_workgroup_id_y 0
		.amdhsa_system_sgpr_workgroup_id_z 0
		.amdhsa_system_sgpr_workgroup_info 0
		.amdhsa_system_vgpr_workitem_id 0
		.amdhsa_next_free_vgpr 1
		.amdhsa_next_free_sgpr 1
		.amdhsa_reserve_vcc 0
		.amdhsa_float_round_mode_32 0
		.amdhsa_float_round_mode_16_64 0
		.amdhsa_float_denorm_mode_32 3
		.amdhsa_float_denorm_mode_16_64 3
		.amdhsa_dx10_clamp 1
		.amdhsa_ieee_mode 1
		.amdhsa_fp16_overflow 0
		.amdhsa_workgroup_processor_mode 1
		.amdhsa_memory_ordered 1
		.amdhsa_forward_progress 0
		.amdhsa_shared_vgpr_count 0
		.amdhsa_exception_fp_ieee_invalid_op 0
		.amdhsa_exception_fp_denorm_src 0
		.amdhsa_exception_fp_ieee_div_zero 0
		.amdhsa_exception_fp_ieee_overflow 0
		.amdhsa_exception_fp_ieee_underflow 0
		.amdhsa_exception_fp_ieee_inexact 0
		.amdhsa_exception_int_div_zero 0
	.end_amdhsa_kernel
	.section	.text._ZN7rocprim17ROCPRIM_400000_NS6detail17trampoline_kernelINS0_14default_configENS1_25partition_config_selectorILNS1_17partition_subalgoE9EjjbEEZZNS1_14partition_implILS5_9ELb0ES3_jN6thrust23THRUST_200600_302600_NS6detail15normal_iteratorINS9_10device_ptrIjEEEESE_PNS0_10empty_typeENS0_5tupleIJNS9_16discard_iteratorINS9_11use_defaultEEESF_EEENSH_IJSE_SG_EEENS0_18inequality_wrapperINS9_8equal_toIjEEEEPmJSF_EEE10hipError_tPvRmT3_T4_T5_T6_T7_T9_mT8_P12ihipStream_tbDpT10_ENKUlT_T0_E_clISt17integral_constantIbLb1EES1B_EEDaS16_S17_EUlS16_E_NS1_11comp_targetILNS1_3genE2ELNS1_11target_archE906ELNS1_3gpuE6ELNS1_3repE0EEENS1_30default_config_static_selectorELNS0_4arch9wavefront6targetE0EEEvT1_,"axG",@progbits,_ZN7rocprim17ROCPRIM_400000_NS6detail17trampoline_kernelINS0_14default_configENS1_25partition_config_selectorILNS1_17partition_subalgoE9EjjbEEZZNS1_14partition_implILS5_9ELb0ES3_jN6thrust23THRUST_200600_302600_NS6detail15normal_iteratorINS9_10device_ptrIjEEEESE_PNS0_10empty_typeENS0_5tupleIJNS9_16discard_iteratorINS9_11use_defaultEEESF_EEENSH_IJSE_SG_EEENS0_18inequality_wrapperINS9_8equal_toIjEEEEPmJSF_EEE10hipError_tPvRmT3_T4_T5_T6_T7_T9_mT8_P12ihipStream_tbDpT10_ENKUlT_T0_E_clISt17integral_constantIbLb1EES1B_EEDaS16_S17_EUlS16_E_NS1_11comp_targetILNS1_3genE2ELNS1_11target_archE906ELNS1_3gpuE6ELNS1_3repE0EEENS1_30default_config_static_selectorELNS0_4arch9wavefront6targetE0EEEvT1_,comdat
.Lfunc_end865:
	.size	_ZN7rocprim17ROCPRIM_400000_NS6detail17trampoline_kernelINS0_14default_configENS1_25partition_config_selectorILNS1_17partition_subalgoE9EjjbEEZZNS1_14partition_implILS5_9ELb0ES3_jN6thrust23THRUST_200600_302600_NS6detail15normal_iteratorINS9_10device_ptrIjEEEESE_PNS0_10empty_typeENS0_5tupleIJNS9_16discard_iteratorINS9_11use_defaultEEESF_EEENSH_IJSE_SG_EEENS0_18inequality_wrapperINS9_8equal_toIjEEEEPmJSF_EEE10hipError_tPvRmT3_T4_T5_T6_T7_T9_mT8_P12ihipStream_tbDpT10_ENKUlT_T0_E_clISt17integral_constantIbLb1EES1B_EEDaS16_S17_EUlS16_E_NS1_11comp_targetILNS1_3genE2ELNS1_11target_archE906ELNS1_3gpuE6ELNS1_3repE0EEENS1_30default_config_static_selectorELNS0_4arch9wavefront6targetE0EEEvT1_, .Lfunc_end865-_ZN7rocprim17ROCPRIM_400000_NS6detail17trampoline_kernelINS0_14default_configENS1_25partition_config_selectorILNS1_17partition_subalgoE9EjjbEEZZNS1_14partition_implILS5_9ELb0ES3_jN6thrust23THRUST_200600_302600_NS6detail15normal_iteratorINS9_10device_ptrIjEEEESE_PNS0_10empty_typeENS0_5tupleIJNS9_16discard_iteratorINS9_11use_defaultEEESF_EEENSH_IJSE_SG_EEENS0_18inequality_wrapperINS9_8equal_toIjEEEEPmJSF_EEE10hipError_tPvRmT3_T4_T5_T6_T7_T9_mT8_P12ihipStream_tbDpT10_ENKUlT_T0_E_clISt17integral_constantIbLb1EES1B_EEDaS16_S17_EUlS16_E_NS1_11comp_targetILNS1_3genE2ELNS1_11target_archE906ELNS1_3gpuE6ELNS1_3repE0EEENS1_30default_config_static_selectorELNS0_4arch9wavefront6targetE0EEEvT1_
                                        ; -- End function
	.section	.AMDGPU.csdata,"",@progbits
; Kernel info:
; codeLenInByte = 0
; NumSgprs: 0
; NumVgprs: 0
; ScratchSize: 0
; MemoryBound: 0
; FloatMode: 240
; IeeeMode: 1
; LDSByteSize: 0 bytes/workgroup (compile time only)
; SGPRBlocks: 0
; VGPRBlocks: 0
; NumSGPRsForWavesPerEU: 1
; NumVGPRsForWavesPerEU: 1
; Occupancy: 16
; WaveLimiterHint : 0
; COMPUTE_PGM_RSRC2:SCRATCH_EN: 0
; COMPUTE_PGM_RSRC2:USER_SGPR: 15
; COMPUTE_PGM_RSRC2:TRAP_HANDLER: 0
; COMPUTE_PGM_RSRC2:TGID_X_EN: 1
; COMPUTE_PGM_RSRC2:TGID_Y_EN: 0
; COMPUTE_PGM_RSRC2:TGID_Z_EN: 0
; COMPUTE_PGM_RSRC2:TIDIG_COMP_CNT: 0
	.section	.text._ZN7rocprim17ROCPRIM_400000_NS6detail17trampoline_kernelINS0_14default_configENS1_25partition_config_selectorILNS1_17partition_subalgoE9EjjbEEZZNS1_14partition_implILS5_9ELb0ES3_jN6thrust23THRUST_200600_302600_NS6detail15normal_iteratorINS9_10device_ptrIjEEEESE_PNS0_10empty_typeENS0_5tupleIJNS9_16discard_iteratorINS9_11use_defaultEEESF_EEENSH_IJSE_SG_EEENS0_18inequality_wrapperINS9_8equal_toIjEEEEPmJSF_EEE10hipError_tPvRmT3_T4_T5_T6_T7_T9_mT8_P12ihipStream_tbDpT10_ENKUlT_T0_E_clISt17integral_constantIbLb1EES1B_EEDaS16_S17_EUlS16_E_NS1_11comp_targetILNS1_3genE10ELNS1_11target_archE1200ELNS1_3gpuE4ELNS1_3repE0EEENS1_30default_config_static_selectorELNS0_4arch9wavefront6targetE0EEEvT1_,"axG",@progbits,_ZN7rocprim17ROCPRIM_400000_NS6detail17trampoline_kernelINS0_14default_configENS1_25partition_config_selectorILNS1_17partition_subalgoE9EjjbEEZZNS1_14partition_implILS5_9ELb0ES3_jN6thrust23THRUST_200600_302600_NS6detail15normal_iteratorINS9_10device_ptrIjEEEESE_PNS0_10empty_typeENS0_5tupleIJNS9_16discard_iteratorINS9_11use_defaultEEESF_EEENSH_IJSE_SG_EEENS0_18inequality_wrapperINS9_8equal_toIjEEEEPmJSF_EEE10hipError_tPvRmT3_T4_T5_T6_T7_T9_mT8_P12ihipStream_tbDpT10_ENKUlT_T0_E_clISt17integral_constantIbLb1EES1B_EEDaS16_S17_EUlS16_E_NS1_11comp_targetILNS1_3genE10ELNS1_11target_archE1200ELNS1_3gpuE4ELNS1_3repE0EEENS1_30default_config_static_selectorELNS0_4arch9wavefront6targetE0EEEvT1_,comdat
	.protected	_ZN7rocprim17ROCPRIM_400000_NS6detail17trampoline_kernelINS0_14default_configENS1_25partition_config_selectorILNS1_17partition_subalgoE9EjjbEEZZNS1_14partition_implILS5_9ELb0ES3_jN6thrust23THRUST_200600_302600_NS6detail15normal_iteratorINS9_10device_ptrIjEEEESE_PNS0_10empty_typeENS0_5tupleIJNS9_16discard_iteratorINS9_11use_defaultEEESF_EEENSH_IJSE_SG_EEENS0_18inequality_wrapperINS9_8equal_toIjEEEEPmJSF_EEE10hipError_tPvRmT3_T4_T5_T6_T7_T9_mT8_P12ihipStream_tbDpT10_ENKUlT_T0_E_clISt17integral_constantIbLb1EES1B_EEDaS16_S17_EUlS16_E_NS1_11comp_targetILNS1_3genE10ELNS1_11target_archE1200ELNS1_3gpuE4ELNS1_3repE0EEENS1_30default_config_static_selectorELNS0_4arch9wavefront6targetE0EEEvT1_ ; -- Begin function _ZN7rocprim17ROCPRIM_400000_NS6detail17trampoline_kernelINS0_14default_configENS1_25partition_config_selectorILNS1_17partition_subalgoE9EjjbEEZZNS1_14partition_implILS5_9ELb0ES3_jN6thrust23THRUST_200600_302600_NS6detail15normal_iteratorINS9_10device_ptrIjEEEESE_PNS0_10empty_typeENS0_5tupleIJNS9_16discard_iteratorINS9_11use_defaultEEESF_EEENSH_IJSE_SG_EEENS0_18inequality_wrapperINS9_8equal_toIjEEEEPmJSF_EEE10hipError_tPvRmT3_T4_T5_T6_T7_T9_mT8_P12ihipStream_tbDpT10_ENKUlT_T0_E_clISt17integral_constantIbLb1EES1B_EEDaS16_S17_EUlS16_E_NS1_11comp_targetILNS1_3genE10ELNS1_11target_archE1200ELNS1_3gpuE4ELNS1_3repE0EEENS1_30default_config_static_selectorELNS0_4arch9wavefront6targetE0EEEvT1_
	.globl	_ZN7rocprim17ROCPRIM_400000_NS6detail17trampoline_kernelINS0_14default_configENS1_25partition_config_selectorILNS1_17partition_subalgoE9EjjbEEZZNS1_14partition_implILS5_9ELb0ES3_jN6thrust23THRUST_200600_302600_NS6detail15normal_iteratorINS9_10device_ptrIjEEEESE_PNS0_10empty_typeENS0_5tupleIJNS9_16discard_iteratorINS9_11use_defaultEEESF_EEENSH_IJSE_SG_EEENS0_18inequality_wrapperINS9_8equal_toIjEEEEPmJSF_EEE10hipError_tPvRmT3_T4_T5_T6_T7_T9_mT8_P12ihipStream_tbDpT10_ENKUlT_T0_E_clISt17integral_constantIbLb1EES1B_EEDaS16_S17_EUlS16_E_NS1_11comp_targetILNS1_3genE10ELNS1_11target_archE1200ELNS1_3gpuE4ELNS1_3repE0EEENS1_30default_config_static_selectorELNS0_4arch9wavefront6targetE0EEEvT1_
	.p2align	8
	.type	_ZN7rocprim17ROCPRIM_400000_NS6detail17trampoline_kernelINS0_14default_configENS1_25partition_config_selectorILNS1_17partition_subalgoE9EjjbEEZZNS1_14partition_implILS5_9ELb0ES3_jN6thrust23THRUST_200600_302600_NS6detail15normal_iteratorINS9_10device_ptrIjEEEESE_PNS0_10empty_typeENS0_5tupleIJNS9_16discard_iteratorINS9_11use_defaultEEESF_EEENSH_IJSE_SG_EEENS0_18inequality_wrapperINS9_8equal_toIjEEEEPmJSF_EEE10hipError_tPvRmT3_T4_T5_T6_T7_T9_mT8_P12ihipStream_tbDpT10_ENKUlT_T0_E_clISt17integral_constantIbLb1EES1B_EEDaS16_S17_EUlS16_E_NS1_11comp_targetILNS1_3genE10ELNS1_11target_archE1200ELNS1_3gpuE4ELNS1_3repE0EEENS1_30default_config_static_selectorELNS0_4arch9wavefront6targetE0EEEvT1_,@function
_ZN7rocprim17ROCPRIM_400000_NS6detail17trampoline_kernelINS0_14default_configENS1_25partition_config_selectorILNS1_17partition_subalgoE9EjjbEEZZNS1_14partition_implILS5_9ELb0ES3_jN6thrust23THRUST_200600_302600_NS6detail15normal_iteratorINS9_10device_ptrIjEEEESE_PNS0_10empty_typeENS0_5tupleIJNS9_16discard_iteratorINS9_11use_defaultEEESF_EEENSH_IJSE_SG_EEENS0_18inequality_wrapperINS9_8equal_toIjEEEEPmJSF_EEE10hipError_tPvRmT3_T4_T5_T6_T7_T9_mT8_P12ihipStream_tbDpT10_ENKUlT_T0_E_clISt17integral_constantIbLb1EES1B_EEDaS16_S17_EUlS16_E_NS1_11comp_targetILNS1_3genE10ELNS1_11target_archE1200ELNS1_3gpuE4ELNS1_3repE0EEENS1_30default_config_static_selectorELNS0_4arch9wavefront6targetE0EEEvT1_: ; @_ZN7rocprim17ROCPRIM_400000_NS6detail17trampoline_kernelINS0_14default_configENS1_25partition_config_selectorILNS1_17partition_subalgoE9EjjbEEZZNS1_14partition_implILS5_9ELb0ES3_jN6thrust23THRUST_200600_302600_NS6detail15normal_iteratorINS9_10device_ptrIjEEEESE_PNS0_10empty_typeENS0_5tupleIJNS9_16discard_iteratorINS9_11use_defaultEEESF_EEENSH_IJSE_SG_EEENS0_18inequality_wrapperINS9_8equal_toIjEEEEPmJSF_EEE10hipError_tPvRmT3_T4_T5_T6_T7_T9_mT8_P12ihipStream_tbDpT10_ENKUlT_T0_E_clISt17integral_constantIbLb1EES1B_EEDaS16_S17_EUlS16_E_NS1_11comp_targetILNS1_3genE10ELNS1_11target_archE1200ELNS1_3gpuE4ELNS1_3repE0EEENS1_30default_config_static_selectorELNS0_4arch9wavefront6targetE0EEEvT1_
; %bb.0:
	.section	.rodata,"a",@progbits
	.p2align	6, 0x0
	.amdhsa_kernel _ZN7rocprim17ROCPRIM_400000_NS6detail17trampoline_kernelINS0_14default_configENS1_25partition_config_selectorILNS1_17partition_subalgoE9EjjbEEZZNS1_14partition_implILS5_9ELb0ES3_jN6thrust23THRUST_200600_302600_NS6detail15normal_iteratorINS9_10device_ptrIjEEEESE_PNS0_10empty_typeENS0_5tupleIJNS9_16discard_iteratorINS9_11use_defaultEEESF_EEENSH_IJSE_SG_EEENS0_18inequality_wrapperINS9_8equal_toIjEEEEPmJSF_EEE10hipError_tPvRmT3_T4_T5_T6_T7_T9_mT8_P12ihipStream_tbDpT10_ENKUlT_T0_E_clISt17integral_constantIbLb1EES1B_EEDaS16_S17_EUlS16_E_NS1_11comp_targetILNS1_3genE10ELNS1_11target_archE1200ELNS1_3gpuE4ELNS1_3repE0EEENS1_30default_config_static_selectorELNS0_4arch9wavefront6targetE0EEEvT1_
		.amdhsa_group_segment_fixed_size 0
		.amdhsa_private_segment_fixed_size 0
		.amdhsa_kernarg_size 136
		.amdhsa_user_sgpr_count 15
		.amdhsa_user_sgpr_dispatch_ptr 0
		.amdhsa_user_sgpr_queue_ptr 0
		.amdhsa_user_sgpr_kernarg_segment_ptr 1
		.amdhsa_user_sgpr_dispatch_id 0
		.amdhsa_user_sgpr_private_segment_size 0
		.amdhsa_wavefront_size32 1
		.amdhsa_uses_dynamic_stack 0
		.amdhsa_enable_private_segment 0
		.amdhsa_system_sgpr_workgroup_id_x 1
		.amdhsa_system_sgpr_workgroup_id_y 0
		.amdhsa_system_sgpr_workgroup_id_z 0
		.amdhsa_system_sgpr_workgroup_info 0
		.amdhsa_system_vgpr_workitem_id 0
		.amdhsa_next_free_vgpr 1
		.amdhsa_next_free_sgpr 1
		.amdhsa_reserve_vcc 0
		.amdhsa_float_round_mode_32 0
		.amdhsa_float_round_mode_16_64 0
		.amdhsa_float_denorm_mode_32 3
		.amdhsa_float_denorm_mode_16_64 3
		.amdhsa_dx10_clamp 1
		.amdhsa_ieee_mode 1
		.amdhsa_fp16_overflow 0
		.amdhsa_workgroup_processor_mode 1
		.amdhsa_memory_ordered 1
		.amdhsa_forward_progress 0
		.amdhsa_shared_vgpr_count 0
		.amdhsa_exception_fp_ieee_invalid_op 0
		.amdhsa_exception_fp_denorm_src 0
		.amdhsa_exception_fp_ieee_div_zero 0
		.amdhsa_exception_fp_ieee_overflow 0
		.amdhsa_exception_fp_ieee_underflow 0
		.amdhsa_exception_fp_ieee_inexact 0
		.amdhsa_exception_int_div_zero 0
	.end_amdhsa_kernel
	.section	.text._ZN7rocprim17ROCPRIM_400000_NS6detail17trampoline_kernelINS0_14default_configENS1_25partition_config_selectorILNS1_17partition_subalgoE9EjjbEEZZNS1_14partition_implILS5_9ELb0ES3_jN6thrust23THRUST_200600_302600_NS6detail15normal_iteratorINS9_10device_ptrIjEEEESE_PNS0_10empty_typeENS0_5tupleIJNS9_16discard_iteratorINS9_11use_defaultEEESF_EEENSH_IJSE_SG_EEENS0_18inequality_wrapperINS9_8equal_toIjEEEEPmJSF_EEE10hipError_tPvRmT3_T4_T5_T6_T7_T9_mT8_P12ihipStream_tbDpT10_ENKUlT_T0_E_clISt17integral_constantIbLb1EES1B_EEDaS16_S17_EUlS16_E_NS1_11comp_targetILNS1_3genE10ELNS1_11target_archE1200ELNS1_3gpuE4ELNS1_3repE0EEENS1_30default_config_static_selectorELNS0_4arch9wavefront6targetE0EEEvT1_,"axG",@progbits,_ZN7rocprim17ROCPRIM_400000_NS6detail17trampoline_kernelINS0_14default_configENS1_25partition_config_selectorILNS1_17partition_subalgoE9EjjbEEZZNS1_14partition_implILS5_9ELb0ES3_jN6thrust23THRUST_200600_302600_NS6detail15normal_iteratorINS9_10device_ptrIjEEEESE_PNS0_10empty_typeENS0_5tupleIJNS9_16discard_iteratorINS9_11use_defaultEEESF_EEENSH_IJSE_SG_EEENS0_18inequality_wrapperINS9_8equal_toIjEEEEPmJSF_EEE10hipError_tPvRmT3_T4_T5_T6_T7_T9_mT8_P12ihipStream_tbDpT10_ENKUlT_T0_E_clISt17integral_constantIbLb1EES1B_EEDaS16_S17_EUlS16_E_NS1_11comp_targetILNS1_3genE10ELNS1_11target_archE1200ELNS1_3gpuE4ELNS1_3repE0EEENS1_30default_config_static_selectorELNS0_4arch9wavefront6targetE0EEEvT1_,comdat
.Lfunc_end866:
	.size	_ZN7rocprim17ROCPRIM_400000_NS6detail17trampoline_kernelINS0_14default_configENS1_25partition_config_selectorILNS1_17partition_subalgoE9EjjbEEZZNS1_14partition_implILS5_9ELb0ES3_jN6thrust23THRUST_200600_302600_NS6detail15normal_iteratorINS9_10device_ptrIjEEEESE_PNS0_10empty_typeENS0_5tupleIJNS9_16discard_iteratorINS9_11use_defaultEEESF_EEENSH_IJSE_SG_EEENS0_18inequality_wrapperINS9_8equal_toIjEEEEPmJSF_EEE10hipError_tPvRmT3_T4_T5_T6_T7_T9_mT8_P12ihipStream_tbDpT10_ENKUlT_T0_E_clISt17integral_constantIbLb1EES1B_EEDaS16_S17_EUlS16_E_NS1_11comp_targetILNS1_3genE10ELNS1_11target_archE1200ELNS1_3gpuE4ELNS1_3repE0EEENS1_30default_config_static_selectorELNS0_4arch9wavefront6targetE0EEEvT1_, .Lfunc_end866-_ZN7rocprim17ROCPRIM_400000_NS6detail17trampoline_kernelINS0_14default_configENS1_25partition_config_selectorILNS1_17partition_subalgoE9EjjbEEZZNS1_14partition_implILS5_9ELb0ES3_jN6thrust23THRUST_200600_302600_NS6detail15normal_iteratorINS9_10device_ptrIjEEEESE_PNS0_10empty_typeENS0_5tupleIJNS9_16discard_iteratorINS9_11use_defaultEEESF_EEENSH_IJSE_SG_EEENS0_18inequality_wrapperINS9_8equal_toIjEEEEPmJSF_EEE10hipError_tPvRmT3_T4_T5_T6_T7_T9_mT8_P12ihipStream_tbDpT10_ENKUlT_T0_E_clISt17integral_constantIbLb1EES1B_EEDaS16_S17_EUlS16_E_NS1_11comp_targetILNS1_3genE10ELNS1_11target_archE1200ELNS1_3gpuE4ELNS1_3repE0EEENS1_30default_config_static_selectorELNS0_4arch9wavefront6targetE0EEEvT1_
                                        ; -- End function
	.section	.AMDGPU.csdata,"",@progbits
; Kernel info:
; codeLenInByte = 0
; NumSgprs: 0
; NumVgprs: 0
; ScratchSize: 0
; MemoryBound: 0
; FloatMode: 240
; IeeeMode: 1
; LDSByteSize: 0 bytes/workgroup (compile time only)
; SGPRBlocks: 0
; VGPRBlocks: 0
; NumSGPRsForWavesPerEU: 1
; NumVGPRsForWavesPerEU: 1
; Occupancy: 15
; WaveLimiterHint : 0
; COMPUTE_PGM_RSRC2:SCRATCH_EN: 0
; COMPUTE_PGM_RSRC2:USER_SGPR: 15
; COMPUTE_PGM_RSRC2:TRAP_HANDLER: 0
; COMPUTE_PGM_RSRC2:TGID_X_EN: 1
; COMPUTE_PGM_RSRC2:TGID_Y_EN: 0
; COMPUTE_PGM_RSRC2:TGID_Z_EN: 0
; COMPUTE_PGM_RSRC2:TIDIG_COMP_CNT: 0
	.section	.text._ZN7rocprim17ROCPRIM_400000_NS6detail17trampoline_kernelINS0_14default_configENS1_25partition_config_selectorILNS1_17partition_subalgoE9EjjbEEZZNS1_14partition_implILS5_9ELb0ES3_jN6thrust23THRUST_200600_302600_NS6detail15normal_iteratorINS9_10device_ptrIjEEEESE_PNS0_10empty_typeENS0_5tupleIJNS9_16discard_iteratorINS9_11use_defaultEEESF_EEENSH_IJSE_SG_EEENS0_18inequality_wrapperINS9_8equal_toIjEEEEPmJSF_EEE10hipError_tPvRmT3_T4_T5_T6_T7_T9_mT8_P12ihipStream_tbDpT10_ENKUlT_T0_E_clISt17integral_constantIbLb1EES1B_EEDaS16_S17_EUlS16_E_NS1_11comp_targetILNS1_3genE9ELNS1_11target_archE1100ELNS1_3gpuE3ELNS1_3repE0EEENS1_30default_config_static_selectorELNS0_4arch9wavefront6targetE0EEEvT1_,"axG",@progbits,_ZN7rocprim17ROCPRIM_400000_NS6detail17trampoline_kernelINS0_14default_configENS1_25partition_config_selectorILNS1_17partition_subalgoE9EjjbEEZZNS1_14partition_implILS5_9ELb0ES3_jN6thrust23THRUST_200600_302600_NS6detail15normal_iteratorINS9_10device_ptrIjEEEESE_PNS0_10empty_typeENS0_5tupleIJNS9_16discard_iteratorINS9_11use_defaultEEESF_EEENSH_IJSE_SG_EEENS0_18inequality_wrapperINS9_8equal_toIjEEEEPmJSF_EEE10hipError_tPvRmT3_T4_T5_T6_T7_T9_mT8_P12ihipStream_tbDpT10_ENKUlT_T0_E_clISt17integral_constantIbLb1EES1B_EEDaS16_S17_EUlS16_E_NS1_11comp_targetILNS1_3genE9ELNS1_11target_archE1100ELNS1_3gpuE3ELNS1_3repE0EEENS1_30default_config_static_selectorELNS0_4arch9wavefront6targetE0EEEvT1_,comdat
	.protected	_ZN7rocprim17ROCPRIM_400000_NS6detail17trampoline_kernelINS0_14default_configENS1_25partition_config_selectorILNS1_17partition_subalgoE9EjjbEEZZNS1_14partition_implILS5_9ELb0ES3_jN6thrust23THRUST_200600_302600_NS6detail15normal_iteratorINS9_10device_ptrIjEEEESE_PNS0_10empty_typeENS0_5tupleIJNS9_16discard_iteratorINS9_11use_defaultEEESF_EEENSH_IJSE_SG_EEENS0_18inequality_wrapperINS9_8equal_toIjEEEEPmJSF_EEE10hipError_tPvRmT3_T4_T5_T6_T7_T9_mT8_P12ihipStream_tbDpT10_ENKUlT_T0_E_clISt17integral_constantIbLb1EES1B_EEDaS16_S17_EUlS16_E_NS1_11comp_targetILNS1_3genE9ELNS1_11target_archE1100ELNS1_3gpuE3ELNS1_3repE0EEENS1_30default_config_static_selectorELNS0_4arch9wavefront6targetE0EEEvT1_ ; -- Begin function _ZN7rocprim17ROCPRIM_400000_NS6detail17trampoline_kernelINS0_14default_configENS1_25partition_config_selectorILNS1_17partition_subalgoE9EjjbEEZZNS1_14partition_implILS5_9ELb0ES3_jN6thrust23THRUST_200600_302600_NS6detail15normal_iteratorINS9_10device_ptrIjEEEESE_PNS0_10empty_typeENS0_5tupleIJNS9_16discard_iteratorINS9_11use_defaultEEESF_EEENSH_IJSE_SG_EEENS0_18inequality_wrapperINS9_8equal_toIjEEEEPmJSF_EEE10hipError_tPvRmT3_T4_T5_T6_T7_T9_mT8_P12ihipStream_tbDpT10_ENKUlT_T0_E_clISt17integral_constantIbLb1EES1B_EEDaS16_S17_EUlS16_E_NS1_11comp_targetILNS1_3genE9ELNS1_11target_archE1100ELNS1_3gpuE3ELNS1_3repE0EEENS1_30default_config_static_selectorELNS0_4arch9wavefront6targetE0EEEvT1_
	.globl	_ZN7rocprim17ROCPRIM_400000_NS6detail17trampoline_kernelINS0_14default_configENS1_25partition_config_selectorILNS1_17partition_subalgoE9EjjbEEZZNS1_14partition_implILS5_9ELb0ES3_jN6thrust23THRUST_200600_302600_NS6detail15normal_iteratorINS9_10device_ptrIjEEEESE_PNS0_10empty_typeENS0_5tupleIJNS9_16discard_iteratorINS9_11use_defaultEEESF_EEENSH_IJSE_SG_EEENS0_18inequality_wrapperINS9_8equal_toIjEEEEPmJSF_EEE10hipError_tPvRmT3_T4_T5_T6_T7_T9_mT8_P12ihipStream_tbDpT10_ENKUlT_T0_E_clISt17integral_constantIbLb1EES1B_EEDaS16_S17_EUlS16_E_NS1_11comp_targetILNS1_3genE9ELNS1_11target_archE1100ELNS1_3gpuE3ELNS1_3repE0EEENS1_30default_config_static_selectorELNS0_4arch9wavefront6targetE0EEEvT1_
	.p2align	8
	.type	_ZN7rocprim17ROCPRIM_400000_NS6detail17trampoline_kernelINS0_14default_configENS1_25partition_config_selectorILNS1_17partition_subalgoE9EjjbEEZZNS1_14partition_implILS5_9ELb0ES3_jN6thrust23THRUST_200600_302600_NS6detail15normal_iteratorINS9_10device_ptrIjEEEESE_PNS0_10empty_typeENS0_5tupleIJNS9_16discard_iteratorINS9_11use_defaultEEESF_EEENSH_IJSE_SG_EEENS0_18inequality_wrapperINS9_8equal_toIjEEEEPmJSF_EEE10hipError_tPvRmT3_T4_T5_T6_T7_T9_mT8_P12ihipStream_tbDpT10_ENKUlT_T0_E_clISt17integral_constantIbLb1EES1B_EEDaS16_S17_EUlS16_E_NS1_11comp_targetILNS1_3genE9ELNS1_11target_archE1100ELNS1_3gpuE3ELNS1_3repE0EEENS1_30default_config_static_selectorELNS0_4arch9wavefront6targetE0EEEvT1_,@function
_ZN7rocprim17ROCPRIM_400000_NS6detail17trampoline_kernelINS0_14default_configENS1_25partition_config_selectorILNS1_17partition_subalgoE9EjjbEEZZNS1_14partition_implILS5_9ELb0ES3_jN6thrust23THRUST_200600_302600_NS6detail15normal_iteratorINS9_10device_ptrIjEEEESE_PNS0_10empty_typeENS0_5tupleIJNS9_16discard_iteratorINS9_11use_defaultEEESF_EEENSH_IJSE_SG_EEENS0_18inequality_wrapperINS9_8equal_toIjEEEEPmJSF_EEE10hipError_tPvRmT3_T4_T5_T6_T7_T9_mT8_P12ihipStream_tbDpT10_ENKUlT_T0_E_clISt17integral_constantIbLb1EES1B_EEDaS16_S17_EUlS16_E_NS1_11comp_targetILNS1_3genE9ELNS1_11target_archE1100ELNS1_3gpuE3ELNS1_3repE0EEENS1_30default_config_static_selectorELNS0_4arch9wavefront6targetE0EEEvT1_: ; @_ZN7rocprim17ROCPRIM_400000_NS6detail17trampoline_kernelINS0_14default_configENS1_25partition_config_selectorILNS1_17partition_subalgoE9EjjbEEZZNS1_14partition_implILS5_9ELb0ES3_jN6thrust23THRUST_200600_302600_NS6detail15normal_iteratorINS9_10device_ptrIjEEEESE_PNS0_10empty_typeENS0_5tupleIJNS9_16discard_iteratorINS9_11use_defaultEEESF_EEENSH_IJSE_SG_EEENS0_18inequality_wrapperINS9_8equal_toIjEEEEPmJSF_EEE10hipError_tPvRmT3_T4_T5_T6_T7_T9_mT8_P12ihipStream_tbDpT10_ENKUlT_T0_E_clISt17integral_constantIbLb1EES1B_EEDaS16_S17_EUlS16_E_NS1_11comp_targetILNS1_3genE9ELNS1_11target_archE1100ELNS1_3gpuE3ELNS1_3repE0EEENS1_30default_config_static_selectorELNS0_4arch9wavefront6targetE0EEEvT1_
; %bb.0:
	s_clause 0x5
	s_load_b128 s[4:7], s[0:1], 0x8
	s_load_b64 s[8:9], s[0:1], 0x18
	s_load_b64 s[10:11], s[0:1], 0x38
	s_load_b128 s[12:15], s[0:1], 0x48
	s_load_b64 s[18:19], s[0:1], 0x58
	s_load_b64 s[16:17], s[0:1], 0x68
	v_cmp_ne_u32_e64 s3, 0, v0
	v_cmp_eq_u32_e64 s2, 0, v0
	s_delay_alu instid0(VALU_DEP_1)
	s_and_saveexec_b32 s20, s2
	s_cbranch_execz .LBB867_4
; %bb.1:
	s_mov_b32 s22, exec_lo
	s_mov_b32 s21, exec_lo
	v_mbcnt_lo_u32_b32 v1, s22, 0
                                        ; implicit-def: $vgpr2
	s_delay_alu instid0(VALU_DEP_1)
	v_cmpx_eq_u32_e32 0, v1
	s_cbranch_execz .LBB867_3
; %bb.2:
	s_load_b64 s[24:25], s[0:1], 0x78
	s_bcnt1_i32_b32 s22, s22
	s_delay_alu instid0(SALU_CYCLE_1)
	v_dual_mov_b32 v2, 0 :: v_dual_mov_b32 v3, s22
	s_waitcnt lgkmcnt(0)
	global_atomic_add_u32 v2, v2, v3, s[24:25] glc
.LBB867_3:
	s_or_b32 exec_lo, exec_lo, s21
	s_waitcnt vmcnt(0)
	v_readfirstlane_b32 s21, v2
	s_delay_alu instid0(VALU_DEP_1)
	v_dual_mov_b32 v2, 0 :: v_dual_add_nc_u32 v1, s21, v1
	ds_store_b32 v2, v1
.LBB867_4:
	s_or_b32 exec_lo, exec_lo, s20
	v_dual_mov_b32 v1, 0 :: v_dual_add_nc_u32 v24, 0x300, v0
	s_waitcnt lgkmcnt(0)
	s_barrier
	buffer_gl0_inv
	ds_load_b32 v2, v1
	s_waitcnt lgkmcnt(0)
	s_barrier
	buffer_gl0_inv
	global_load_b64 v[9:10], v1, s[14:15]
	s_load_b32 s0, s[0:1], 0x70
	s_lshl_b64 s[14:15], s[6:7], 2
	v_lshrrev_b32_e32 v23, 3, v0
	s_add_u32 s23, s4, s14
	s_addc_u32 s24, s5, s15
	v_add_nc_u32_e32 v25, 0x180, v0
	v_add_nc_u32_e32 v22, 0x480, v0
	v_or_b32_e32 v20, 0x600, v0
	v_add_nc_u32_e32 v19, 0x780, v0
	v_add_nc_u32_e32 v14, 0x900, v0
	;; [unrolled: 1-line block ×3, first 2 shown]
	v_readfirstlane_b32 s20, v2
	s_waitcnt lgkmcnt(0)
	s_mul_i32 s1, s0, 0xc00
	s_delay_alu instid0(SALU_CYCLE_1) | instskip(NEXT) | instid1(SALU_CYCLE_1)
	s_add_i32 s4, s1, s6
	s_sub_i32 s21, s18, s4
	s_add_i32 s4, s0, -1
	s_addk_i32 s21, 0xc00
	s_add_u32 s0, s6, s1
	s_addc_u32 s1, s7, 0
	s_cmp_eq_u32 s20, s4
	v_cmp_ge_u64_e64 s5, s[0:1], s[18:19]
	s_cselect_b32 s18, -1, 0
	s_mul_i32 s0, s20, 0xc00
	s_mov_b32 s1, 0
	s_delay_alu instid0(VALU_DEP_1)
	s_and_b32 s22, s5, s18
	s_lshl_b64 s[4:5], s[0:1], 2
	s_xor_b32 s19, s22, -1
	s_add_u32 s23, s23, s4
	s_addc_u32 s1, s24, s5
	s_and_b32 vcc_lo, exec_lo, s19
	s_mov_b32 s24, -1
	s_cbranch_vccz .LBB867_6
; %bb.5:
	v_lshlrev_b32_e32 v7, 2, v0
	v_lshrrev_b32_e32 v15, 3, v25
	v_lshrrev_b32_e32 v16, 3, v24
	;; [unrolled: 1-line block ×4, first 2 shown]
	v_add_co_u32 v1, s0, s23, v7
	s_delay_alu instid0(VALU_DEP_1) | instskip(SKIP_1) | instid1(VALU_DEP_3)
	v_add_co_ci_u32_e64 v2, null, s1, 0, s0
	v_lshrrev_b32_e32 v21, 3, v19
	v_add_co_u32 v3, vcc_lo, 0x1000, v1
	s_delay_alu instid0(VALU_DEP_3)
	v_add_co_ci_u32_e32 v4, vcc_lo, 0, v2, vcc_lo
	v_add_co_u32 v5, vcc_lo, 0x2000, v1
	v_add_co_ci_u32_e32 v6, vcc_lo, 0, v2, vcc_lo
	s_clause 0x7
	flat_load_b32 v8, v[1:2]
	flat_load_b32 v11, v[1:2] offset:1536
	flat_load_b32 v1, v[1:2] offset:3072
	flat_load_b32 v2, v[3:4] offset:512
	flat_load_b32 v12, v[3:4] offset:2048
	flat_load_b32 v3, v[3:4] offset:3584
	flat_load_b32 v4, v[5:6] offset:1024
	flat_load_b32 v5, v[5:6] offset:2560
	v_and_b32_e32 v6, 60, v23
	v_lshrrev_b32_e32 v26, 3, v14
	v_lshrrev_b32_e32 v27, 3, v13
	v_and_b32_e32 v15, 0x7c, v15
	v_and_b32_e32 v16, 0xfc, v16
	;; [unrolled: 1-line block ×4, first 2 shown]
	v_add_nc_u32_e32 v6, v6, v7
	v_and_b32_e32 v21, 0x1fc, v21
	v_and_b32_e32 v26, 0x17c, v26
	;; [unrolled: 1-line block ×3, first 2 shown]
	v_add_nc_u32_e32 v15, v15, v7
	v_add_nc_u32_e32 v16, v16, v7
	;; [unrolled: 1-line block ×4, first 2 shown]
	s_mov_b32 s24, 0
	v_add_nc_u32_e32 v21, v21, v7
	v_add_nc_u32_e32 v26, v26, v7
	;; [unrolled: 1-line block ×3, first 2 shown]
	s_waitcnt vmcnt(7) lgkmcnt(7)
	ds_store_b32 v6, v8
	s_waitcnt vmcnt(6) lgkmcnt(7)
	ds_store_b32 v15, v11 offset:1536
	s_waitcnt vmcnt(5) lgkmcnt(7)
	ds_store_b32 v16, v1 offset:3072
	;; [unrolled: 2-line block ×7, first 2 shown]
	s_waitcnt lgkmcnt(0)
	s_barrier
.LBB867_6:
	v_cmp_gt_u32_e64 s0, s21, v0
	s_and_not1_b32 vcc_lo, exec_lo, s24
	s_cbranch_vccnz .LBB867_24
; %bb.7:
                                        ; implicit-def: $vgpr1_vgpr2_vgpr3_vgpr4_vgpr5_vgpr6_vgpr7_vgpr8
	s_delay_alu instid0(VALU_DEP_1)
	s_and_saveexec_b32 s24, s0
	s_cbranch_execz .LBB867_15
; %bb.8:
	v_lshlrev_b32_e32 v1, 2, v0
	s_delay_alu instid0(VALU_DEP_1) | instskip(NEXT) | instid1(VALU_DEP_1)
	v_add_co_u32 v1, s0, s23, v1
	v_add_co_ci_u32_e64 v2, null, s1, 0, s0
	flat_load_b32 v1, v[1:2]
	s_or_b32 exec_lo, exec_lo, s24
	s_delay_alu instid0(SALU_CYCLE_1)
	s_mov_b32 s0, exec_lo
	v_cmpx_gt_u32_e64 s21, v25
	s_cbranch_execnz .LBB867_16
.LBB867_9:
	s_or_b32 exec_lo, exec_lo, s0
	s_delay_alu instid0(SALU_CYCLE_1)
	s_mov_b32 s0, exec_lo
	v_cmpx_gt_u32_e64 s21, v24
	s_cbranch_execz .LBB867_17
.LBB867_10:
	v_lshlrev_b32_e32 v3, 2, v0
	s_delay_alu instid0(VALU_DEP_1) | instskip(NEXT) | instid1(VALU_DEP_1)
	v_add_co_u32 v11, s24, s23, v3
	v_add_co_ci_u32_e64 v12, null, s1, 0, s24
	flat_load_b32 v3, v[11:12] offset:3072
	s_or_b32 exec_lo, exec_lo, s0
	s_delay_alu instid0(SALU_CYCLE_1)
	s_mov_b32 s0, exec_lo
	v_cmpx_gt_u32_e64 s21, v22
	s_cbranch_execnz .LBB867_18
.LBB867_11:
	s_or_b32 exec_lo, exec_lo, s0
	s_delay_alu instid0(SALU_CYCLE_1)
	s_mov_b32 s0, exec_lo
	v_cmpx_gt_u32_e64 s21, v20
	s_cbranch_execz .LBB867_19
.LBB867_12:
	v_lshlrev_b32_e32 v5, 2, v20
	s_delay_alu instid0(VALU_DEP_1) | instskip(NEXT) | instid1(VALU_DEP_1)
	v_add_co_u32 v11, s24, s23, v5
	v_add_co_ci_u32_e64 v12, null, s1, 0, s24
	flat_load_b32 v5, v[11:12]
	s_or_b32 exec_lo, exec_lo, s0
	s_delay_alu instid0(SALU_CYCLE_1)
	s_mov_b32 s0, exec_lo
	v_cmpx_gt_u32_e64 s21, v19
	s_cbranch_execnz .LBB867_20
.LBB867_13:
	s_or_b32 exec_lo, exec_lo, s0
	s_delay_alu instid0(SALU_CYCLE_1)
	s_mov_b32 s0, exec_lo
	v_cmpx_gt_u32_e64 s21, v14
	s_cbranch_execz .LBB867_21
.LBB867_14:
	v_lshlrev_b32_e32 v7, 2, v14
	s_delay_alu instid0(VALU_DEP_1) | instskip(NEXT) | instid1(VALU_DEP_1)
	v_add_co_u32 v11, s24, s23, v7
	v_add_co_ci_u32_e64 v12, null, s1, 0, s24
	flat_load_b32 v7, v[11:12]
	s_or_b32 exec_lo, exec_lo, s0
	s_delay_alu instid0(SALU_CYCLE_1)
	s_mov_b32 s0, exec_lo
	v_cmpx_gt_u32_e64 s21, v13
	s_cbranch_execnz .LBB867_22
	s_branch .LBB867_23
.LBB867_15:
	s_or_b32 exec_lo, exec_lo, s24
	s_delay_alu instid0(SALU_CYCLE_1)
	s_mov_b32 s0, exec_lo
	v_cmpx_gt_u32_e64 s21, v25
	s_cbranch_execz .LBB867_9
.LBB867_16:
	v_lshlrev_b32_e32 v2, 2, v0
	s_delay_alu instid0(VALU_DEP_1) | instskip(NEXT) | instid1(VALU_DEP_1)
	v_add_co_u32 v11, s24, s23, v2
	v_add_co_ci_u32_e64 v12, null, s1, 0, s24
	flat_load_b32 v2, v[11:12] offset:1536
	s_or_b32 exec_lo, exec_lo, s0
	s_delay_alu instid0(SALU_CYCLE_1)
	s_mov_b32 s0, exec_lo
	v_cmpx_gt_u32_e64 s21, v24
	s_cbranch_execnz .LBB867_10
.LBB867_17:
	s_or_b32 exec_lo, exec_lo, s0
	s_delay_alu instid0(SALU_CYCLE_1)
	s_mov_b32 s0, exec_lo
	v_cmpx_gt_u32_e64 s21, v22
	s_cbranch_execz .LBB867_11
.LBB867_18:
	v_lshlrev_b32_e32 v4, 2, v22
	s_delay_alu instid0(VALU_DEP_1) | instskip(NEXT) | instid1(VALU_DEP_1)
	v_add_co_u32 v11, s24, s23, v4
	v_add_co_ci_u32_e64 v12, null, s1, 0, s24
	flat_load_b32 v4, v[11:12]
	s_or_b32 exec_lo, exec_lo, s0
	s_delay_alu instid0(SALU_CYCLE_1)
	s_mov_b32 s0, exec_lo
	v_cmpx_gt_u32_e64 s21, v20
	s_cbranch_execnz .LBB867_12
.LBB867_19:
	s_or_b32 exec_lo, exec_lo, s0
	s_delay_alu instid0(SALU_CYCLE_1)
	s_mov_b32 s0, exec_lo
	v_cmpx_gt_u32_e64 s21, v19
	s_cbranch_execz .LBB867_13
.LBB867_20:
	v_lshlrev_b32_e32 v6, 2, v19
	s_delay_alu instid0(VALU_DEP_1) | instskip(NEXT) | instid1(VALU_DEP_1)
	v_add_co_u32 v11, s24, s23, v6
	v_add_co_ci_u32_e64 v12, null, s1, 0, s24
	flat_load_b32 v6, v[11:12]
	s_or_b32 exec_lo, exec_lo, s0
	s_delay_alu instid0(SALU_CYCLE_1)
	s_mov_b32 s0, exec_lo
	v_cmpx_gt_u32_e64 s21, v14
	s_cbranch_execnz .LBB867_14
.LBB867_21:
	s_or_b32 exec_lo, exec_lo, s0
	s_delay_alu instid0(SALU_CYCLE_1)
	s_mov_b32 s0, exec_lo
	v_cmpx_gt_u32_e64 s21, v13
	s_cbranch_execz .LBB867_23
.LBB867_22:
	v_lshlrev_b32_e32 v8, 2, v13
	s_delay_alu instid0(VALU_DEP_1) | instskip(NEXT) | instid1(VALU_DEP_1)
	v_add_co_u32 v11, s24, s23, v8
	v_add_co_ci_u32_e64 v12, null, s1, 0, s24
	flat_load_b32 v8, v[11:12]
.LBB867_23:
	s_or_b32 exec_lo, exec_lo, s0
	v_lshrrev_b32_e32 v11, 3, v25
	v_lshrrev_b32_e32 v12, 3, v24
	;; [unrolled: 1-line block ×4, first 2 shown]
	v_and_b32_e32 v15, 60, v23
	v_lshlrev_b32_e32 v16, 2, v0
	v_lshrrev_b32_e32 v21, 3, v19
	v_lshrrev_b32_e32 v26, 3, v14
	;; [unrolled: 1-line block ×3, first 2 shown]
	v_and_b32_e32 v11, 0x7c, v11
	v_and_b32_e32 v12, 0xfc, v12
	;; [unrolled: 1-line block ×4, first 2 shown]
	v_add_nc_u32_e32 v15, v15, v16
	v_and_b32_e32 v21, 0x1fc, v21
	v_and_b32_e32 v26, 0x1fc, v26
	v_and_b32_e32 v27, 0x1fc, v27
	v_add_nc_u32_e32 v11, v11, v16
	v_add_nc_u32_e32 v12, v12, v16
	;; [unrolled: 1-line block ×7, first 2 shown]
	s_waitcnt vmcnt(0) lgkmcnt(0)
	ds_store_b32 v15, v1
	ds_store_b32 v11, v2 offset:1536
	ds_store_b32 v12, v3 offset:3072
	;; [unrolled: 1-line block ×7, first 2 shown]
	s_waitcnt lgkmcnt(0)
	s_barrier
.LBB867_24:
	v_lshlrev_b32_e32 v21, 3, v0
	v_lshrrev_b32_e32 v1, 2, v0
	s_waitcnt vmcnt(0)
	buffer_gl0_inv
	s_add_u32 s0, s8, s14
	s_addc_u32 s8, s9, s15
	s_add_u32 s0, s0, s4
	v_add_lshl_u32 v1, v1, v21, 2
	s_addc_u32 s4, s8, s5
	s_and_b32 vcc_lo, exec_lo, s19
	s_mov_b32 s5, -1
	ds_load_2addr_b32 v[17:18], v1 offset1:1
	ds_load_2addr_b32 v[15:16], v1 offset0:2 offset1:3
	ds_load_2addr_b32 v[11:12], v1 offset0:4 offset1:5
	;; [unrolled: 1-line block ×3, first 2 shown]
	s_waitcnt lgkmcnt(0)
	s_barrier
	buffer_gl0_inv
	s_cbranch_vccz .LBB867_26
; %bb.25:
	v_lshlrev_b32_e32 v4, 2, v0
	v_lshrrev_b32_e32 v31, 3, v25
	v_lshrrev_b32_e32 v32, 3, v24
	v_lshrrev_b32_e32 v33, 3, v22
	v_lshrrev_b32_e32 v34, 3, v20
	v_add_co_u32 v2, s5, s0, v4
	s_delay_alu instid0(VALU_DEP_1) | instskip(SKIP_1) | instid1(VALU_DEP_3)
	v_add_co_ci_u32_e64 v3, null, s4, 0, s5
	v_lshrrev_b32_e32 v35, 3, v19
	v_add_co_u32 v7, vcc_lo, 0x1000, v2
	s_delay_alu instid0(VALU_DEP_3)
	v_add_co_ci_u32_e32 v8, vcc_lo, 0, v3, vcc_lo
	v_add_co_u32 v26, vcc_lo, 0x2000, v2
	v_add_co_ci_u32_e32 v27, vcc_lo, 0, v3, vcc_lo
	s_clause 0x7
	flat_load_b32 v28, v[2:3]
	flat_load_b32 v29, v[2:3] offset:1536
	flat_load_b32 v2, v[2:3] offset:3072
	;; [unrolled: 1-line block ×7, first 2 shown]
	v_and_b32_e32 v27, 60, v23
	v_lshrrev_b32_e32 v36, 3, v14
	v_lshrrev_b32_e32 v37, 3, v13
	v_and_b32_e32 v31, 0x7c, v31
	v_and_b32_e32 v32, 0xfc, v32
	v_and_b32_e32 v33, 0xfc, v33
	v_and_b32_e32 v34, 0xfc, v34
	v_add_nc_u32_e32 v27, v27, v4
	v_and_b32_e32 v35, 0x1fc, v35
	v_and_b32_e32 v36, 0x17c, v36
	;; [unrolled: 1-line block ×3, first 2 shown]
	v_add_nc_u32_e32 v31, v31, v4
	v_add_nc_u32_e32 v32, v32, v4
	;; [unrolled: 1-line block ×4, first 2 shown]
	s_mov_b32 s5, 0
	v_add_nc_u32_e32 v35, v35, v4
	v_add_nc_u32_e32 v36, v36, v4
	v_add_nc_u32_e32 v4, v37, v4
	s_waitcnt vmcnt(7) lgkmcnt(7)
	ds_store_b32 v27, v28
	s_waitcnt vmcnt(6) lgkmcnt(7)
	ds_store_b32 v31, v29 offset:1536
	s_waitcnt vmcnt(5) lgkmcnt(7)
	ds_store_b32 v32, v2 offset:3072
	;; [unrolled: 2-line block ×7, first 2 shown]
	s_waitcnt lgkmcnt(0)
	s_barrier
.LBB867_26:
	s_and_not1_b32 vcc_lo, exec_lo, s5
	s_cbranch_vccnz .LBB867_44
; %bb.27:
	s_mov_b32 s5, exec_lo
                                        ; implicit-def: $vgpr2
	v_cmpx_gt_u32_e64 s21, v0
	s_cbranch_execz .LBB867_29
; %bb.28:
	v_lshlrev_b32_e32 v2, 2, v0
	s_delay_alu instid0(VALU_DEP_1) | instskip(NEXT) | instid1(VALU_DEP_1)
	v_add_co_u32 v2, s8, s0, v2
	v_add_co_ci_u32_e64 v3, null, s4, 0, s8
	flat_load_b32 v2, v[2:3]
.LBB867_29:
	s_or_b32 exec_lo, exec_lo, s5
	s_delay_alu instid0(SALU_CYCLE_1)
	s_mov_b32 s5, exec_lo
                                        ; implicit-def: $vgpr3
	v_cmpx_gt_u32_e64 s21, v25
	s_cbranch_execz .LBB867_31
; %bb.30:
	v_lshlrev_b32_e32 v3, 2, v0
	s_delay_alu instid0(VALU_DEP_1) | instskip(NEXT) | instid1(VALU_DEP_1)
	v_add_co_u32 v3, s8, s0, v3
	v_add_co_ci_u32_e64 v4, null, s4, 0, s8
	flat_load_b32 v3, v[3:4] offset:1536
.LBB867_31:
	s_or_b32 exec_lo, exec_lo, s5
	s_delay_alu instid0(SALU_CYCLE_1)
	s_mov_b32 s5, exec_lo
                                        ; implicit-def: $vgpr4
	v_cmpx_gt_u32_e64 s21, v24
	s_cbranch_execz .LBB867_33
; %bb.32:
	v_lshlrev_b32_e32 v4, 2, v0
	s_delay_alu instid0(VALU_DEP_1) | instskip(NEXT) | instid1(VALU_DEP_1)
	v_add_co_u32 v7, s8, s0, v4
	v_add_co_ci_u32_e64 v8, null, s4, 0, s8
	flat_load_b32 v4, v[7:8] offset:3072
.LBB867_33:
	s_or_b32 exec_lo, exec_lo, s5
	s_delay_alu instid0(SALU_CYCLE_1)
	s_mov_b32 s5, exec_lo
                                        ; implicit-def: $vgpr7
	v_cmpx_gt_u32_e64 s21, v22
	s_cbranch_execz .LBB867_35
; %bb.34:
	v_lshlrev_b32_e32 v7, 2, v22
	s_delay_alu instid0(VALU_DEP_1) | instskip(NEXT) | instid1(VALU_DEP_1)
	v_add_co_u32 v7, s8, s0, v7
	v_add_co_ci_u32_e64 v8, null, s4, 0, s8
	flat_load_b32 v7, v[7:8]
.LBB867_35:
	s_or_b32 exec_lo, exec_lo, s5
	s_delay_alu instid0(SALU_CYCLE_1)
	s_mov_b32 s5, exec_lo
                                        ; implicit-def: $vgpr8
	v_cmpx_gt_u32_e64 s21, v20
	s_cbranch_execz .LBB867_37
; %bb.36:
	v_lshlrev_b32_e32 v8, 2, v20
	s_delay_alu instid0(VALU_DEP_1) | instskip(NEXT) | instid1(VALU_DEP_1)
	v_add_co_u32 v26, s8, s0, v8
	v_add_co_ci_u32_e64 v27, null, s4, 0, s8
	flat_load_b32 v8, v[26:27]
.LBB867_37:
	s_or_b32 exec_lo, exec_lo, s5
	s_delay_alu instid0(SALU_CYCLE_1)
	s_mov_b32 s5, exec_lo
                                        ; implicit-def: $vgpr26
	v_cmpx_gt_u32_e64 s21, v19
	s_cbranch_execz .LBB867_39
; %bb.38:
	v_lshlrev_b32_e32 v26, 2, v19
	s_delay_alu instid0(VALU_DEP_1) | instskip(NEXT) | instid1(VALU_DEP_1)
	v_add_co_u32 v26, s8, s0, v26
	v_add_co_ci_u32_e64 v27, null, s4, 0, s8
	flat_load_b32 v26, v[26:27]
.LBB867_39:
	s_or_b32 exec_lo, exec_lo, s5
	s_delay_alu instid0(SALU_CYCLE_1)
	s_mov_b32 s5, exec_lo
                                        ; implicit-def: $vgpr27
	v_cmpx_gt_u32_e64 s21, v14
	s_cbranch_execz .LBB867_41
; %bb.40:
	v_lshlrev_b32_e32 v27, 2, v14
	s_delay_alu instid0(VALU_DEP_1) | instskip(NEXT) | instid1(VALU_DEP_1)
	v_add_co_u32 v27, s8, s0, v27
	v_add_co_ci_u32_e64 v28, null, s4, 0, s8
	flat_load_b32 v27, v[27:28]
.LBB867_41:
	s_or_b32 exec_lo, exec_lo, s5
	s_delay_alu instid0(SALU_CYCLE_1)
	s_mov_b32 s5, exec_lo
                                        ; implicit-def: $vgpr28
	v_cmpx_gt_u32_e64 s21, v13
	s_cbranch_execz .LBB867_43
; %bb.42:
	v_lshlrev_b32_e32 v28, 2, v13
	s_delay_alu instid0(VALU_DEP_1) | instskip(NEXT) | instid1(VALU_DEP_1)
	v_add_co_u32 v28, s0, s0, v28
	v_add_co_ci_u32_e64 v29, null, s4, 0, s0
	flat_load_b32 v28, v[28:29]
.LBB867_43:
	s_or_b32 exec_lo, exec_lo, s5
	v_lshrrev_b32_e32 v25, 3, v25
	v_lshrrev_b32_e32 v24, 3, v24
	;; [unrolled: 1-line block ×4, first 2 shown]
	v_and_b32_e32 v23, 60, v23
	v_lshlrev_b32_e32 v29, 2, v0
	v_lshrrev_b32_e32 v19, 3, v19
	v_lshrrev_b32_e32 v14, 3, v14
	;; [unrolled: 1-line block ×3, first 2 shown]
	v_and_b32_e32 v25, 0x7c, v25
	v_and_b32_e32 v24, 0xfc, v24
	;; [unrolled: 1-line block ×4, first 2 shown]
	v_add_nc_u32_e32 v23, v23, v29
	v_and_b32_e32 v19, 0x1fc, v19
	v_and_b32_e32 v14, 0x1fc, v14
	;; [unrolled: 1-line block ×3, first 2 shown]
	v_add_nc_u32_e32 v25, v25, v29
	v_add_nc_u32_e32 v24, v24, v29
	;; [unrolled: 1-line block ×7, first 2 shown]
	s_waitcnt vmcnt(0) lgkmcnt(0)
	ds_store_b32 v23, v2
	ds_store_b32 v25, v3 offset:1536
	ds_store_b32 v24, v4 offset:3072
	;; [unrolled: 1-line block ×7, first 2 shown]
	s_waitcnt lgkmcnt(0)
	s_barrier
.LBB867_44:
	buffer_gl0_inv
	ds_load_2addr_b32 v[13:14], v1 offset1:1
	ds_load_2addr_b32 v[7:8], v1 offset0:2 offset1:3
	ds_load_2addr_b32 v[3:4], v1 offset0:4 offset1:5
	;; [unrolled: 1-line block ×3, first 2 shown]
	s_cmp_lg_u32 s20, 0
	s_mov_b32 s14, 0
	s_cselect_b32 s9, -1, 0
	s_cmp_lg_u64 s[6:7], 0
	s_waitcnt lgkmcnt(0)
	s_cselect_b32 s0, -1, 0
	s_barrier
	s_or_b32 s0, s0, s9
	buffer_gl0_inv
	s_and_b32 vcc_lo, exec_lo, s0
	s_cbranch_vccz .LBB867_49
; %bb.45:
	v_add_co_u32 v19, s0, -4, s23
	s_delay_alu instid0(VALU_DEP_1)
	v_add_co_ci_u32_e64 v20, null, -1, s1, s0
	v_lshlrev_b32_e32 v23, 2, v0
	s_mov_b32 s1, -1
	s_and_b32 vcc_lo, exec_lo, s19
	flat_load_b32 v22, v[19:20]
	ds_store_b32 v23, v6
	s_cbranch_vccz .LBB867_50
; %bb.46:
	s_waitcnt vmcnt(0) lgkmcnt(1)
	v_mov_b32_e32 v19, v22
	s_waitcnt lgkmcnt(0)
	s_barrier
	buffer_gl0_inv
	s_and_saveexec_b32 s0, s3
	s_cbranch_execz .LBB867_48
; %bb.47:
	v_add_nc_u32_e32 v19, -4, v23
	ds_load_b32 v19, v19
.LBB867_48:
	s_or_b32 exec_lo, exec_lo, s0
	v_cmp_ne_u32_e32 vcc_lo, v5, v6
	s_waitcnt lgkmcnt(0)
	v_cmp_ne_u32_e64 s0, v19, v17
	v_cndmask_b32_e64 v20, 0, 1, vcc_lo
	v_cmp_ne_u32_e32 vcc_lo, v12, v5
	s_delay_alu instid0(VALU_DEP_2) | instskip(SKIP_2) | instid1(VALU_DEP_2)
	v_lshlrev_b16 v20, 8, v20
	v_cndmask_b32_e64 v24, 0, 1, vcc_lo
	v_cmp_ne_u32_e32 vcc_lo, v11, v12
	v_or_b32_e32 v20, v24, v20
	v_cndmask_b32_e64 v25, 0, 1, vcc_lo
	v_cmp_ne_u32_e32 vcc_lo, v15, v16
	s_delay_alu instid0(VALU_DEP_3) | instskip(NEXT) | instid1(VALU_DEP_3)
	v_lshlrev_b32_e32 v20, 16, v20
	v_lshlrev_b16 v25, 8, v25
	v_cndmask_b32_e64 v26, 0, 1, vcc_lo
	v_cmp_ne_u32_e32 vcc_lo, v16, v11
	s_delay_alu instid0(VALU_DEP_2) | instskip(SKIP_2) | instid1(VALU_DEP_2)
	v_lshlrev_b16 v26, 8, v26
	v_cndmask_b32_e64 v27, 0, 1, vcc_lo
	v_cmp_ne_u32_e32 vcc_lo, v18, v15
	v_or_b32_e32 v25, v27, v25
	v_cndmask_b32_e64 v28, 0, 1, vcc_lo
	v_cmp_ne_u32_e32 vcc_lo, v17, v18
	s_delay_alu instid0(VALU_DEP_3) | instskip(NEXT) | instid1(VALU_DEP_3)
	v_and_b32_e32 v25, 0xffff, v25
	v_or_b32_e32 v26, v28, v26
	v_cndmask_b32_e64 v29, 0, 1, vcc_lo
	s_delay_alu instid0(VALU_DEP_3) | instskip(NEXT) | instid1(VALU_DEP_3)
	v_or_b32_e32 v20, v25, v20
	v_lshlrev_b32_e32 v24, 16, v26
	s_delay_alu instid0(VALU_DEP_3) | instskip(NEXT) | instid1(VALU_DEP_1)
	v_lshlrev_b16 v28, 8, v29
	v_and_b32_e32 v26, 0xffff, v28
	s_delay_alu instid0(VALU_DEP_1)
	v_or_b32_e32 v19, v26, v24
	s_branch .LBB867_54
.LBB867_49:
                                        ; implicit-def: $sgpr0
                                        ; implicit-def: $vgpr20
	s_branch .LBB867_55
.LBB867_50:
                                        ; implicit-def: $sgpr0
                                        ; implicit-def: $vgpr20
	s_and_b32 vcc_lo, exec_lo, s1
	s_cbranch_vccz .LBB867_54
; %bb.51:
	s_waitcnt vmcnt(0) lgkmcnt(0)
	s_barrier
	buffer_gl0_inv
	s_and_saveexec_b32 s0, s3
	s_cbranch_execz .LBB867_53
; %bb.52:
	v_add_nc_u32_e32 v19, -4, v23
	ds_load_b32 v22, v19
.LBB867_53:
	s_or_b32 exec_lo, exec_lo, s0
	v_or_b32_e32 v19, 7, v21
	v_or_b32_e32 v20, 6, v21
	;; [unrolled: 1-line block ×3, first 2 shown]
	v_cmp_ne_u32_e32 vcc_lo, v5, v6
	v_cmp_ne_u32_e64 s1, v12, v5
	v_cmp_gt_u32_e64 s0, s21, v19
	v_cmp_gt_u32_e64 s5, s21, v20
	v_cmp_ne_u32_e64 s4, v11, v12
	v_cmp_gt_u32_e64 s6, s21, v23
	v_or_b32_e32 v20, 3, v21
	s_and_b32 s0, s0, vcc_lo
	v_or_b32_e32 v24, 4, v21
	v_cndmask_b32_e64 v19, 0, 1, s0
	s_and_b32 s0, s5, s1
	v_cmp_gt_u32_e32 vcc_lo, s21, v20
	v_cndmask_b32_e64 v23, 0, 1, s0
	s_and_b32 s0, s6, s4
	v_or_b32_e32 v20, 2, v21
	v_cndmask_b32_e64 v25, 0, 1, s0
	v_cmp_ne_u32_e64 s0, v15, v16
	v_cmp_gt_u32_e64 s1, s21, v24
	v_or_b32_e32 v24, 1, v21
	v_cmp_ne_u32_e64 s4, v16, v11
	v_cmp_ne_u32_e64 s6, v17, v18
	s_and_b32 s0, vcc_lo, s0
	v_cmp_gt_u32_e32 vcc_lo, s21, v20
	v_cndmask_b32_e64 v26, 0, 1, s0
	v_cmp_ne_u32_e64 s0, v18, v15
	v_cmp_gt_u32_e64 s5, s21, v24
	s_and_b32 s1, s1, s4
	v_lshlrev_b16 v25, 8, v25
	v_cndmask_b32_e64 v20, 0, 1, s1
	s_and_b32 s0, vcc_lo, s0
	v_lshlrev_b16 v26, 8, v26
	v_cndmask_b32_e64 v24, 0, 1, s0
	s_and_b32 s0, s5, s6
	v_lshlrev_b16 v19, 8, v19
	v_cndmask_b32_e64 v27, 0, 1, s0
	v_or_b32_e32 v20, v20, v25
	v_or_b32_e32 v24, v24, v26
	v_cmp_gt_u32_e32 vcc_lo, s21, v21
	v_or_b32_e32 v19, v23, v19
	v_lshlrev_b16 v26, 8, v27
	v_and_b32_e32 v20, 0xffff, v20
	v_lshlrev_b32_e32 v23, 16, v24
	s_waitcnt lgkmcnt(0)
	v_cmp_ne_u32_e64 s0, v22, v17
	v_lshlrev_b32_e32 v25, 16, v19
	v_and_b32_e32 v24, 0xffff, v26
	s_delay_alu instid0(VALU_DEP_3) | instskip(NEXT) | instid1(VALU_DEP_2)
	s_and_b32 s0, vcc_lo, s0
	v_or_b32_e32 v20, v20, v25
	s_delay_alu instid0(VALU_DEP_2)
	v_or_b32_e32 v19, v24, v23
.LBB867_54:
	s_mov_b32 s14, -1
	s_cbranch_execnz .LBB867_63
.LBB867_55:
	s_waitcnt vmcnt(0) lgkmcnt(1)
	v_lshlrev_b32_e32 v22, 2, v0
	v_cmp_ne_u32_e64 s1, v5, v6
	v_cmp_ne_u32_e64 s4, v12, v5
	;; [unrolled: 1-line block ×7, first 2 shown]
	s_and_b32 vcc_lo, exec_lo, s19
	ds_store_b32 v22, v6
	s_cbranch_vccz .LBB867_59
; %bb.56:
	v_cndmask_b32_e64 v19, 0, 1, s1
	v_cndmask_b32_e64 v23, 0, 1, s5
	v_cndmask_b32_e64 v25, 0, 1, s7
	v_cndmask_b32_e64 v26, 0, 1, s8
	v_cndmask_b32_e64 v20, 0, 1, s4
	v_cndmask_b32_e64 v24, 0, 1, s6
	v_cndmask_b32_e64 v27, 0, 1, s0
	v_lshlrev_b16 v23, 8, v23
	v_lshlrev_b16 v19, 8, v19
	;; [unrolled: 1-line block ×4, first 2 shown]
	s_waitcnt lgkmcnt(0)
	v_or_b32_e32 v23, v24, v23
	v_or_b32_e32 v19, v20, v19
	;; [unrolled: 1-line block ×4, first 2 shown]
	s_barrier
	v_and_b32_e32 v23, 0xffff, v23
	v_lshlrev_b32_e32 v19, 16, v19
	v_lshlrev_b32_e32 v25, 16, v20
	v_and_b32_e32 v24, 0xffff, v24
	buffer_gl0_inv
                                        ; implicit-def: $sgpr0
	v_or_b32_e32 v20, v23, v19
	v_or_b32_e32 v19, v24, v25
	s_and_saveexec_b32 s1, s3
	s_delay_alu instid0(SALU_CYCLE_1)
	s_xor_b32 s1, exec_lo, s1
	s_cbranch_execz .LBB867_58
; %bb.57:
	v_add_nc_u32_e32 v23, -4, v22
	s_or_b32 s14, s14, exec_lo
	ds_load_b32 v23, v23
	s_waitcnt lgkmcnt(0)
	v_cmp_ne_u32_e32 vcc_lo, v23, v17
	s_and_b32 s0, vcc_lo, exec_lo
.LBB867_58:
	s_or_b32 exec_lo, exec_lo, s1
	s_branch .LBB867_63
.LBB867_59:
                                        ; implicit-def: $sgpr0
                                        ; implicit-def: $vgpr20
	s_cbranch_execz .LBB867_63
; %bb.60:
	v_or_b32_e32 v19, 7, v21
	v_or_b32_e32 v20, 6, v21
	v_cmp_ne_u32_e32 vcc_lo, v5, v6
	v_cmp_ne_u32_e64 s1, v12, v5
	v_or_b32_e32 v23, 5, v21
	v_cmp_gt_u32_e64 s0, s21, v19
	v_cmp_gt_u32_e64 s4, s21, v20
	v_or_b32_e32 v19, 4, v21
	v_or_b32_e32 v24, 3, v21
	v_cmp_gt_u32_e64 s5, s21, v23
	s_and_b32 s0, s0, vcc_lo
	v_cmp_ne_u32_e32 vcc_lo, v11, v12
	v_cndmask_b32_e64 v20, 0, 1, s0
	s_and_b32 s0, s4, s1
	v_cmp_ne_u32_e64 s1, v16, v11
	v_cndmask_b32_e64 v23, 0, 1, s0
	v_cmp_gt_u32_e64 s0, s21, v19
	v_or_b32_e32 v25, 1, v21
	s_and_b32 s4, s5, vcc_lo
	v_cmp_gt_u32_e32 vcc_lo, s21, v24
	v_cndmask_b32_e64 v19, 0, 1, s4
	s_and_b32 s0, s0, s1
	v_or_b32_e32 v27, 2, v21
	v_cndmask_b32_e64 v26, 0, 1, s0
	v_cmp_ne_u32_e64 s0, v15, v16
	v_cmp_gt_u32_e64 s1, s21, v25
	v_cmp_ne_u32_e64 s4, v17, v18
	v_cmp_gt_u32_e64 s5, s21, v27
	v_cmp_ne_u32_e64 s6, v18, v15
	s_and_b32 s0, vcc_lo, s0
	v_lshlrev_b16 v19, 8, v19
	v_cndmask_b32_e64 v24, 0, 1, s0
	s_and_b32 s0, s1, s4
	v_lshlrev_b16 v20, 8, v20
	v_cndmask_b32_e64 v25, 0, 1, s0
	s_and_b32 s0, s5, s6
	v_lshlrev_b16 v24, 8, v24
	v_cndmask_b32_e64 v27, 0, 1, s0
	v_or_b32_e32 v19, v26, v19
	v_lshlrev_b16 v25, 8, v25
	v_or_b32_e32 v20, v23, v20
	s_waitcnt lgkmcnt(0)
	v_or_b32_e32 v23, v27, v24
	v_and_b32_e32 v19, 0xffff, v19
	v_or_b32_e32 v24, 1, v25
	v_lshlrev_b32_e32 v20, 16, v20
	s_barrier
	v_lshlrev_b32_e32 v23, 16, v23
	buffer_gl0_inv
	v_and_b32_e32 v24, 0xffff, v24
	v_or_b32_e32 v20, v19, v20
                                        ; implicit-def: $sgpr0
	s_delay_alu instid0(VALU_DEP_2)
	v_or_b32_e32 v19, v24, v23
	s_and_saveexec_b32 s1, s3
	s_cbranch_execz .LBB867_62
; %bb.61:
	v_add_nc_u32_e32 v22, -4, v22
	v_cmp_gt_u32_e32 vcc_lo, s21, v21
	s_or_b32 s14, s14, exec_lo
	ds_load_b32 v22, v22
	s_waitcnt lgkmcnt(0)
	v_cmp_ne_u32_e64 s0, v22, v17
	s_delay_alu instid0(VALU_DEP_1) | instskip(NEXT) | instid1(SALU_CYCLE_1)
	s_and_b32 s0, vcc_lo, s0
	s_and_b32 s0, s0, exec_lo
.LBB867_62:
	s_or_b32 exec_lo, exec_lo, s1
.LBB867_63:
	s_and_saveexec_b32 s1, s14
	s_cbranch_execz .LBB867_65
; %bb.64:
	s_waitcnt vmcnt(0) lgkmcnt(1)
	v_and_b32_e32 v22, 0xffffff00, v19
	v_cndmask_b32_e64 v23, 0, 1, s0
	s_delay_alu instid0(VALU_DEP_1) | instskip(NEXT) | instid1(VALU_DEP_1)
	v_or_b32_e32 v22, v23, v22
	v_and_b32_e32 v22, 0xffff, v22
	s_delay_alu instid0(VALU_DEP_1)
	v_and_or_b32 v19, 0xffff0000, v19, v22
.LBB867_65:
	s_or_b32 exec_lo, exec_lo, s1
	s_delay_alu instid0(SALU_CYCLE_1)
	s_and_not1_b32 vcc_lo, exec_lo, s22
	s_cbranch_vccnz .LBB867_67
; %bb.66:
	v_cmp_gt_u32_e32 vcc_lo, s21, v21
	v_or_b32_e32 v23, 1, v21
	v_and_b32_e32 v24, 0xffffff00, v20
	v_or_b32_e32 v25, 2, v21
	s_waitcnt vmcnt(0) lgkmcnt(1)
	v_cndmask_b32_e32 v22, 0, v19, vcc_lo
	v_cmp_gt_u32_e32 vcc_lo, s21, v23
	v_or_b32_e32 v23, 4, v21
	v_cmp_gt_u32_e64 s0, s21, v25
	v_or_b32_e32 v25, 3, v21
	v_and_b32_e32 v22, 0xff, v22
	s_delay_alu instid0(VALU_DEP_2) | instskip(NEXT) | instid1(VALU_DEP_2)
	v_cmp_gt_u32_e64 s1, s21, v25
	v_cndmask_b32_e32 v22, v22, v19, vcc_lo
	v_cmp_gt_u32_e32 vcc_lo, s21, v23
	s_delay_alu instid0(VALU_DEP_2) | instskip(SKIP_1) | instid1(VALU_DEP_2)
	v_dual_cndmask_b32 v23, v24, v20 :: v_dual_and_b32 v22, 0xffff, v22
	v_or_b32_e32 v24, 5, v21
	v_cndmask_b32_e64 v22, v22, v19, s0
	s_delay_alu instid0(VALU_DEP_3) | instskip(NEXT) | instid1(VALU_DEP_3)
	v_and_b32_e32 v23, 0xffff00ff, v23
	v_cmp_gt_u32_e64 s0, s21, v24
	v_or_b32_e32 v24, 6, v21
	v_or_b32_e32 v21, 7, v21
	v_and_b32_e32 v22, 0xffffff, v22
	s_delay_alu instid0(VALU_DEP_4) | instskip(NEXT) | instid1(VALU_DEP_2)
	v_cndmask_b32_e64 v23, v23, v20, s0
	v_cndmask_b32_e64 v22, v22, v19, s1
	s_delay_alu instid0(VALU_DEP_2) | instskip(NEXT) | instid1(VALU_DEP_2)
	v_and_b32_e32 v23, 0xff00ffff, v23
	v_cndmask_b32_e32 v22, v22, v19, vcc_lo
	v_cmp_gt_u32_e32 vcc_lo, s21, v24
	s_delay_alu instid0(VALU_DEP_2) | instskip(NEXT) | instid1(VALU_DEP_1)
	v_cndmask_b32_e64 v22, v22, v19, s0
	v_dual_cndmask_b32 v23, v23, v20 :: v_dual_cndmask_b32 v22, v22, v19
	s_delay_alu instid0(VALU_DEP_1) | instskip(SKIP_1) | instid1(VALU_DEP_2)
	v_and_b32_e32 v23, 0xffffff, v23
	v_cmp_gt_u32_e32 vcc_lo, s21, v21
	v_dual_cndmask_b32 v20, v23, v20 :: v_dual_cndmask_b32 v19, v22, v19
.LBB867_67:
	s_delay_alu instid0(VALU_DEP_1) | instskip(NEXT) | instid1(VALU_DEP_2)
	v_and_b32_e32 v30, 0xff, v19
	v_alignbit_b32 v21, v20, v19, 24
	v_bfe_u32 v32, v19, 8, 8
	v_bfe_u32 v34, v19, 16, 8
	v_and_b32_e32 v38, 0xff, v20
	v_bfe_u32 v40, v20, 8, 8
	v_and_b32_e32 v36, 0xff, v21
	v_add_nc_u32_e32 v21, v32, v30
	s_waitcnt vmcnt(0) lgkmcnt(1)
	v_and_b32_e32 v22, 0x1e0, v0
	v_mbcnt_lo_u32_b32 v43, -1, 0
	v_bfe_u32 v42, v20, 16, 8
	v_lshrrev_b32_e32 v41, 24, v20
	v_add3_u32 v21, v21, v34, v36
	v_min_u32_e32 v22, 0x160, v22
	v_and_b32_e32 v23, 15, v43
	v_lshrrev_b32_e32 v44, 5, v0
	s_and_b32 vcc_lo, exec_lo, s9
	v_add3_u32 v21, v21, v38, v40
	v_or_b32_e32 v22, 31, v22
	v_cmp_eq_u32_e64 s3, 0, v23
	v_cmp_lt_u32_e64 s4, 1, v23
	v_cmp_lt_u32_e64 s1, 3, v23
	v_add3_u32 v45, v21, v42, v41
	v_and_b32_e32 v21, 16, v43
	v_cmp_lt_u32_e64 s0, 7, v23
	v_cmp_eq_u32_e64 s5, v22, v0
	s_mov_b32 s7, -1
	s_waitcnt lgkmcnt(0)
	v_cmp_eq_u32_e64 s6, 0, v21
	s_barrier
	buffer_gl0_inv
	s_cbranch_vccz .LBB867_98
; %bb.68:
	v_mov_b32_dpp v21, v45 row_shr:1 row_mask:0xf bank_mask:0xf
	s_delay_alu instid0(VALU_DEP_1) | instskip(NEXT) | instid1(VALU_DEP_1)
	v_cndmask_b32_e64 v21, v21, 0, s3
	v_add_nc_u32_e32 v21, v21, v45
	s_delay_alu instid0(VALU_DEP_1) | instskip(NEXT) | instid1(VALU_DEP_1)
	v_mov_b32_dpp v22, v21 row_shr:2 row_mask:0xf bank_mask:0xf
	v_cndmask_b32_e64 v22, 0, v22, s4
	s_delay_alu instid0(VALU_DEP_1) | instskip(NEXT) | instid1(VALU_DEP_1)
	v_add_nc_u32_e32 v21, v21, v22
	v_mov_b32_dpp v22, v21 row_shr:4 row_mask:0xf bank_mask:0xf
	s_delay_alu instid0(VALU_DEP_1) | instskip(NEXT) | instid1(VALU_DEP_1)
	v_cndmask_b32_e64 v22, 0, v22, s1
	v_add_nc_u32_e32 v21, v21, v22
	s_delay_alu instid0(VALU_DEP_1) | instskip(NEXT) | instid1(VALU_DEP_1)
	v_mov_b32_dpp v22, v21 row_shr:8 row_mask:0xf bank_mask:0xf
	v_cndmask_b32_e64 v22, 0, v22, s0
	s_delay_alu instid0(VALU_DEP_1) | instskip(SKIP_3) | instid1(VALU_DEP_1)
	v_add_nc_u32_e32 v21, v21, v22
	ds_swizzle_b32 v22, v21 offset:swizzle(BROADCAST,32,15)
	s_waitcnt lgkmcnt(0)
	v_cndmask_b32_e64 v22, v22, 0, s6
	v_add_nc_u32_e32 v21, v21, v22
	s_and_saveexec_b32 s7, s5
	s_cbranch_execz .LBB867_70
; %bb.69:
	v_lshlrev_b32_e32 v22, 2, v44
	ds_store_b32 v22, v21
.LBB867_70:
	s_or_b32 exec_lo, exec_lo, s7
	s_delay_alu instid0(SALU_CYCLE_1)
	s_mov_b32 s7, exec_lo
	s_waitcnt lgkmcnt(0)
	s_barrier
	buffer_gl0_inv
	v_cmpx_gt_u32_e32 12, v0
	s_cbranch_execz .LBB867_72
; %bb.71:
	v_lshlrev_b32_e32 v22, 2, v0
	ds_load_b32 v23, v22
	s_waitcnt lgkmcnt(0)
	v_mov_b32_dpp v24, v23 row_shr:1 row_mask:0xf bank_mask:0xf
	s_delay_alu instid0(VALU_DEP_1) | instskip(NEXT) | instid1(VALU_DEP_1)
	v_cndmask_b32_e64 v24, v24, 0, s3
	v_add_nc_u32_e32 v23, v24, v23
	s_delay_alu instid0(VALU_DEP_1) | instskip(NEXT) | instid1(VALU_DEP_1)
	v_mov_b32_dpp v24, v23 row_shr:2 row_mask:0xf bank_mask:0xf
	v_cndmask_b32_e64 v24, 0, v24, s4
	s_delay_alu instid0(VALU_DEP_1) | instskip(NEXT) | instid1(VALU_DEP_1)
	v_add_nc_u32_e32 v23, v23, v24
	v_mov_b32_dpp v24, v23 row_shr:4 row_mask:0xf bank_mask:0xf
	s_delay_alu instid0(VALU_DEP_1) | instskip(NEXT) | instid1(VALU_DEP_1)
	v_cndmask_b32_e64 v24, 0, v24, s1
	v_add_nc_u32_e32 v23, v23, v24
	s_delay_alu instid0(VALU_DEP_1) | instskip(NEXT) | instid1(VALU_DEP_1)
	v_mov_b32_dpp v24, v23 row_shr:8 row_mask:0xf bank_mask:0xf
	v_cndmask_b32_e64 v24, 0, v24, s0
	s_delay_alu instid0(VALU_DEP_1)
	v_add_nc_u32_e32 v23, v23, v24
	ds_store_b32 v22, v23
.LBB867_72:
	s_or_b32 exec_lo, exec_lo, s7
	v_cmp_gt_u32_e32 vcc_lo, 32, v0
	s_mov_b32 s8, exec_lo
	s_waitcnt lgkmcnt(0)
	s_barrier
	buffer_gl0_inv
                                        ; implicit-def: $vgpr29
	v_cmpx_lt_u32_e32 31, v0
	s_cbranch_execz .LBB867_74
; %bb.73:
	v_lshl_add_u32 v22, v44, 2, -4
	ds_load_b32 v29, v22
	s_waitcnt lgkmcnt(0)
	v_add_nc_u32_e32 v21, v29, v21
.LBB867_74:
	s_or_b32 exec_lo, exec_lo, s8
	v_add_nc_u32_e32 v22, -1, v43
	s_delay_alu instid0(VALU_DEP_1) | instskip(NEXT) | instid1(VALU_DEP_1)
	v_cmp_gt_i32_e64 s7, 0, v22
	v_cndmask_b32_e64 v22, v22, v43, s7
	v_cmp_eq_u32_e64 s7, 0, v43
	s_delay_alu instid0(VALU_DEP_2)
	v_lshlrev_b32_e32 v22, 2, v22
	ds_bpermute_b32 v31, v22, v21
	s_and_saveexec_b32 s8, vcc_lo
	s_cbranch_execz .LBB867_97
; %bb.75:
	v_mov_b32_e32 v25, 0
	ds_load_b32 v21, v25 offset:44
	s_and_saveexec_b32 s9, s7
	s_cbranch_execz .LBB867_77
; %bb.76:
	s_add_i32 s14, s20, 32
	s_mov_b32 s15, 0
	v_mov_b32_e32 v22, 1
	s_lshl_b64 s[14:15], s[14:15], 3
	s_delay_alu instid0(SALU_CYCLE_1)
	s_add_u32 s14, s16, s14
	s_addc_u32 s15, s17, s15
	s_waitcnt lgkmcnt(0)
	global_store_b64 v25, v[21:22], s[14:15]
.LBB867_77:
	s_or_b32 exec_lo, exec_lo, s9
	v_xad_u32 v23, v43, -1, s20
	s_mov_b32 s14, 0
	s_mov_b32 s9, exec_lo
	s_delay_alu instid0(VALU_DEP_1) | instskip(NEXT) | instid1(VALU_DEP_1)
	v_add_nc_u32_e32 v24, 32, v23
	v_lshlrev_b64 v[24:25], 3, v[24:25]
	s_delay_alu instid0(VALU_DEP_1) | instskip(NEXT) | instid1(VALU_DEP_2)
	v_add_co_u32 v27, vcc_lo, s16, v24
	v_add_co_ci_u32_e32 v28, vcc_lo, s17, v25, vcc_lo
	global_load_b64 v[25:26], v[27:28], off glc
	s_waitcnt vmcnt(0)
	v_and_b32_e32 v22, 0xff, v26
	s_delay_alu instid0(VALU_DEP_1)
	v_cmpx_eq_u16_e32 0, v22
	s_cbranch_execz .LBB867_83
; %bb.78:
	s_mov_b32 s15, 1
	.p2align	6
.LBB867_79:                             ; =>This Loop Header: Depth=1
                                        ;     Child Loop BB867_80 Depth 2
	s_delay_alu instid0(SALU_CYCLE_1)
	s_max_u32 s21, s15, 1
.LBB867_80:                             ;   Parent Loop BB867_79 Depth=1
                                        ; =>  This Inner Loop Header: Depth=2
	s_delay_alu instid0(SALU_CYCLE_1)
	s_add_i32 s21, s21, -1
	s_sleep 1
	s_cmp_eq_u32 s21, 0
	s_cbranch_scc0 .LBB867_80
; %bb.81:                               ;   in Loop: Header=BB867_79 Depth=1
	global_load_b64 v[25:26], v[27:28], off glc
	s_cmp_lt_u32 s15, 32
	s_cselect_b32 s21, -1, 0
	s_delay_alu instid0(SALU_CYCLE_1) | instskip(SKIP_3) | instid1(VALU_DEP_1)
	s_cmp_lg_u32 s21, 0
	s_addc_u32 s15, s15, 0
	s_waitcnt vmcnt(0)
	v_and_b32_e32 v22, 0xff, v26
	v_cmp_ne_u16_e32 vcc_lo, 0, v22
	s_or_b32 s14, vcc_lo, s14
	s_delay_alu instid0(SALU_CYCLE_1)
	s_and_not1_b32 exec_lo, exec_lo, s14
	s_cbranch_execnz .LBB867_79
; %bb.82:
	s_or_b32 exec_lo, exec_lo, s14
.LBB867_83:
	s_delay_alu instid0(SALU_CYCLE_1)
	s_or_b32 exec_lo, exec_lo, s9
	v_cmp_ne_u32_e32 vcc_lo, 31, v43
	v_lshlrev_b32_e64 v35, v43, -1
	v_add_nc_u32_e32 v39, 2, v43
	v_add_nc_u32_e32 v47, 4, v43
	v_add_nc_u32_e32 v49, 8, v43
	v_add_co_ci_u32_e32 v22, vcc_lo, 0, v43, vcc_lo
	v_add_nc_u32_e32 v51, 16, v43
	s_delay_alu instid0(VALU_DEP_2)
	v_lshlrev_b32_e32 v33, 2, v22
	v_and_b32_e32 v22, 0xff, v26
	ds_bpermute_b32 v24, v33, v25
	v_cmp_eq_u16_e32 vcc_lo, 2, v22
	v_and_or_b32 v22, vcc_lo, v35, 0x80000000
	v_cmp_gt_u32_e32 vcc_lo, 30, v43
	s_delay_alu instid0(VALU_DEP_2) | instskip(SKIP_1) | instid1(VALU_DEP_2)
	v_ctz_i32_b32_e32 v22, v22
	v_cndmask_b32_e64 v27, 0, 1, vcc_lo
	v_cmp_lt_u32_e32 vcc_lo, v43, v22
	s_waitcnt lgkmcnt(0)
	s_delay_alu instid0(VALU_DEP_2) | instskip(NEXT) | instid1(VALU_DEP_1)
	v_dual_cndmask_b32 v24, 0, v24 :: v_dual_lshlrev_b32 v27, 1, v27
	v_add_lshl_u32 v37, v27, v43, 2
	v_cmp_gt_u32_e32 vcc_lo, 28, v43
	s_delay_alu instid0(VALU_DEP_3) | instskip(SKIP_4) | instid1(VALU_DEP_1)
	v_add_nc_u32_e32 v24, v24, v25
	v_cndmask_b32_e64 v27, 0, 1, vcc_lo
	v_cmp_le_u32_e32 vcc_lo, v39, v22
	ds_bpermute_b32 v25, v37, v24
	v_lshlrev_b32_e32 v27, 2, v27
	v_add_lshl_u32 v46, v27, v43, 2
	s_waitcnt lgkmcnt(0)
	v_cndmask_b32_e32 v25, 0, v25, vcc_lo
	v_cmp_gt_u32_e32 vcc_lo, 24, v43
	s_delay_alu instid0(VALU_DEP_2) | instskip(SKIP_4) | instid1(VALU_DEP_1)
	v_add_nc_u32_e32 v24, v24, v25
	v_cndmask_b32_e64 v27, 0, 1, vcc_lo
	v_cmp_le_u32_e32 vcc_lo, v47, v22
	ds_bpermute_b32 v25, v46, v24
	v_lshlrev_b32_e32 v27, 3, v27
	v_add_lshl_u32 v48, v27, v43, 2
	s_waitcnt lgkmcnt(0)
	v_cndmask_b32_e32 v25, 0, v25, vcc_lo
	v_cmp_gt_u32_e32 vcc_lo, 16, v43
	s_delay_alu instid0(VALU_DEP_2) | instskip(SKIP_4) | instid1(VALU_DEP_1)
	v_add_nc_u32_e32 v24, v24, v25
	v_cndmask_b32_e64 v27, 0, 1, vcc_lo
	v_cmp_le_u32_e32 vcc_lo, v49, v22
	ds_bpermute_b32 v25, v48, v24
	v_lshlrev_b32_e32 v27, 4, v27
	v_add_lshl_u32 v50, v27, v43, 2
	s_waitcnt lgkmcnt(0)
	v_cndmask_b32_e32 v25, 0, v25, vcc_lo
	v_cmp_le_u32_e32 vcc_lo, v51, v22
	s_delay_alu instid0(VALU_DEP_2) | instskip(SKIP_3) | instid1(VALU_DEP_1)
	v_add_nc_u32_e32 v24, v24, v25
	ds_bpermute_b32 v25, v50, v24
	s_waitcnt lgkmcnt(0)
	v_cndmask_b32_e32 v22, 0, v25, vcc_lo
	v_dual_mov_b32 v24, 0 :: v_dual_add_nc_u32 v25, v24, v22
	s_branch .LBB867_85
.LBB867_84:                             ;   in Loop: Header=BB867_85 Depth=1
	s_or_b32 exec_lo, exec_lo, s9
	ds_bpermute_b32 v28, v33, v25
	v_and_b32_e32 v27, 0xff, v26
	v_subrev_nc_u32_e32 v23, 32, v23
	s_delay_alu instid0(VALU_DEP_2) | instskip(SKIP_1) | instid1(VALU_DEP_1)
	v_cmp_eq_u16_e32 vcc_lo, 2, v27
	v_and_or_b32 v27, vcc_lo, v35, 0x80000000
	v_ctz_i32_b32_e32 v27, v27
	s_delay_alu instid0(VALU_DEP_1) | instskip(SKIP_3) | instid1(VALU_DEP_2)
	v_cmp_lt_u32_e32 vcc_lo, v43, v27
	s_waitcnt lgkmcnt(0)
	v_cndmask_b32_e32 v28, 0, v28, vcc_lo
	v_cmp_le_u32_e32 vcc_lo, v39, v27
	v_add_nc_u32_e32 v25, v28, v25
	ds_bpermute_b32 v28, v37, v25
	s_waitcnt lgkmcnt(0)
	v_cndmask_b32_e32 v28, 0, v28, vcc_lo
	v_cmp_le_u32_e32 vcc_lo, v47, v27
	s_delay_alu instid0(VALU_DEP_2) | instskip(SKIP_4) | instid1(VALU_DEP_2)
	v_add_nc_u32_e32 v25, v25, v28
	ds_bpermute_b32 v28, v46, v25
	s_waitcnt lgkmcnt(0)
	v_cndmask_b32_e32 v28, 0, v28, vcc_lo
	v_cmp_le_u32_e32 vcc_lo, v49, v27
	v_add_nc_u32_e32 v25, v25, v28
	ds_bpermute_b32 v28, v48, v25
	s_waitcnt lgkmcnt(0)
	v_cndmask_b32_e32 v28, 0, v28, vcc_lo
	v_cmp_le_u32_e32 vcc_lo, v51, v27
	s_delay_alu instid0(VALU_DEP_2) | instskip(SKIP_3) | instid1(VALU_DEP_1)
	v_add_nc_u32_e32 v25, v25, v28
	ds_bpermute_b32 v28, v50, v25
	s_waitcnt lgkmcnt(0)
	v_cndmask_b32_e32 v27, 0, v28, vcc_lo
	v_add3_u32 v25, v27, v22, v25
.LBB867_85:                             ; =>This Loop Header: Depth=1
                                        ;     Child Loop BB867_88 Depth 2
                                        ;       Child Loop BB867_89 Depth 3
	v_and_b32_e32 v22, 0xff, v26
	s_delay_alu instid0(VALU_DEP_1) | instskip(SKIP_2) | instid1(VALU_DEP_1)
	v_cmp_ne_u16_e32 vcc_lo, 2, v22
	v_cndmask_b32_e64 v22, 0, 1, vcc_lo
	;;#ASMSTART
	;;#ASMEND
	v_cmp_ne_u32_e32 vcc_lo, 0, v22
	v_mov_b32_e32 v22, v25
	s_cmp_lg_u32 vcc_lo, exec_lo
	s_cbranch_scc1 .LBB867_92
; %bb.86:                               ;   in Loop: Header=BB867_85 Depth=1
	v_lshlrev_b64 v[25:26], 3, v[23:24]
	s_mov_b32 s9, exec_lo
	s_delay_alu instid0(VALU_DEP_1) | instskip(NEXT) | instid1(VALU_DEP_2)
	v_add_co_u32 v27, vcc_lo, s16, v25
	v_add_co_ci_u32_e32 v28, vcc_lo, s17, v26, vcc_lo
	global_load_b64 v[25:26], v[27:28], off glc
	s_waitcnt vmcnt(0)
	v_and_b32_e32 v52, 0xff, v26
	s_delay_alu instid0(VALU_DEP_1)
	v_cmpx_eq_u16_e32 0, v52
	s_cbranch_execz .LBB867_84
; %bb.87:                               ;   in Loop: Header=BB867_85 Depth=1
	s_mov_b32 s15, 1
	s_mov_b32 s14, 0
	.p2align	6
.LBB867_88:                             ;   Parent Loop BB867_85 Depth=1
                                        ; =>  This Loop Header: Depth=2
                                        ;       Child Loop BB867_89 Depth 3
	s_max_u32 s21, s15, 1
.LBB867_89:                             ;   Parent Loop BB867_85 Depth=1
                                        ;     Parent Loop BB867_88 Depth=2
                                        ; =>    This Inner Loop Header: Depth=3
	s_delay_alu instid0(SALU_CYCLE_1)
	s_add_i32 s21, s21, -1
	s_sleep 1
	s_cmp_eq_u32 s21, 0
	s_cbranch_scc0 .LBB867_89
; %bb.90:                               ;   in Loop: Header=BB867_88 Depth=2
	global_load_b64 v[25:26], v[27:28], off glc
	s_cmp_lt_u32 s15, 32
	s_cselect_b32 s21, -1, 0
	s_delay_alu instid0(SALU_CYCLE_1) | instskip(SKIP_3) | instid1(VALU_DEP_1)
	s_cmp_lg_u32 s21, 0
	s_addc_u32 s15, s15, 0
	s_waitcnt vmcnt(0)
	v_and_b32_e32 v52, 0xff, v26
	v_cmp_ne_u16_e32 vcc_lo, 0, v52
	s_or_b32 s14, vcc_lo, s14
	s_delay_alu instid0(SALU_CYCLE_1)
	s_and_not1_b32 exec_lo, exec_lo, s14
	s_cbranch_execnz .LBB867_88
; %bb.91:                               ;   in Loop: Header=BB867_85 Depth=1
	s_or_b32 exec_lo, exec_lo, s14
	s_branch .LBB867_84
.LBB867_92:                             ;   in Loop: Header=BB867_85 Depth=1
                                        ; implicit-def: $vgpr25
                                        ; implicit-def: $vgpr26
	s_cbranch_execz .LBB867_85
; %bb.93:
	s_and_saveexec_b32 s9, s7
	s_cbranch_execz .LBB867_95
; %bb.94:
	s_add_i32 s14, s20, 32
	s_mov_b32 s15, 0
	v_dual_mov_b32 v24, 2 :: v_dual_add_nc_u32 v23, v22, v21
	s_lshl_b64 s[14:15], s[14:15], 3
	v_mov_b32_e32 v25, 0
	s_add_u32 s14, s16, s14
	s_addc_u32 s15, s17, s15
	global_store_b64 v25, v[23:24], s[14:15]
	ds_store_b64 v25, v[21:22] offset:12672
.LBB867_95:
	s_or_b32 exec_lo, exec_lo, s9
	s_delay_alu instid0(SALU_CYCLE_1)
	s_and_b32 exec_lo, exec_lo, s2
	s_cbranch_execz .LBB867_97
; %bb.96:
	v_mov_b32_e32 v21, 0
	ds_store_b32 v21, v22 offset:44
.LBB867_97:
	s_or_b32 exec_lo, exec_lo, s8
	v_mov_b32_e32 v21, 0
	s_waitcnt lgkmcnt(0)
	s_waitcnt_vscnt null, 0x0
	s_barrier
	buffer_gl0_inv
	v_cndmask_b32_e64 v23, v31, v29, s7
	ds_load_b32 v22, v21 offset:44
	s_waitcnt lgkmcnt(0)
	s_barrier
	buffer_gl0_inv
	v_cndmask_b32_e64 v23, v23, 0, s2
	s_delay_alu instid0(VALU_DEP_1) | instskip(SKIP_2) | instid1(VALU_DEP_1)
	v_add_nc_u32_e32 v39, v22, v23
	ds_load_b64 v[21:22], v21 offset:12672
	v_add_nc_u32_e32 v37, v39, v30
	v_add_nc_u32_e32 v35, v37, v32
	s_delay_alu instid0(VALU_DEP_1) | instskip(NEXT) | instid1(VALU_DEP_1)
	v_add_nc_u32_e32 v33, v35, v34
	v_add_nc_u32_e32 v31, v33, v36
	s_delay_alu instid0(VALU_DEP_1) | instskip(NEXT) | instid1(VALU_DEP_1)
	v_add_nc_u32_e32 v29, v31, v38
	v_add_nc_u32_e32 v27, v29, v40
	s_delay_alu instid0(VALU_DEP_1)
	v_add_nc_u32_e32 v25, v27, v42
	v_lshrrev_b64 v[23:24], 24, v[19:20]
	s_branch .LBB867_108
.LBB867_98:
                                        ; implicit-def: $vgpr25
                                        ; implicit-def: $vgpr27
                                        ; implicit-def: $vgpr29
                                        ; implicit-def: $vgpr31
                                        ; implicit-def: $vgpr33
                                        ; implicit-def: $vgpr35
                                        ; implicit-def: $vgpr37
                                        ; implicit-def: $vgpr39
                                        ; implicit-def: $vgpr22
	v_lshrrev_b64 v[23:24], 24, v[19:20]
	s_and_b32 vcc_lo, exec_lo, s7
	s_cbranch_vccz .LBB867_108
; %bb.99:
	s_waitcnt lgkmcnt(0)
	v_mov_b32_dpp v21, v45 row_shr:1 row_mask:0xf bank_mask:0xf
	s_delay_alu instid0(VALU_DEP_1) | instskip(NEXT) | instid1(VALU_DEP_1)
	v_cndmask_b32_e64 v21, v21, 0, s3
	v_add_nc_u32_e32 v21, v21, v45
	s_delay_alu instid0(VALU_DEP_1) | instskip(NEXT) | instid1(VALU_DEP_1)
	v_mov_b32_dpp v22, v21 row_shr:2 row_mask:0xf bank_mask:0xf
	v_cndmask_b32_e64 v22, 0, v22, s4
	s_delay_alu instid0(VALU_DEP_1) | instskip(NEXT) | instid1(VALU_DEP_1)
	v_add_nc_u32_e32 v21, v21, v22
	v_mov_b32_dpp v22, v21 row_shr:4 row_mask:0xf bank_mask:0xf
	s_delay_alu instid0(VALU_DEP_1) | instskip(NEXT) | instid1(VALU_DEP_1)
	v_cndmask_b32_e64 v22, 0, v22, s1
	v_add_nc_u32_e32 v21, v21, v22
	s_delay_alu instid0(VALU_DEP_1) | instskip(NEXT) | instid1(VALU_DEP_1)
	v_mov_b32_dpp v22, v21 row_shr:8 row_mask:0xf bank_mask:0xf
	v_cndmask_b32_e64 v22, 0, v22, s0
	s_delay_alu instid0(VALU_DEP_1) | instskip(SKIP_3) | instid1(VALU_DEP_1)
	v_add_nc_u32_e32 v21, v21, v22
	ds_swizzle_b32 v22, v21 offset:swizzle(BROADCAST,32,15)
	s_waitcnt lgkmcnt(0)
	v_cndmask_b32_e64 v22, v22, 0, s6
	v_add_nc_u32_e32 v21, v21, v22
	s_and_saveexec_b32 s6, s5
	s_cbranch_execz .LBB867_101
; %bb.100:
	v_lshlrev_b32_e32 v22, 2, v44
	ds_store_b32 v22, v21
.LBB867_101:
	s_or_b32 exec_lo, exec_lo, s6
	s_delay_alu instid0(SALU_CYCLE_1)
	s_mov_b32 s5, exec_lo
	s_waitcnt lgkmcnt(0)
	s_barrier
	buffer_gl0_inv
	v_cmpx_gt_u32_e32 12, v0
	s_cbranch_execz .LBB867_103
; %bb.102:
	v_lshlrev_b32_e32 v22, 2, v0
	ds_load_b32 v24, v22
	s_waitcnt lgkmcnt(0)
	v_mov_b32_dpp v25, v24 row_shr:1 row_mask:0xf bank_mask:0xf
	s_delay_alu instid0(VALU_DEP_1) | instskip(NEXT) | instid1(VALU_DEP_1)
	v_cndmask_b32_e64 v25, v25, 0, s3
	v_add_nc_u32_e32 v24, v25, v24
	s_delay_alu instid0(VALU_DEP_1) | instskip(NEXT) | instid1(VALU_DEP_1)
	v_mov_b32_dpp v25, v24 row_shr:2 row_mask:0xf bank_mask:0xf
	v_cndmask_b32_e64 v25, 0, v25, s4
	s_delay_alu instid0(VALU_DEP_1) | instskip(NEXT) | instid1(VALU_DEP_1)
	v_add_nc_u32_e32 v24, v24, v25
	v_mov_b32_dpp v25, v24 row_shr:4 row_mask:0xf bank_mask:0xf
	s_delay_alu instid0(VALU_DEP_1) | instskip(NEXT) | instid1(VALU_DEP_1)
	v_cndmask_b32_e64 v25, 0, v25, s1
	v_add_nc_u32_e32 v24, v24, v25
	s_delay_alu instid0(VALU_DEP_1) | instskip(NEXT) | instid1(VALU_DEP_1)
	v_mov_b32_dpp v25, v24 row_shr:8 row_mask:0xf bank_mask:0xf
	v_cndmask_b32_e64 v25, 0, v25, s0
	s_delay_alu instid0(VALU_DEP_1)
	v_add_nc_u32_e32 v24, v24, v25
	ds_store_b32 v22, v24
.LBB867_103:
	s_or_b32 exec_lo, exec_lo, s5
	v_mov_b32_e32 v22, 0
	v_mov_b32_e32 v24, 0
	s_mov_b32 s0, exec_lo
	s_waitcnt lgkmcnt(0)
	s_barrier
	buffer_gl0_inv
	v_cmpx_lt_u32_e32 31, v0
	s_cbranch_execz .LBB867_105
; %bb.104:
	v_lshl_add_u32 v24, v44, 2, -4
	ds_load_b32 v24, v24
.LBB867_105:
	s_or_b32 exec_lo, exec_lo, s0
	v_add_nc_u32_e32 v25, -1, v43
	s_waitcnt lgkmcnt(0)
	v_add_nc_u32_e32 v21, v24, v21
	s_delay_alu instid0(VALU_DEP_2) | instskip(SKIP_1) | instid1(VALU_DEP_1)
	v_cmp_gt_i32_e32 vcc_lo, 0, v25
	v_cndmask_b32_e32 v25, v25, v43, vcc_lo
	v_lshlrev_b32_e32 v25, 2, v25
	ds_bpermute_b32 v25, v25, v21
	ds_load_b32 v21, v22 offset:44
	s_and_saveexec_b32 s0, s2
	s_cbranch_execz .LBB867_107
; %bb.106:
	v_mov_b32_e32 v26, 0
	v_mov_b32_e32 v22, 2
	s_waitcnt lgkmcnt(0)
	global_store_b64 v26, v[21:22], s[16:17] offset:256
.LBB867_107:
	s_or_b32 exec_lo, exec_lo, s0
	v_cmp_eq_u32_e32 vcc_lo, 0, v43
	s_waitcnt lgkmcnt(0)
	s_waitcnt_vscnt null, 0x0
	s_barrier
	buffer_gl0_inv
	v_cndmask_b32_e32 v22, v25, v24, vcc_lo
	s_delay_alu instid0(VALU_DEP_1) | instskip(NEXT) | instid1(VALU_DEP_1)
	v_cndmask_b32_e64 v39, v22, 0, s2
	v_dual_mov_b32 v22, 0 :: v_dual_add_nc_u32 v37, v39, v30
	s_delay_alu instid0(VALU_DEP_1) | instskip(NEXT) | instid1(VALU_DEP_1)
	v_add_nc_u32_e32 v35, v37, v32
	v_add_nc_u32_e32 v33, v35, v34
	s_delay_alu instid0(VALU_DEP_1) | instskip(NEXT) | instid1(VALU_DEP_1)
	v_add_nc_u32_e32 v31, v33, v36
	v_add_nc_u32_e32 v29, v31, v38
	;; [unrolled: 3-line block ×3, first 2 shown]
.LBB867_108:
	v_lshrrev_b32_e32 v44, 8, v19
	v_lshrrev_b32_e32 v43, 16, v19
	v_and_b32_e32 v19, 1, v19
	s_waitcnt lgkmcnt(0)
	v_cmp_gt_u32_e64 s0, 0x181, v21
	v_lshrrev_b32_e32 v42, 8, v20
	v_lshrrev_b32_e32 v24, 16, v20
	v_cmp_eq_u32_e64 s1, 1, v19
	s_delay_alu instid0(VALU_DEP_4)
	s_and_b32 vcc_lo, exec_lo, s0
	s_cbranch_vccnz .LBB867_126
; %bb.109:
	s_delay_alu instid0(VALU_DEP_1)
	s_and_saveexec_b32 s3, s1
	s_cbranch_execz .LBB867_111
; %bb.110:
	v_sub_nc_u32_e32 v26, v39, v22
	s_delay_alu instid0(VALU_DEP_1)
	v_lshlrev_b32_e32 v26, 2, v26
	ds_store_b32 v26, v17
.LBB867_111:
	s_or_b32 exec_lo, exec_lo, s3
	v_and_b32_e32 v17, 1, v44
	s_mov_b32 s1, exec_lo
	s_delay_alu instid0(VALU_DEP_1)
	v_cmpx_eq_u32_e32 1, v17
	s_cbranch_execz .LBB867_113
; %bb.112:
	v_sub_nc_u32_e32 v17, v37, v22
	s_delay_alu instid0(VALU_DEP_1)
	v_lshlrev_b32_e32 v17, 2, v17
	ds_store_b32 v17, v18
.LBB867_113:
	s_or_b32 exec_lo, exec_lo, s1
	v_and_b32_e32 v17, 1, v43
	s_mov_b32 s1, exec_lo
	s_delay_alu instid0(VALU_DEP_1)
	v_cmpx_eq_u32_e32 1, v17
	;; [unrolled: 12-line block ×7, first 2 shown]
	s_cbranch_execz .LBB867_125
; %bb.124:
	v_sub_nc_u32_e32 v5, v25, v22
	s_delay_alu instid0(VALU_DEP_1)
	v_lshlrev_b32_e32 v5, 2, v5
	ds_store_b32 v5, v6
.LBB867_125:
	s_or_b32 exec_lo, exec_lo, s1
	s_waitcnt lgkmcnt(0)
	s_barrier
	buffer_gl0_inv
.LBB867_126:
	s_and_b32 vcc_lo, exec_lo, s0
	s_mov_b32 s0, -1
	s_barrier
	buffer_gl0_inv
	s_cbranch_vccz .LBB867_154
; %bb.127:
	v_lshlrev_b64 v[5:6], 2, v[9:10]
	v_add_nc_u32_e32 v11, v22, v21
	s_delay_alu instid0(VALU_DEP_1) | instskip(NEXT) | instid1(VALU_DEP_3)
	v_cmp_lt_u32_e32 vcc_lo, v39, v11
	v_add_co_u32 v5, s0, s10, v5
	s_delay_alu instid0(VALU_DEP_1) | instskip(SKIP_1) | instid1(SALU_CYCLE_1)
	v_add_co_ci_u32_e64 v6, s0, s11, v6, s0
	s_or_b32 s1, s19, vcc_lo
	s_and_saveexec_b32 s0, s1
	s_cbranch_execz .LBB867_130
; %bb.128:
	v_cmp_eq_u32_e32 vcc_lo, 1, v19
	s_and_b32 exec_lo, exec_lo, vcc_lo
	s_cbranch_execz .LBB867_130
; %bb.129:
	v_mov_b32_e32 v40, 0
	s_delay_alu instid0(VALU_DEP_1) | instskip(NEXT) | instid1(VALU_DEP_1)
	v_lshlrev_b64 v[15:16], 2, v[39:40]
	v_add_co_u32 v15, vcc_lo, v5, v15
	s_delay_alu instid0(VALU_DEP_2)
	v_add_co_ci_u32_e32 v16, vcc_lo, v6, v16, vcc_lo
	global_store_b32 v[15:16], v13, off
.LBB867_130:
	s_or_b32 exec_lo, exec_lo, s0
	v_cmp_lt_u32_e32 vcc_lo, v37, v11
	s_or_b32 s1, s19, vcc_lo
	s_delay_alu instid0(SALU_CYCLE_1)
	s_and_saveexec_b32 s0, s1
	s_cbranch_execz .LBB867_133
; %bb.131:
	v_and_b32_e32 v12, 1, v44
	s_delay_alu instid0(VALU_DEP_1)
	v_cmp_eq_u32_e32 vcc_lo, 1, v12
	s_and_b32 exec_lo, exec_lo, vcc_lo
	s_cbranch_execz .LBB867_133
; %bb.132:
	v_mov_b32_e32 v38, 0
	s_delay_alu instid0(VALU_DEP_1) | instskip(NEXT) | instid1(VALU_DEP_1)
	v_lshlrev_b64 v[15:16], 2, v[37:38]
	v_add_co_u32 v15, vcc_lo, v5, v15
	s_delay_alu instid0(VALU_DEP_2)
	v_add_co_ci_u32_e32 v16, vcc_lo, v6, v16, vcc_lo
	global_store_b32 v[15:16], v14, off
.LBB867_133:
	s_or_b32 exec_lo, exec_lo, s0
	v_cmp_lt_u32_e32 vcc_lo, v35, v11
	s_or_b32 s1, s19, vcc_lo
	s_delay_alu instid0(SALU_CYCLE_1)
	s_and_saveexec_b32 s0, s1
	s_cbranch_execz .LBB867_136
; %bb.134:
	v_and_b32_e32 v12, 1, v43
	s_delay_alu instid0(VALU_DEP_1)
	v_cmp_eq_u32_e32 vcc_lo, 1, v12
	s_and_b32 exec_lo, exec_lo, vcc_lo
	s_cbranch_execz .LBB867_136
; %bb.135:
	v_mov_b32_e32 v36, 0
	s_delay_alu instid0(VALU_DEP_1) | instskip(NEXT) | instid1(VALU_DEP_1)
	v_lshlrev_b64 v[15:16], 2, v[35:36]
	v_add_co_u32 v15, vcc_lo, v5, v15
	s_delay_alu instid0(VALU_DEP_2)
	v_add_co_ci_u32_e32 v16, vcc_lo, v6, v16, vcc_lo
	global_store_b32 v[15:16], v7, off
.LBB867_136:
	;; [unrolled: 21-line block ×7, first 2 shown]
	s_or_b32 exec_lo, exec_lo, s0
.LBB867_152:
	s_and_b32 s0, s2, s18
	s_delay_alu instid0(SALU_CYCLE_1)
	s_and_saveexec_b32 s1, s0
	s_cbranch_execz .LBB867_175
.LBB867_153:
	v_add_co_u32 v0, vcc_lo, v9, v21
	v_add_co_ci_u32_e32 v1, vcc_lo, 0, v10, vcc_lo
	v_mov_b32_e32 v2, 0
	s_delay_alu instid0(VALU_DEP_3) | instskip(NEXT) | instid1(VALU_DEP_3)
	v_add_co_u32 v0, vcc_lo, v0, v22
	v_add_co_ci_u32_e32 v1, vcc_lo, 0, v1, vcc_lo
	global_store_b64 v2, v[0:1], s[12:13]
	s_nop 0
	s_sendmsg sendmsg(MSG_DEALLOC_VGPRS)
	s_endpgm
.LBB867_154:
	s_and_b32 vcc_lo, exec_lo, s0
	s_cbranch_vccz .LBB867_152
; %bb.155:
	s_mov_b32 s0, exec_lo
	v_cmpx_eq_u32_e32 1, v19
	s_cbranch_execz .LBB867_157
; %bb.156:
	v_sub_nc_u32_e32 v5, v39, v22
	s_delay_alu instid0(VALU_DEP_1)
	v_lshlrev_b32_e32 v5, 2, v5
	ds_store_b32 v5, v13
.LBB867_157:
	s_or_b32 exec_lo, exec_lo, s0
	v_and_b32_e32 v5, 1, v44
	s_mov_b32 s0, exec_lo
	s_delay_alu instid0(VALU_DEP_1)
	v_cmpx_eq_u32_e32 1, v5
	s_cbranch_execz .LBB867_159
; %bb.158:
	v_sub_nc_u32_e32 v5, v37, v22
	s_delay_alu instid0(VALU_DEP_1)
	v_lshlrev_b32_e32 v5, 2, v5
	ds_store_b32 v5, v14
.LBB867_159:
	s_or_b32 exec_lo, exec_lo, s0
	v_and_b32_e32 v5, 1, v43
	s_mov_b32 s0, exec_lo
	s_delay_alu instid0(VALU_DEP_1)
	;; [unrolled: 12-line block ×7, first 2 shown]
	v_cmpx_eq_u32_e32 1, v1
	s_cbranch_execz .LBB867_171
; %bb.170:
	v_sub_nc_u32_e32 v1, v25, v22
	s_delay_alu instid0(VALU_DEP_1)
	v_lshlrev_b32_e32 v1, 2, v1
	ds_store_b32 v1, v2
.LBB867_171:
	s_or_b32 exec_lo, exec_lo, s0
	s_delay_alu instid0(SALU_CYCLE_1)
	s_mov_b32 s1, exec_lo
	s_waitcnt lgkmcnt(0)
	s_waitcnt_vscnt null, 0x0
	s_barrier
	buffer_gl0_inv
	v_cmpx_lt_u32_e64 v0, v21
	s_cbranch_execz .LBB867_174
; %bb.172:
	v_dual_mov_b32 v1, 0 :: v_dual_mov_b32 v2, v22
	v_lshlrev_b64 v[4:5], 2, v[9:10]
	s_mov_b32 s3, 0
	s_delay_alu instid0(VALU_DEP_2) | instskip(NEXT) | instid1(VALU_DEP_2)
	v_mov_b32_e32 v3, v1
	v_add_co_u32 v4, vcc_lo, s10, v4
	s_delay_alu instid0(VALU_DEP_2) | instskip(NEXT) | instid1(VALU_DEP_4)
	v_lshlrev_b64 v[2:3], 2, v[2:3]
	v_add_co_ci_u32_e32 v5, vcc_lo, s11, v5, vcc_lo
	s_delay_alu instid0(VALU_DEP_2) | instskip(SKIP_1) | instid1(VALU_DEP_3)
	v_add_co_u32 v2, vcc_lo, v4, v2
	v_lshlrev_b32_e32 v4, 2, v0
	v_add_co_ci_u32_e32 v3, vcc_lo, v5, v3, vcc_lo
	.p2align	6
.LBB867_173:                            ; =>This Inner Loop Header: Depth=1
	ds_load_b32 v7, v4
	v_lshlrev_b64 v[5:6], 2, v[0:1]
	v_add_nc_u32_e32 v0, 0x180, v0
	v_add_nc_u32_e32 v4, 0x600, v4
	s_delay_alu instid0(VALU_DEP_2) | instskip(NEXT) | instid1(VALU_DEP_4)
	v_cmp_ge_u32_e32 vcc_lo, v0, v21
	v_add_co_u32 v5, s0, v2, v5
	s_delay_alu instid0(VALU_DEP_1)
	v_add_co_ci_u32_e64 v6, s0, v3, v6, s0
	s_or_b32 s3, vcc_lo, s3
	s_waitcnt lgkmcnt(0)
	global_store_b32 v[5:6], v7, off
	s_and_not1_b32 exec_lo, exec_lo, s3
	s_cbranch_execnz .LBB867_173
.LBB867_174:
	s_or_b32 exec_lo, exec_lo, s1
	s_and_b32 s0, s2, s18
	s_delay_alu instid0(SALU_CYCLE_1)
	s_and_saveexec_b32 s1, s0
	s_cbranch_execnz .LBB867_153
.LBB867_175:
	s_nop 0
	s_sendmsg sendmsg(MSG_DEALLOC_VGPRS)
	s_endpgm
	.section	.rodata,"a",@progbits
	.p2align	6, 0x0
	.amdhsa_kernel _ZN7rocprim17ROCPRIM_400000_NS6detail17trampoline_kernelINS0_14default_configENS1_25partition_config_selectorILNS1_17partition_subalgoE9EjjbEEZZNS1_14partition_implILS5_9ELb0ES3_jN6thrust23THRUST_200600_302600_NS6detail15normal_iteratorINS9_10device_ptrIjEEEESE_PNS0_10empty_typeENS0_5tupleIJNS9_16discard_iteratorINS9_11use_defaultEEESF_EEENSH_IJSE_SG_EEENS0_18inequality_wrapperINS9_8equal_toIjEEEEPmJSF_EEE10hipError_tPvRmT3_T4_T5_T6_T7_T9_mT8_P12ihipStream_tbDpT10_ENKUlT_T0_E_clISt17integral_constantIbLb1EES1B_EEDaS16_S17_EUlS16_E_NS1_11comp_targetILNS1_3genE9ELNS1_11target_archE1100ELNS1_3gpuE3ELNS1_3repE0EEENS1_30default_config_static_selectorELNS0_4arch9wavefront6targetE0EEEvT1_
		.amdhsa_group_segment_fixed_size 12680
		.amdhsa_private_segment_fixed_size 0
		.amdhsa_kernarg_size 136
		.amdhsa_user_sgpr_count 15
		.amdhsa_user_sgpr_dispatch_ptr 0
		.amdhsa_user_sgpr_queue_ptr 0
		.amdhsa_user_sgpr_kernarg_segment_ptr 1
		.amdhsa_user_sgpr_dispatch_id 0
		.amdhsa_user_sgpr_private_segment_size 0
		.amdhsa_wavefront_size32 1
		.amdhsa_uses_dynamic_stack 0
		.amdhsa_enable_private_segment 0
		.amdhsa_system_sgpr_workgroup_id_x 1
		.amdhsa_system_sgpr_workgroup_id_y 0
		.amdhsa_system_sgpr_workgroup_id_z 0
		.amdhsa_system_sgpr_workgroup_info 0
		.amdhsa_system_vgpr_workitem_id 0
		.amdhsa_next_free_vgpr 53
		.amdhsa_next_free_sgpr 26
		.amdhsa_reserve_vcc 1
		.amdhsa_float_round_mode_32 0
		.amdhsa_float_round_mode_16_64 0
		.amdhsa_float_denorm_mode_32 3
		.amdhsa_float_denorm_mode_16_64 3
		.amdhsa_dx10_clamp 1
		.amdhsa_ieee_mode 1
		.amdhsa_fp16_overflow 0
		.amdhsa_workgroup_processor_mode 1
		.amdhsa_memory_ordered 1
		.amdhsa_forward_progress 0
		.amdhsa_shared_vgpr_count 0
		.amdhsa_exception_fp_ieee_invalid_op 0
		.amdhsa_exception_fp_denorm_src 0
		.amdhsa_exception_fp_ieee_div_zero 0
		.amdhsa_exception_fp_ieee_overflow 0
		.amdhsa_exception_fp_ieee_underflow 0
		.amdhsa_exception_fp_ieee_inexact 0
		.amdhsa_exception_int_div_zero 0
	.end_amdhsa_kernel
	.section	.text._ZN7rocprim17ROCPRIM_400000_NS6detail17trampoline_kernelINS0_14default_configENS1_25partition_config_selectorILNS1_17partition_subalgoE9EjjbEEZZNS1_14partition_implILS5_9ELb0ES3_jN6thrust23THRUST_200600_302600_NS6detail15normal_iteratorINS9_10device_ptrIjEEEESE_PNS0_10empty_typeENS0_5tupleIJNS9_16discard_iteratorINS9_11use_defaultEEESF_EEENSH_IJSE_SG_EEENS0_18inequality_wrapperINS9_8equal_toIjEEEEPmJSF_EEE10hipError_tPvRmT3_T4_T5_T6_T7_T9_mT8_P12ihipStream_tbDpT10_ENKUlT_T0_E_clISt17integral_constantIbLb1EES1B_EEDaS16_S17_EUlS16_E_NS1_11comp_targetILNS1_3genE9ELNS1_11target_archE1100ELNS1_3gpuE3ELNS1_3repE0EEENS1_30default_config_static_selectorELNS0_4arch9wavefront6targetE0EEEvT1_,"axG",@progbits,_ZN7rocprim17ROCPRIM_400000_NS6detail17trampoline_kernelINS0_14default_configENS1_25partition_config_selectorILNS1_17partition_subalgoE9EjjbEEZZNS1_14partition_implILS5_9ELb0ES3_jN6thrust23THRUST_200600_302600_NS6detail15normal_iteratorINS9_10device_ptrIjEEEESE_PNS0_10empty_typeENS0_5tupleIJNS9_16discard_iteratorINS9_11use_defaultEEESF_EEENSH_IJSE_SG_EEENS0_18inequality_wrapperINS9_8equal_toIjEEEEPmJSF_EEE10hipError_tPvRmT3_T4_T5_T6_T7_T9_mT8_P12ihipStream_tbDpT10_ENKUlT_T0_E_clISt17integral_constantIbLb1EES1B_EEDaS16_S17_EUlS16_E_NS1_11comp_targetILNS1_3genE9ELNS1_11target_archE1100ELNS1_3gpuE3ELNS1_3repE0EEENS1_30default_config_static_selectorELNS0_4arch9wavefront6targetE0EEEvT1_,comdat
.Lfunc_end867:
	.size	_ZN7rocprim17ROCPRIM_400000_NS6detail17trampoline_kernelINS0_14default_configENS1_25partition_config_selectorILNS1_17partition_subalgoE9EjjbEEZZNS1_14partition_implILS5_9ELb0ES3_jN6thrust23THRUST_200600_302600_NS6detail15normal_iteratorINS9_10device_ptrIjEEEESE_PNS0_10empty_typeENS0_5tupleIJNS9_16discard_iteratorINS9_11use_defaultEEESF_EEENSH_IJSE_SG_EEENS0_18inequality_wrapperINS9_8equal_toIjEEEEPmJSF_EEE10hipError_tPvRmT3_T4_T5_T6_T7_T9_mT8_P12ihipStream_tbDpT10_ENKUlT_T0_E_clISt17integral_constantIbLb1EES1B_EEDaS16_S17_EUlS16_E_NS1_11comp_targetILNS1_3genE9ELNS1_11target_archE1100ELNS1_3gpuE3ELNS1_3repE0EEENS1_30default_config_static_selectorELNS0_4arch9wavefront6targetE0EEEvT1_, .Lfunc_end867-_ZN7rocprim17ROCPRIM_400000_NS6detail17trampoline_kernelINS0_14default_configENS1_25partition_config_selectorILNS1_17partition_subalgoE9EjjbEEZZNS1_14partition_implILS5_9ELb0ES3_jN6thrust23THRUST_200600_302600_NS6detail15normal_iteratorINS9_10device_ptrIjEEEESE_PNS0_10empty_typeENS0_5tupleIJNS9_16discard_iteratorINS9_11use_defaultEEESF_EEENSH_IJSE_SG_EEENS0_18inequality_wrapperINS9_8equal_toIjEEEEPmJSF_EEE10hipError_tPvRmT3_T4_T5_T6_T7_T9_mT8_P12ihipStream_tbDpT10_ENKUlT_T0_E_clISt17integral_constantIbLb1EES1B_EEDaS16_S17_EUlS16_E_NS1_11comp_targetILNS1_3genE9ELNS1_11target_archE1100ELNS1_3gpuE3ELNS1_3repE0EEENS1_30default_config_static_selectorELNS0_4arch9wavefront6targetE0EEEvT1_
                                        ; -- End function
	.section	.AMDGPU.csdata,"",@progbits
; Kernel info:
; codeLenInByte = 8592
; NumSgprs: 28
; NumVgprs: 53
; ScratchSize: 0
; MemoryBound: 0
; FloatMode: 240
; IeeeMode: 1
; LDSByteSize: 12680 bytes/workgroup (compile time only)
; SGPRBlocks: 3
; VGPRBlocks: 6
; NumSGPRsForWavesPerEU: 28
; NumVGPRsForWavesPerEU: 53
; Occupancy: 15
; WaveLimiterHint : 1
; COMPUTE_PGM_RSRC2:SCRATCH_EN: 0
; COMPUTE_PGM_RSRC2:USER_SGPR: 15
; COMPUTE_PGM_RSRC2:TRAP_HANDLER: 0
; COMPUTE_PGM_RSRC2:TGID_X_EN: 1
; COMPUTE_PGM_RSRC2:TGID_Y_EN: 0
; COMPUTE_PGM_RSRC2:TGID_Z_EN: 0
; COMPUTE_PGM_RSRC2:TIDIG_COMP_CNT: 0
	.section	.text._ZN7rocprim17ROCPRIM_400000_NS6detail17trampoline_kernelINS0_14default_configENS1_25partition_config_selectorILNS1_17partition_subalgoE9EjjbEEZZNS1_14partition_implILS5_9ELb0ES3_jN6thrust23THRUST_200600_302600_NS6detail15normal_iteratorINS9_10device_ptrIjEEEESE_PNS0_10empty_typeENS0_5tupleIJNS9_16discard_iteratorINS9_11use_defaultEEESF_EEENSH_IJSE_SG_EEENS0_18inequality_wrapperINS9_8equal_toIjEEEEPmJSF_EEE10hipError_tPvRmT3_T4_T5_T6_T7_T9_mT8_P12ihipStream_tbDpT10_ENKUlT_T0_E_clISt17integral_constantIbLb1EES1B_EEDaS16_S17_EUlS16_E_NS1_11comp_targetILNS1_3genE8ELNS1_11target_archE1030ELNS1_3gpuE2ELNS1_3repE0EEENS1_30default_config_static_selectorELNS0_4arch9wavefront6targetE0EEEvT1_,"axG",@progbits,_ZN7rocprim17ROCPRIM_400000_NS6detail17trampoline_kernelINS0_14default_configENS1_25partition_config_selectorILNS1_17partition_subalgoE9EjjbEEZZNS1_14partition_implILS5_9ELb0ES3_jN6thrust23THRUST_200600_302600_NS6detail15normal_iteratorINS9_10device_ptrIjEEEESE_PNS0_10empty_typeENS0_5tupleIJNS9_16discard_iteratorINS9_11use_defaultEEESF_EEENSH_IJSE_SG_EEENS0_18inequality_wrapperINS9_8equal_toIjEEEEPmJSF_EEE10hipError_tPvRmT3_T4_T5_T6_T7_T9_mT8_P12ihipStream_tbDpT10_ENKUlT_T0_E_clISt17integral_constantIbLb1EES1B_EEDaS16_S17_EUlS16_E_NS1_11comp_targetILNS1_3genE8ELNS1_11target_archE1030ELNS1_3gpuE2ELNS1_3repE0EEENS1_30default_config_static_selectorELNS0_4arch9wavefront6targetE0EEEvT1_,comdat
	.protected	_ZN7rocprim17ROCPRIM_400000_NS6detail17trampoline_kernelINS0_14default_configENS1_25partition_config_selectorILNS1_17partition_subalgoE9EjjbEEZZNS1_14partition_implILS5_9ELb0ES3_jN6thrust23THRUST_200600_302600_NS6detail15normal_iteratorINS9_10device_ptrIjEEEESE_PNS0_10empty_typeENS0_5tupleIJNS9_16discard_iteratorINS9_11use_defaultEEESF_EEENSH_IJSE_SG_EEENS0_18inequality_wrapperINS9_8equal_toIjEEEEPmJSF_EEE10hipError_tPvRmT3_T4_T5_T6_T7_T9_mT8_P12ihipStream_tbDpT10_ENKUlT_T0_E_clISt17integral_constantIbLb1EES1B_EEDaS16_S17_EUlS16_E_NS1_11comp_targetILNS1_3genE8ELNS1_11target_archE1030ELNS1_3gpuE2ELNS1_3repE0EEENS1_30default_config_static_selectorELNS0_4arch9wavefront6targetE0EEEvT1_ ; -- Begin function _ZN7rocprim17ROCPRIM_400000_NS6detail17trampoline_kernelINS0_14default_configENS1_25partition_config_selectorILNS1_17partition_subalgoE9EjjbEEZZNS1_14partition_implILS5_9ELb0ES3_jN6thrust23THRUST_200600_302600_NS6detail15normal_iteratorINS9_10device_ptrIjEEEESE_PNS0_10empty_typeENS0_5tupleIJNS9_16discard_iteratorINS9_11use_defaultEEESF_EEENSH_IJSE_SG_EEENS0_18inequality_wrapperINS9_8equal_toIjEEEEPmJSF_EEE10hipError_tPvRmT3_T4_T5_T6_T7_T9_mT8_P12ihipStream_tbDpT10_ENKUlT_T0_E_clISt17integral_constantIbLb1EES1B_EEDaS16_S17_EUlS16_E_NS1_11comp_targetILNS1_3genE8ELNS1_11target_archE1030ELNS1_3gpuE2ELNS1_3repE0EEENS1_30default_config_static_selectorELNS0_4arch9wavefront6targetE0EEEvT1_
	.globl	_ZN7rocprim17ROCPRIM_400000_NS6detail17trampoline_kernelINS0_14default_configENS1_25partition_config_selectorILNS1_17partition_subalgoE9EjjbEEZZNS1_14partition_implILS5_9ELb0ES3_jN6thrust23THRUST_200600_302600_NS6detail15normal_iteratorINS9_10device_ptrIjEEEESE_PNS0_10empty_typeENS0_5tupleIJNS9_16discard_iteratorINS9_11use_defaultEEESF_EEENSH_IJSE_SG_EEENS0_18inequality_wrapperINS9_8equal_toIjEEEEPmJSF_EEE10hipError_tPvRmT3_T4_T5_T6_T7_T9_mT8_P12ihipStream_tbDpT10_ENKUlT_T0_E_clISt17integral_constantIbLb1EES1B_EEDaS16_S17_EUlS16_E_NS1_11comp_targetILNS1_3genE8ELNS1_11target_archE1030ELNS1_3gpuE2ELNS1_3repE0EEENS1_30default_config_static_selectorELNS0_4arch9wavefront6targetE0EEEvT1_
	.p2align	8
	.type	_ZN7rocprim17ROCPRIM_400000_NS6detail17trampoline_kernelINS0_14default_configENS1_25partition_config_selectorILNS1_17partition_subalgoE9EjjbEEZZNS1_14partition_implILS5_9ELb0ES3_jN6thrust23THRUST_200600_302600_NS6detail15normal_iteratorINS9_10device_ptrIjEEEESE_PNS0_10empty_typeENS0_5tupleIJNS9_16discard_iteratorINS9_11use_defaultEEESF_EEENSH_IJSE_SG_EEENS0_18inequality_wrapperINS9_8equal_toIjEEEEPmJSF_EEE10hipError_tPvRmT3_T4_T5_T6_T7_T9_mT8_P12ihipStream_tbDpT10_ENKUlT_T0_E_clISt17integral_constantIbLb1EES1B_EEDaS16_S17_EUlS16_E_NS1_11comp_targetILNS1_3genE8ELNS1_11target_archE1030ELNS1_3gpuE2ELNS1_3repE0EEENS1_30default_config_static_selectorELNS0_4arch9wavefront6targetE0EEEvT1_,@function
_ZN7rocprim17ROCPRIM_400000_NS6detail17trampoline_kernelINS0_14default_configENS1_25partition_config_selectorILNS1_17partition_subalgoE9EjjbEEZZNS1_14partition_implILS5_9ELb0ES3_jN6thrust23THRUST_200600_302600_NS6detail15normal_iteratorINS9_10device_ptrIjEEEESE_PNS0_10empty_typeENS0_5tupleIJNS9_16discard_iteratorINS9_11use_defaultEEESF_EEENSH_IJSE_SG_EEENS0_18inequality_wrapperINS9_8equal_toIjEEEEPmJSF_EEE10hipError_tPvRmT3_T4_T5_T6_T7_T9_mT8_P12ihipStream_tbDpT10_ENKUlT_T0_E_clISt17integral_constantIbLb1EES1B_EEDaS16_S17_EUlS16_E_NS1_11comp_targetILNS1_3genE8ELNS1_11target_archE1030ELNS1_3gpuE2ELNS1_3repE0EEENS1_30default_config_static_selectorELNS0_4arch9wavefront6targetE0EEEvT1_: ; @_ZN7rocprim17ROCPRIM_400000_NS6detail17trampoline_kernelINS0_14default_configENS1_25partition_config_selectorILNS1_17partition_subalgoE9EjjbEEZZNS1_14partition_implILS5_9ELb0ES3_jN6thrust23THRUST_200600_302600_NS6detail15normal_iteratorINS9_10device_ptrIjEEEESE_PNS0_10empty_typeENS0_5tupleIJNS9_16discard_iteratorINS9_11use_defaultEEESF_EEENSH_IJSE_SG_EEENS0_18inequality_wrapperINS9_8equal_toIjEEEEPmJSF_EEE10hipError_tPvRmT3_T4_T5_T6_T7_T9_mT8_P12ihipStream_tbDpT10_ENKUlT_T0_E_clISt17integral_constantIbLb1EES1B_EEDaS16_S17_EUlS16_E_NS1_11comp_targetILNS1_3genE8ELNS1_11target_archE1030ELNS1_3gpuE2ELNS1_3repE0EEENS1_30default_config_static_selectorELNS0_4arch9wavefront6targetE0EEEvT1_
; %bb.0:
	.section	.rodata,"a",@progbits
	.p2align	6, 0x0
	.amdhsa_kernel _ZN7rocprim17ROCPRIM_400000_NS6detail17trampoline_kernelINS0_14default_configENS1_25partition_config_selectorILNS1_17partition_subalgoE9EjjbEEZZNS1_14partition_implILS5_9ELb0ES3_jN6thrust23THRUST_200600_302600_NS6detail15normal_iteratorINS9_10device_ptrIjEEEESE_PNS0_10empty_typeENS0_5tupleIJNS9_16discard_iteratorINS9_11use_defaultEEESF_EEENSH_IJSE_SG_EEENS0_18inequality_wrapperINS9_8equal_toIjEEEEPmJSF_EEE10hipError_tPvRmT3_T4_T5_T6_T7_T9_mT8_P12ihipStream_tbDpT10_ENKUlT_T0_E_clISt17integral_constantIbLb1EES1B_EEDaS16_S17_EUlS16_E_NS1_11comp_targetILNS1_3genE8ELNS1_11target_archE1030ELNS1_3gpuE2ELNS1_3repE0EEENS1_30default_config_static_selectorELNS0_4arch9wavefront6targetE0EEEvT1_
		.amdhsa_group_segment_fixed_size 0
		.amdhsa_private_segment_fixed_size 0
		.amdhsa_kernarg_size 136
		.amdhsa_user_sgpr_count 15
		.amdhsa_user_sgpr_dispatch_ptr 0
		.amdhsa_user_sgpr_queue_ptr 0
		.amdhsa_user_sgpr_kernarg_segment_ptr 1
		.amdhsa_user_sgpr_dispatch_id 0
		.amdhsa_user_sgpr_private_segment_size 0
		.amdhsa_wavefront_size32 1
		.amdhsa_uses_dynamic_stack 0
		.amdhsa_enable_private_segment 0
		.amdhsa_system_sgpr_workgroup_id_x 1
		.amdhsa_system_sgpr_workgroup_id_y 0
		.amdhsa_system_sgpr_workgroup_id_z 0
		.amdhsa_system_sgpr_workgroup_info 0
		.amdhsa_system_vgpr_workitem_id 0
		.amdhsa_next_free_vgpr 1
		.amdhsa_next_free_sgpr 1
		.amdhsa_reserve_vcc 0
		.amdhsa_float_round_mode_32 0
		.amdhsa_float_round_mode_16_64 0
		.amdhsa_float_denorm_mode_32 3
		.amdhsa_float_denorm_mode_16_64 3
		.amdhsa_dx10_clamp 1
		.amdhsa_ieee_mode 1
		.amdhsa_fp16_overflow 0
		.amdhsa_workgroup_processor_mode 1
		.amdhsa_memory_ordered 1
		.amdhsa_forward_progress 0
		.amdhsa_shared_vgpr_count 0
		.amdhsa_exception_fp_ieee_invalid_op 0
		.amdhsa_exception_fp_denorm_src 0
		.amdhsa_exception_fp_ieee_div_zero 0
		.amdhsa_exception_fp_ieee_overflow 0
		.amdhsa_exception_fp_ieee_underflow 0
		.amdhsa_exception_fp_ieee_inexact 0
		.amdhsa_exception_int_div_zero 0
	.end_amdhsa_kernel
	.section	.text._ZN7rocprim17ROCPRIM_400000_NS6detail17trampoline_kernelINS0_14default_configENS1_25partition_config_selectorILNS1_17partition_subalgoE9EjjbEEZZNS1_14partition_implILS5_9ELb0ES3_jN6thrust23THRUST_200600_302600_NS6detail15normal_iteratorINS9_10device_ptrIjEEEESE_PNS0_10empty_typeENS0_5tupleIJNS9_16discard_iteratorINS9_11use_defaultEEESF_EEENSH_IJSE_SG_EEENS0_18inequality_wrapperINS9_8equal_toIjEEEEPmJSF_EEE10hipError_tPvRmT3_T4_T5_T6_T7_T9_mT8_P12ihipStream_tbDpT10_ENKUlT_T0_E_clISt17integral_constantIbLb1EES1B_EEDaS16_S17_EUlS16_E_NS1_11comp_targetILNS1_3genE8ELNS1_11target_archE1030ELNS1_3gpuE2ELNS1_3repE0EEENS1_30default_config_static_selectorELNS0_4arch9wavefront6targetE0EEEvT1_,"axG",@progbits,_ZN7rocprim17ROCPRIM_400000_NS6detail17trampoline_kernelINS0_14default_configENS1_25partition_config_selectorILNS1_17partition_subalgoE9EjjbEEZZNS1_14partition_implILS5_9ELb0ES3_jN6thrust23THRUST_200600_302600_NS6detail15normal_iteratorINS9_10device_ptrIjEEEESE_PNS0_10empty_typeENS0_5tupleIJNS9_16discard_iteratorINS9_11use_defaultEEESF_EEENSH_IJSE_SG_EEENS0_18inequality_wrapperINS9_8equal_toIjEEEEPmJSF_EEE10hipError_tPvRmT3_T4_T5_T6_T7_T9_mT8_P12ihipStream_tbDpT10_ENKUlT_T0_E_clISt17integral_constantIbLb1EES1B_EEDaS16_S17_EUlS16_E_NS1_11comp_targetILNS1_3genE8ELNS1_11target_archE1030ELNS1_3gpuE2ELNS1_3repE0EEENS1_30default_config_static_selectorELNS0_4arch9wavefront6targetE0EEEvT1_,comdat
.Lfunc_end868:
	.size	_ZN7rocprim17ROCPRIM_400000_NS6detail17trampoline_kernelINS0_14default_configENS1_25partition_config_selectorILNS1_17partition_subalgoE9EjjbEEZZNS1_14partition_implILS5_9ELb0ES3_jN6thrust23THRUST_200600_302600_NS6detail15normal_iteratorINS9_10device_ptrIjEEEESE_PNS0_10empty_typeENS0_5tupleIJNS9_16discard_iteratorINS9_11use_defaultEEESF_EEENSH_IJSE_SG_EEENS0_18inequality_wrapperINS9_8equal_toIjEEEEPmJSF_EEE10hipError_tPvRmT3_T4_T5_T6_T7_T9_mT8_P12ihipStream_tbDpT10_ENKUlT_T0_E_clISt17integral_constantIbLb1EES1B_EEDaS16_S17_EUlS16_E_NS1_11comp_targetILNS1_3genE8ELNS1_11target_archE1030ELNS1_3gpuE2ELNS1_3repE0EEENS1_30default_config_static_selectorELNS0_4arch9wavefront6targetE0EEEvT1_, .Lfunc_end868-_ZN7rocprim17ROCPRIM_400000_NS6detail17trampoline_kernelINS0_14default_configENS1_25partition_config_selectorILNS1_17partition_subalgoE9EjjbEEZZNS1_14partition_implILS5_9ELb0ES3_jN6thrust23THRUST_200600_302600_NS6detail15normal_iteratorINS9_10device_ptrIjEEEESE_PNS0_10empty_typeENS0_5tupleIJNS9_16discard_iteratorINS9_11use_defaultEEESF_EEENSH_IJSE_SG_EEENS0_18inequality_wrapperINS9_8equal_toIjEEEEPmJSF_EEE10hipError_tPvRmT3_T4_T5_T6_T7_T9_mT8_P12ihipStream_tbDpT10_ENKUlT_T0_E_clISt17integral_constantIbLb1EES1B_EEDaS16_S17_EUlS16_E_NS1_11comp_targetILNS1_3genE8ELNS1_11target_archE1030ELNS1_3gpuE2ELNS1_3repE0EEENS1_30default_config_static_selectorELNS0_4arch9wavefront6targetE0EEEvT1_
                                        ; -- End function
	.section	.AMDGPU.csdata,"",@progbits
; Kernel info:
; codeLenInByte = 0
; NumSgprs: 0
; NumVgprs: 0
; ScratchSize: 0
; MemoryBound: 0
; FloatMode: 240
; IeeeMode: 1
; LDSByteSize: 0 bytes/workgroup (compile time only)
; SGPRBlocks: 0
; VGPRBlocks: 0
; NumSGPRsForWavesPerEU: 1
; NumVGPRsForWavesPerEU: 1
; Occupancy: 16
; WaveLimiterHint : 0
; COMPUTE_PGM_RSRC2:SCRATCH_EN: 0
; COMPUTE_PGM_RSRC2:USER_SGPR: 15
; COMPUTE_PGM_RSRC2:TRAP_HANDLER: 0
; COMPUTE_PGM_RSRC2:TGID_X_EN: 1
; COMPUTE_PGM_RSRC2:TGID_Y_EN: 0
; COMPUTE_PGM_RSRC2:TGID_Z_EN: 0
; COMPUTE_PGM_RSRC2:TIDIG_COMP_CNT: 0
	.section	.text._ZN7rocprim17ROCPRIM_400000_NS6detail17trampoline_kernelINS0_14default_configENS1_25partition_config_selectorILNS1_17partition_subalgoE9EjjbEEZZNS1_14partition_implILS5_9ELb0ES3_jN6thrust23THRUST_200600_302600_NS6detail15normal_iteratorINS9_10device_ptrIjEEEESE_PNS0_10empty_typeENS0_5tupleIJNS9_16discard_iteratorINS9_11use_defaultEEESF_EEENSH_IJSE_SG_EEENS0_18inequality_wrapperINS9_8equal_toIjEEEEPmJSF_EEE10hipError_tPvRmT3_T4_T5_T6_T7_T9_mT8_P12ihipStream_tbDpT10_ENKUlT_T0_E_clISt17integral_constantIbLb1EES1A_IbLb0EEEEDaS16_S17_EUlS16_E_NS1_11comp_targetILNS1_3genE0ELNS1_11target_archE4294967295ELNS1_3gpuE0ELNS1_3repE0EEENS1_30default_config_static_selectorELNS0_4arch9wavefront6targetE0EEEvT1_,"axG",@progbits,_ZN7rocprim17ROCPRIM_400000_NS6detail17trampoline_kernelINS0_14default_configENS1_25partition_config_selectorILNS1_17partition_subalgoE9EjjbEEZZNS1_14partition_implILS5_9ELb0ES3_jN6thrust23THRUST_200600_302600_NS6detail15normal_iteratorINS9_10device_ptrIjEEEESE_PNS0_10empty_typeENS0_5tupleIJNS9_16discard_iteratorINS9_11use_defaultEEESF_EEENSH_IJSE_SG_EEENS0_18inequality_wrapperINS9_8equal_toIjEEEEPmJSF_EEE10hipError_tPvRmT3_T4_T5_T6_T7_T9_mT8_P12ihipStream_tbDpT10_ENKUlT_T0_E_clISt17integral_constantIbLb1EES1A_IbLb0EEEEDaS16_S17_EUlS16_E_NS1_11comp_targetILNS1_3genE0ELNS1_11target_archE4294967295ELNS1_3gpuE0ELNS1_3repE0EEENS1_30default_config_static_selectorELNS0_4arch9wavefront6targetE0EEEvT1_,comdat
	.protected	_ZN7rocprim17ROCPRIM_400000_NS6detail17trampoline_kernelINS0_14default_configENS1_25partition_config_selectorILNS1_17partition_subalgoE9EjjbEEZZNS1_14partition_implILS5_9ELb0ES3_jN6thrust23THRUST_200600_302600_NS6detail15normal_iteratorINS9_10device_ptrIjEEEESE_PNS0_10empty_typeENS0_5tupleIJNS9_16discard_iteratorINS9_11use_defaultEEESF_EEENSH_IJSE_SG_EEENS0_18inequality_wrapperINS9_8equal_toIjEEEEPmJSF_EEE10hipError_tPvRmT3_T4_T5_T6_T7_T9_mT8_P12ihipStream_tbDpT10_ENKUlT_T0_E_clISt17integral_constantIbLb1EES1A_IbLb0EEEEDaS16_S17_EUlS16_E_NS1_11comp_targetILNS1_3genE0ELNS1_11target_archE4294967295ELNS1_3gpuE0ELNS1_3repE0EEENS1_30default_config_static_selectorELNS0_4arch9wavefront6targetE0EEEvT1_ ; -- Begin function _ZN7rocprim17ROCPRIM_400000_NS6detail17trampoline_kernelINS0_14default_configENS1_25partition_config_selectorILNS1_17partition_subalgoE9EjjbEEZZNS1_14partition_implILS5_9ELb0ES3_jN6thrust23THRUST_200600_302600_NS6detail15normal_iteratorINS9_10device_ptrIjEEEESE_PNS0_10empty_typeENS0_5tupleIJNS9_16discard_iteratorINS9_11use_defaultEEESF_EEENSH_IJSE_SG_EEENS0_18inequality_wrapperINS9_8equal_toIjEEEEPmJSF_EEE10hipError_tPvRmT3_T4_T5_T6_T7_T9_mT8_P12ihipStream_tbDpT10_ENKUlT_T0_E_clISt17integral_constantIbLb1EES1A_IbLb0EEEEDaS16_S17_EUlS16_E_NS1_11comp_targetILNS1_3genE0ELNS1_11target_archE4294967295ELNS1_3gpuE0ELNS1_3repE0EEENS1_30default_config_static_selectorELNS0_4arch9wavefront6targetE0EEEvT1_
	.globl	_ZN7rocprim17ROCPRIM_400000_NS6detail17trampoline_kernelINS0_14default_configENS1_25partition_config_selectorILNS1_17partition_subalgoE9EjjbEEZZNS1_14partition_implILS5_9ELb0ES3_jN6thrust23THRUST_200600_302600_NS6detail15normal_iteratorINS9_10device_ptrIjEEEESE_PNS0_10empty_typeENS0_5tupleIJNS9_16discard_iteratorINS9_11use_defaultEEESF_EEENSH_IJSE_SG_EEENS0_18inequality_wrapperINS9_8equal_toIjEEEEPmJSF_EEE10hipError_tPvRmT3_T4_T5_T6_T7_T9_mT8_P12ihipStream_tbDpT10_ENKUlT_T0_E_clISt17integral_constantIbLb1EES1A_IbLb0EEEEDaS16_S17_EUlS16_E_NS1_11comp_targetILNS1_3genE0ELNS1_11target_archE4294967295ELNS1_3gpuE0ELNS1_3repE0EEENS1_30default_config_static_selectorELNS0_4arch9wavefront6targetE0EEEvT1_
	.p2align	8
	.type	_ZN7rocprim17ROCPRIM_400000_NS6detail17trampoline_kernelINS0_14default_configENS1_25partition_config_selectorILNS1_17partition_subalgoE9EjjbEEZZNS1_14partition_implILS5_9ELb0ES3_jN6thrust23THRUST_200600_302600_NS6detail15normal_iteratorINS9_10device_ptrIjEEEESE_PNS0_10empty_typeENS0_5tupleIJNS9_16discard_iteratorINS9_11use_defaultEEESF_EEENSH_IJSE_SG_EEENS0_18inequality_wrapperINS9_8equal_toIjEEEEPmJSF_EEE10hipError_tPvRmT3_T4_T5_T6_T7_T9_mT8_P12ihipStream_tbDpT10_ENKUlT_T0_E_clISt17integral_constantIbLb1EES1A_IbLb0EEEEDaS16_S17_EUlS16_E_NS1_11comp_targetILNS1_3genE0ELNS1_11target_archE4294967295ELNS1_3gpuE0ELNS1_3repE0EEENS1_30default_config_static_selectorELNS0_4arch9wavefront6targetE0EEEvT1_,@function
_ZN7rocprim17ROCPRIM_400000_NS6detail17trampoline_kernelINS0_14default_configENS1_25partition_config_selectorILNS1_17partition_subalgoE9EjjbEEZZNS1_14partition_implILS5_9ELb0ES3_jN6thrust23THRUST_200600_302600_NS6detail15normal_iteratorINS9_10device_ptrIjEEEESE_PNS0_10empty_typeENS0_5tupleIJNS9_16discard_iteratorINS9_11use_defaultEEESF_EEENSH_IJSE_SG_EEENS0_18inequality_wrapperINS9_8equal_toIjEEEEPmJSF_EEE10hipError_tPvRmT3_T4_T5_T6_T7_T9_mT8_P12ihipStream_tbDpT10_ENKUlT_T0_E_clISt17integral_constantIbLb1EES1A_IbLb0EEEEDaS16_S17_EUlS16_E_NS1_11comp_targetILNS1_3genE0ELNS1_11target_archE4294967295ELNS1_3gpuE0ELNS1_3repE0EEENS1_30default_config_static_selectorELNS0_4arch9wavefront6targetE0EEEvT1_: ; @_ZN7rocprim17ROCPRIM_400000_NS6detail17trampoline_kernelINS0_14default_configENS1_25partition_config_selectorILNS1_17partition_subalgoE9EjjbEEZZNS1_14partition_implILS5_9ELb0ES3_jN6thrust23THRUST_200600_302600_NS6detail15normal_iteratorINS9_10device_ptrIjEEEESE_PNS0_10empty_typeENS0_5tupleIJNS9_16discard_iteratorINS9_11use_defaultEEESF_EEENSH_IJSE_SG_EEENS0_18inequality_wrapperINS9_8equal_toIjEEEEPmJSF_EEE10hipError_tPvRmT3_T4_T5_T6_T7_T9_mT8_P12ihipStream_tbDpT10_ENKUlT_T0_E_clISt17integral_constantIbLb1EES1A_IbLb0EEEEDaS16_S17_EUlS16_E_NS1_11comp_targetILNS1_3genE0ELNS1_11target_archE4294967295ELNS1_3gpuE0ELNS1_3repE0EEENS1_30default_config_static_selectorELNS0_4arch9wavefront6targetE0EEEvT1_
; %bb.0:
	.section	.rodata,"a",@progbits
	.p2align	6, 0x0
	.amdhsa_kernel _ZN7rocprim17ROCPRIM_400000_NS6detail17trampoline_kernelINS0_14default_configENS1_25partition_config_selectorILNS1_17partition_subalgoE9EjjbEEZZNS1_14partition_implILS5_9ELb0ES3_jN6thrust23THRUST_200600_302600_NS6detail15normal_iteratorINS9_10device_ptrIjEEEESE_PNS0_10empty_typeENS0_5tupleIJNS9_16discard_iteratorINS9_11use_defaultEEESF_EEENSH_IJSE_SG_EEENS0_18inequality_wrapperINS9_8equal_toIjEEEEPmJSF_EEE10hipError_tPvRmT3_T4_T5_T6_T7_T9_mT8_P12ihipStream_tbDpT10_ENKUlT_T0_E_clISt17integral_constantIbLb1EES1A_IbLb0EEEEDaS16_S17_EUlS16_E_NS1_11comp_targetILNS1_3genE0ELNS1_11target_archE4294967295ELNS1_3gpuE0ELNS1_3repE0EEENS1_30default_config_static_selectorELNS0_4arch9wavefront6targetE0EEEvT1_
		.amdhsa_group_segment_fixed_size 0
		.amdhsa_private_segment_fixed_size 0
		.amdhsa_kernarg_size 120
		.amdhsa_user_sgpr_count 15
		.amdhsa_user_sgpr_dispatch_ptr 0
		.amdhsa_user_sgpr_queue_ptr 0
		.amdhsa_user_sgpr_kernarg_segment_ptr 1
		.amdhsa_user_sgpr_dispatch_id 0
		.amdhsa_user_sgpr_private_segment_size 0
		.amdhsa_wavefront_size32 1
		.amdhsa_uses_dynamic_stack 0
		.amdhsa_enable_private_segment 0
		.amdhsa_system_sgpr_workgroup_id_x 1
		.amdhsa_system_sgpr_workgroup_id_y 0
		.amdhsa_system_sgpr_workgroup_id_z 0
		.amdhsa_system_sgpr_workgroup_info 0
		.amdhsa_system_vgpr_workitem_id 0
		.amdhsa_next_free_vgpr 1
		.amdhsa_next_free_sgpr 1
		.amdhsa_reserve_vcc 0
		.amdhsa_float_round_mode_32 0
		.amdhsa_float_round_mode_16_64 0
		.amdhsa_float_denorm_mode_32 3
		.amdhsa_float_denorm_mode_16_64 3
		.amdhsa_dx10_clamp 1
		.amdhsa_ieee_mode 1
		.amdhsa_fp16_overflow 0
		.amdhsa_workgroup_processor_mode 1
		.amdhsa_memory_ordered 1
		.amdhsa_forward_progress 0
		.amdhsa_shared_vgpr_count 0
		.amdhsa_exception_fp_ieee_invalid_op 0
		.amdhsa_exception_fp_denorm_src 0
		.amdhsa_exception_fp_ieee_div_zero 0
		.amdhsa_exception_fp_ieee_overflow 0
		.amdhsa_exception_fp_ieee_underflow 0
		.amdhsa_exception_fp_ieee_inexact 0
		.amdhsa_exception_int_div_zero 0
	.end_amdhsa_kernel
	.section	.text._ZN7rocprim17ROCPRIM_400000_NS6detail17trampoline_kernelINS0_14default_configENS1_25partition_config_selectorILNS1_17partition_subalgoE9EjjbEEZZNS1_14partition_implILS5_9ELb0ES3_jN6thrust23THRUST_200600_302600_NS6detail15normal_iteratorINS9_10device_ptrIjEEEESE_PNS0_10empty_typeENS0_5tupleIJNS9_16discard_iteratorINS9_11use_defaultEEESF_EEENSH_IJSE_SG_EEENS0_18inequality_wrapperINS9_8equal_toIjEEEEPmJSF_EEE10hipError_tPvRmT3_T4_T5_T6_T7_T9_mT8_P12ihipStream_tbDpT10_ENKUlT_T0_E_clISt17integral_constantIbLb1EES1A_IbLb0EEEEDaS16_S17_EUlS16_E_NS1_11comp_targetILNS1_3genE0ELNS1_11target_archE4294967295ELNS1_3gpuE0ELNS1_3repE0EEENS1_30default_config_static_selectorELNS0_4arch9wavefront6targetE0EEEvT1_,"axG",@progbits,_ZN7rocprim17ROCPRIM_400000_NS6detail17trampoline_kernelINS0_14default_configENS1_25partition_config_selectorILNS1_17partition_subalgoE9EjjbEEZZNS1_14partition_implILS5_9ELb0ES3_jN6thrust23THRUST_200600_302600_NS6detail15normal_iteratorINS9_10device_ptrIjEEEESE_PNS0_10empty_typeENS0_5tupleIJNS9_16discard_iteratorINS9_11use_defaultEEESF_EEENSH_IJSE_SG_EEENS0_18inequality_wrapperINS9_8equal_toIjEEEEPmJSF_EEE10hipError_tPvRmT3_T4_T5_T6_T7_T9_mT8_P12ihipStream_tbDpT10_ENKUlT_T0_E_clISt17integral_constantIbLb1EES1A_IbLb0EEEEDaS16_S17_EUlS16_E_NS1_11comp_targetILNS1_3genE0ELNS1_11target_archE4294967295ELNS1_3gpuE0ELNS1_3repE0EEENS1_30default_config_static_selectorELNS0_4arch9wavefront6targetE0EEEvT1_,comdat
.Lfunc_end869:
	.size	_ZN7rocprim17ROCPRIM_400000_NS6detail17trampoline_kernelINS0_14default_configENS1_25partition_config_selectorILNS1_17partition_subalgoE9EjjbEEZZNS1_14partition_implILS5_9ELb0ES3_jN6thrust23THRUST_200600_302600_NS6detail15normal_iteratorINS9_10device_ptrIjEEEESE_PNS0_10empty_typeENS0_5tupleIJNS9_16discard_iteratorINS9_11use_defaultEEESF_EEENSH_IJSE_SG_EEENS0_18inequality_wrapperINS9_8equal_toIjEEEEPmJSF_EEE10hipError_tPvRmT3_T4_T5_T6_T7_T9_mT8_P12ihipStream_tbDpT10_ENKUlT_T0_E_clISt17integral_constantIbLb1EES1A_IbLb0EEEEDaS16_S17_EUlS16_E_NS1_11comp_targetILNS1_3genE0ELNS1_11target_archE4294967295ELNS1_3gpuE0ELNS1_3repE0EEENS1_30default_config_static_selectorELNS0_4arch9wavefront6targetE0EEEvT1_, .Lfunc_end869-_ZN7rocprim17ROCPRIM_400000_NS6detail17trampoline_kernelINS0_14default_configENS1_25partition_config_selectorILNS1_17partition_subalgoE9EjjbEEZZNS1_14partition_implILS5_9ELb0ES3_jN6thrust23THRUST_200600_302600_NS6detail15normal_iteratorINS9_10device_ptrIjEEEESE_PNS0_10empty_typeENS0_5tupleIJNS9_16discard_iteratorINS9_11use_defaultEEESF_EEENSH_IJSE_SG_EEENS0_18inequality_wrapperINS9_8equal_toIjEEEEPmJSF_EEE10hipError_tPvRmT3_T4_T5_T6_T7_T9_mT8_P12ihipStream_tbDpT10_ENKUlT_T0_E_clISt17integral_constantIbLb1EES1A_IbLb0EEEEDaS16_S17_EUlS16_E_NS1_11comp_targetILNS1_3genE0ELNS1_11target_archE4294967295ELNS1_3gpuE0ELNS1_3repE0EEENS1_30default_config_static_selectorELNS0_4arch9wavefront6targetE0EEEvT1_
                                        ; -- End function
	.section	.AMDGPU.csdata,"",@progbits
; Kernel info:
; codeLenInByte = 0
; NumSgprs: 0
; NumVgprs: 0
; ScratchSize: 0
; MemoryBound: 0
; FloatMode: 240
; IeeeMode: 1
; LDSByteSize: 0 bytes/workgroup (compile time only)
; SGPRBlocks: 0
; VGPRBlocks: 0
; NumSGPRsForWavesPerEU: 1
; NumVGPRsForWavesPerEU: 1
; Occupancy: 16
; WaveLimiterHint : 0
; COMPUTE_PGM_RSRC2:SCRATCH_EN: 0
; COMPUTE_PGM_RSRC2:USER_SGPR: 15
; COMPUTE_PGM_RSRC2:TRAP_HANDLER: 0
; COMPUTE_PGM_RSRC2:TGID_X_EN: 1
; COMPUTE_PGM_RSRC2:TGID_Y_EN: 0
; COMPUTE_PGM_RSRC2:TGID_Z_EN: 0
; COMPUTE_PGM_RSRC2:TIDIG_COMP_CNT: 0
	.section	.text._ZN7rocprim17ROCPRIM_400000_NS6detail17trampoline_kernelINS0_14default_configENS1_25partition_config_selectorILNS1_17partition_subalgoE9EjjbEEZZNS1_14partition_implILS5_9ELb0ES3_jN6thrust23THRUST_200600_302600_NS6detail15normal_iteratorINS9_10device_ptrIjEEEESE_PNS0_10empty_typeENS0_5tupleIJNS9_16discard_iteratorINS9_11use_defaultEEESF_EEENSH_IJSE_SG_EEENS0_18inequality_wrapperINS9_8equal_toIjEEEEPmJSF_EEE10hipError_tPvRmT3_T4_T5_T6_T7_T9_mT8_P12ihipStream_tbDpT10_ENKUlT_T0_E_clISt17integral_constantIbLb1EES1A_IbLb0EEEEDaS16_S17_EUlS16_E_NS1_11comp_targetILNS1_3genE5ELNS1_11target_archE942ELNS1_3gpuE9ELNS1_3repE0EEENS1_30default_config_static_selectorELNS0_4arch9wavefront6targetE0EEEvT1_,"axG",@progbits,_ZN7rocprim17ROCPRIM_400000_NS6detail17trampoline_kernelINS0_14default_configENS1_25partition_config_selectorILNS1_17partition_subalgoE9EjjbEEZZNS1_14partition_implILS5_9ELb0ES3_jN6thrust23THRUST_200600_302600_NS6detail15normal_iteratorINS9_10device_ptrIjEEEESE_PNS0_10empty_typeENS0_5tupleIJNS9_16discard_iteratorINS9_11use_defaultEEESF_EEENSH_IJSE_SG_EEENS0_18inequality_wrapperINS9_8equal_toIjEEEEPmJSF_EEE10hipError_tPvRmT3_T4_T5_T6_T7_T9_mT8_P12ihipStream_tbDpT10_ENKUlT_T0_E_clISt17integral_constantIbLb1EES1A_IbLb0EEEEDaS16_S17_EUlS16_E_NS1_11comp_targetILNS1_3genE5ELNS1_11target_archE942ELNS1_3gpuE9ELNS1_3repE0EEENS1_30default_config_static_selectorELNS0_4arch9wavefront6targetE0EEEvT1_,comdat
	.protected	_ZN7rocprim17ROCPRIM_400000_NS6detail17trampoline_kernelINS0_14default_configENS1_25partition_config_selectorILNS1_17partition_subalgoE9EjjbEEZZNS1_14partition_implILS5_9ELb0ES3_jN6thrust23THRUST_200600_302600_NS6detail15normal_iteratorINS9_10device_ptrIjEEEESE_PNS0_10empty_typeENS0_5tupleIJNS9_16discard_iteratorINS9_11use_defaultEEESF_EEENSH_IJSE_SG_EEENS0_18inequality_wrapperINS9_8equal_toIjEEEEPmJSF_EEE10hipError_tPvRmT3_T4_T5_T6_T7_T9_mT8_P12ihipStream_tbDpT10_ENKUlT_T0_E_clISt17integral_constantIbLb1EES1A_IbLb0EEEEDaS16_S17_EUlS16_E_NS1_11comp_targetILNS1_3genE5ELNS1_11target_archE942ELNS1_3gpuE9ELNS1_3repE0EEENS1_30default_config_static_selectorELNS0_4arch9wavefront6targetE0EEEvT1_ ; -- Begin function _ZN7rocprim17ROCPRIM_400000_NS6detail17trampoline_kernelINS0_14default_configENS1_25partition_config_selectorILNS1_17partition_subalgoE9EjjbEEZZNS1_14partition_implILS5_9ELb0ES3_jN6thrust23THRUST_200600_302600_NS6detail15normal_iteratorINS9_10device_ptrIjEEEESE_PNS0_10empty_typeENS0_5tupleIJNS9_16discard_iteratorINS9_11use_defaultEEESF_EEENSH_IJSE_SG_EEENS0_18inequality_wrapperINS9_8equal_toIjEEEEPmJSF_EEE10hipError_tPvRmT3_T4_T5_T6_T7_T9_mT8_P12ihipStream_tbDpT10_ENKUlT_T0_E_clISt17integral_constantIbLb1EES1A_IbLb0EEEEDaS16_S17_EUlS16_E_NS1_11comp_targetILNS1_3genE5ELNS1_11target_archE942ELNS1_3gpuE9ELNS1_3repE0EEENS1_30default_config_static_selectorELNS0_4arch9wavefront6targetE0EEEvT1_
	.globl	_ZN7rocprim17ROCPRIM_400000_NS6detail17trampoline_kernelINS0_14default_configENS1_25partition_config_selectorILNS1_17partition_subalgoE9EjjbEEZZNS1_14partition_implILS5_9ELb0ES3_jN6thrust23THRUST_200600_302600_NS6detail15normal_iteratorINS9_10device_ptrIjEEEESE_PNS0_10empty_typeENS0_5tupleIJNS9_16discard_iteratorINS9_11use_defaultEEESF_EEENSH_IJSE_SG_EEENS0_18inequality_wrapperINS9_8equal_toIjEEEEPmJSF_EEE10hipError_tPvRmT3_T4_T5_T6_T7_T9_mT8_P12ihipStream_tbDpT10_ENKUlT_T0_E_clISt17integral_constantIbLb1EES1A_IbLb0EEEEDaS16_S17_EUlS16_E_NS1_11comp_targetILNS1_3genE5ELNS1_11target_archE942ELNS1_3gpuE9ELNS1_3repE0EEENS1_30default_config_static_selectorELNS0_4arch9wavefront6targetE0EEEvT1_
	.p2align	8
	.type	_ZN7rocprim17ROCPRIM_400000_NS6detail17trampoline_kernelINS0_14default_configENS1_25partition_config_selectorILNS1_17partition_subalgoE9EjjbEEZZNS1_14partition_implILS5_9ELb0ES3_jN6thrust23THRUST_200600_302600_NS6detail15normal_iteratorINS9_10device_ptrIjEEEESE_PNS0_10empty_typeENS0_5tupleIJNS9_16discard_iteratorINS9_11use_defaultEEESF_EEENSH_IJSE_SG_EEENS0_18inequality_wrapperINS9_8equal_toIjEEEEPmJSF_EEE10hipError_tPvRmT3_T4_T5_T6_T7_T9_mT8_P12ihipStream_tbDpT10_ENKUlT_T0_E_clISt17integral_constantIbLb1EES1A_IbLb0EEEEDaS16_S17_EUlS16_E_NS1_11comp_targetILNS1_3genE5ELNS1_11target_archE942ELNS1_3gpuE9ELNS1_3repE0EEENS1_30default_config_static_selectorELNS0_4arch9wavefront6targetE0EEEvT1_,@function
_ZN7rocprim17ROCPRIM_400000_NS6detail17trampoline_kernelINS0_14default_configENS1_25partition_config_selectorILNS1_17partition_subalgoE9EjjbEEZZNS1_14partition_implILS5_9ELb0ES3_jN6thrust23THRUST_200600_302600_NS6detail15normal_iteratorINS9_10device_ptrIjEEEESE_PNS0_10empty_typeENS0_5tupleIJNS9_16discard_iteratorINS9_11use_defaultEEESF_EEENSH_IJSE_SG_EEENS0_18inequality_wrapperINS9_8equal_toIjEEEEPmJSF_EEE10hipError_tPvRmT3_T4_T5_T6_T7_T9_mT8_P12ihipStream_tbDpT10_ENKUlT_T0_E_clISt17integral_constantIbLb1EES1A_IbLb0EEEEDaS16_S17_EUlS16_E_NS1_11comp_targetILNS1_3genE5ELNS1_11target_archE942ELNS1_3gpuE9ELNS1_3repE0EEENS1_30default_config_static_selectorELNS0_4arch9wavefront6targetE0EEEvT1_: ; @_ZN7rocprim17ROCPRIM_400000_NS6detail17trampoline_kernelINS0_14default_configENS1_25partition_config_selectorILNS1_17partition_subalgoE9EjjbEEZZNS1_14partition_implILS5_9ELb0ES3_jN6thrust23THRUST_200600_302600_NS6detail15normal_iteratorINS9_10device_ptrIjEEEESE_PNS0_10empty_typeENS0_5tupleIJNS9_16discard_iteratorINS9_11use_defaultEEESF_EEENSH_IJSE_SG_EEENS0_18inequality_wrapperINS9_8equal_toIjEEEEPmJSF_EEE10hipError_tPvRmT3_T4_T5_T6_T7_T9_mT8_P12ihipStream_tbDpT10_ENKUlT_T0_E_clISt17integral_constantIbLb1EES1A_IbLb0EEEEDaS16_S17_EUlS16_E_NS1_11comp_targetILNS1_3genE5ELNS1_11target_archE942ELNS1_3gpuE9ELNS1_3repE0EEENS1_30default_config_static_selectorELNS0_4arch9wavefront6targetE0EEEvT1_
; %bb.0:
	.section	.rodata,"a",@progbits
	.p2align	6, 0x0
	.amdhsa_kernel _ZN7rocprim17ROCPRIM_400000_NS6detail17trampoline_kernelINS0_14default_configENS1_25partition_config_selectorILNS1_17partition_subalgoE9EjjbEEZZNS1_14partition_implILS5_9ELb0ES3_jN6thrust23THRUST_200600_302600_NS6detail15normal_iteratorINS9_10device_ptrIjEEEESE_PNS0_10empty_typeENS0_5tupleIJNS9_16discard_iteratorINS9_11use_defaultEEESF_EEENSH_IJSE_SG_EEENS0_18inequality_wrapperINS9_8equal_toIjEEEEPmJSF_EEE10hipError_tPvRmT3_T4_T5_T6_T7_T9_mT8_P12ihipStream_tbDpT10_ENKUlT_T0_E_clISt17integral_constantIbLb1EES1A_IbLb0EEEEDaS16_S17_EUlS16_E_NS1_11comp_targetILNS1_3genE5ELNS1_11target_archE942ELNS1_3gpuE9ELNS1_3repE0EEENS1_30default_config_static_selectorELNS0_4arch9wavefront6targetE0EEEvT1_
		.amdhsa_group_segment_fixed_size 0
		.amdhsa_private_segment_fixed_size 0
		.amdhsa_kernarg_size 120
		.amdhsa_user_sgpr_count 15
		.amdhsa_user_sgpr_dispatch_ptr 0
		.amdhsa_user_sgpr_queue_ptr 0
		.amdhsa_user_sgpr_kernarg_segment_ptr 1
		.amdhsa_user_sgpr_dispatch_id 0
		.amdhsa_user_sgpr_private_segment_size 0
		.amdhsa_wavefront_size32 1
		.amdhsa_uses_dynamic_stack 0
		.amdhsa_enable_private_segment 0
		.amdhsa_system_sgpr_workgroup_id_x 1
		.amdhsa_system_sgpr_workgroup_id_y 0
		.amdhsa_system_sgpr_workgroup_id_z 0
		.amdhsa_system_sgpr_workgroup_info 0
		.amdhsa_system_vgpr_workitem_id 0
		.amdhsa_next_free_vgpr 1
		.amdhsa_next_free_sgpr 1
		.amdhsa_reserve_vcc 0
		.amdhsa_float_round_mode_32 0
		.amdhsa_float_round_mode_16_64 0
		.amdhsa_float_denorm_mode_32 3
		.amdhsa_float_denorm_mode_16_64 3
		.amdhsa_dx10_clamp 1
		.amdhsa_ieee_mode 1
		.amdhsa_fp16_overflow 0
		.amdhsa_workgroup_processor_mode 1
		.amdhsa_memory_ordered 1
		.amdhsa_forward_progress 0
		.amdhsa_shared_vgpr_count 0
		.amdhsa_exception_fp_ieee_invalid_op 0
		.amdhsa_exception_fp_denorm_src 0
		.amdhsa_exception_fp_ieee_div_zero 0
		.amdhsa_exception_fp_ieee_overflow 0
		.amdhsa_exception_fp_ieee_underflow 0
		.amdhsa_exception_fp_ieee_inexact 0
		.amdhsa_exception_int_div_zero 0
	.end_amdhsa_kernel
	.section	.text._ZN7rocprim17ROCPRIM_400000_NS6detail17trampoline_kernelINS0_14default_configENS1_25partition_config_selectorILNS1_17partition_subalgoE9EjjbEEZZNS1_14partition_implILS5_9ELb0ES3_jN6thrust23THRUST_200600_302600_NS6detail15normal_iteratorINS9_10device_ptrIjEEEESE_PNS0_10empty_typeENS0_5tupleIJNS9_16discard_iteratorINS9_11use_defaultEEESF_EEENSH_IJSE_SG_EEENS0_18inequality_wrapperINS9_8equal_toIjEEEEPmJSF_EEE10hipError_tPvRmT3_T4_T5_T6_T7_T9_mT8_P12ihipStream_tbDpT10_ENKUlT_T0_E_clISt17integral_constantIbLb1EES1A_IbLb0EEEEDaS16_S17_EUlS16_E_NS1_11comp_targetILNS1_3genE5ELNS1_11target_archE942ELNS1_3gpuE9ELNS1_3repE0EEENS1_30default_config_static_selectorELNS0_4arch9wavefront6targetE0EEEvT1_,"axG",@progbits,_ZN7rocprim17ROCPRIM_400000_NS6detail17trampoline_kernelINS0_14default_configENS1_25partition_config_selectorILNS1_17partition_subalgoE9EjjbEEZZNS1_14partition_implILS5_9ELb0ES3_jN6thrust23THRUST_200600_302600_NS6detail15normal_iteratorINS9_10device_ptrIjEEEESE_PNS0_10empty_typeENS0_5tupleIJNS9_16discard_iteratorINS9_11use_defaultEEESF_EEENSH_IJSE_SG_EEENS0_18inequality_wrapperINS9_8equal_toIjEEEEPmJSF_EEE10hipError_tPvRmT3_T4_T5_T6_T7_T9_mT8_P12ihipStream_tbDpT10_ENKUlT_T0_E_clISt17integral_constantIbLb1EES1A_IbLb0EEEEDaS16_S17_EUlS16_E_NS1_11comp_targetILNS1_3genE5ELNS1_11target_archE942ELNS1_3gpuE9ELNS1_3repE0EEENS1_30default_config_static_selectorELNS0_4arch9wavefront6targetE0EEEvT1_,comdat
.Lfunc_end870:
	.size	_ZN7rocprim17ROCPRIM_400000_NS6detail17trampoline_kernelINS0_14default_configENS1_25partition_config_selectorILNS1_17partition_subalgoE9EjjbEEZZNS1_14partition_implILS5_9ELb0ES3_jN6thrust23THRUST_200600_302600_NS6detail15normal_iteratorINS9_10device_ptrIjEEEESE_PNS0_10empty_typeENS0_5tupleIJNS9_16discard_iteratorINS9_11use_defaultEEESF_EEENSH_IJSE_SG_EEENS0_18inequality_wrapperINS9_8equal_toIjEEEEPmJSF_EEE10hipError_tPvRmT3_T4_T5_T6_T7_T9_mT8_P12ihipStream_tbDpT10_ENKUlT_T0_E_clISt17integral_constantIbLb1EES1A_IbLb0EEEEDaS16_S17_EUlS16_E_NS1_11comp_targetILNS1_3genE5ELNS1_11target_archE942ELNS1_3gpuE9ELNS1_3repE0EEENS1_30default_config_static_selectorELNS0_4arch9wavefront6targetE0EEEvT1_, .Lfunc_end870-_ZN7rocprim17ROCPRIM_400000_NS6detail17trampoline_kernelINS0_14default_configENS1_25partition_config_selectorILNS1_17partition_subalgoE9EjjbEEZZNS1_14partition_implILS5_9ELb0ES3_jN6thrust23THRUST_200600_302600_NS6detail15normal_iteratorINS9_10device_ptrIjEEEESE_PNS0_10empty_typeENS0_5tupleIJNS9_16discard_iteratorINS9_11use_defaultEEESF_EEENSH_IJSE_SG_EEENS0_18inequality_wrapperINS9_8equal_toIjEEEEPmJSF_EEE10hipError_tPvRmT3_T4_T5_T6_T7_T9_mT8_P12ihipStream_tbDpT10_ENKUlT_T0_E_clISt17integral_constantIbLb1EES1A_IbLb0EEEEDaS16_S17_EUlS16_E_NS1_11comp_targetILNS1_3genE5ELNS1_11target_archE942ELNS1_3gpuE9ELNS1_3repE0EEENS1_30default_config_static_selectorELNS0_4arch9wavefront6targetE0EEEvT1_
                                        ; -- End function
	.section	.AMDGPU.csdata,"",@progbits
; Kernel info:
; codeLenInByte = 0
; NumSgprs: 0
; NumVgprs: 0
; ScratchSize: 0
; MemoryBound: 0
; FloatMode: 240
; IeeeMode: 1
; LDSByteSize: 0 bytes/workgroup (compile time only)
; SGPRBlocks: 0
; VGPRBlocks: 0
; NumSGPRsForWavesPerEU: 1
; NumVGPRsForWavesPerEU: 1
; Occupancy: 16
; WaveLimiterHint : 0
; COMPUTE_PGM_RSRC2:SCRATCH_EN: 0
; COMPUTE_PGM_RSRC2:USER_SGPR: 15
; COMPUTE_PGM_RSRC2:TRAP_HANDLER: 0
; COMPUTE_PGM_RSRC2:TGID_X_EN: 1
; COMPUTE_PGM_RSRC2:TGID_Y_EN: 0
; COMPUTE_PGM_RSRC2:TGID_Z_EN: 0
; COMPUTE_PGM_RSRC2:TIDIG_COMP_CNT: 0
	.section	.text._ZN7rocprim17ROCPRIM_400000_NS6detail17trampoline_kernelINS0_14default_configENS1_25partition_config_selectorILNS1_17partition_subalgoE9EjjbEEZZNS1_14partition_implILS5_9ELb0ES3_jN6thrust23THRUST_200600_302600_NS6detail15normal_iteratorINS9_10device_ptrIjEEEESE_PNS0_10empty_typeENS0_5tupleIJNS9_16discard_iteratorINS9_11use_defaultEEESF_EEENSH_IJSE_SG_EEENS0_18inequality_wrapperINS9_8equal_toIjEEEEPmJSF_EEE10hipError_tPvRmT3_T4_T5_T6_T7_T9_mT8_P12ihipStream_tbDpT10_ENKUlT_T0_E_clISt17integral_constantIbLb1EES1A_IbLb0EEEEDaS16_S17_EUlS16_E_NS1_11comp_targetILNS1_3genE4ELNS1_11target_archE910ELNS1_3gpuE8ELNS1_3repE0EEENS1_30default_config_static_selectorELNS0_4arch9wavefront6targetE0EEEvT1_,"axG",@progbits,_ZN7rocprim17ROCPRIM_400000_NS6detail17trampoline_kernelINS0_14default_configENS1_25partition_config_selectorILNS1_17partition_subalgoE9EjjbEEZZNS1_14partition_implILS5_9ELb0ES3_jN6thrust23THRUST_200600_302600_NS6detail15normal_iteratorINS9_10device_ptrIjEEEESE_PNS0_10empty_typeENS0_5tupleIJNS9_16discard_iteratorINS9_11use_defaultEEESF_EEENSH_IJSE_SG_EEENS0_18inequality_wrapperINS9_8equal_toIjEEEEPmJSF_EEE10hipError_tPvRmT3_T4_T5_T6_T7_T9_mT8_P12ihipStream_tbDpT10_ENKUlT_T0_E_clISt17integral_constantIbLb1EES1A_IbLb0EEEEDaS16_S17_EUlS16_E_NS1_11comp_targetILNS1_3genE4ELNS1_11target_archE910ELNS1_3gpuE8ELNS1_3repE0EEENS1_30default_config_static_selectorELNS0_4arch9wavefront6targetE0EEEvT1_,comdat
	.protected	_ZN7rocprim17ROCPRIM_400000_NS6detail17trampoline_kernelINS0_14default_configENS1_25partition_config_selectorILNS1_17partition_subalgoE9EjjbEEZZNS1_14partition_implILS5_9ELb0ES3_jN6thrust23THRUST_200600_302600_NS6detail15normal_iteratorINS9_10device_ptrIjEEEESE_PNS0_10empty_typeENS0_5tupleIJNS9_16discard_iteratorINS9_11use_defaultEEESF_EEENSH_IJSE_SG_EEENS0_18inequality_wrapperINS9_8equal_toIjEEEEPmJSF_EEE10hipError_tPvRmT3_T4_T5_T6_T7_T9_mT8_P12ihipStream_tbDpT10_ENKUlT_T0_E_clISt17integral_constantIbLb1EES1A_IbLb0EEEEDaS16_S17_EUlS16_E_NS1_11comp_targetILNS1_3genE4ELNS1_11target_archE910ELNS1_3gpuE8ELNS1_3repE0EEENS1_30default_config_static_selectorELNS0_4arch9wavefront6targetE0EEEvT1_ ; -- Begin function _ZN7rocprim17ROCPRIM_400000_NS6detail17trampoline_kernelINS0_14default_configENS1_25partition_config_selectorILNS1_17partition_subalgoE9EjjbEEZZNS1_14partition_implILS5_9ELb0ES3_jN6thrust23THRUST_200600_302600_NS6detail15normal_iteratorINS9_10device_ptrIjEEEESE_PNS0_10empty_typeENS0_5tupleIJNS9_16discard_iteratorINS9_11use_defaultEEESF_EEENSH_IJSE_SG_EEENS0_18inequality_wrapperINS9_8equal_toIjEEEEPmJSF_EEE10hipError_tPvRmT3_T4_T5_T6_T7_T9_mT8_P12ihipStream_tbDpT10_ENKUlT_T0_E_clISt17integral_constantIbLb1EES1A_IbLb0EEEEDaS16_S17_EUlS16_E_NS1_11comp_targetILNS1_3genE4ELNS1_11target_archE910ELNS1_3gpuE8ELNS1_3repE0EEENS1_30default_config_static_selectorELNS0_4arch9wavefront6targetE0EEEvT1_
	.globl	_ZN7rocprim17ROCPRIM_400000_NS6detail17trampoline_kernelINS0_14default_configENS1_25partition_config_selectorILNS1_17partition_subalgoE9EjjbEEZZNS1_14partition_implILS5_9ELb0ES3_jN6thrust23THRUST_200600_302600_NS6detail15normal_iteratorINS9_10device_ptrIjEEEESE_PNS0_10empty_typeENS0_5tupleIJNS9_16discard_iteratorINS9_11use_defaultEEESF_EEENSH_IJSE_SG_EEENS0_18inequality_wrapperINS9_8equal_toIjEEEEPmJSF_EEE10hipError_tPvRmT3_T4_T5_T6_T7_T9_mT8_P12ihipStream_tbDpT10_ENKUlT_T0_E_clISt17integral_constantIbLb1EES1A_IbLb0EEEEDaS16_S17_EUlS16_E_NS1_11comp_targetILNS1_3genE4ELNS1_11target_archE910ELNS1_3gpuE8ELNS1_3repE0EEENS1_30default_config_static_selectorELNS0_4arch9wavefront6targetE0EEEvT1_
	.p2align	8
	.type	_ZN7rocprim17ROCPRIM_400000_NS6detail17trampoline_kernelINS0_14default_configENS1_25partition_config_selectorILNS1_17partition_subalgoE9EjjbEEZZNS1_14partition_implILS5_9ELb0ES3_jN6thrust23THRUST_200600_302600_NS6detail15normal_iteratorINS9_10device_ptrIjEEEESE_PNS0_10empty_typeENS0_5tupleIJNS9_16discard_iteratorINS9_11use_defaultEEESF_EEENSH_IJSE_SG_EEENS0_18inequality_wrapperINS9_8equal_toIjEEEEPmJSF_EEE10hipError_tPvRmT3_T4_T5_T6_T7_T9_mT8_P12ihipStream_tbDpT10_ENKUlT_T0_E_clISt17integral_constantIbLb1EES1A_IbLb0EEEEDaS16_S17_EUlS16_E_NS1_11comp_targetILNS1_3genE4ELNS1_11target_archE910ELNS1_3gpuE8ELNS1_3repE0EEENS1_30default_config_static_selectorELNS0_4arch9wavefront6targetE0EEEvT1_,@function
_ZN7rocprim17ROCPRIM_400000_NS6detail17trampoline_kernelINS0_14default_configENS1_25partition_config_selectorILNS1_17partition_subalgoE9EjjbEEZZNS1_14partition_implILS5_9ELb0ES3_jN6thrust23THRUST_200600_302600_NS6detail15normal_iteratorINS9_10device_ptrIjEEEESE_PNS0_10empty_typeENS0_5tupleIJNS9_16discard_iteratorINS9_11use_defaultEEESF_EEENSH_IJSE_SG_EEENS0_18inequality_wrapperINS9_8equal_toIjEEEEPmJSF_EEE10hipError_tPvRmT3_T4_T5_T6_T7_T9_mT8_P12ihipStream_tbDpT10_ENKUlT_T0_E_clISt17integral_constantIbLb1EES1A_IbLb0EEEEDaS16_S17_EUlS16_E_NS1_11comp_targetILNS1_3genE4ELNS1_11target_archE910ELNS1_3gpuE8ELNS1_3repE0EEENS1_30default_config_static_selectorELNS0_4arch9wavefront6targetE0EEEvT1_: ; @_ZN7rocprim17ROCPRIM_400000_NS6detail17trampoline_kernelINS0_14default_configENS1_25partition_config_selectorILNS1_17partition_subalgoE9EjjbEEZZNS1_14partition_implILS5_9ELb0ES3_jN6thrust23THRUST_200600_302600_NS6detail15normal_iteratorINS9_10device_ptrIjEEEESE_PNS0_10empty_typeENS0_5tupleIJNS9_16discard_iteratorINS9_11use_defaultEEESF_EEENSH_IJSE_SG_EEENS0_18inequality_wrapperINS9_8equal_toIjEEEEPmJSF_EEE10hipError_tPvRmT3_T4_T5_T6_T7_T9_mT8_P12ihipStream_tbDpT10_ENKUlT_T0_E_clISt17integral_constantIbLb1EES1A_IbLb0EEEEDaS16_S17_EUlS16_E_NS1_11comp_targetILNS1_3genE4ELNS1_11target_archE910ELNS1_3gpuE8ELNS1_3repE0EEENS1_30default_config_static_selectorELNS0_4arch9wavefront6targetE0EEEvT1_
; %bb.0:
	.section	.rodata,"a",@progbits
	.p2align	6, 0x0
	.amdhsa_kernel _ZN7rocprim17ROCPRIM_400000_NS6detail17trampoline_kernelINS0_14default_configENS1_25partition_config_selectorILNS1_17partition_subalgoE9EjjbEEZZNS1_14partition_implILS5_9ELb0ES3_jN6thrust23THRUST_200600_302600_NS6detail15normal_iteratorINS9_10device_ptrIjEEEESE_PNS0_10empty_typeENS0_5tupleIJNS9_16discard_iteratorINS9_11use_defaultEEESF_EEENSH_IJSE_SG_EEENS0_18inequality_wrapperINS9_8equal_toIjEEEEPmJSF_EEE10hipError_tPvRmT3_T4_T5_T6_T7_T9_mT8_P12ihipStream_tbDpT10_ENKUlT_T0_E_clISt17integral_constantIbLb1EES1A_IbLb0EEEEDaS16_S17_EUlS16_E_NS1_11comp_targetILNS1_3genE4ELNS1_11target_archE910ELNS1_3gpuE8ELNS1_3repE0EEENS1_30default_config_static_selectorELNS0_4arch9wavefront6targetE0EEEvT1_
		.amdhsa_group_segment_fixed_size 0
		.amdhsa_private_segment_fixed_size 0
		.amdhsa_kernarg_size 120
		.amdhsa_user_sgpr_count 15
		.amdhsa_user_sgpr_dispatch_ptr 0
		.amdhsa_user_sgpr_queue_ptr 0
		.amdhsa_user_sgpr_kernarg_segment_ptr 1
		.amdhsa_user_sgpr_dispatch_id 0
		.amdhsa_user_sgpr_private_segment_size 0
		.amdhsa_wavefront_size32 1
		.amdhsa_uses_dynamic_stack 0
		.amdhsa_enable_private_segment 0
		.amdhsa_system_sgpr_workgroup_id_x 1
		.amdhsa_system_sgpr_workgroup_id_y 0
		.amdhsa_system_sgpr_workgroup_id_z 0
		.amdhsa_system_sgpr_workgroup_info 0
		.amdhsa_system_vgpr_workitem_id 0
		.amdhsa_next_free_vgpr 1
		.amdhsa_next_free_sgpr 1
		.amdhsa_reserve_vcc 0
		.amdhsa_float_round_mode_32 0
		.amdhsa_float_round_mode_16_64 0
		.amdhsa_float_denorm_mode_32 3
		.amdhsa_float_denorm_mode_16_64 3
		.amdhsa_dx10_clamp 1
		.amdhsa_ieee_mode 1
		.amdhsa_fp16_overflow 0
		.amdhsa_workgroup_processor_mode 1
		.amdhsa_memory_ordered 1
		.amdhsa_forward_progress 0
		.amdhsa_shared_vgpr_count 0
		.amdhsa_exception_fp_ieee_invalid_op 0
		.amdhsa_exception_fp_denorm_src 0
		.amdhsa_exception_fp_ieee_div_zero 0
		.amdhsa_exception_fp_ieee_overflow 0
		.amdhsa_exception_fp_ieee_underflow 0
		.amdhsa_exception_fp_ieee_inexact 0
		.amdhsa_exception_int_div_zero 0
	.end_amdhsa_kernel
	.section	.text._ZN7rocprim17ROCPRIM_400000_NS6detail17trampoline_kernelINS0_14default_configENS1_25partition_config_selectorILNS1_17partition_subalgoE9EjjbEEZZNS1_14partition_implILS5_9ELb0ES3_jN6thrust23THRUST_200600_302600_NS6detail15normal_iteratorINS9_10device_ptrIjEEEESE_PNS0_10empty_typeENS0_5tupleIJNS9_16discard_iteratorINS9_11use_defaultEEESF_EEENSH_IJSE_SG_EEENS0_18inequality_wrapperINS9_8equal_toIjEEEEPmJSF_EEE10hipError_tPvRmT3_T4_T5_T6_T7_T9_mT8_P12ihipStream_tbDpT10_ENKUlT_T0_E_clISt17integral_constantIbLb1EES1A_IbLb0EEEEDaS16_S17_EUlS16_E_NS1_11comp_targetILNS1_3genE4ELNS1_11target_archE910ELNS1_3gpuE8ELNS1_3repE0EEENS1_30default_config_static_selectorELNS0_4arch9wavefront6targetE0EEEvT1_,"axG",@progbits,_ZN7rocprim17ROCPRIM_400000_NS6detail17trampoline_kernelINS0_14default_configENS1_25partition_config_selectorILNS1_17partition_subalgoE9EjjbEEZZNS1_14partition_implILS5_9ELb0ES3_jN6thrust23THRUST_200600_302600_NS6detail15normal_iteratorINS9_10device_ptrIjEEEESE_PNS0_10empty_typeENS0_5tupleIJNS9_16discard_iteratorINS9_11use_defaultEEESF_EEENSH_IJSE_SG_EEENS0_18inequality_wrapperINS9_8equal_toIjEEEEPmJSF_EEE10hipError_tPvRmT3_T4_T5_T6_T7_T9_mT8_P12ihipStream_tbDpT10_ENKUlT_T0_E_clISt17integral_constantIbLb1EES1A_IbLb0EEEEDaS16_S17_EUlS16_E_NS1_11comp_targetILNS1_3genE4ELNS1_11target_archE910ELNS1_3gpuE8ELNS1_3repE0EEENS1_30default_config_static_selectorELNS0_4arch9wavefront6targetE0EEEvT1_,comdat
.Lfunc_end871:
	.size	_ZN7rocprim17ROCPRIM_400000_NS6detail17trampoline_kernelINS0_14default_configENS1_25partition_config_selectorILNS1_17partition_subalgoE9EjjbEEZZNS1_14partition_implILS5_9ELb0ES3_jN6thrust23THRUST_200600_302600_NS6detail15normal_iteratorINS9_10device_ptrIjEEEESE_PNS0_10empty_typeENS0_5tupleIJNS9_16discard_iteratorINS9_11use_defaultEEESF_EEENSH_IJSE_SG_EEENS0_18inequality_wrapperINS9_8equal_toIjEEEEPmJSF_EEE10hipError_tPvRmT3_T4_T5_T6_T7_T9_mT8_P12ihipStream_tbDpT10_ENKUlT_T0_E_clISt17integral_constantIbLb1EES1A_IbLb0EEEEDaS16_S17_EUlS16_E_NS1_11comp_targetILNS1_3genE4ELNS1_11target_archE910ELNS1_3gpuE8ELNS1_3repE0EEENS1_30default_config_static_selectorELNS0_4arch9wavefront6targetE0EEEvT1_, .Lfunc_end871-_ZN7rocprim17ROCPRIM_400000_NS6detail17trampoline_kernelINS0_14default_configENS1_25partition_config_selectorILNS1_17partition_subalgoE9EjjbEEZZNS1_14partition_implILS5_9ELb0ES3_jN6thrust23THRUST_200600_302600_NS6detail15normal_iteratorINS9_10device_ptrIjEEEESE_PNS0_10empty_typeENS0_5tupleIJNS9_16discard_iteratorINS9_11use_defaultEEESF_EEENSH_IJSE_SG_EEENS0_18inequality_wrapperINS9_8equal_toIjEEEEPmJSF_EEE10hipError_tPvRmT3_T4_T5_T6_T7_T9_mT8_P12ihipStream_tbDpT10_ENKUlT_T0_E_clISt17integral_constantIbLb1EES1A_IbLb0EEEEDaS16_S17_EUlS16_E_NS1_11comp_targetILNS1_3genE4ELNS1_11target_archE910ELNS1_3gpuE8ELNS1_3repE0EEENS1_30default_config_static_selectorELNS0_4arch9wavefront6targetE0EEEvT1_
                                        ; -- End function
	.section	.AMDGPU.csdata,"",@progbits
; Kernel info:
; codeLenInByte = 0
; NumSgprs: 0
; NumVgprs: 0
; ScratchSize: 0
; MemoryBound: 0
; FloatMode: 240
; IeeeMode: 1
; LDSByteSize: 0 bytes/workgroup (compile time only)
; SGPRBlocks: 0
; VGPRBlocks: 0
; NumSGPRsForWavesPerEU: 1
; NumVGPRsForWavesPerEU: 1
; Occupancy: 15
; WaveLimiterHint : 0
; COMPUTE_PGM_RSRC2:SCRATCH_EN: 0
; COMPUTE_PGM_RSRC2:USER_SGPR: 15
; COMPUTE_PGM_RSRC2:TRAP_HANDLER: 0
; COMPUTE_PGM_RSRC2:TGID_X_EN: 1
; COMPUTE_PGM_RSRC2:TGID_Y_EN: 0
; COMPUTE_PGM_RSRC2:TGID_Z_EN: 0
; COMPUTE_PGM_RSRC2:TIDIG_COMP_CNT: 0
	.section	.text._ZN7rocprim17ROCPRIM_400000_NS6detail17trampoline_kernelINS0_14default_configENS1_25partition_config_selectorILNS1_17partition_subalgoE9EjjbEEZZNS1_14partition_implILS5_9ELb0ES3_jN6thrust23THRUST_200600_302600_NS6detail15normal_iteratorINS9_10device_ptrIjEEEESE_PNS0_10empty_typeENS0_5tupleIJNS9_16discard_iteratorINS9_11use_defaultEEESF_EEENSH_IJSE_SG_EEENS0_18inequality_wrapperINS9_8equal_toIjEEEEPmJSF_EEE10hipError_tPvRmT3_T4_T5_T6_T7_T9_mT8_P12ihipStream_tbDpT10_ENKUlT_T0_E_clISt17integral_constantIbLb1EES1A_IbLb0EEEEDaS16_S17_EUlS16_E_NS1_11comp_targetILNS1_3genE3ELNS1_11target_archE908ELNS1_3gpuE7ELNS1_3repE0EEENS1_30default_config_static_selectorELNS0_4arch9wavefront6targetE0EEEvT1_,"axG",@progbits,_ZN7rocprim17ROCPRIM_400000_NS6detail17trampoline_kernelINS0_14default_configENS1_25partition_config_selectorILNS1_17partition_subalgoE9EjjbEEZZNS1_14partition_implILS5_9ELb0ES3_jN6thrust23THRUST_200600_302600_NS6detail15normal_iteratorINS9_10device_ptrIjEEEESE_PNS0_10empty_typeENS0_5tupleIJNS9_16discard_iteratorINS9_11use_defaultEEESF_EEENSH_IJSE_SG_EEENS0_18inequality_wrapperINS9_8equal_toIjEEEEPmJSF_EEE10hipError_tPvRmT3_T4_T5_T6_T7_T9_mT8_P12ihipStream_tbDpT10_ENKUlT_T0_E_clISt17integral_constantIbLb1EES1A_IbLb0EEEEDaS16_S17_EUlS16_E_NS1_11comp_targetILNS1_3genE3ELNS1_11target_archE908ELNS1_3gpuE7ELNS1_3repE0EEENS1_30default_config_static_selectorELNS0_4arch9wavefront6targetE0EEEvT1_,comdat
	.protected	_ZN7rocprim17ROCPRIM_400000_NS6detail17trampoline_kernelINS0_14default_configENS1_25partition_config_selectorILNS1_17partition_subalgoE9EjjbEEZZNS1_14partition_implILS5_9ELb0ES3_jN6thrust23THRUST_200600_302600_NS6detail15normal_iteratorINS9_10device_ptrIjEEEESE_PNS0_10empty_typeENS0_5tupleIJNS9_16discard_iteratorINS9_11use_defaultEEESF_EEENSH_IJSE_SG_EEENS0_18inequality_wrapperINS9_8equal_toIjEEEEPmJSF_EEE10hipError_tPvRmT3_T4_T5_T6_T7_T9_mT8_P12ihipStream_tbDpT10_ENKUlT_T0_E_clISt17integral_constantIbLb1EES1A_IbLb0EEEEDaS16_S17_EUlS16_E_NS1_11comp_targetILNS1_3genE3ELNS1_11target_archE908ELNS1_3gpuE7ELNS1_3repE0EEENS1_30default_config_static_selectorELNS0_4arch9wavefront6targetE0EEEvT1_ ; -- Begin function _ZN7rocprim17ROCPRIM_400000_NS6detail17trampoline_kernelINS0_14default_configENS1_25partition_config_selectorILNS1_17partition_subalgoE9EjjbEEZZNS1_14partition_implILS5_9ELb0ES3_jN6thrust23THRUST_200600_302600_NS6detail15normal_iteratorINS9_10device_ptrIjEEEESE_PNS0_10empty_typeENS0_5tupleIJNS9_16discard_iteratorINS9_11use_defaultEEESF_EEENSH_IJSE_SG_EEENS0_18inequality_wrapperINS9_8equal_toIjEEEEPmJSF_EEE10hipError_tPvRmT3_T4_T5_T6_T7_T9_mT8_P12ihipStream_tbDpT10_ENKUlT_T0_E_clISt17integral_constantIbLb1EES1A_IbLb0EEEEDaS16_S17_EUlS16_E_NS1_11comp_targetILNS1_3genE3ELNS1_11target_archE908ELNS1_3gpuE7ELNS1_3repE0EEENS1_30default_config_static_selectorELNS0_4arch9wavefront6targetE0EEEvT1_
	.globl	_ZN7rocprim17ROCPRIM_400000_NS6detail17trampoline_kernelINS0_14default_configENS1_25partition_config_selectorILNS1_17partition_subalgoE9EjjbEEZZNS1_14partition_implILS5_9ELb0ES3_jN6thrust23THRUST_200600_302600_NS6detail15normal_iteratorINS9_10device_ptrIjEEEESE_PNS0_10empty_typeENS0_5tupleIJNS9_16discard_iteratorINS9_11use_defaultEEESF_EEENSH_IJSE_SG_EEENS0_18inequality_wrapperINS9_8equal_toIjEEEEPmJSF_EEE10hipError_tPvRmT3_T4_T5_T6_T7_T9_mT8_P12ihipStream_tbDpT10_ENKUlT_T0_E_clISt17integral_constantIbLb1EES1A_IbLb0EEEEDaS16_S17_EUlS16_E_NS1_11comp_targetILNS1_3genE3ELNS1_11target_archE908ELNS1_3gpuE7ELNS1_3repE0EEENS1_30default_config_static_selectorELNS0_4arch9wavefront6targetE0EEEvT1_
	.p2align	8
	.type	_ZN7rocprim17ROCPRIM_400000_NS6detail17trampoline_kernelINS0_14default_configENS1_25partition_config_selectorILNS1_17partition_subalgoE9EjjbEEZZNS1_14partition_implILS5_9ELb0ES3_jN6thrust23THRUST_200600_302600_NS6detail15normal_iteratorINS9_10device_ptrIjEEEESE_PNS0_10empty_typeENS0_5tupleIJNS9_16discard_iteratorINS9_11use_defaultEEESF_EEENSH_IJSE_SG_EEENS0_18inequality_wrapperINS9_8equal_toIjEEEEPmJSF_EEE10hipError_tPvRmT3_T4_T5_T6_T7_T9_mT8_P12ihipStream_tbDpT10_ENKUlT_T0_E_clISt17integral_constantIbLb1EES1A_IbLb0EEEEDaS16_S17_EUlS16_E_NS1_11comp_targetILNS1_3genE3ELNS1_11target_archE908ELNS1_3gpuE7ELNS1_3repE0EEENS1_30default_config_static_selectorELNS0_4arch9wavefront6targetE0EEEvT1_,@function
_ZN7rocprim17ROCPRIM_400000_NS6detail17trampoline_kernelINS0_14default_configENS1_25partition_config_selectorILNS1_17partition_subalgoE9EjjbEEZZNS1_14partition_implILS5_9ELb0ES3_jN6thrust23THRUST_200600_302600_NS6detail15normal_iteratorINS9_10device_ptrIjEEEESE_PNS0_10empty_typeENS0_5tupleIJNS9_16discard_iteratorINS9_11use_defaultEEESF_EEENSH_IJSE_SG_EEENS0_18inequality_wrapperINS9_8equal_toIjEEEEPmJSF_EEE10hipError_tPvRmT3_T4_T5_T6_T7_T9_mT8_P12ihipStream_tbDpT10_ENKUlT_T0_E_clISt17integral_constantIbLb1EES1A_IbLb0EEEEDaS16_S17_EUlS16_E_NS1_11comp_targetILNS1_3genE3ELNS1_11target_archE908ELNS1_3gpuE7ELNS1_3repE0EEENS1_30default_config_static_selectorELNS0_4arch9wavefront6targetE0EEEvT1_: ; @_ZN7rocprim17ROCPRIM_400000_NS6detail17trampoline_kernelINS0_14default_configENS1_25partition_config_selectorILNS1_17partition_subalgoE9EjjbEEZZNS1_14partition_implILS5_9ELb0ES3_jN6thrust23THRUST_200600_302600_NS6detail15normal_iteratorINS9_10device_ptrIjEEEESE_PNS0_10empty_typeENS0_5tupleIJNS9_16discard_iteratorINS9_11use_defaultEEESF_EEENSH_IJSE_SG_EEENS0_18inequality_wrapperINS9_8equal_toIjEEEEPmJSF_EEE10hipError_tPvRmT3_T4_T5_T6_T7_T9_mT8_P12ihipStream_tbDpT10_ENKUlT_T0_E_clISt17integral_constantIbLb1EES1A_IbLb0EEEEDaS16_S17_EUlS16_E_NS1_11comp_targetILNS1_3genE3ELNS1_11target_archE908ELNS1_3gpuE7ELNS1_3repE0EEENS1_30default_config_static_selectorELNS0_4arch9wavefront6targetE0EEEvT1_
; %bb.0:
	.section	.rodata,"a",@progbits
	.p2align	6, 0x0
	.amdhsa_kernel _ZN7rocprim17ROCPRIM_400000_NS6detail17trampoline_kernelINS0_14default_configENS1_25partition_config_selectorILNS1_17partition_subalgoE9EjjbEEZZNS1_14partition_implILS5_9ELb0ES3_jN6thrust23THRUST_200600_302600_NS6detail15normal_iteratorINS9_10device_ptrIjEEEESE_PNS0_10empty_typeENS0_5tupleIJNS9_16discard_iteratorINS9_11use_defaultEEESF_EEENSH_IJSE_SG_EEENS0_18inequality_wrapperINS9_8equal_toIjEEEEPmJSF_EEE10hipError_tPvRmT3_T4_T5_T6_T7_T9_mT8_P12ihipStream_tbDpT10_ENKUlT_T0_E_clISt17integral_constantIbLb1EES1A_IbLb0EEEEDaS16_S17_EUlS16_E_NS1_11comp_targetILNS1_3genE3ELNS1_11target_archE908ELNS1_3gpuE7ELNS1_3repE0EEENS1_30default_config_static_selectorELNS0_4arch9wavefront6targetE0EEEvT1_
		.amdhsa_group_segment_fixed_size 0
		.amdhsa_private_segment_fixed_size 0
		.amdhsa_kernarg_size 120
		.amdhsa_user_sgpr_count 15
		.amdhsa_user_sgpr_dispatch_ptr 0
		.amdhsa_user_sgpr_queue_ptr 0
		.amdhsa_user_sgpr_kernarg_segment_ptr 1
		.amdhsa_user_sgpr_dispatch_id 0
		.amdhsa_user_sgpr_private_segment_size 0
		.amdhsa_wavefront_size32 1
		.amdhsa_uses_dynamic_stack 0
		.amdhsa_enable_private_segment 0
		.amdhsa_system_sgpr_workgroup_id_x 1
		.amdhsa_system_sgpr_workgroup_id_y 0
		.amdhsa_system_sgpr_workgroup_id_z 0
		.amdhsa_system_sgpr_workgroup_info 0
		.amdhsa_system_vgpr_workitem_id 0
		.amdhsa_next_free_vgpr 1
		.amdhsa_next_free_sgpr 1
		.amdhsa_reserve_vcc 0
		.amdhsa_float_round_mode_32 0
		.amdhsa_float_round_mode_16_64 0
		.amdhsa_float_denorm_mode_32 3
		.amdhsa_float_denorm_mode_16_64 3
		.amdhsa_dx10_clamp 1
		.amdhsa_ieee_mode 1
		.amdhsa_fp16_overflow 0
		.amdhsa_workgroup_processor_mode 1
		.amdhsa_memory_ordered 1
		.amdhsa_forward_progress 0
		.amdhsa_shared_vgpr_count 0
		.amdhsa_exception_fp_ieee_invalid_op 0
		.amdhsa_exception_fp_denorm_src 0
		.amdhsa_exception_fp_ieee_div_zero 0
		.amdhsa_exception_fp_ieee_overflow 0
		.amdhsa_exception_fp_ieee_underflow 0
		.amdhsa_exception_fp_ieee_inexact 0
		.amdhsa_exception_int_div_zero 0
	.end_amdhsa_kernel
	.section	.text._ZN7rocprim17ROCPRIM_400000_NS6detail17trampoline_kernelINS0_14default_configENS1_25partition_config_selectorILNS1_17partition_subalgoE9EjjbEEZZNS1_14partition_implILS5_9ELb0ES3_jN6thrust23THRUST_200600_302600_NS6detail15normal_iteratorINS9_10device_ptrIjEEEESE_PNS0_10empty_typeENS0_5tupleIJNS9_16discard_iteratorINS9_11use_defaultEEESF_EEENSH_IJSE_SG_EEENS0_18inequality_wrapperINS9_8equal_toIjEEEEPmJSF_EEE10hipError_tPvRmT3_T4_T5_T6_T7_T9_mT8_P12ihipStream_tbDpT10_ENKUlT_T0_E_clISt17integral_constantIbLb1EES1A_IbLb0EEEEDaS16_S17_EUlS16_E_NS1_11comp_targetILNS1_3genE3ELNS1_11target_archE908ELNS1_3gpuE7ELNS1_3repE0EEENS1_30default_config_static_selectorELNS0_4arch9wavefront6targetE0EEEvT1_,"axG",@progbits,_ZN7rocprim17ROCPRIM_400000_NS6detail17trampoline_kernelINS0_14default_configENS1_25partition_config_selectorILNS1_17partition_subalgoE9EjjbEEZZNS1_14partition_implILS5_9ELb0ES3_jN6thrust23THRUST_200600_302600_NS6detail15normal_iteratorINS9_10device_ptrIjEEEESE_PNS0_10empty_typeENS0_5tupleIJNS9_16discard_iteratorINS9_11use_defaultEEESF_EEENSH_IJSE_SG_EEENS0_18inequality_wrapperINS9_8equal_toIjEEEEPmJSF_EEE10hipError_tPvRmT3_T4_T5_T6_T7_T9_mT8_P12ihipStream_tbDpT10_ENKUlT_T0_E_clISt17integral_constantIbLb1EES1A_IbLb0EEEEDaS16_S17_EUlS16_E_NS1_11comp_targetILNS1_3genE3ELNS1_11target_archE908ELNS1_3gpuE7ELNS1_3repE0EEENS1_30default_config_static_selectorELNS0_4arch9wavefront6targetE0EEEvT1_,comdat
.Lfunc_end872:
	.size	_ZN7rocprim17ROCPRIM_400000_NS6detail17trampoline_kernelINS0_14default_configENS1_25partition_config_selectorILNS1_17partition_subalgoE9EjjbEEZZNS1_14partition_implILS5_9ELb0ES3_jN6thrust23THRUST_200600_302600_NS6detail15normal_iteratorINS9_10device_ptrIjEEEESE_PNS0_10empty_typeENS0_5tupleIJNS9_16discard_iteratorINS9_11use_defaultEEESF_EEENSH_IJSE_SG_EEENS0_18inequality_wrapperINS9_8equal_toIjEEEEPmJSF_EEE10hipError_tPvRmT3_T4_T5_T6_T7_T9_mT8_P12ihipStream_tbDpT10_ENKUlT_T0_E_clISt17integral_constantIbLb1EES1A_IbLb0EEEEDaS16_S17_EUlS16_E_NS1_11comp_targetILNS1_3genE3ELNS1_11target_archE908ELNS1_3gpuE7ELNS1_3repE0EEENS1_30default_config_static_selectorELNS0_4arch9wavefront6targetE0EEEvT1_, .Lfunc_end872-_ZN7rocprim17ROCPRIM_400000_NS6detail17trampoline_kernelINS0_14default_configENS1_25partition_config_selectorILNS1_17partition_subalgoE9EjjbEEZZNS1_14partition_implILS5_9ELb0ES3_jN6thrust23THRUST_200600_302600_NS6detail15normal_iteratorINS9_10device_ptrIjEEEESE_PNS0_10empty_typeENS0_5tupleIJNS9_16discard_iteratorINS9_11use_defaultEEESF_EEENSH_IJSE_SG_EEENS0_18inequality_wrapperINS9_8equal_toIjEEEEPmJSF_EEE10hipError_tPvRmT3_T4_T5_T6_T7_T9_mT8_P12ihipStream_tbDpT10_ENKUlT_T0_E_clISt17integral_constantIbLb1EES1A_IbLb0EEEEDaS16_S17_EUlS16_E_NS1_11comp_targetILNS1_3genE3ELNS1_11target_archE908ELNS1_3gpuE7ELNS1_3repE0EEENS1_30default_config_static_selectorELNS0_4arch9wavefront6targetE0EEEvT1_
                                        ; -- End function
	.section	.AMDGPU.csdata,"",@progbits
; Kernel info:
; codeLenInByte = 0
; NumSgprs: 0
; NumVgprs: 0
; ScratchSize: 0
; MemoryBound: 0
; FloatMode: 240
; IeeeMode: 1
; LDSByteSize: 0 bytes/workgroup (compile time only)
; SGPRBlocks: 0
; VGPRBlocks: 0
; NumSGPRsForWavesPerEU: 1
; NumVGPRsForWavesPerEU: 1
; Occupancy: 16
; WaveLimiterHint : 0
; COMPUTE_PGM_RSRC2:SCRATCH_EN: 0
; COMPUTE_PGM_RSRC2:USER_SGPR: 15
; COMPUTE_PGM_RSRC2:TRAP_HANDLER: 0
; COMPUTE_PGM_RSRC2:TGID_X_EN: 1
; COMPUTE_PGM_RSRC2:TGID_Y_EN: 0
; COMPUTE_PGM_RSRC2:TGID_Z_EN: 0
; COMPUTE_PGM_RSRC2:TIDIG_COMP_CNT: 0
	.section	.text._ZN7rocprim17ROCPRIM_400000_NS6detail17trampoline_kernelINS0_14default_configENS1_25partition_config_selectorILNS1_17partition_subalgoE9EjjbEEZZNS1_14partition_implILS5_9ELb0ES3_jN6thrust23THRUST_200600_302600_NS6detail15normal_iteratorINS9_10device_ptrIjEEEESE_PNS0_10empty_typeENS0_5tupleIJNS9_16discard_iteratorINS9_11use_defaultEEESF_EEENSH_IJSE_SG_EEENS0_18inequality_wrapperINS9_8equal_toIjEEEEPmJSF_EEE10hipError_tPvRmT3_T4_T5_T6_T7_T9_mT8_P12ihipStream_tbDpT10_ENKUlT_T0_E_clISt17integral_constantIbLb1EES1A_IbLb0EEEEDaS16_S17_EUlS16_E_NS1_11comp_targetILNS1_3genE2ELNS1_11target_archE906ELNS1_3gpuE6ELNS1_3repE0EEENS1_30default_config_static_selectorELNS0_4arch9wavefront6targetE0EEEvT1_,"axG",@progbits,_ZN7rocprim17ROCPRIM_400000_NS6detail17trampoline_kernelINS0_14default_configENS1_25partition_config_selectorILNS1_17partition_subalgoE9EjjbEEZZNS1_14partition_implILS5_9ELb0ES3_jN6thrust23THRUST_200600_302600_NS6detail15normal_iteratorINS9_10device_ptrIjEEEESE_PNS0_10empty_typeENS0_5tupleIJNS9_16discard_iteratorINS9_11use_defaultEEESF_EEENSH_IJSE_SG_EEENS0_18inequality_wrapperINS9_8equal_toIjEEEEPmJSF_EEE10hipError_tPvRmT3_T4_T5_T6_T7_T9_mT8_P12ihipStream_tbDpT10_ENKUlT_T0_E_clISt17integral_constantIbLb1EES1A_IbLb0EEEEDaS16_S17_EUlS16_E_NS1_11comp_targetILNS1_3genE2ELNS1_11target_archE906ELNS1_3gpuE6ELNS1_3repE0EEENS1_30default_config_static_selectorELNS0_4arch9wavefront6targetE0EEEvT1_,comdat
	.protected	_ZN7rocprim17ROCPRIM_400000_NS6detail17trampoline_kernelINS0_14default_configENS1_25partition_config_selectorILNS1_17partition_subalgoE9EjjbEEZZNS1_14partition_implILS5_9ELb0ES3_jN6thrust23THRUST_200600_302600_NS6detail15normal_iteratorINS9_10device_ptrIjEEEESE_PNS0_10empty_typeENS0_5tupleIJNS9_16discard_iteratorINS9_11use_defaultEEESF_EEENSH_IJSE_SG_EEENS0_18inequality_wrapperINS9_8equal_toIjEEEEPmJSF_EEE10hipError_tPvRmT3_T4_T5_T6_T7_T9_mT8_P12ihipStream_tbDpT10_ENKUlT_T0_E_clISt17integral_constantIbLb1EES1A_IbLb0EEEEDaS16_S17_EUlS16_E_NS1_11comp_targetILNS1_3genE2ELNS1_11target_archE906ELNS1_3gpuE6ELNS1_3repE0EEENS1_30default_config_static_selectorELNS0_4arch9wavefront6targetE0EEEvT1_ ; -- Begin function _ZN7rocprim17ROCPRIM_400000_NS6detail17trampoline_kernelINS0_14default_configENS1_25partition_config_selectorILNS1_17partition_subalgoE9EjjbEEZZNS1_14partition_implILS5_9ELb0ES3_jN6thrust23THRUST_200600_302600_NS6detail15normal_iteratorINS9_10device_ptrIjEEEESE_PNS0_10empty_typeENS0_5tupleIJNS9_16discard_iteratorINS9_11use_defaultEEESF_EEENSH_IJSE_SG_EEENS0_18inequality_wrapperINS9_8equal_toIjEEEEPmJSF_EEE10hipError_tPvRmT3_T4_T5_T6_T7_T9_mT8_P12ihipStream_tbDpT10_ENKUlT_T0_E_clISt17integral_constantIbLb1EES1A_IbLb0EEEEDaS16_S17_EUlS16_E_NS1_11comp_targetILNS1_3genE2ELNS1_11target_archE906ELNS1_3gpuE6ELNS1_3repE0EEENS1_30default_config_static_selectorELNS0_4arch9wavefront6targetE0EEEvT1_
	.globl	_ZN7rocprim17ROCPRIM_400000_NS6detail17trampoline_kernelINS0_14default_configENS1_25partition_config_selectorILNS1_17partition_subalgoE9EjjbEEZZNS1_14partition_implILS5_9ELb0ES3_jN6thrust23THRUST_200600_302600_NS6detail15normal_iteratorINS9_10device_ptrIjEEEESE_PNS0_10empty_typeENS0_5tupleIJNS9_16discard_iteratorINS9_11use_defaultEEESF_EEENSH_IJSE_SG_EEENS0_18inequality_wrapperINS9_8equal_toIjEEEEPmJSF_EEE10hipError_tPvRmT3_T4_T5_T6_T7_T9_mT8_P12ihipStream_tbDpT10_ENKUlT_T0_E_clISt17integral_constantIbLb1EES1A_IbLb0EEEEDaS16_S17_EUlS16_E_NS1_11comp_targetILNS1_3genE2ELNS1_11target_archE906ELNS1_3gpuE6ELNS1_3repE0EEENS1_30default_config_static_selectorELNS0_4arch9wavefront6targetE0EEEvT1_
	.p2align	8
	.type	_ZN7rocprim17ROCPRIM_400000_NS6detail17trampoline_kernelINS0_14default_configENS1_25partition_config_selectorILNS1_17partition_subalgoE9EjjbEEZZNS1_14partition_implILS5_9ELb0ES3_jN6thrust23THRUST_200600_302600_NS6detail15normal_iteratorINS9_10device_ptrIjEEEESE_PNS0_10empty_typeENS0_5tupleIJNS9_16discard_iteratorINS9_11use_defaultEEESF_EEENSH_IJSE_SG_EEENS0_18inequality_wrapperINS9_8equal_toIjEEEEPmJSF_EEE10hipError_tPvRmT3_T4_T5_T6_T7_T9_mT8_P12ihipStream_tbDpT10_ENKUlT_T0_E_clISt17integral_constantIbLb1EES1A_IbLb0EEEEDaS16_S17_EUlS16_E_NS1_11comp_targetILNS1_3genE2ELNS1_11target_archE906ELNS1_3gpuE6ELNS1_3repE0EEENS1_30default_config_static_selectorELNS0_4arch9wavefront6targetE0EEEvT1_,@function
_ZN7rocprim17ROCPRIM_400000_NS6detail17trampoline_kernelINS0_14default_configENS1_25partition_config_selectorILNS1_17partition_subalgoE9EjjbEEZZNS1_14partition_implILS5_9ELb0ES3_jN6thrust23THRUST_200600_302600_NS6detail15normal_iteratorINS9_10device_ptrIjEEEESE_PNS0_10empty_typeENS0_5tupleIJNS9_16discard_iteratorINS9_11use_defaultEEESF_EEENSH_IJSE_SG_EEENS0_18inequality_wrapperINS9_8equal_toIjEEEEPmJSF_EEE10hipError_tPvRmT3_T4_T5_T6_T7_T9_mT8_P12ihipStream_tbDpT10_ENKUlT_T0_E_clISt17integral_constantIbLb1EES1A_IbLb0EEEEDaS16_S17_EUlS16_E_NS1_11comp_targetILNS1_3genE2ELNS1_11target_archE906ELNS1_3gpuE6ELNS1_3repE0EEENS1_30default_config_static_selectorELNS0_4arch9wavefront6targetE0EEEvT1_: ; @_ZN7rocprim17ROCPRIM_400000_NS6detail17trampoline_kernelINS0_14default_configENS1_25partition_config_selectorILNS1_17partition_subalgoE9EjjbEEZZNS1_14partition_implILS5_9ELb0ES3_jN6thrust23THRUST_200600_302600_NS6detail15normal_iteratorINS9_10device_ptrIjEEEESE_PNS0_10empty_typeENS0_5tupleIJNS9_16discard_iteratorINS9_11use_defaultEEESF_EEENSH_IJSE_SG_EEENS0_18inequality_wrapperINS9_8equal_toIjEEEEPmJSF_EEE10hipError_tPvRmT3_T4_T5_T6_T7_T9_mT8_P12ihipStream_tbDpT10_ENKUlT_T0_E_clISt17integral_constantIbLb1EES1A_IbLb0EEEEDaS16_S17_EUlS16_E_NS1_11comp_targetILNS1_3genE2ELNS1_11target_archE906ELNS1_3gpuE6ELNS1_3repE0EEENS1_30default_config_static_selectorELNS0_4arch9wavefront6targetE0EEEvT1_
; %bb.0:
	.section	.rodata,"a",@progbits
	.p2align	6, 0x0
	.amdhsa_kernel _ZN7rocprim17ROCPRIM_400000_NS6detail17trampoline_kernelINS0_14default_configENS1_25partition_config_selectorILNS1_17partition_subalgoE9EjjbEEZZNS1_14partition_implILS5_9ELb0ES3_jN6thrust23THRUST_200600_302600_NS6detail15normal_iteratorINS9_10device_ptrIjEEEESE_PNS0_10empty_typeENS0_5tupleIJNS9_16discard_iteratorINS9_11use_defaultEEESF_EEENSH_IJSE_SG_EEENS0_18inequality_wrapperINS9_8equal_toIjEEEEPmJSF_EEE10hipError_tPvRmT3_T4_T5_T6_T7_T9_mT8_P12ihipStream_tbDpT10_ENKUlT_T0_E_clISt17integral_constantIbLb1EES1A_IbLb0EEEEDaS16_S17_EUlS16_E_NS1_11comp_targetILNS1_3genE2ELNS1_11target_archE906ELNS1_3gpuE6ELNS1_3repE0EEENS1_30default_config_static_selectorELNS0_4arch9wavefront6targetE0EEEvT1_
		.amdhsa_group_segment_fixed_size 0
		.amdhsa_private_segment_fixed_size 0
		.amdhsa_kernarg_size 120
		.amdhsa_user_sgpr_count 15
		.amdhsa_user_sgpr_dispatch_ptr 0
		.amdhsa_user_sgpr_queue_ptr 0
		.amdhsa_user_sgpr_kernarg_segment_ptr 1
		.amdhsa_user_sgpr_dispatch_id 0
		.amdhsa_user_sgpr_private_segment_size 0
		.amdhsa_wavefront_size32 1
		.amdhsa_uses_dynamic_stack 0
		.amdhsa_enable_private_segment 0
		.amdhsa_system_sgpr_workgroup_id_x 1
		.amdhsa_system_sgpr_workgroup_id_y 0
		.amdhsa_system_sgpr_workgroup_id_z 0
		.amdhsa_system_sgpr_workgroup_info 0
		.amdhsa_system_vgpr_workitem_id 0
		.amdhsa_next_free_vgpr 1
		.amdhsa_next_free_sgpr 1
		.amdhsa_reserve_vcc 0
		.amdhsa_float_round_mode_32 0
		.amdhsa_float_round_mode_16_64 0
		.amdhsa_float_denorm_mode_32 3
		.amdhsa_float_denorm_mode_16_64 3
		.amdhsa_dx10_clamp 1
		.amdhsa_ieee_mode 1
		.amdhsa_fp16_overflow 0
		.amdhsa_workgroup_processor_mode 1
		.amdhsa_memory_ordered 1
		.amdhsa_forward_progress 0
		.amdhsa_shared_vgpr_count 0
		.amdhsa_exception_fp_ieee_invalid_op 0
		.amdhsa_exception_fp_denorm_src 0
		.amdhsa_exception_fp_ieee_div_zero 0
		.amdhsa_exception_fp_ieee_overflow 0
		.amdhsa_exception_fp_ieee_underflow 0
		.amdhsa_exception_fp_ieee_inexact 0
		.amdhsa_exception_int_div_zero 0
	.end_amdhsa_kernel
	.section	.text._ZN7rocprim17ROCPRIM_400000_NS6detail17trampoline_kernelINS0_14default_configENS1_25partition_config_selectorILNS1_17partition_subalgoE9EjjbEEZZNS1_14partition_implILS5_9ELb0ES3_jN6thrust23THRUST_200600_302600_NS6detail15normal_iteratorINS9_10device_ptrIjEEEESE_PNS0_10empty_typeENS0_5tupleIJNS9_16discard_iteratorINS9_11use_defaultEEESF_EEENSH_IJSE_SG_EEENS0_18inequality_wrapperINS9_8equal_toIjEEEEPmJSF_EEE10hipError_tPvRmT3_T4_T5_T6_T7_T9_mT8_P12ihipStream_tbDpT10_ENKUlT_T0_E_clISt17integral_constantIbLb1EES1A_IbLb0EEEEDaS16_S17_EUlS16_E_NS1_11comp_targetILNS1_3genE2ELNS1_11target_archE906ELNS1_3gpuE6ELNS1_3repE0EEENS1_30default_config_static_selectorELNS0_4arch9wavefront6targetE0EEEvT1_,"axG",@progbits,_ZN7rocprim17ROCPRIM_400000_NS6detail17trampoline_kernelINS0_14default_configENS1_25partition_config_selectorILNS1_17partition_subalgoE9EjjbEEZZNS1_14partition_implILS5_9ELb0ES3_jN6thrust23THRUST_200600_302600_NS6detail15normal_iteratorINS9_10device_ptrIjEEEESE_PNS0_10empty_typeENS0_5tupleIJNS9_16discard_iteratorINS9_11use_defaultEEESF_EEENSH_IJSE_SG_EEENS0_18inequality_wrapperINS9_8equal_toIjEEEEPmJSF_EEE10hipError_tPvRmT3_T4_T5_T6_T7_T9_mT8_P12ihipStream_tbDpT10_ENKUlT_T0_E_clISt17integral_constantIbLb1EES1A_IbLb0EEEEDaS16_S17_EUlS16_E_NS1_11comp_targetILNS1_3genE2ELNS1_11target_archE906ELNS1_3gpuE6ELNS1_3repE0EEENS1_30default_config_static_selectorELNS0_4arch9wavefront6targetE0EEEvT1_,comdat
.Lfunc_end873:
	.size	_ZN7rocprim17ROCPRIM_400000_NS6detail17trampoline_kernelINS0_14default_configENS1_25partition_config_selectorILNS1_17partition_subalgoE9EjjbEEZZNS1_14partition_implILS5_9ELb0ES3_jN6thrust23THRUST_200600_302600_NS6detail15normal_iteratorINS9_10device_ptrIjEEEESE_PNS0_10empty_typeENS0_5tupleIJNS9_16discard_iteratorINS9_11use_defaultEEESF_EEENSH_IJSE_SG_EEENS0_18inequality_wrapperINS9_8equal_toIjEEEEPmJSF_EEE10hipError_tPvRmT3_T4_T5_T6_T7_T9_mT8_P12ihipStream_tbDpT10_ENKUlT_T0_E_clISt17integral_constantIbLb1EES1A_IbLb0EEEEDaS16_S17_EUlS16_E_NS1_11comp_targetILNS1_3genE2ELNS1_11target_archE906ELNS1_3gpuE6ELNS1_3repE0EEENS1_30default_config_static_selectorELNS0_4arch9wavefront6targetE0EEEvT1_, .Lfunc_end873-_ZN7rocprim17ROCPRIM_400000_NS6detail17trampoline_kernelINS0_14default_configENS1_25partition_config_selectorILNS1_17partition_subalgoE9EjjbEEZZNS1_14partition_implILS5_9ELb0ES3_jN6thrust23THRUST_200600_302600_NS6detail15normal_iteratorINS9_10device_ptrIjEEEESE_PNS0_10empty_typeENS0_5tupleIJNS9_16discard_iteratorINS9_11use_defaultEEESF_EEENSH_IJSE_SG_EEENS0_18inequality_wrapperINS9_8equal_toIjEEEEPmJSF_EEE10hipError_tPvRmT3_T4_T5_T6_T7_T9_mT8_P12ihipStream_tbDpT10_ENKUlT_T0_E_clISt17integral_constantIbLb1EES1A_IbLb0EEEEDaS16_S17_EUlS16_E_NS1_11comp_targetILNS1_3genE2ELNS1_11target_archE906ELNS1_3gpuE6ELNS1_3repE0EEENS1_30default_config_static_selectorELNS0_4arch9wavefront6targetE0EEEvT1_
                                        ; -- End function
	.section	.AMDGPU.csdata,"",@progbits
; Kernel info:
; codeLenInByte = 0
; NumSgprs: 0
; NumVgprs: 0
; ScratchSize: 0
; MemoryBound: 0
; FloatMode: 240
; IeeeMode: 1
; LDSByteSize: 0 bytes/workgroup (compile time only)
; SGPRBlocks: 0
; VGPRBlocks: 0
; NumSGPRsForWavesPerEU: 1
; NumVGPRsForWavesPerEU: 1
; Occupancy: 16
; WaveLimiterHint : 0
; COMPUTE_PGM_RSRC2:SCRATCH_EN: 0
; COMPUTE_PGM_RSRC2:USER_SGPR: 15
; COMPUTE_PGM_RSRC2:TRAP_HANDLER: 0
; COMPUTE_PGM_RSRC2:TGID_X_EN: 1
; COMPUTE_PGM_RSRC2:TGID_Y_EN: 0
; COMPUTE_PGM_RSRC2:TGID_Z_EN: 0
; COMPUTE_PGM_RSRC2:TIDIG_COMP_CNT: 0
	.section	.text._ZN7rocprim17ROCPRIM_400000_NS6detail17trampoline_kernelINS0_14default_configENS1_25partition_config_selectorILNS1_17partition_subalgoE9EjjbEEZZNS1_14partition_implILS5_9ELb0ES3_jN6thrust23THRUST_200600_302600_NS6detail15normal_iteratorINS9_10device_ptrIjEEEESE_PNS0_10empty_typeENS0_5tupleIJNS9_16discard_iteratorINS9_11use_defaultEEESF_EEENSH_IJSE_SG_EEENS0_18inequality_wrapperINS9_8equal_toIjEEEEPmJSF_EEE10hipError_tPvRmT3_T4_T5_T6_T7_T9_mT8_P12ihipStream_tbDpT10_ENKUlT_T0_E_clISt17integral_constantIbLb1EES1A_IbLb0EEEEDaS16_S17_EUlS16_E_NS1_11comp_targetILNS1_3genE10ELNS1_11target_archE1200ELNS1_3gpuE4ELNS1_3repE0EEENS1_30default_config_static_selectorELNS0_4arch9wavefront6targetE0EEEvT1_,"axG",@progbits,_ZN7rocprim17ROCPRIM_400000_NS6detail17trampoline_kernelINS0_14default_configENS1_25partition_config_selectorILNS1_17partition_subalgoE9EjjbEEZZNS1_14partition_implILS5_9ELb0ES3_jN6thrust23THRUST_200600_302600_NS6detail15normal_iteratorINS9_10device_ptrIjEEEESE_PNS0_10empty_typeENS0_5tupleIJNS9_16discard_iteratorINS9_11use_defaultEEESF_EEENSH_IJSE_SG_EEENS0_18inequality_wrapperINS9_8equal_toIjEEEEPmJSF_EEE10hipError_tPvRmT3_T4_T5_T6_T7_T9_mT8_P12ihipStream_tbDpT10_ENKUlT_T0_E_clISt17integral_constantIbLb1EES1A_IbLb0EEEEDaS16_S17_EUlS16_E_NS1_11comp_targetILNS1_3genE10ELNS1_11target_archE1200ELNS1_3gpuE4ELNS1_3repE0EEENS1_30default_config_static_selectorELNS0_4arch9wavefront6targetE0EEEvT1_,comdat
	.protected	_ZN7rocprim17ROCPRIM_400000_NS6detail17trampoline_kernelINS0_14default_configENS1_25partition_config_selectorILNS1_17partition_subalgoE9EjjbEEZZNS1_14partition_implILS5_9ELb0ES3_jN6thrust23THRUST_200600_302600_NS6detail15normal_iteratorINS9_10device_ptrIjEEEESE_PNS0_10empty_typeENS0_5tupleIJNS9_16discard_iteratorINS9_11use_defaultEEESF_EEENSH_IJSE_SG_EEENS0_18inequality_wrapperINS9_8equal_toIjEEEEPmJSF_EEE10hipError_tPvRmT3_T4_T5_T6_T7_T9_mT8_P12ihipStream_tbDpT10_ENKUlT_T0_E_clISt17integral_constantIbLb1EES1A_IbLb0EEEEDaS16_S17_EUlS16_E_NS1_11comp_targetILNS1_3genE10ELNS1_11target_archE1200ELNS1_3gpuE4ELNS1_3repE0EEENS1_30default_config_static_selectorELNS0_4arch9wavefront6targetE0EEEvT1_ ; -- Begin function _ZN7rocprim17ROCPRIM_400000_NS6detail17trampoline_kernelINS0_14default_configENS1_25partition_config_selectorILNS1_17partition_subalgoE9EjjbEEZZNS1_14partition_implILS5_9ELb0ES3_jN6thrust23THRUST_200600_302600_NS6detail15normal_iteratorINS9_10device_ptrIjEEEESE_PNS0_10empty_typeENS0_5tupleIJNS9_16discard_iteratorINS9_11use_defaultEEESF_EEENSH_IJSE_SG_EEENS0_18inequality_wrapperINS9_8equal_toIjEEEEPmJSF_EEE10hipError_tPvRmT3_T4_T5_T6_T7_T9_mT8_P12ihipStream_tbDpT10_ENKUlT_T0_E_clISt17integral_constantIbLb1EES1A_IbLb0EEEEDaS16_S17_EUlS16_E_NS1_11comp_targetILNS1_3genE10ELNS1_11target_archE1200ELNS1_3gpuE4ELNS1_3repE0EEENS1_30default_config_static_selectorELNS0_4arch9wavefront6targetE0EEEvT1_
	.globl	_ZN7rocprim17ROCPRIM_400000_NS6detail17trampoline_kernelINS0_14default_configENS1_25partition_config_selectorILNS1_17partition_subalgoE9EjjbEEZZNS1_14partition_implILS5_9ELb0ES3_jN6thrust23THRUST_200600_302600_NS6detail15normal_iteratorINS9_10device_ptrIjEEEESE_PNS0_10empty_typeENS0_5tupleIJNS9_16discard_iteratorINS9_11use_defaultEEESF_EEENSH_IJSE_SG_EEENS0_18inequality_wrapperINS9_8equal_toIjEEEEPmJSF_EEE10hipError_tPvRmT3_T4_T5_T6_T7_T9_mT8_P12ihipStream_tbDpT10_ENKUlT_T0_E_clISt17integral_constantIbLb1EES1A_IbLb0EEEEDaS16_S17_EUlS16_E_NS1_11comp_targetILNS1_3genE10ELNS1_11target_archE1200ELNS1_3gpuE4ELNS1_3repE0EEENS1_30default_config_static_selectorELNS0_4arch9wavefront6targetE0EEEvT1_
	.p2align	8
	.type	_ZN7rocprim17ROCPRIM_400000_NS6detail17trampoline_kernelINS0_14default_configENS1_25partition_config_selectorILNS1_17partition_subalgoE9EjjbEEZZNS1_14partition_implILS5_9ELb0ES3_jN6thrust23THRUST_200600_302600_NS6detail15normal_iteratorINS9_10device_ptrIjEEEESE_PNS0_10empty_typeENS0_5tupleIJNS9_16discard_iteratorINS9_11use_defaultEEESF_EEENSH_IJSE_SG_EEENS0_18inequality_wrapperINS9_8equal_toIjEEEEPmJSF_EEE10hipError_tPvRmT3_T4_T5_T6_T7_T9_mT8_P12ihipStream_tbDpT10_ENKUlT_T0_E_clISt17integral_constantIbLb1EES1A_IbLb0EEEEDaS16_S17_EUlS16_E_NS1_11comp_targetILNS1_3genE10ELNS1_11target_archE1200ELNS1_3gpuE4ELNS1_3repE0EEENS1_30default_config_static_selectorELNS0_4arch9wavefront6targetE0EEEvT1_,@function
_ZN7rocprim17ROCPRIM_400000_NS6detail17trampoline_kernelINS0_14default_configENS1_25partition_config_selectorILNS1_17partition_subalgoE9EjjbEEZZNS1_14partition_implILS5_9ELb0ES3_jN6thrust23THRUST_200600_302600_NS6detail15normal_iteratorINS9_10device_ptrIjEEEESE_PNS0_10empty_typeENS0_5tupleIJNS9_16discard_iteratorINS9_11use_defaultEEESF_EEENSH_IJSE_SG_EEENS0_18inequality_wrapperINS9_8equal_toIjEEEEPmJSF_EEE10hipError_tPvRmT3_T4_T5_T6_T7_T9_mT8_P12ihipStream_tbDpT10_ENKUlT_T0_E_clISt17integral_constantIbLb1EES1A_IbLb0EEEEDaS16_S17_EUlS16_E_NS1_11comp_targetILNS1_3genE10ELNS1_11target_archE1200ELNS1_3gpuE4ELNS1_3repE0EEENS1_30default_config_static_selectorELNS0_4arch9wavefront6targetE0EEEvT1_: ; @_ZN7rocprim17ROCPRIM_400000_NS6detail17trampoline_kernelINS0_14default_configENS1_25partition_config_selectorILNS1_17partition_subalgoE9EjjbEEZZNS1_14partition_implILS5_9ELb0ES3_jN6thrust23THRUST_200600_302600_NS6detail15normal_iteratorINS9_10device_ptrIjEEEESE_PNS0_10empty_typeENS0_5tupleIJNS9_16discard_iteratorINS9_11use_defaultEEESF_EEENSH_IJSE_SG_EEENS0_18inequality_wrapperINS9_8equal_toIjEEEEPmJSF_EEE10hipError_tPvRmT3_T4_T5_T6_T7_T9_mT8_P12ihipStream_tbDpT10_ENKUlT_T0_E_clISt17integral_constantIbLb1EES1A_IbLb0EEEEDaS16_S17_EUlS16_E_NS1_11comp_targetILNS1_3genE10ELNS1_11target_archE1200ELNS1_3gpuE4ELNS1_3repE0EEENS1_30default_config_static_selectorELNS0_4arch9wavefront6targetE0EEEvT1_
; %bb.0:
	.section	.rodata,"a",@progbits
	.p2align	6, 0x0
	.amdhsa_kernel _ZN7rocprim17ROCPRIM_400000_NS6detail17trampoline_kernelINS0_14default_configENS1_25partition_config_selectorILNS1_17partition_subalgoE9EjjbEEZZNS1_14partition_implILS5_9ELb0ES3_jN6thrust23THRUST_200600_302600_NS6detail15normal_iteratorINS9_10device_ptrIjEEEESE_PNS0_10empty_typeENS0_5tupleIJNS9_16discard_iteratorINS9_11use_defaultEEESF_EEENSH_IJSE_SG_EEENS0_18inequality_wrapperINS9_8equal_toIjEEEEPmJSF_EEE10hipError_tPvRmT3_T4_T5_T6_T7_T9_mT8_P12ihipStream_tbDpT10_ENKUlT_T0_E_clISt17integral_constantIbLb1EES1A_IbLb0EEEEDaS16_S17_EUlS16_E_NS1_11comp_targetILNS1_3genE10ELNS1_11target_archE1200ELNS1_3gpuE4ELNS1_3repE0EEENS1_30default_config_static_selectorELNS0_4arch9wavefront6targetE0EEEvT1_
		.amdhsa_group_segment_fixed_size 0
		.amdhsa_private_segment_fixed_size 0
		.amdhsa_kernarg_size 120
		.amdhsa_user_sgpr_count 15
		.amdhsa_user_sgpr_dispatch_ptr 0
		.amdhsa_user_sgpr_queue_ptr 0
		.amdhsa_user_sgpr_kernarg_segment_ptr 1
		.amdhsa_user_sgpr_dispatch_id 0
		.amdhsa_user_sgpr_private_segment_size 0
		.amdhsa_wavefront_size32 1
		.amdhsa_uses_dynamic_stack 0
		.amdhsa_enable_private_segment 0
		.amdhsa_system_sgpr_workgroup_id_x 1
		.amdhsa_system_sgpr_workgroup_id_y 0
		.amdhsa_system_sgpr_workgroup_id_z 0
		.amdhsa_system_sgpr_workgroup_info 0
		.amdhsa_system_vgpr_workitem_id 0
		.amdhsa_next_free_vgpr 1
		.amdhsa_next_free_sgpr 1
		.amdhsa_reserve_vcc 0
		.amdhsa_float_round_mode_32 0
		.amdhsa_float_round_mode_16_64 0
		.amdhsa_float_denorm_mode_32 3
		.amdhsa_float_denorm_mode_16_64 3
		.amdhsa_dx10_clamp 1
		.amdhsa_ieee_mode 1
		.amdhsa_fp16_overflow 0
		.amdhsa_workgroup_processor_mode 1
		.amdhsa_memory_ordered 1
		.amdhsa_forward_progress 0
		.amdhsa_shared_vgpr_count 0
		.amdhsa_exception_fp_ieee_invalid_op 0
		.amdhsa_exception_fp_denorm_src 0
		.amdhsa_exception_fp_ieee_div_zero 0
		.amdhsa_exception_fp_ieee_overflow 0
		.amdhsa_exception_fp_ieee_underflow 0
		.amdhsa_exception_fp_ieee_inexact 0
		.amdhsa_exception_int_div_zero 0
	.end_amdhsa_kernel
	.section	.text._ZN7rocprim17ROCPRIM_400000_NS6detail17trampoline_kernelINS0_14default_configENS1_25partition_config_selectorILNS1_17partition_subalgoE9EjjbEEZZNS1_14partition_implILS5_9ELb0ES3_jN6thrust23THRUST_200600_302600_NS6detail15normal_iteratorINS9_10device_ptrIjEEEESE_PNS0_10empty_typeENS0_5tupleIJNS9_16discard_iteratorINS9_11use_defaultEEESF_EEENSH_IJSE_SG_EEENS0_18inequality_wrapperINS9_8equal_toIjEEEEPmJSF_EEE10hipError_tPvRmT3_T4_T5_T6_T7_T9_mT8_P12ihipStream_tbDpT10_ENKUlT_T0_E_clISt17integral_constantIbLb1EES1A_IbLb0EEEEDaS16_S17_EUlS16_E_NS1_11comp_targetILNS1_3genE10ELNS1_11target_archE1200ELNS1_3gpuE4ELNS1_3repE0EEENS1_30default_config_static_selectorELNS0_4arch9wavefront6targetE0EEEvT1_,"axG",@progbits,_ZN7rocprim17ROCPRIM_400000_NS6detail17trampoline_kernelINS0_14default_configENS1_25partition_config_selectorILNS1_17partition_subalgoE9EjjbEEZZNS1_14partition_implILS5_9ELb0ES3_jN6thrust23THRUST_200600_302600_NS6detail15normal_iteratorINS9_10device_ptrIjEEEESE_PNS0_10empty_typeENS0_5tupleIJNS9_16discard_iteratorINS9_11use_defaultEEESF_EEENSH_IJSE_SG_EEENS0_18inequality_wrapperINS9_8equal_toIjEEEEPmJSF_EEE10hipError_tPvRmT3_T4_T5_T6_T7_T9_mT8_P12ihipStream_tbDpT10_ENKUlT_T0_E_clISt17integral_constantIbLb1EES1A_IbLb0EEEEDaS16_S17_EUlS16_E_NS1_11comp_targetILNS1_3genE10ELNS1_11target_archE1200ELNS1_3gpuE4ELNS1_3repE0EEENS1_30default_config_static_selectorELNS0_4arch9wavefront6targetE0EEEvT1_,comdat
.Lfunc_end874:
	.size	_ZN7rocprim17ROCPRIM_400000_NS6detail17trampoline_kernelINS0_14default_configENS1_25partition_config_selectorILNS1_17partition_subalgoE9EjjbEEZZNS1_14partition_implILS5_9ELb0ES3_jN6thrust23THRUST_200600_302600_NS6detail15normal_iteratorINS9_10device_ptrIjEEEESE_PNS0_10empty_typeENS0_5tupleIJNS9_16discard_iteratorINS9_11use_defaultEEESF_EEENSH_IJSE_SG_EEENS0_18inequality_wrapperINS9_8equal_toIjEEEEPmJSF_EEE10hipError_tPvRmT3_T4_T5_T6_T7_T9_mT8_P12ihipStream_tbDpT10_ENKUlT_T0_E_clISt17integral_constantIbLb1EES1A_IbLb0EEEEDaS16_S17_EUlS16_E_NS1_11comp_targetILNS1_3genE10ELNS1_11target_archE1200ELNS1_3gpuE4ELNS1_3repE0EEENS1_30default_config_static_selectorELNS0_4arch9wavefront6targetE0EEEvT1_, .Lfunc_end874-_ZN7rocprim17ROCPRIM_400000_NS6detail17trampoline_kernelINS0_14default_configENS1_25partition_config_selectorILNS1_17partition_subalgoE9EjjbEEZZNS1_14partition_implILS5_9ELb0ES3_jN6thrust23THRUST_200600_302600_NS6detail15normal_iteratorINS9_10device_ptrIjEEEESE_PNS0_10empty_typeENS0_5tupleIJNS9_16discard_iteratorINS9_11use_defaultEEESF_EEENSH_IJSE_SG_EEENS0_18inequality_wrapperINS9_8equal_toIjEEEEPmJSF_EEE10hipError_tPvRmT3_T4_T5_T6_T7_T9_mT8_P12ihipStream_tbDpT10_ENKUlT_T0_E_clISt17integral_constantIbLb1EES1A_IbLb0EEEEDaS16_S17_EUlS16_E_NS1_11comp_targetILNS1_3genE10ELNS1_11target_archE1200ELNS1_3gpuE4ELNS1_3repE0EEENS1_30default_config_static_selectorELNS0_4arch9wavefront6targetE0EEEvT1_
                                        ; -- End function
	.section	.AMDGPU.csdata,"",@progbits
; Kernel info:
; codeLenInByte = 0
; NumSgprs: 0
; NumVgprs: 0
; ScratchSize: 0
; MemoryBound: 0
; FloatMode: 240
; IeeeMode: 1
; LDSByteSize: 0 bytes/workgroup (compile time only)
; SGPRBlocks: 0
; VGPRBlocks: 0
; NumSGPRsForWavesPerEU: 1
; NumVGPRsForWavesPerEU: 1
; Occupancy: 15
; WaveLimiterHint : 0
; COMPUTE_PGM_RSRC2:SCRATCH_EN: 0
; COMPUTE_PGM_RSRC2:USER_SGPR: 15
; COMPUTE_PGM_RSRC2:TRAP_HANDLER: 0
; COMPUTE_PGM_RSRC2:TGID_X_EN: 1
; COMPUTE_PGM_RSRC2:TGID_Y_EN: 0
; COMPUTE_PGM_RSRC2:TGID_Z_EN: 0
; COMPUTE_PGM_RSRC2:TIDIG_COMP_CNT: 0
	.section	.text._ZN7rocprim17ROCPRIM_400000_NS6detail17trampoline_kernelINS0_14default_configENS1_25partition_config_selectorILNS1_17partition_subalgoE9EjjbEEZZNS1_14partition_implILS5_9ELb0ES3_jN6thrust23THRUST_200600_302600_NS6detail15normal_iteratorINS9_10device_ptrIjEEEESE_PNS0_10empty_typeENS0_5tupleIJNS9_16discard_iteratorINS9_11use_defaultEEESF_EEENSH_IJSE_SG_EEENS0_18inequality_wrapperINS9_8equal_toIjEEEEPmJSF_EEE10hipError_tPvRmT3_T4_T5_T6_T7_T9_mT8_P12ihipStream_tbDpT10_ENKUlT_T0_E_clISt17integral_constantIbLb1EES1A_IbLb0EEEEDaS16_S17_EUlS16_E_NS1_11comp_targetILNS1_3genE9ELNS1_11target_archE1100ELNS1_3gpuE3ELNS1_3repE0EEENS1_30default_config_static_selectorELNS0_4arch9wavefront6targetE0EEEvT1_,"axG",@progbits,_ZN7rocprim17ROCPRIM_400000_NS6detail17trampoline_kernelINS0_14default_configENS1_25partition_config_selectorILNS1_17partition_subalgoE9EjjbEEZZNS1_14partition_implILS5_9ELb0ES3_jN6thrust23THRUST_200600_302600_NS6detail15normal_iteratorINS9_10device_ptrIjEEEESE_PNS0_10empty_typeENS0_5tupleIJNS9_16discard_iteratorINS9_11use_defaultEEESF_EEENSH_IJSE_SG_EEENS0_18inequality_wrapperINS9_8equal_toIjEEEEPmJSF_EEE10hipError_tPvRmT3_T4_T5_T6_T7_T9_mT8_P12ihipStream_tbDpT10_ENKUlT_T0_E_clISt17integral_constantIbLb1EES1A_IbLb0EEEEDaS16_S17_EUlS16_E_NS1_11comp_targetILNS1_3genE9ELNS1_11target_archE1100ELNS1_3gpuE3ELNS1_3repE0EEENS1_30default_config_static_selectorELNS0_4arch9wavefront6targetE0EEEvT1_,comdat
	.protected	_ZN7rocprim17ROCPRIM_400000_NS6detail17trampoline_kernelINS0_14default_configENS1_25partition_config_selectorILNS1_17partition_subalgoE9EjjbEEZZNS1_14partition_implILS5_9ELb0ES3_jN6thrust23THRUST_200600_302600_NS6detail15normal_iteratorINS9_10device_ptrIjEEEESE_PNS0_10empty_typeENS0_5tupleIJNS9_16discard_iteratorINS9_11use_defaultEEESF_EEENSH_IJSE_SG_EEENS0_18inequality_wrapperINS9_8equal_toIjEEEEPmJSF_EEE10hipError_tPvRmT3_T4_T5_T6_T7_T9_mT8_P12ihipStream_tbDpT10_ENKUlT_T0_E_clISt17integral_constantIbLb1EES1A_IbLb0EEEEDaS16_S17_EUlS16_E_NS1_11comp_targetILNS1_3genE9ELNS1_11target_archE1100ELNS1_3gpuE3ELNS1_3repE0EEENS1_30default_config_static_selectorELNS0_4arch9wavefront6targetE0EEEvT1_ ; -- Begin function _ZN7rocprim17ROCPRIM_400000_NS6detail17trampoline_kernelINS0_14default_configENS1_25partition_config_selectorILNS1_17partition_subalgoE9EjjbEEZZNS1_14partition_implILS5_9ELb0ES3_jN6thrust23THRUST_200600_302600_NS6detail15normal_iteratorINS9_10device_ptrIjEEEESE_PNS0_10empty_typeENS0_5tupleIJNS9_16discard_iteratorINS9_11use_defaultEEESF_EEENSH_IJSE_SG_EEENS0_18inequality_wrapperINS9_8equal_toIjEEEEPmJSF_EEE10hipError_tPvRmT3_T4_T5_T6_T7_T9_mT8_P12ihipStream_tbDpT10_ENKUlT_T0_E_clISt17integral_constantIbLb1EES1A_IbLb0EEEEDaS16_S17_EUlS16_E_NS1_11comp_targetILNS1_3genE9ELNS1_11target_archE1100ELNS1_3gpuE3ELNS1_3repE0EEENS1_30default_config_static_selectorELNS0_4arch9wavefront6targetE0EEEvT1_
	.globl	_ZN7rocprim17ROCPRIM_400000_NS6detail17trampoline_kernelINS0_14default_configENS1_25partition_config_selectorILNS1_17partition_subalgoE9EjjbEEZZNS1_14partition_implILS5_9ELb0ES3_jN6thrust23THRUST_200600_302600_NS6detail15normal_iteratorINS9_10device_ptrIjEEEESE_PNS0_10empty_typeENS0_5tupleIJNS9_16discard_iteratorINS9_11use_defaultEEESF_EEENSH_IJSE_SG_EEENS0_18inequality_wrapperINS9_8equal_toIjEEEEPmJSF_EEE10hipError_tPvRmT3_T4_T5_T6_T7_T9_mT8_P12ihipStream_tbDpT10_ENKUlT_T0_E_clISt17integral_constantIbLb1EES1A_IbLb0EEEEDaS16_S17_EUlS16_E_NS1_11comp_targetILNS1_3genE9ELNS1_11target_archE1100ELNS1_3gpuE3ELNS1_3repE0EEENS1_30default_config_static_selectorELNS0_4arch9wavefront6targetE0EEEvT1_
	.p2align	8
	.type	_ZN7rocprim17ROCPRIM_400000_NS6detail17trampoline_kernelINS0_14default_configENS1_25partition_config_selectorILNS1_17partition_subalgoE9EjjbEEZZNS1_14partition_implILS5_9ELb0ES3_jN6thrust23THRUST_200600_302600_NS6detail15normal_iteratorINS9_10device_ptrIjEEEESE_PNS0_10empty_typeENS0_5tupleIJNS9_16discard_iteratorINS9_11use_defaultEEESF_EEENSH_IJSE_SG_EEENS0_18inequality_wrapperINS9_8equal_toIjEEEEPmJSF_EEE10hipError_tPvRmT3_T4_T5_T6_T7_T9_mT8_P12ihipStream_tbDpT10_ENKUlT_T0_E_clISt17integral_constantIbLb1EES1A_IbLb0EEEEDaS16_S17_EUlS16_E_NS1_11comp_targetILNS1_3genE9ELNS1_11target_archE1100ELNS1_3gpuE3ELNS1_3repE0EEENS1_30default_config_static_selectorELNS0_4arch9wavefront6targetE0EEEvT1_,@function
_ZN7rocprim17ROCPRIM_400000_NS6detail17trampoline_kernelINS0_14default_configENS1_25partition_config_selectorILNS1_17partition_subalgoE9EjjbEEZZNS1_14partition_implILS5_9ELb0ES3_jN6thrust23THRUST_200600_302600_NS6detail15normal_iteratorINS9_10device_ptrIjEEEESE_PNS0_10empty_typeENS0_5tupleIJNS9_16discard_iteratorINS9_11use_defaultEEESF_EEENSH_IJSE_SG_EEENS0_18inequality_wrapperINS9_8equal_toIjEEEEPmJSF_EEE10hipError_tPvRmT3_T4_T5_T6_T7_T9_mT8_P12ihipStream_tbDpT10_ENKUlT_T0_E_clISt17integral_constantIbLb1EES1A_IbLb0EEEEDaS16_S17_EUlS16_E_NS1_11comp_targetILNS1_3genE9ELNS1_11target_archE1100ELNS1_3gpuE3ELNS1_3repE0EEENS1_30default_config_static_selectorELNS0_4arch9wavefront6targetE0EEEvT1_: ; @_ZN7rocprim17ROCPRIM_400000_NS6detail17trampoline_kernelINS0_14default_configENS1_25partition_config_selectorILNS1_17partition_subalgoE9EjjbEEZZNS1_14partition_implILS5_9ELb0ES3_jN6thrust23THRUST_200600_302600_NS6detail15normal_iteratorINS9_10device_ptrIjEEEESE_PNS0_10empty_typeENS0_5tupleIJNS9_16discard_iteratorINS9_11use_defaultEEESF_EEENSH_IJSE_SG_EEENS0_18inequality_wrapperINS9_8equal_toIjEEEEPmJSF_EEE10hipError_tPvRmT3_T4_T5_T6_T7_T9_mT8_P12ihipStream_tbDpT10_ENKUlT_T0_E_clISt17integral_constantIbLb1EES1A_IbLb0EEEEDaS16_S17_EUlS16_E_NS1_11comp_targetILNS1_3genE9ELNS1_11target_archE1100ELNS1_3gpuE3ELNS1_3repE0EEENS1_30default_config_static_selectorELNS0_4arch9wavefront6targetE0EEEvT1_
; %bb.0:
	s_clause 0x4
	s_load_b128 s[4:7], s[0:1], 0x8
	s_load_b32 s14, s[0:1], 0x70
	s_load_b128 s[16:19], s[0:1], 0x48
	s_load_b64 s[2:3], s[0:1], 0x58
	s_load_b64 s[8:9], s[0:1], 0x18
	s_mov_b32 s23, 0
	s_mul_i32 s22, s15, 0xc00
	v_lshrrev_b32_e32 v12, 3, v0
	v_add_nc_u32_e32 v21, 0x180, v0
	v_add_nc_u32_e32 v20, 0x300, v0
	;; [unrolled: 1-line block ×3, first 2 shown]
	v_or_b32_e32 v22, 0x600, v0
	v_add_nc_u32_e32 v17, 0x780, v0
	v_add_nc_u32_e32 v11, 0x900, v0
	v_add_nc_u32_e32 v18, 0xa80, v0
	s_waitcnt lgkmcnt(0)
	s_lshl_b64 s[12:13], s[6:7], 2
	s_mul_i32 s20, s14, 0xc00
	s_add_u32 s21, s4, s12
	s_addc_u32 s24, s5, s13
	s_add_i32 s4, s20, s6
	s_load_b64 s[10:11], s[18:19], 0x0
	s_sub_i32 s19, s2, s4
	s_add_i32 s14, s14, -1
	s_addk_i32 s19, 0xc00
	s_add_u32 s4, s6, s20
	s_addc_u32 s5, s7, 0
	s_cmp_eq_u32 s15, s14
	v_cmp_ge_u64_e64 s2, s[4:5], s[2:3]
	s_cselect_b32 s14, -1, 0
	s_lshl_b64 s[4:5], s[22:23], 2
	s_mov_b32 s22, -1
	s_delay_alu instid0(VALU_DEP_1) | instskip(NEXT) | instid1(SALU_CYCLE_1)
	s_and_b32 s20, s14, s2
	s_xor_b32 s18, s20, -1
	s_add_u32 s21, s21, s4
	s_addc_u32 s3, s24, s5
	s_and_b32 vcc_lo, exec_lo, s18
	s_cbranch_vccz .LBB875_2
; %bb.1:
	v_lshlrev_b32_e32 v7, 2, v0
	v_lshrrev_b32_e32 v13, 3, v21
	v_lshrrev_b32_e32 v14, 3, v20
	;; [unrolled: 1-line block ×4, first 2 shown]
	v_add_co_u32 v1, s2, s21, v7
	s_delay_alu instid0(VALU_DEP_1) | instskip(SKIP_1) | instid1(VALU_DEP_3)
	v_add_co_ci_u32_e64 v2, null, s3, 0, s2
	v_lshrrev_b32_e32 v19, 3, v17
	v_add_co_u32 v3, vcc_lo, 0x1000, v1
	s_delay_alu instid0(VALU_DEP_3)
	v_add_co_ci_u32_e32 v4, vcc_lo, 0, v2, vcc_lo
	v_add_co_u32 v5, vcc_lo, 0x2000, v1
	v_add_co_ci_u32_e32 v6, vcc_lo, 0, v2, vcc_lo
	s_clause 0x7
	flat_load_b32 v8, v[1:2]
	flat_load_b32 v9, v[1:2] offset:1536
	flat_load_b32 v1, v[1:2] offset:3072
	;; [unrolled: 1-line block ×7, first 2 shown]
	v_and_b32_e32 v6, 60, v12
	v_lshrrev_b32_e32 v24, 3, v11
	v_lshrrev_b32_e32 v25, 3, v18
	v_and_b32_e32 v13, 0x7c, v13
	v_and_b32_e32 v14, 0xfc, v14
	;; [unrolled: 1-line block ×4, first 2 shown]
	v_add_nc_u32_e32 v6, v6, v7
	v_and_b32_e32 v19, 0x1fc, v19
	v_and_b32_e32 v24, 0x17c, v24
	;; [unrolled: 1-line block ×3, first 2 shown]
	v_add_nc_u32_e32 v13, v13, v7
	v_add_nc_u32_e32 v14, v14, v7
	;; [unrolled: 1-line block ×4, first 2 shown]
	s_mov_b32 s22, 0
	v_add_nc_u32_e32 v19, v19, v7
	v_add_nc_u32_e32 v24, v24, v7
	v_add_nc_u32_e32 v7, v25, v7
	s_waitcnt vmcnt(7) lgkmcnt(0)
	ds_store_b32 v6, v8
	s_waitcnt vmcnt(6)
	ds_store_b32 v13, v9 offset:1536
	s_waitcnt vmcnt(5)
	ds_store_b32 v14, v1 offset:3072
	;; [unrolled: 2-line block ×7, first 2 shown]
	s_waitcnt lgkmcnt(0)
	s_barrier
.LBB875_2:
	v_cmp_gt_u32_e64 s2, s19, v0
	s_and_not1_b32 vcc_lo, exec_lo, s22
	s_cbranch_vccnz .LBB875_20
; %bb.3:
                                        ; implicit-def: $vgpr1_vgpr2_vgpr3_vgpr4_vgpr5_vgpr6_vgpr7_vgpr8
	s_delay_alu instid0(VALU_DEP_1)
	s_and_saveexec_b32 s22, s2
	s_cbranch_execz .LBB875_11
; %bb.4:
	v_lshlrev_b32_e32 v1, 2, v0
	s_delay_alu instid0(VALU_DEP_1) | instskip(NEXT) | instid1(VALU_DEP_1)
	v_add_co_u32 v1, s2, s21, v1
	v_add_co_ci_u32_e64 v2, null, s3, 0, s2
	flat_load_b32 v1, v[1:2]
	s_or_b32 exec_lo, exec_lo, s22
	s_delay_alu instid0(SALU_CYCLE_1)
	s_mov_b32 s2, exec_lo
	v_cmpx_gt_u32_e64 s19, v21
	s_cbranch_execnz .LBB875_12
.LBB875_5:
	s_or_b32 exec_lo, exec_lo, s2
	s_delay_alu instid0(SALU_CYCLE_1)
	s_mov_b32 s2, exec_lo
	v_cmpx_gt_u32_e64 s19, v20
	s_cbranch_execz .LBB875_13
.LBB875_6:
	v_lshlrev_b32_e32 v3, 2, v0
	s_delay_alu instid0(VALU_DEP_1) | instskip(NEXT) | instid1(VALU_DEP_1)
	v_add_co_u32 v9, s22, s21, v3
	v_add_co_ci_u32_e64 v10, null, s3, 0, s22
	flat_load_b32 v3, v[9:10] offset:3072
	s_or_b32 exec_lo, exec_lo, s2
	s_delay_alu instid0(SALU_CYCLE_1)
	s_mov_b32 s2, exec_lo
	v_cmpx_gt_u32_e64 s19, v23
	s_cbranch_execnz .LBB875_14
.LBB875_7:
	s_or_b32 exec_lo, exec_lo, s2
	s_delay_alu instid0(SALU_CYCLE_1)
	s_mov_b32 s2, exec_lo
	v_cmpx_gt_u32_e64 s19, v22
	s_cbranch_execz .LBB875_15
.LBB875_8:
	v_lshlrev_b32_e32 v5, 2, v22
	s_delay_alu instid0(VALU_DEP_1) | instskip(NEXT) | instid1(VALU_DEP_1)
	v_add_co_u32 v9, s22, s21, v5
	v_add_co_ci_u32_e64 v10, null, s3, 0, s22
	flat_load_b32 v5, v[9:10]
	s_or_b32 exec_lo, exec_lo, s2
	s_delay_alu instid0(SALU_CYCLE_1)
	s_mov_b32 s2, exec_lo
	v_cmpx_gt_u32_e64 s19, v17
	s_cbranch_execnz .LBB875_16
.LBB875_9:
	s_or_b32 exec_lo, exec_lo, s2
	s_delay_alu instid0(SALU_CYCLE_1)
	s_mov_b32 s2, exec_lo
	v_cmpx_gt_u32_e64 s19, v11
	s_cbranch_execz .LBB875_17
.LBB875_10:
	v_lshlrev_b32_e32 v7, 2, v11
	s_delay_alu instid0(VALU_DEP_1) | instskip(NEXT) | instid1(VALU_DEP_1)
	v_add_co_u32 v9, s22, s21, v7
	v_add_co_ci_u32_e64 v10, null, s3, 0, s22
	flat_load_b32 v7, v[9:10]
	s_or_b32 exec_lo, exec_lo, s2
	s_delay_alu instid0(SALU_CYCLE_1)
	s_mov_b32 s2, exec_lo
	v_cmpx_gt_u32_e64 s19, v18
	s_cbranch_execnz .LBB875_18
	s_branch .LBB875_19
.LBB875_11:
	s_or_b32 exec_lo, exec_lo, s22
	s_delay_alu instid0(SALU_CYCLE_1)
	s_mov_b32 s2, exec_lo
	v_cmpx_gt_u32_e64 s19, v21
	s_cbranch_execz .LBB875_5
.LBB875_12:
	v_lshlrev_b32_e32 v2, 2, v0
	s_delay_alu instid0(VALU_DEP_1) | instskip(NEXT) | instid1(VALU_DEP_1)
	v_add_co_u32 v9, s22, s21, v2
	v_add_co_ci_u32_e64 v10, null, s3, 0, s22
	flat_load_b32 v2, v[9:10] offset:1536
	s_or_b32 exec_lo, exec_lo, s2
	s_delay_alu instid0(SALU_CYCLE_1)
	s_mov_b32 s2, exec_lo
	v_cmpx_gt_u32_e64 s19, v20
	s_cbranch_execnz .LBB875_6
.LBB875_13:
	s_or_b32 exec_lo, exec_lo, s2
	s_delay_alu instid0(SALU_CYCLE_1)
	s_mov_b32 s2, exec_lo
	v_cmpx_gt_u32_e64 s19, v23
	s_cbranch_execz .LBB875_7
.LBB875_14:
	v_lshlrev_b32_e32 v4, 2, v23
	s_delay_alu instid0(VALU_DEP_1) | instskip(NEXT) | instid1(VALU_DEP_1)
	v_add_co_u32 v9, s22, s21, v4
	v_add_co_ci_u32_e64 v10, null, s3, 0, s22
	flat_load_b32 v4, v[9:10]
	s_or_b32 exec_lo, exec_lo, s2
	s_delay_alu instid0(SALU_CYCLE_1)
	s_mov_b32 s2, exec_lo
	v_cmpx_gt_u32_e64 s19, v22
	s_cbranch_execnz .LBB875_8
.LBB875_15:
	s_or_b32 exec_lo, exec_lo, s2
	s_delay_alu instid0(SALU_CYCLE_1)
	s_mov_b32 s2, exec_lo
	v_cmpx_gt_u32_e64 s19, v17
	s_cbranch_execz .LBB875_9
.LBB875_16:
	v_lshlrev_b32_e32 v6, 2, v17
	s_delay_alu instid0(VALU_DEP_1) | instskip(NEXT) | instid1(VALU_DEP_1)
	v_add_co_u32 v9, s22, s21, v6
	v_add_co_ci_u32_e64 v10, null, s3, 0, s22
	flat_load_b32 v6, v[9:10]
	s_or_b32 exec_lo, exec_lo, s2
	s_delay_alu instid0(SALU_CYCLE_1)
	s_mov_b32 s2, exec_lo
	v_cmpx_gt_u32_e64 s19, v11
	s_cbranch_execnz .LBB875_10
.LBB875_17:
	s_or_b32 exec_lo, exec_lo, s2
	s_delay_alu instid0(SALU_CYCLE_1)
	s_mov_b32 s2, exec_lo
	v_cmpx_gt_u32_e64 s19, v18
	s_cbranch_execz .LBB875_19
.LBB875_18:
	v_lshlrev_b32_e32 v8, 2, v18
	s_delay_alu instid0(VALU_DEP_1) | instskip(NEXT) | instid1(VALU_DEP_1)
	v_add_co_u32 v8, s22, s21, v8
	v_add_co_ci_u32_e64 v9, null, s3, 0, s22
	flat_load_b32 v8, v[8:9]
.LBB875_19:
	s_or_b32 exec_lo, exec_lo, s2
	v_lshrrev_b32_e32 v9, 3, v21
	v_lshrrev_b32_e32 v10, 3, v20
	;; [unrolled: 1-line block ×4, first 2 shown]
	v_and_b32_e32 v13, 60, v12
	v_lshlrev_b32_e32 v14, 2, v0
	v_lshrrev_b32_e32 v19, 3, v17
	v_lshrrev_b32_e32 v24, 3, v11
	;; [unrolled: 1-line block ×3, first 2 shown]
	v_and_b32_e32 v9, 0x7c, v9
	v_and_b32_e32 v10, 0xfc, v10
	;; [unrolled: 1-line block ×4, first 2 shown]
	v_add_nc_u32_e32 v13, v13, v14
	v_and_b32_e32 v19, 0x1fc, v19
	v_and_b32_e32 v24, 0x1fc, v24
	v_and_b32_e32 v25, 0x1fc, v25
	v_add_nc_u32_e32 v9, v9, v14
	v_add_nc_u32_e32 v10, v10, v14
	;; [unrolled: 1-line block ×7, first 2 shown]
	s_waitcnt vmcnt(0) lgkmcnt(0)
	ds_store_b32 v13, v1
	ds_store_b32 v9, v2 offset:1536
	ds_store_b32 v10, v3 offset:3072
	;; [unrolled: 1-line block ×7, first 2 shown]
	s_waitcnt lgkmcnt(0)
	s_barrier
.LBB875_20:
	v_lshlrev_b32_e32 v19, 3, v0
	v_lshrrev_b32_e32 v1, 2, v0
	s_waitcnt lgkmcnt(0)
	buffer_gl0_inv
	s_add_u32 s2, s8, s12
	s_addc_u32 s8, s9, s13
	s_add_u32 s2, s2, s4
	v_add_lshl_u32 v1, v1, v19, 2
	s_addc_u32 s4, s8, s5
	s_and_b32 vcc_lo, exec_lo, s18
	s_mov_b32 s5, -1
	ds_load_2addr_b32 v[15:16], v1 offset1:1
	ds_load_2addr_b32 v[13:14], v1 offset0:2 offset1:3
	ds_load_2addr_b32 v[9:10], v1 offset0:4 offset1:5
	;; [unrolled: 1-line block ×3, first 2 shown]
	s_waitcnt lgkmcnt(0)
	s_barrier
	buffer_gl0_inv
	s_cbranch_vccz .LBB875_22
; %bb.21:
	v_lshlrev_b32_e32 v4, 2, v0
	v_lshrrev_b32_e32 v29, 3, v21
	v_lshrrev_b32_e32 v30, 3, v20
	;; [unrolled: 1-line block ×4, first 2 shown]
	v_add_co_u32 v2, s5, s2, v4
	s_delay_alu instid0(VALU_DEP_1) | instskip(SKIP_1) | instid1(VALU_DEP_3)
	v_add_co_ci_u32_e64 v3, null, s4, 0, s5
	v_lshrrev_b32_e32 v33, 3, v17
	v_add_co_u32 v7, vcc_lo, 0x1000, v2
	s_delay_alu instid0(VALU_DEP_3)
	v_add_co_ci_u32_e32 v8, vcc_lo, 0, v3, vcc_lo
	v_add_co_u32 v24, vcc_lo, 0x2000, v2
	v_add_co_ci_u32_e32 v25, vcc_lo, 0, v3, vcc_lo
	s_clause 0x7
	flat_load_b32 v26, v[2:3]
	flat_load_b32 v27, v[2:3] offset:1536
	flat_load_b32 v2, v[2:3] offset:3072
	;; [unrolled: 1-line block ×7, first 2 shown]
	v_and_b32_e32 v25, 60, v12
	v_lshrrev_b32_e32 v34, 3, v11
	v_lshrrev_b32_e32 v35, 3, v18
	v_and_b32_e32 v29, 0x7c, v29
	v_and_b32_e32 v30, 0xfc, v30
	;; [unrolled: 1-line block ×4, first 2 shown]
	v_add_nc_u32_e32 v25, v25, v4
	v_and_b32_e32 v33, 0x1fc, v33
	v_and_b32_e32 v34, 0x17c, v34
	;; [unrolled: 1-line block ×3, first 2 shown]
	v_add_nc_u32_e32 v29, v29, v4
	v_add_nc_u32_e32 v30, v30, v4
	;; [unrolled: 1-line block ×4, first 2 shown]
	s_mov_b32 s5, 0
	v_add_nc_u32_e32 v33, v33, v4
	v_add_nc_u32_e32 v34, v34, v4
	;; [unrolled: 1-line block ×3, first 2 shown]
	s_waitcnt vmcnt(7) lgkmcnt(7)
	ds_store_b32 v25, v26
	s_waitcnt vmcnt(6) lgkmcnt(7)
	ds_store_b32 v29, v27 offset:1536
	s_waitcnt vmcnt(5) lgkmcnt(7)
	ds_store_b32 v30, v2 offset:3072
	;; [unrolled: 2-line block ×7, first 2 shown]
	s_waitcnt lgkmcnt(0)
	s_barrier
.LBB875_22:
	s_and_not1_b32 vcc_lo, exec_lo, s5
	s_cbranch_vccnz .LBB875_40
; %bb.23:
	s_mov_b32 s5, exec_lo
                                        ; implicit-def: $vgpr2
	v_cmpx_gt_u32_e64 s19, v0
	s_cbranch_execz .LBB875_25
; %bb.24:
	v_lshlrev_b32_e32 v2, 2, v0
	s_delay_alu instid0(VALU_DEP_1) | instskip(NEXT) | instid1(VALU_DEP_1)
	v_add_co_u32 v2, s8, s2, v2
	v_add_co_ci_u32_e64 v3, null, s4, 0, s8
	flat_load_b32 v2, v[2:3]
.LBB875_25:
	s_or_b32 exec_lo, exec_lo, s5
	s_delay_alu instid0(SALU_CYCLE_1)
	s_mov_b32 s5, exec_lo
                                        ; implicit-def: $vgpr3
	v_cmpx_gt_u32_e64 s19, v21
	s_cbranch_execz .LBB875_27
; %bb.26:
	v_lshlrev_b32_e32 v3, 2, v0
	s_delay_alu instid0(VALU_DEP_1) | instskip(NEXT) | instid1(VALU_DEP_1)
	v_add_co_u32 v3, s8, s2, v3
	v_add_co_ci_u32_e64 v4, null, s4, 0, s8
	flat_load_b32 v3, v[3:4] offset:1536
.LBB875_27:
	s_or_b32 exec_lo, exec_lo, s5
	s_delay_alu instid0(SALU_CYCLE_1)
	s_mov_b32 s5, exec_lo
                                        ; implicit-def: $vgpr4
	v_cmpx_gt_u32_e64 s19, v20
	s_cbranch_execz .LBB875_29
; %bb.28:
	v_lshlrev_b32_e32 v4, 2, v0
	s_delay_alu instid0(VALU_DEP_1) | instskip(NEXT) | instid1(VALU_DEP_1)
	v_add_co_u32 v7, s8, s2, v4
	v_add_co_ci_u32_e64 v8, null, s4, 0, s8
	flat_load_b32 v4, v[7:8] offset:3072
.LBB875_29:
	s_or_b32 exec_lo, exec_lo, s5
	s_delay_alu instid0(SALU_CYCLE_1)
	s_mov_b32 s5, exec_lo
                                        ; implicit-def: $vgpr7
	v_cmpx_gt_u32_e64 s19, v23
	s_cbranch_execz .LBB875_31
; %bb.30:
	v_lshlrev_b32_e32 v7, 2, v23
	s_delay_alu instid0(VALU_DEP_1) | instskip(NEXT) | instid1(VALU_DEP_1)
	v_add_co_u32 v7, s8, s2, v7
	v_add_co_ci_u32_e64 v8, null, s4, 0, s8
	flat_load_b32 v7, v[7:8]
.LBB875_31:
	s_or_b32 exec_lo, exec_lo, s5
	s_delay_alu instid0(SALU_CYCLE_1)
	s_mov_b32 s5, exec_lo
                                        ; implicit-def: $vgpr8
	v_cmpx_gt_u32_e64 s19, v22
	s_cbranch_execz .LBB875_33
; %bb.32:
	v_lshlrev_b32_e32 v8, 2, v22
	s_delay_alu instid0(VALU_DEP_1) | instskip(NEXT) | instid1(VALU_DEP_1)
	v_add_co_u32 v24, s8, s2, v8
	v_add_co_ci_u32_e64 v25, null, s4, 0, s8
	flat_load_b32 v8, v[24:25]
.LBB875_33:
	s_or_b32 exec_lo, exec_lo, s5
	s_delay_alu instid0(SALU_CYCLE_1)
	s_mov_b32 s5, exec_lo
                                        ; implicit-def: $vgpr24
	v_cmpx_gt_u32_e64 s19, v17
	s_cbranch_execz .LBB875_35
; %bb.34:
	v_lshlrev_b32_e32 v24, 2, v17
	s_delay_alu instid0(VALU_DEP_1) | instskip(NEXT) | instid1(VALU_DEP_1)
	v_add_co_u32 v24, s8, s2, v24
	v_add_co_ci_u32_e64 v25, null, s4, 0, s8
	flat_load_b32 v24, v[24:25]
.LBB875_35:
	s_or_b32 exec_lo, exec_lo, s5
	s_delay_alu instid0(SALU_CYCLE_1)
	s_mov_b32 s5, exec_lo
                                        ; implicit-def: $vgpr25
	v_cmpx_gt_u32_e64 s19, v11
	s_cbranch_execz .LBB875_37
; %bb.36:
	v_lshlrev_b32_e32 v25, 2, v11
	s_delay_alu instid0(VALU_DEP_1) | instskip(NEXT) | instid1(VALU_DEP_1)
	v_add_co_u32 v25, s8, s2, v25
	v_add_co_ci_u32_e64 v26, null, s4, 0, s8
	flat_load_b32 v25, v[25:26]
.LBB875_37:
	s_or_b32 exec_lo, exec_lo, s5
	s_delay_alu instid0(SALU_CYCLE_1)
	s_mov_b32 s5, exec_lo
                                        ; implicit-def: $vgpr26
	v_cmpx_gt_u32_e64 s19, v18
	s_cbranch_execz .LBB875_39
; %bb.38:
	v_lshlrev_b32_e32 v26, 2, v18
	s_delay_alu instid0(VALU_DEP_1) | instskip(NEXT) | instid1(VALU_DEP_1)
	v_add_co_u32 v26, s2, s2, v26
	v_add_co_ci_u32_e64 v27, null, s4, 0, s2
	flat_load_b32 v26, v[26:27]
.LBB875_39:
	s_or_b32 exec_lo, exec_lo, s5
	v_lshrrev_b32_e32 v21, 3, v21
	v_lshrrev_b32_e32 v20, 3, v20
	;; [unrolled: 1-line block ×4, first 2 shown]
	v_and_b32_e32 v12, 60, v12
	v_lshlrev_b32_e32 v27, 2, v0
	v_lshrrev_b32_e32 v17, 3, v17
	v_lshrrev_b32_e32 v11, 3, v11
	;; [unrolled: 1-line block ×3, first 2 shown]
	v_and_b32_e32 v21, 0x7c, v21
	v_and_b32_e32 v20, 0xfc, v20
	;; [unrolled: 1-line block ×4, first 2 shown]
	v_add_nc_u32_e32 v12, v12, v27
	v_and_b32_e32 v17, 0x1fc, v17
	v_and_b32_e32 v11, 0x1fc, v11
	;; [unrolled: 1-line block ×3, first 2 shown]
	v_add_nc_u32_e32 v21, v21, v27
	v_add_nc_u32_e32 v20, v20, v27
	;; [unrolled: 1-line block ×7, first 2 shown]
	s_waitcnt vmcnt(0) lgkmcnt(0)
	ds_store_b32 v12, v2
	ds_store_b32 v21, v3 offset:1536
	ds_store_b32 v20, v4 offset:3072
	;; [unrolled: 1-line block ×7, first 2 shown]
	s_waitcnt lgkmcnt(0)
	s_barrier
.LBB875_40:
	buffer_gl0_inv
	ds_load_2addr_b32 v[11:12], v1 offset1:1
	ds_load_2addr_b32 v[7:8], v1 offset0:2 offset1:3
	ds_load_2addr_b32 v[3:4], v1 offset0:4 offset1:5
	;; [unrolled: 1-line block ×3, first 2 shown]
	s_cmp_lg_u32 s15, 0
	s_mov_b32 s12, 0
	s_cselect_b32 s9, -1, 0
	s_cmp_lg_u64 s[6:7], 0
	s_waitcnt lgkmcnt(0)
	s_cselect_b32 s2, -1, 0
	s_barrier
	s_or_b32 s2, s9, s2
	buffer_gl0_inv
	s_and_b32 vcc_lo, exec_lo, s2
	s_cbranch_vccz .LBB875_45
; %bb.41:
	v_add_co_u32 v17, s2, -4, s21
	s_delay_alu instid0(VALU_DEP_1)
	v_add_co_ci_u32_e64 v18, null, -1, s3, s2
	v_lshlrev_b32_e32 v21, 2, v0
	s_mov_b32 s3, -1
	s_and_b32 vcc_lo, exec_lo, s18
	flat_load_b32 v20, v[17:18]
	ds_store_b32 v21, v6
	s_cbranch_vccz .LBB875_46
; %bb.42:
	s_waitcnt vmcnt(0) lgkmcnt(1)
	v_mov_b32_e32 v17, v20
	s_mov_b32 s3, 0
	s_mov_b32 s2, exec_lo
	s_waitcnt lgkmcnt(0)
	s_barrier
	buffer_gl0_inv
	v_cmpx_ne_u32_e32 0, v0
	s_cbranch_execz .LBB875_44
; %bb.43:
	v_add_nc_u32_e32 v17, -4, v21
	ds_load_b32 v17, v17
.LBB875_44:
	s_or_b32 exec_lo, exec_lo, s2
	v_cmp_ne_u32_e32 vcc_lo, v5, v6
	s_waitcnt lgkmcnt(0)
	v_cmp_ne_u32_e64 s2, v17, v15
	v_cndmask_b32_e64 v18, 0, 1, vcc_lo
	v_cmp_ne_u32_e32 vcc_lo, v10, v5
	s_delay_alu instid0(VALU_DEP_2) | instskip(SKIP_2) | instid1(VALU_DEP_2)
	v_lshlrev_b16 v18, 8, v18
	v_cndmask_b32_e64 v22, 0, 1, vcc_lo
	v_cmp_ne_u32_e32 vcc_lo, v9, v10
	v_or_b32_e32 v18, v22, v18
	v_cndmask_b32_e64 v23, 0, 1, vcc_lo
	v_cmp_ne_u32_e32 vcc_lo, v13, v14
	s_delay_alu instid0(VALU_DEP_3) | instskip(NEXT) | instid1(VALU_DEP_3)
	v_lshlrev_b32_e32 v18, 16, v18
	v_lshlrev_b16 v23, 8, v23
	v_cndmask_b32_e64 v24, 0, 1, vcc_lo
	v_cmp_ne_u32_e32 vcc_lo, v14, v9
	s_delay_alu instid0(VALU_DEP_2) | instskip(SKIP_2) | instid1(VALU_DEP_2)
	v_lshlrev_b16 v24, 8, v24
	v_cndmask_b32_e64 v25, 0, 1, vcc_lo
	v_cmp_ne_u32_e32 vcc_lo, v16, v13
	v_or_b32_e32 v23, v25, v23
	v_cndmask_b32_e64 v26, 0, 1, vcc_lo
	v_cmp_ne_u32_e32 vcc_lo, v15, v16
	s_delay_alu instid0(VALU_DEP_3) | instskip(NEXT) | instid1(VALU_DEP_3)
	v_and_b32_e32 v23, 0xffff, v23
	v_or_b32_e32 v24, v26, v24
	v_cndmask_b32_e64 v27, 0, 1, vcc_lo
	s_delay_alu instid0(VALU_DEP_3) | instskip(NEXT) | instid1(VALU_DEP_3)
	v_or_b32_e32 v18, v23, v18
	v_lshlrev_b32_e32 v22, 16, v24
	s_delay_alu instid0(VALU_DEP_3) | instskip(NEXT) | instid1(VALU_DEP_1)
	v_lshlrev_b16 v26, 8, v27
	v_and_b32_e32 v24, 0xffff, v26
	s_delay_alu instid0(VALU_DEP_1)
	v_or_b32_e32 v17, v24, v22
	s_and_b32 vcc_lo, exec_lo, s3
	s_cbranch_vccnz .LBB875_47
	s_branch .LBB875_50
.LBB875_45:
                                        ; implicit-def: $sgpr2
                                        ; implicit-def: $vgpr18
	s_branch .LBB875_51
.LBB875_46:
                                        ; implicit-def: $sgpr2
                                        ; implicit-def: $vgpr18
	s_and_b32 vcc_lo, exec_lo, s3
	s_cbranch_vccz .LBB875_50
.LBB875_47:
	s_mov_b32 s2, exec_lo
	s_waitcnt vmcnt(0) lgkmcnt(0)
	s_barrier
	buffer_gl0_inv
	v_cmpx_ne_u32_e32 0, v0
	s_cbranch_execz .LBB875_49
; %bb.48:
	v_add_nc_u32_e32 v17, -4, v21
	ds_load_b32 v20, v17
.LBB875_49:
	s_or_b32 exec_lo, exec_lo, s2
	v_or_b32_e32 v17, 7, v19
	v_or_b32_e32 v18, 6, v19
	;; [unrolled: 1-line block ×3, first 2 shown]
	v_cmp_ne_u32_e32 vcc_lo, v5, v6
	v_cmp_ne_u32_e64 s3, v10, v5
	v_cmp_gt_u32_e64 s2, s19, v17
	v_cmp_gt_u32_e64 s5, s19, v18
	v_cmp_ne_u32_e64 s4, v9, v10
	v_cmp_gt_u32_e64 s6, s19, v21
	v_or_b32_e32 v18, 3, v19
	s_and_b32 s2, s2, vcc_lo
	v_or_b32_e32 v22, 4, v19
	v_cndmask_b32_e64 v17, 0, 1, s2
	s_and_b32 s2, s5, s3
	v_cmp_gt_u32_e32 vcc_lo, s19, v18
	v_cndmask_b32_e64 v21, 0, 1, s2
	s_and_b32 s2, s6, s4
	v_or_b32_e32 v18, 2, v19
	v_cndmask_b32_e64 v23, 0, 1, s2
	v_cmp_ne_u32_e64 s2, v13, v14
	v_cmp_gt_u32_e64 s3, s19, v22
	v_or_b32_e32 v22, 1, v19
	v_cmp_ne_u32_e64 s4, v14, v9
	v_cmp_ne_u32_e64 s6, v15, v16
	s_and_b32 s2, vcc_lo, s2
	v_cmp_gt_u32_e32 vcc_lo, s19, v18
	v_cndmask_b32_e64 v24, 0, 1, s2
	v_cmp_ne_u32_e64 s2, v16, v13
	v_cmp_gt_u32_e64 s5, s19, v22
	s_and_b32 s3, s3, s4
	v_lshlrev_b16 v23, 8, v23
	v_cndmask_b32_e64 v18, 0, 1, s3
	s_and_b32 s2, vcc_lo, s2
	v_lshlrev_b16 v24, 8, v24
	v_cndmask_b32_e64 v22, 0, 1, s2
	s_and_b32 s2, s5, s6
	v_lshlrev_b16 v17, 8, v17
	v_cndmask_b32_e64 v25, 0, 1, s2
	v_or_b32_e32 v18, v18, v23
	v_or_b32_e32 v22, v22, v24
	v_cmp_gt_u32_e32 vcc_lo, s19, v19
	v_or_b32_e32 v17, v21, v17
	v_lshlrev_b16 v24, 8, v25
	v_and_b32_e32 v18, 0xffff, v18
	v_lshlrev_b32_e32 v21, 16, v22
	s_waitcnt lgkmcnt(0)
	v_cmp_ne_u32_e64 s2, v20, v15
	v_lshlrev_b32_e32 v23, 16, v17
	v_and_b32_e32 v22, 0xffff, v24
	s_delay_alu instid0(VALU_DEP_3) | instskip(NEXT) | instid1(VALU_DEP_2)
	s_and_b32 s2, vcc_lo, s2
	v_or_b32_e32 v18, v18, v23
	s_delay_alu instid0(VALU_DEP_2)
	v_or_b32_e32 v17, v22, v21
.LBB875_50:
	s_mov_b32 s12, -1
	s_cbranch_execnz .LBB875_59
.LBB875_51:
	s_waitcnt vmcnt(0) lgkmcnt(1)
	v_lshlrev_b32_e32 v20, 2, v0
	v_cmp_ne_u32_e64 s3, v5, v6
	v_cmp_ne_u32_e64 s4, v10, v5
	;; [unrolled: 1-line block ×7, first 2 shown]
	s_and_b32 vcc_lo, exec_lo, s18
	ds_store_b32 v20, v6
	s_cbranch_vccz .LBB875_55
; %bb.52:
	v_cndmask_b32_e64 v17, 0, 1, s3
	v_cndmask_b32_e64 v21, 0, 1, s5
	;; [unrolled: 1-line block ×7, first 2 shown]
	v_lshlrev_b16 v21, 8, v21
	v_lshlrev_b16 v17, 8, v17
	;; [unrolled: 1-line block ×4, first 2 shown]
	s_mov_b32 s3, 0
	v_or_b32_e32 v21, v22, v21
	v_or_b32_e32 v17, v18, v17
	;; [unrolled: 1-line block ×4, first 2 shown]
	s_mov_b32 s4, exec_lo
	v_and_b32_e32 v21, 0xffff, v21
	v_lshlrev_b32_e32 v17, 16, v17
	v_lshlrev_b32_e32 v23, 16, v18
	v_and_b32_e32 v22, 0xffff, v22
	s_waitcnt lgkmcnt(0)
	s_barrier
	v_or_b32_e32 v18, v21, v17
	buffer_gl0_inv
	v_or_b32_e32 v17, v22, v23
                                        ; implicit-def: $sgpr2
	v_cmpx_ne_u32_e32 0, v0
	s_xor_b32 s4, exec_lo, s4
	s_cbranch_execz .LBB875_54
; %bb.53:
	v_add_nc_u32_e32 v21, -4, v20
	s_or_b32 s12, s12, exec_lo
	ds_load_b32 v21, v21
	s_waitcnt lgkmcnt(0)
	v_cmp_ne_u32_e32 vcc_lo, v21, v15
	s_and_b32 s2, vcc_lo, exec_lo
.LBB875_54:
	s_or_b32 exec_lo, exec_lo, s4
	s_delay_alu instid0(SALU_CYCLE_1)
	s_and_b32 vcc_lo, exec_lo, s3
	s_cbranch_vccnz .LBB875_56
	s_branch .LBB875_59
.LBB875_55:
                                        ; implicit-def: $sgpr2
                                        ; implicit-def: $vgpr18
	s_cbranch_execz .LBB875_59
.LBB875_56:
	v_or_b32_e32 v17, 7, v19
	v_or_b32_e32 v18, 6, v19
	v_cmp_ne_u32_e32 vcc_lo, v5, v6
	v_cmp_ne_u32_e64 s3, v10, v5
	v_or_b32_e32 v21, 5, v19
	v_cmp_gt_u32_e64 s2, s19, v17
	v_cmp_gt_u32_e64 s4, s19, v18
	v_or_b32_e32 v17, 4, v19
	v_or_b32_e32 v22, 3, v19
	v_cmp_gt_u32_e64 s5, s19, v21
	s_and_b32 s2, s2, vcc_lo
	v_cmp_ne_u32_e32 vcc_lo, v9, v10
	v_cndmask_b32_e64 v18, 0, 1, s2
	s_and_b32 s2, s4, s3
	v_cmp_ne_u32_e64 s3, v14, v9
	v_cndmask_b32_e64 v21, 0, 1, s2
	v_cmp_gt_u32_e64 s2, s19, v17
	v_or_b32_e32 v23, 1, v19
	s_and_b32 s4, s5, vcc_lo
	v_cmp_gt_u32_e32 vcc_lo, s19, v22
	v_cndmask_b32_e64 v17, 0, 1, s4
	s_and_b32 s2, s2, s3
	v_or_b32_e32 v25, 2, v19
	v_cndmask_b32_e64 v24, 0, 1, s2
	v_cmp_ne_u32_e64 s2, v13, v14
	v_cmp_gt_u32_e64 s3, s19, v23
	v_cmp_ne_u32_e64 s4, v15, v16
	v_cmp_gt_u32_e64 s5, s19, v25
	v_cmp_ne_u32_e64 s6, v16, v13
	s_and_b32 s2, vcc_lo, s2
	v_lshlrev_b16 v17, 8, v17
	v_cndmask_b32_e64 v22, 0, 1, s2
	s_and_b32 s2, s3, s4
	v_lshlrev_b16 v18, 8, v18
	v_cndmask_b32_e64 v23, 0, 1, s2
	s_and_b32 s2, s5, s6
	v_lshlrev_b16 v22, 8, v22
	v_cndmask_b32_e64 v25, 0, 1, s2
	v_or_b32_e32 v17, v24, v17
	v_lshlrev_b16 v23, 8, v23
	v_or_b32_e32 v18, v21, v18
	s_mov_b32 s3, exec_lo
	v_or_b32_e32 v21, v25, v22
	v_and_b32_e32 v17, 0xffff, v17
	v_or_b32_e32 v22, 1, v23
	v_lshlrev_b32_e32 v18, 16, v18
	s_waitcnt lgkmcnt(0)
	v_lshlrev_b32_e32 v21, 16, v21
	s_barrier
	v_and_b32_e32 v22, 0xffff, v22
	v_or_b32_e32 v18, v17, v18
	buffer_gl0_inv
                                        ; implicit-def: $sgpr2
	v_or_b32_e32 v17, v22, v21
	v_cmpx_ne_u32_e32 0, v0
	s_cbranch_execz .LBB875_58
; %bb.57:
	v_add_nc_u32_e32 v20, -4, v20
	v_cmp_gt_u32_e32 vcc_lo, s19, v19
	s_or_b32 s12, s12, exec_lo
	ds_load_b32 v20, v20
	s_waitcnt lgkmcnt(0)
	v_cmp_ne_u32_e64 s2, v20, v15
	s_delay_alu instid0(VALU_DEP_1) | instskip(NEXT) | instid1(SALU_CYCLE_1)
	s_and_b32 s2, vcc_lo, s2
	s_and_b32 s2, s2, exec_lo
.LBB875_58:
	s_or_b32 exec_lo, exec_lo, s3
.LBB875_59:
	s_and_saveexec_b32 s3, s12
	s_cbranch_execz .LBB875_61
; %bb.60:
	s_waitcnt vmcnt(0) lgkmcnt(1)
	v_and_b32_e32 v20, 0xffffff00, v17
	v_cndmask_b32_e64 v21, 0, 1, s2
	s_delay_alu instid0(VALU_DEP_1) | instskip(NEXT) | instid1(VALU_DEP_1)
	v_or_b32_e32 v20, v21, v20
	v_and_b32_e32 v20, 0xffff, v20
	s_delay_alu instid0(VALU_DEP_1)
	v_and_or_b32 v17, 0xffff0000, v17, v20
.LBB875_61:
	s_or_b32 exec_lo, exec_lo, s3
	s_load_b64 s[12:13], s[0:1], 0x68
	s_and_not1_b32 vcc_lo, exec_lo, s20
	s_cbranch_vccnz .LBB875_63
; %bb.62:
	v_cmp_gt_u32_e32 vcc_lo, s19, v19
	v_or_b32_e32 v21, 1, v19
	v_and_b32_e32 v22, 0xffffff00, v18
	v_or_b32_e32 v23, 2, v19
	s_waitcnt vmcnt(0) lgkmcnt(0)
	v_cndmask_b32_e32 v20, 0, v17, vcc_lo
	v_cmp_gt_u32_e32 vcc_lo, s19, v21
	v_or_b32_e32 v21, 4, v19
	v_cmp_gt_u32_e64 s2, s19, v23
	v_or_b32_e32 v23, 3, v19
	v_and_b32_e32 v20, 0xff, v20
	s_delay_alu instid0(VALU_DEP_2) | instskip(NEXT) | instid1(VALU_DEP_2)
	v_cmp_gt_u32_e64 s3, s19, v23
	v_cndmask_b32_e32 v20, v20, v17, vcc_lo
	v_cmp_gt_u32_e32 vcc_lo, s19, v21
	s_delay_alu instid0(VALU_DEP_2) | instskip(SKIP_1) | instid1(VALU_DEP_2)
	v_dual_cndmask_b32 v21, v22, v18 :: v_dual_and_b32 v20, 0xffff, v20
	v_or_b32_e32 v22, 5, v19
	v_cndmask_b32_e64 v20, v20, v17, s2
	s_delay_alu instid0(VALU_DEP_3) | instskip(NEXT) | instid1(VALU_DEP_3)
	v_and_b32_e32 v21, 0xffff00ff, v21
	v_cmp_gt_u32_e64 s2, s19, v22
	v_or_b32_e32 v22, 6, v19
	v_or_b32_e32 v19, 7, v19
	v_and_b32_e32 v20, 0xffffff, v20
	s_delay_alu instid0(VALU_DEP_4) | instskip(NEXT) | instid1(VALU_DEP_2)
	v_cndmask_b32_e64 v21, v21, v18, s2
	v_cndmask_b32_e64 v20, v20, v17, s3
	s_delay_alu instid0(VALU_DEP_2) | instskip(NEXT) | instid1(VALU_DEP_2)
	v_and_b32_e32 v21, 0xff00ffff, v21
	v_cndmask_b32_e32 v20, v20, v17, vcc_lo
	v_cmp_gt_u32_e32 vcc_lo, s19, v22
	s_delay_alu instid0(VALU_DEP_2) | instskip(NEXT) | instid1(VALU_DEP_1)
	v_cndmask_b32_e64 v20, v20, v17, s2
	v_dual_cndmask_b32 v21, v21, v18 :: v_dual_cndmask_b32 v20, v20, v17
	s_delay_alu instid0(VALU_DEP_1) | instskip(SKIP_1) | instid1(VALU_DEP_2)
	v_and_b32_e32 v21, 0xffffff, v21
	v_cmp_gt_u32_e32 vcc_lo, s19, v19
	v_dual_cndmask_b32 v18, v21, v18 :: v_dual_cndmask_b32 v17, v20, v17
.LBB875_63:
	s_delay_alu instid0(VALU_DEP_1) | instskip(NEXT) | instid1(VALU_DEP_2)
	v_and_b32_e32 v28, 0xff, v17
	v_alignbit_b32 v19, v18, v17, 24
	v_bfe_u32 v30, v17, 8, 8
	v_bfe_u32 v32, v17, 16, 8
	v_and_b32_e32 v36, 0xff, v18
	v_bfe_u32 v38, v18, 8, 8
	v_and_b32_e32 v34, 0xff, v19
	v_add_nc_u32_e32 v19, v30, v28
	s_waitcnt vmcnt(0) lgkmcnt(0)
	v_and_b32_e32 v20, 0x1e0, v0
	v_mbcnt_lo_u32_b32 v41, -1, 0
	v_bfe_u32 v40, v18, 16, 8
	v_lshrrev_b32_e32 v39, 24, v18
	v_add3_u32 v19, v19, v32, v34
	v_min_u32_e32 v20, 0x160, v20
	v_and_b32_e32 v21, 15, v41
	v_lshrrev_b32_e32 v42, 5, v0
	s_and_b32 vcc_lo, exec_lo, s9
	v_add3_u32 v19, v19, v36, v38
	v_or_b32_e32 v20, 31, v20
	v_cmp_eq_u32_e64 s4, 0, v21
	v_cmp_lt_u32_e64 s5, 1, v21
	v_cmp_lt_u32_e64 s3, 3, v21
	v_add3_u32 v43, v19, v40, v39
	v_and_b32_e32 v19, 16, v41
	v_cmp_lt_u32_e64 s2, 7, v21
	v_cmp_eq_u32_e64 s6, v20, v0
	s_mov_b32 s19, -1
	s_delay_alu instid0(VALU_DEP_3)
	v_cmp_eq_u32_e64 s7, 0, v19
	s_barrier
	buffer_gl0_inv
	s_cbranch_vccz .LBB875_94
; %bb.64:
	v_mov_b32_dpp v19, v43 row_shr:1 row_mask:0xf bank_mask:0xf
	s_delay_alu instid0(VALU_DEP_1) | instskip(NEXT) | instid1(VALU_DEP_1)
	v_cndmask_b32_e64 v19, v19, 0, s4
	v_add_nc_u32_e32 v19, v19, v43
	s_delay_alu instid0(VALU_DEP_1) | instskip(NEXT) | instid1(VALU_DEP_1)
	v_mov_b32_dpp v20, v19 row_shr:2 row_mask:0xf bank_mask:0xf
	v_cndmask_b32_e64 v20, 0, v20, s5
	s_delay_alu instid0(VALU_DEP_1) | instskip(NEXT) | instid1(VALU_DEP_1)
	v_add_nc_u32_e32 v19, v19, v20
	v_mov_b32_dpp v20, v19 row_shr:4 row_mask:0xf bank_mask:0xf
	s_delay_alu instid0(VALU_DEP_1) | instskip(NEXT) | instid1(VALU_DEP_1)
	v_cndmask_b32_e64 v20, 0, v20, s3
	v_add_nc_u32_e32 v19, v19, v20
	s_delay_alu instid0(VALU_DEP_1) | instskip(NEXT) | instid1(VALU_DEP_1)
	v_mov_b32_dpp v20, v19 row_shr:8 row_mask:0xf bank_mask:0xf
	v_cndmask_b32_e64 v20, 0, v20, s2
	s_delay_alu instid0(VALU_DEP_1) | instskip(SKIP_3) | instid1(VALU_DEP_1)
	v_add_nc_u32_e32 v19, v19, v20
	ds_swizzle_b32 v20, v19 offset:swizzle(BROADCAST,32,15)
	s_waitcnt lgkmcnt(0)
	v_cndmask_b32_e64 v20, v20, 0, s7
	v_add_nc_u32_e32 v19, v19, v20
	s_and_saveexec_b32 s8, s6
	s_cbranch_execz .LBB875_66
; %bb.65:
	v_lshlrev_b32_e32 v20, 2, v42
	ds_store_b32 v20, v19
.LBB875_66:
	s_or_b32 exec_lo, exec_lo, s8
	s_delay_alu instid0(SALU_CYCLE_1)
	s_mov_b32 s8, exec_lo
	s_waitcnt lgkmcnt(0)
	s_barrier
	buffer_gl0_inv
	v_cmpx_gt_u32_e32 12, v0
	s_cbranch_execz .LBB875_68
; %bb.67:
	v_lshlrev_b32_e32 v20, 2, v0
	ds_load_b32 v21, v20
	s_waitcnt lgkmcnt(0)
	v_mov_b32_dpp v22, v21 row_shr:1 row_mask:0xf bank_mask:0xf
	s_delay_alu instid0(VALU_DEP_1) | instskip(NEXT) | instid1(VALU_DEP_1)
	v_cndmask_b32_e64 v22, v22, 0, s4
	v_add_nc_u32_e32 v21, v22, v21
	s_delay_alu instid0(VALU_DEP_1) | instskip(NEXT) | instid1(VALU_DEP_1)
	v_mov_b32_dpp v22, v21 row_shr:2 row_mask:0xf bank_mask:0xf
	v_cndmask_b32_e64 v22, 0, v22, s5
	s_delay_alu instid0(VALU_DEP_1) | instskip(NEXT) | instid1(VALU_DEP_1)
	v_add_nc_u32_e32 v21, v21, v22
	v_mov_b32_dpp v22, v21 row_shr:4 row_mask:0xf bank_mask:0xf
	s_delay_alu instid0(VALU_DEP_1) | instskip(NEXT) | instid1(VALU_DEP_1)
	v_cndmask_b32_e64 v22, 0, v22, s3
	v_add_nc_u32_e32 v21, v21, v22
	s_delay_alu instid0(VALU_DEP_1) | instskip(NEXT) | instid1(VALU_DEP_1)
	v_mov_b32_dpp v22, v21 row_shr:8 row_mask:0xf bank_mask:0xf
	v_cndmask_b32_e64 v22, 0, v22, s2
	s_delay_alu instid0(VALU_DEP_1)
	v_add_nc_u32_e32 v21, v21, v22
	ds_store_b32 v20, v21
.LBB875_68:
	s_or_b32 exec_lo, exec_lo, s8
	v_cmp_gt_u32_e32 vcc_lo, 32, v0
	s_mov_b32 s9, exec_lo
	s_waitcnt lgkmcnt(0)
	s_barrier
	buffer_gl0_inv
                                        ; implicit-def: $vgpr27
	v_cmpx_lt_u32_e32 31, v0
	s_cbranch_execz .LBB875_70
; %bb.69:
	v_lshl_add_u32 v20, v42, 2, -4
	ds_load_b32 v27, v20
	s_waitcnt lgkmcnt(0)
	v_add_nc_u32_e32 v19, v27, v19
.LBB875_70:
	s_or_b32 exec_lo, exec_lo, s9
	v_add_nc_u32_e32 v20, -1, v41
	s_delay_alu instid0(VALU_DEP_1) | instskip(NEXT) | instid1(VALU_DEP_1)
	v_cmp_gt_i32_e64 s8, 0, v20
	v_cndmask_b32_e64 v20, v20, v41, s8
	v_cmp_eq_u32_e64 s8, 0, v41
	s_delay_alu instid0(VALU_DEP_2)
	v_lshlrev_b32_e32 v20, 2, v20
	ds_bpermute_b32 v29, v20, v19
	s_and_saveexec_b32 s9, vcc_lo
	s_cbranch_execz .LBB875_93
; %bb.71:
	v_mov_b32_e32 v23, 0
	ds_load_b32 v19, v23 offset:44
	s_and_saveexec_b32 s19, s8
	s_cbranch_execz .LBB875_73
; %bb.72:
	s_add_i32 s20, s15, 32
	s_mov_b32 s21, 0
	v_mov_b32_e32 v20, 1
	s_lshl_b64 s[20:21], s[20:21], 3
	s_delay_alu instid0(SALU_CYCLE_1)
	s_add_u32 s20, s12, s20
	s_addc_u32 s21, s13, s21
	s_waitcnt lgkmcnt(0)
	global_store_b64 v23, v[19:20], s[20:21]
.LBB875_73:
	s_or_b32 exec_lo, exec_lo, s19
	v_xad_u32 v21, v41, -1, s15
	s_mov_b32 s20, 0
	s_mov_b32 s19, exec_lo
	s_delay_alu instid0(VALU_DEP_1) | instskip(NEXT) | instid1(VALU_DEP_1)
	v_add_nc_u32_e32 v22, 32, v21
	v_lshlrev_b64 v[22:23], 3, v[22:23]
	s_delay_alu instid0(VALU_DEP_1) | instskip(NEXT) | instid1(VALU_DEP_2)
	v_add_co_u32 v25, vcc_lo, s12, v22
	v_add_co_ci_u32_e32 v26, vcc_lo, s13, v23, vcc_lo
	global_load_b64 v[23:24], v[25:26], off glc
	s_waitcnt vmcnt(0)
	v_and_b32_e32 v20, 0xff, v24
	s_delay_alu instid0(VALU_DEP_1)
	v_cmpx_eq_u16_e32 0, v20
	s_cbranch_execz .LBB875_79
; %bb.74:
	s_mov_b32 s21, 1
	.p2align	6
.LBB875_75:                             ; =>This Loop Header: Depth=1
                                        ;     Child Loop BB875_76 Depth 2
	s_delay_alu instid0(SALU_CYCLE_1)
	s_max_u32 s22, s21, 1
.LBB875_76:                             ;   Parent Loop BB875_75 Depth=1
                                        ; =>  This Inner Loop Header: Depth=2
	s_delay_alu instid0(SALU_CYCLE_1)
	s_add_i32 s22, s22, -1
	s_sleep 1
	s_cmp_eq_u32 s22, 0
	s_cbranch_scc0 .LBB875_76
; %bb.77:                               ;   in Loop: Header=BB875_75 Depth=1
	global_load_b64 v[23:24], v[25:26], off glc
	s_cmp_lt_u32 s21, 32
	s_cselect_b32 s22, -1, 0
	s_delay_alu instid0(SALU_CYCLE_1) | instskip(SKIP_3) | instid1(VALU_DEP_1)
	s_cmp_lg_u32 s22, 0
	s_addc_u32 s21, s21, 0
	s_waitcnt vmcnt(0)
	v_and_b32_e32 v20, 0xff, v24
	v_cmp_ne_u16_e32 vcc_lo, 0, v20
	s_or_b32 s20, vcc_lo, s20
	s_delay_alu instid0(SALU_CYCLE_1)
	s_and_not1_b32 exec_lo, exec_lo, s20
	s_cbranch_execnz .LBB875_75
; %bb.78:
	s_or_b32 exec_lo, exec_lo, s20
.LBB875_79:
	s_delay_alu instid0(SALU_CYCLE_1)
	s_or_b32 exec_lo, exec_lo, s19
	v_cmp_ne_u32_e32 vcc_lo, 31, v41
	v_lshlrev_b32_e64 v33, v41, -1
	v_add_nc_u32_e32 v37, 2, v41
	v_add_nc_u32_e32 v45, 4, v41
	;; [unrolled: 1-line block ×3, first 2 shown]
	v_add_co_ci_u32_e32 v20, vcc_lo, 0, v41, vcc_lo
	v_add_nc_u32_e32 v49, 16, v41
	s_delay_alu instid0(VALU_DEP_2)
	v_lshlrev_b32_e32 v31, 2, v20
	v_and_b32_e32 v20, 0xff, v24
	ds_bpermute_b32 v22, v31, v23
	v_cmp_eq_u16_e32 vcc_lo, 2, v20
	v_and_or_b32 v20, vcc_lo, v33, 0x80000000
	v_cmp_gt_u32_e32 vcc_lo, 30, v41
	s_delay_alu instid0(VALU_DEP_2) | instskip(SKIP_1) | instid1(VALU_DEP_2)
	v_ctz_i32_b32_e32 v20, v20
	v_cndmask_b32_e64 v25, 0, 1, vcc_lo
	v_cmp_lt_u32_e32 vcc_lo, v41, v20
	s_waitcnt lgkmcnt(0)
	s_delay_alu instid0(VALU_DEP_2) | instskip(NEXT) | instid1(VALU_DEP_1)
	v_dual_cndmask_b32 v22, 0, v22 :: v_dual_lshlrev_b32 v25, 1, v25
	v_add_lshl_u32 v35, v25, v41, 2
	v_cmp_gt_u32_e32 vcc_lo, 28, v41
	s_delay_alu instid0(VALU_DEP_3) | instskip(SKIP_4) | instid1(VALU_DEP_1)
	v_add_nc_u32_e32 v22, v22, v23
	v_cndmask_b32_e64 v25, 0, 1, vcc_lo
	v_cmp_le_u32_e32 vcc_lo, v37, v20
	ds_bpermute_b32 v23, v35, v22
	v_lshlrev_b32_e32 v25, 2, v25
	v_add_lshl_u32 v44, v25, v41, 2
	s_waitcnt lgkmcnt(0)
	v_cndmask_b32_e32 v23, 0, v23, vcc_lo
	v_cmp_gt_u32_e32 vcc_lo, 24, v41
	s_delay_alu instid0(VALU_DEP_2) | instskip(SKIP_4) | instid1(VALU_DEP_1)
	v_add_nc_u32_e32 v22, v22, v23
	v_cndmask_b32_e64 v25, 0, 1, vcc_lo
	v_cmp_le_u32_e32 vcc_lo, v45, v20
	ds_bpermute_b32 v23, v44, v22
	v_lshlrev_b32_e32 v25, 3, v25
	v_add_lshl_u32 v46, v25, v41, 2
	s_waitcnt lgkmcnt(0)
	v_cndmask_b32_e32 v23, 0, v23, vcc_lo
	v_cmp_gt_u32_e32 vcc_lo, 16, v41
	s_delay_alu instid0(VALU_DEP_2) | instskip(SKIP_4) | instid1(VALU_DEP_1)
	v_add_nc_u32_e32 v22, v22, v23
	v_cndmask_b32_e64 v25, 0, 1, vcc_lo
	v_cmp_le_u32_e32 vcc_lo, v47, v20
	ds_bpermute_b32 v23, v46, v22
	v_lshlrev_b32_e32 v25, 4, v25
	v_add_lshl_u32 v48, v25, v41, 2
	s_waitcnt lgkmcnt(0)
	v_cndmask_b32_e32 v23, 0, v23, vcc_lo
	v_cmp_le_u32_e32 vcc_lo, v49, v20
	s_delay_alu instid0(VALU_DEP_2) | instskip(SKIP_3) | instid1(VALU_DEP_1)
	v_add_nc_u32_e32 v22, v22, v23
	ds_bpermute_b32 v23, v48, v22
	s_waitcnt lgkmcnt(0)
	v_cndmask_b32_e32 v20, 0, v23, vcc_lo
	v_dual_mov_b32 v22, 0 :: v_dual_add_nc_u32 v23, v22, v20
	s_branch .LBB875_81
.LBB875_80:                             ;   in Loop: Header=BB875_81 Depth=1
	s_or_b32 exec_lo, exec_lo, s19
	ds_bpermute_b32 v26, v31, v23
	v_and_b32_e32 v25, 0xff, v24
	v_subrev_nc_u32_e32 v21, 32, v21
	s_delay_alu instid0(VALU_DEP_2) | instskip(SKIP_1) | instid1(VALU_DEP_1)
	v_cmp_eq_u16_e32 vcc_lo, 2, v25
	v_and_or_b32 v25, vcc_lo, v33, 0x80000000
	v_ctz_i32_b32_e32 v25, v25
	s_delay_alu instid0(VALU_DEP_1) | instskip(SKIP_3) | instid1(VALU_DEP_2)
	v_cmp_lt_u32_e32 vcc_lo, v41, v25
	s_waitcnt lgkmcnt(0)
	v_cndmask_b32_e32 v26, 0, v26, vcc_lo
	v_cmp_le_u32_e32 vcc_lo, v37, v25
	v_add_nc_u32_e32 v23, v26, v23
	ds_bpermute_b32 v26, v35, v23
	s_waitcnt lgkmcnt(0)
	v_cndmask_b32_e32 v26, 0, v26, vcc_lo
	v_cmp_le_u32_e32 vcc_lo, v45, v25
	s_delay_alu instid0(VALU_DEP_2) | instskip(SKIP_4) | instid1(VALU_DEP_2)
	v_add_nc_u32_e32 v23, v23, v26
	ds_bpermute_b32 v26, v44, v23
	s_waitcnt lgkmcnt(0)
	v_cndmask_b32_e32 v26, 0, v26, vcc_lo
	v_cmp_le_u32_e32 vcc_lo, v47, v25
	v_add_nc_u32_e32 v23, v23, v26
	ds_bpermute_b32 v26, v46, v23
	s_waitcnt lgkmcnt(0)
	v_cndmask_b32_e32 v26, 0, v26, vcc_lo
	v_cmp_le_u32_e32 vcc_lo, v49, v25
	s_delay_alu instid0(VALU_DEP_2) | instskip(SKIP_3) | instid1(VALU_DEP_1)
	v_add_nc_u32_e32 v23, v23, v26
	ds_bpermute_b32 v26, v48, v23
	s_waitcnt lgkmcnt(0)
	v_cndmask_b32_e32 v25, 0, v26, vcc_lo
	v_add3_u32 v23, v25, v20, v23
.LBB875_81:                             ; =>This Loop Header: Depth=1
                                        ;     Child Loop BB875_84 Depth 2
                                        ;       Child Loop BB875_85 Depth 3
	v_and_b32_e32 v20, 0xff, v24
	s_delay_alu instid0(VALU_DEP_1) | instskip(SKIP_2) | instid1(VALU_DEP_1)
	v_cmp_ne_u16_e32 vcc_lo, 2, v20
	v_cndmask_b32_e64 v20, 0, 1, vcc_lo
	;;#ASMSTART
	;;#ASMEND
	v_cmp_ne_u32_e32 vcc_lo, 0, v20
	v_mov_b32_e32 v20, v23
	s_cmp_lg_u32 vcc_lo, exec_lo
	s_cbranch_scc1 .LBB875_88
; %bb.82:                               ;   in Loop: Header=BB875_81 Depth=1
	v_lshlrev_b64 v[23:24], 3, v[21:22]
	s_mov_b32 s19, exec_lo
	s_delay_alu instid0(VALU_DEP_1) | instskip(NEXT) | instid1(VALU_DEP_2)
	v_add_co_u32 v25, vcc_lo, s12, v23
	v_add_co_ci_u32_e32 v26, vcc_lo, s13, v24, vcc_lo
	global_load_b64 v[23:24], v[25:26], off glc
	s_waitcnt vmcnt(0)
	v_and_b32_e32 v50, 0xff, v24
	s_delay_alu instid0(VALU_DEP_1)
	v_cmpx_eq_u16_e32 0, v50
	s_cbranch_execz .LBB875_80
; %bb.83:                               ;   in Loop: Header=BB875_81 Depth=1
	s_mov_b32 s21, 1
	s_mov_b32 s20, 0
	.p2align	6
.LBB875_84:                             ;   Parent Loop BB875_81 Depth=1
                                        ; =>  This Loop Header: Depth=2
                                        ;       Child Loop BB875_85 Depth 3
	s_max_u32 s22, s21, 1
.LBB875_85:                             ;   Parent Loop BB875_81 Depth=1
                                        ;     Parent Loop BB875_84 Depth=2
                                        ; =>    This Inner Loop Header: Depth=3
	s_delay_alu instid0(SALU_CYCLE_1)
	s_add_i32 s22, s22, -1
	s_sleep 1
	s_cmp_eq_u32 s22, 0
	s_cbranch_scc0 .LBB875_85
; %bb.86:                               ;   in Loop: Header=BB875_84 Depth=2
	global_load_b64 v[23:24], v[25:26], off glc
	s_cmp_lt_u32 s21, 32
	s_cselect_b32 s22, -1, 0
	s_delay_alu instid0(SALU_CYCLE_1) | instskip(SKIP_3) | instid1(VALU_DEP_1)
	s_cmp_lg_u32 s22, 0
	s_addc_u32 s21, s21, 0
	s_waitcnt vmcnt(0)
	v_and_b32_e32 v50, 0xff, v24
	v_cmp_ne_u16_e32 vcc_lo, 0, v50
	s_or_b32 s20, vcc_lo, s20
	s_delay_alu instid0(SALU_CYCLE_1)
	s_and_not1_b32 exec_lo, exec_lo, s20
	s_cbranch_execnz .LBB875_84
; %bb.87:                               ;   in Loop: Header=BB875_81 Depth=1
	s_or_b32 exec_lo, exec_lo, s20
	s_branch .LBB875_80
.LBB875_88:                             ;   in Loop: Header=BB875_81 Depth=1
                                        ; implicit-def: $vgpr23
                                        ; implicit-def: $vgpr24
	s_cbranch_execz .LBB875_81
; %bb.89:
	s_and_saveexec_b32 s19, s8
	s_cbranch_execz .LBB875_91
; %bb.90:
	s_add_i32 s20, s15, 32
	s_mov_b32 s21, 0
	v_dual_mov_b32 v22, 2 :: v_dual_add_nc_u32 v21, v20, v19
	s_lshl_b64 s[20:21], s[20:21], 3
	v_mov_b32_e32 v23, 0
	s_add_u32 s20, s12, s20
	s_addc_u32 s21, s13, s21
	global_store_b64 v23, v[21:22], s[20:21]
	ds_store_b64 v23, v[19:20] offset:12672
.LBB875_91:
	s_or_b32 exec_lo, exec_lo, s19
	v_cmp_eq_u32_e32 vcc_lo, 0, v0
	s_and_b32 exec_lo, exec_lo, vcc_lo
	s_cbranch_execz .LBB875_93
; %bb.92:
	v_mov_b32_e32 v19, 0
	ds_store_b32 v19, v20 offset:44
.LBB875_93:
	s_or_b32 exec_lo, exec_lo, s9
	v_mov_b32_e32 v19, 0
	s_waitcnt lgkmcnt(0)
	s_waitcnt_vscnt null, 0x0
	s_barrier
	buffer_gl0_inv
	v_cndmask_b32_e64 v21, v29, v27, s8
	ds_load_b32 v20, v19 offset:44
	v_cmp_ne_u32_e32 vcc_lo, 0, v0
	s_waitcnt lgkmcnt(0)
	s_barrier
	buffer_gl0_inv
	v_cndmask_b32_e32 v21, 0, v21, vcc_lo
	s_delay_alu instid0(VALU_DEP_1) | instskip(SKIP_2) | instid1(VALU_DEP_1)
	v_add_nc_u32_e32 v37, v20, v21
	ds_load_b64 v[19:20], v19 offset:12672
	v_add_nc_u32_e32 v35, v37, v28
	v_add_nc_u32_e32 v33, v35, v30
	s_delay_alu instid0(VALU_DEP_1) | instskip(NEXT) | instid1(VALU_DEP_1)
	v_add_nc_u32_e32 v31, v33, v32
	v_add_nc_u32_e32 v29, v31, v34
	s_delay_alu instid0(VALU_DEP_1) | instskip(NEXT) | instid1(VALU_DEP_1)
	v_add_nc_u32_e32 v27, v29, v36
	v_add_nc_u32_e32 v25, v27, v38
	s_delay_alu instid0(VALU_DEP_1)
	v_add_nc_u32_e32 v23, v25, v40
	s_load_b64 s[8:9], s[0:1], 0x38
	v_lshrrev_b64 v[21:22], 24, v[17:18]
	s_branch .LBB875_104
.LBB875_94:
                                        ; implicit-def: $vgpr23
                                        ; implicit-def: $vgpr25
                                        ; implicit-def: $vgpr27
                                        ; implicit-def: $vgpr29
                                        ; implicit-def: $vgpr31
                                        ; implicit-def: $vgpr33
                                        ; implicit-def: $vgpr35
                                        ; implicit-def: $vgpr37
                                        ; implicit-def: $vgpr20
	s_load_b64 s[8:9], s[0:1], 0x38
	v_lshrrev_b64 v[21:22], 24, v[17:18]
	s_and_b32 vcc_lo, exec_lo, s19
	s_cbranch_vccz .LBB875_104
; %bb.95:
	s_waitcnt lgkmcnt(0)
	v_mov_b32_dpp v19, v43 row_shr:1 row_mask:0xf bank_mask:0xf
	s_delay_alu instid0(VALU_DEP_1) | instskip(NEXT) | instid1(VALU_DEP_1)
	v_cndmask_b32_e64 v19, v19, 0, s4
	v_add_nc_u32_e32 v19, v19, v43
	s_delay_alu instid0(VALU_DEP_1) | instskip(NEXT) | instid1(VALU_DEP_1)
	v_mov_b32_dpp v20, v19 row_shr:2 row_mask:0xf bank_mask:0xf
	v_cndmask_b32_e64 v20, 0, v20, s5
	s_delay_alu instid0(VALU_DEP_1) | instskip(NEXT) | instid1(VALU_DEP_1)
	v_add_nc_u32_e32 v19, v19, v20
	v_mov_b32_dpp v20, v19 row_shr:4 row_mask:0xf bank_mask:0xf
	s_delay_alu instid0(VALU_DEP_1) | instskip(NEXT) | instid1(VALU_DEP_1)
	v_cndmask_b32_e64 v20, 0, v20, s3
	v_add_nc_u32_e32 v19, v19, v20
	s_delay_alu instid0(VALU_DEP_1) | instskip(NEXT) | instid1(VALU_DEP_1)
	v_mov_b32_dpp v20, v19 row_shr:8 row_mask:0xf bank_mask:0xf
	v_cndmask_b32_e64 v20, 0, v20, s2
	s_delay_alu instid0(VALU_DEP_1) | instskip(SKIP_3) | instid1(VALU_DEP_1)
	v_add_nc_u32_e32 v19, v19, v20
	ds_swizzle_b32 v20, v19 offset:swizzle(BROADCAST,32,15)
	s_waitcnt lgkmcnt(0)
	v_cndmask_b32_e64 v20, v20, 0, s7
	v_add_nc_u32_e32 v19, v19, v20
	s_and_saveexec_b32 s0, s6
	s_cbranch_execz .LBB875_97
; %bb.96:
	v_lshlrev_b32_e32 v20, 2, v42
	ds_store_b32 v20, v19
.LBB875_97:
	s_or_b32 exec_lo, exec_lo, s0
	s_delay_alu instid0(SALU_CYCLE_1)
	s_mov_b32 s0, exec_lo
	s_waitcnt lgkmcnt(0)
	s_barrier
	buffer_gl0_inv
	v_cmpx_gt_u32_e32 12, v0
	s_cbranch_execz .LBB875_99
; %bb.98:
	v_lshlrev_b32_e32 v20, 2, v0
	ds_load_b32 v22, v20
	s_waitcnt lgkmcnt(0)
	v_mov_b32_dpp v23, v22 row_shr:1 row_mask:0xf bank_mask:0xf
	s_delay_alu instid0(VALU_DEP_1) | instskip(NEXT) | instid1(VALU_DEP_1)
	v_cndmask_b32_e64 v23, v23, 0, s4
	v_add_nc_u32_e32 v22, v23, v22
	s_delay_alu instid0(VALU_DEP_1) | instskip(NEXT) | instid1(VALU_DEP_1)
	v_mov_b32_dpp v23, v22 row_shr:2 row_mask:0xf bank_mask:0xf
	v_cndmask_b32_e64 v23, 0, v23, s5
	s_delay_alu instid0(VALU_DEP_1) | instskip(NEXT) | instid1(VALU_DEP_1)
	v_add_nc_u32_e32 v22, v22, v23
	v_mov_b32_dpp v23, v22 row_shr:4 row_mask:0xf bank_mask:0xf
	s_delay_alu instid0(VALU_DEP_1) | instskip(NEXT) | instid1(VALU_DEP_1)
	v_cndmask_b32_e64 v23, 0, v23, s3
	v_add_nc_u32_e32 v22, v22, v23
	s_delay_alu instid0(VALU_DEP_1) | instskip(NEXT) | instid1(VALU_DEP_1)
	v_mov_b32_dpp v23, v22 row_shr:8 row_mask:0xf bank_mask:0xf
	v_cndmask_b32_e64 v23, 0, v23, s2
	s_delay_alu instid0(VALU_DEP_1)
	v_add_nc_u32_e32 v22, v22, v23
	ds_store_b32 v20, v22
.LBB875_99:
	s_or_b32 exec_lo, exec_lo, s0
	v_mov_b32_e32 v20, 0
	v_mov_b32_e32 v22, 0
	s_mov_b32 s0, exec_lo
	s_waitcnt lgkmcnt(0)
	s_barrier
	buffer_gl0_inv
	v_cmpx_lt_u32_e32 31, v0
	s_cbranch_execz .LBB875_101
; %bb.100:
	v_lshl_add_u32 v22, v42, 2, -4
	ds_load_b32 v22, v22
.LBB875_101:
	s_or_b32 exec_lo, exec_lo, s0
	v_add_nc_u32_e32 v23, -1, v41
	s_waitcnt lgkmcnt(0)
	v_add_nc_u32_e32 v19, v22, v19
	s_delay_alu instid0(VALU_DEP_2) | instskip(SKIP_2) | instid1(VALU_DEP_2)
	v_cmp_gt_i32_e32 vcc_lo, 0, v23
	v_cndmask_b32_e32 v23, v23, v41, vcc_lo
	v_cmp_eq_u32_e32 vcc_lo, 0, v0
	v_lshlrev_b32_e32 v23, 2, v23
	ds_bpermute_b32 v23, v23, v19
	ds_load_b32 v19, v20 offset:44
	s_and_saveexec_b32 s0, vcc_lo
	s_cbranch_execz .LBB875_103
; %bb.102:
	v_mov_b32_e32 v24, 0
	v_mov_b32_e32 v20, 2
	s_waitcnt lgkmcnt(0)
	global_store_b64 v24, v[19:20], s[12:13] offset:256
.LBB875_103:
	s_or_b32 exec_lo, exec_lo, s0
	v_cmp_eq_u32_e64 s0, 0, v41
	s_waitcnt lgkmcnt(0)
	s_waitcnt_vscnt null, 0x0
	s_barrier
	buffer_gl0_inv
	v_cndmask_b32_e64 v20, v23, v22, s0
	s_delay_alu instid0(VALU_DEP_1) | instskip(NEXT) | instid1(VALU_DEP_1)
	v_cndmask_b32_e64 v37, v20, 0, vcc_lo
	v_dual_mov_b32 v20, 0 :: v_dual_add_nc_u32 v35, v37, v28
	s_delay_alu instid0(VALU_DEP_1) | instskip(NEXT) | instid1(VALU_DEP_1)
	v_add_nc_u32_e32 v33, v35, v30
	v_add_nc_u32_e32 v31, v33, v32
	s_delay_alu instid0(VALU_DEP_1) | instskip(NEXT) | instid1(VALU_DEP_1)
	v_add_nc_u32_e32 v29, v31, v34
	v_add_nc_u32_e32 v27, v29, v36
	;; [unrolled: 3-line block ×3, first 2 shown]
.LBB875_104:
	v_lshrrev_b32_e32 v42, 8, v17
	v_lshrrev_b32_e32 v41, 16, v17
	v_and_b32_e32 v17, 1, v17
	s_waitcnt lgkmcnt(0)
	v_cmp_gt_u32_e64 s0, 0x181, v19
	v_lshrrev_b32_e32 v40, 8, v18
	v_lshrrev_b32_e32 v22, 16, v18
	v_cmp_eq_u32_e64 s1, 1, v17
	s_delay_alu instid0(VALU_DEP_4)
	s_and_b32 vcc_lo, exec_lo, s0
	s_cbranch_vccnz .LBB875_122
; %bb.105:
	s_delay_alu instid0(VALU_DEP_1)
	s_and_saveexec_b32 s2, s1
	s_cbranch_execz .LBB875_107
; %bb.106:
	v_sub_nc_u32_e32 v24, v37, v20
	s_delay_alu instid0(VALU_DEP_1)
	v_lshlrev_b32_e32 v24, 2, v24
	ds_store_b32 v24, v15
.LBB875_107:
	s_or_b32 exec_lo, exec_lo, s2
	v_and_b32_e32 v15, 1, v42
	s_mov_b32 s1, exec_lo
	s_delay_alu instid0(VALU_DEP_1)
	v_cmpx_eq_u32_e32 1, v15
	s_cbranch_execz .LBB875_109
; %bb.108:
	v_sub_nc_u32_e32 v15, v35, v20
	s_delay_alu instid0(VALU_DEP_1)
	v_lshlrev_b32_e32 v15, 2, v15
	ds_store_b32 v15, v16
.LBB875_109:
	s_or_b32 exec_lo, exec_lo, s1
	v_and_b32_e32 v15, 1, v41
	s_mov_b32 s1, exec_lo
	s_delay_alu instid0(VALU_DEP_1)
	v_cmpx_eq_u32_e32 1, v15
	;; [unrolled: 12-line block ×7, first 2 shown]
	s_cbranch_execz .LBB875_121
; %bb.120:
	v_sub_nc_u32_e32 v5, v23, v20
	s_delay_alu instid0(VALU_DEP_1)
	v_lshlrev_b32_e32 v5, 2, v5
	ds_store_b32 v5, v6
.LBB875_121:
	s_or_b32 exec_lo, exec_lo, s1
	s_waitcnt lgkmcnt(0)
	s_barrier
	buffer_gl0_inv
.LBB875_122:
	s_and_b32 vcc_lo, exec_lo, s0
	s_mov_b32 s0, -1
	s_barrier
	buffer_gl0_inv
	s_cbranch_vccz .LBB875_150
; %bb.123:
	v_add_nc_u32_e32 v5, v20, v19
	s_lshl_b64 s[0:1], s[10:11], 2
	s_delay_alu instid0(SALU_CYCLE_1) | instskip(SKIP_1) | instid1(VALU_DEP_1)
	s_add_u32 s0, s8, s0
	s_addc_u32 s1, s9, s1
	v_cmp_lt_u32_e32 vcc_lo, v37, v5
	s_or_b32 s3, s18, vcc_lo
	s_delay_alu instid0(SALU_CYCLE_1)
	s_and_saveexec_b32 s2, s3
	s_cbranch_execz .LBB875_126
; %bb.124:
	v_cmp_eq_u32_e32 vcc_lo, 1, v17
	s_and_b32 exec_lo, exec_lo, vcc_lo
	s_cbranch_execz .LBB875_126
; %bb.125:
	v_mov_b32_e32 v38, 0
	s_delay_alu instid0(VALU_DEP_1) | instskip(NEXT) | instid1(VALU_DEP_1)
	v_lshlrev_b64 v[9:10], 2, v[37:38]
	v_add_co_u32 v9, vcc_lo, s0, v9
	s_delay_alu instid0(VALU_DEP_2)
	v_add_co_ci_u32_e32 v10, vcc_lo, s1, v10, vcc_lo
	global_store_b32 v[9:10], v11, off
.LBB875_126:
	s_or_b32 exec_lo, exec_lo, s2
	v_cmp_lt_u32_e32 vcc_lo, v35, v5
	s_or_b32 s3, s18, vcc_lo
	s_delay_alu instid0(SALU_CYCLE_1)
	s_and_saveexec_b32 s2, s3
	s_cbranch_execz .LBB875_129
; %bb.127:
	v_and_b32_e32 v6, 1, v42
	s_delay_alu instid0(VALU_DEP_1)
	v_cmp_eq_u32_e32 vcc_lo, 1, v6
	s_and_b32 exec_lo, exec_lo, vcc_lo
	s_cbranch_execz .LBB875_129
; %bb.128:
	v_mov_b32_e32 v36, 0
	s_delay_alu instid0(VALU_DEP_1) | instskip(NEXT) | instid1(VALU_DEP_1)
	v_lshlrev_b64 v[9:10], 2, v[35:36]
	v_add_co_u32 v9, vcc_lo, s0, v9
	s_delay_alu instid0(VALU_DEP_2)
	v_add_co_ci_u32_e32 v10, vcc_lo, s1, v10, vcc_lo
	global_store_b32 v[9:10], v12, off
.LBB875_129:
	s_or_b32 exec_lo, exec_lo, s2
	v_cmp_lt_u32_e32 vcc_lo, v33, v5
	s_or_b32 s3, s18, vcc_lo
	s_delay_alu instid0(SALU_CYCLE_1)
	s_and_saveexec_b32 s2, s3
	s_cbranch_execz .LBB875_132
; %bb.130:
	v_and_b32_e32 v6, 1, v41
	s_delay_alu instid0(VALU_DEP_1)
	v_cmp_eq_u32_e32 vcc_lo, 1, v6
	s_and_b32 exec_lo, exec_lo, vcc_lo
	s_cbranch_execz .LBB875_132
; %bb.131:
	v_mov_b32_e32 v34, 0
	s_delay_alu instid0(VALU_DEP_1) | instskip(NEXT) | instid1(VALU_DEP_1)
	v_lshlrev_b64 v[9:10], 2, v[33:34]
	v_add_co_u32 v9, vcc_lo, s0, v9
	s_delay_alu instid0(VALU_DEP_2)
	v_add_co_ci_u32_e32 v10, vcc_lo, s1, v10, vcc_lo
	global_store_b32 v[9:10], v7, off
.LBB875_132:
	;; [unrolled: 21-line block ×7, first 2 shown]
	s_or_b32 exec_lo, exec_lo, s2
.LBB875_148:
	v_cmp_eq_u32_e32 vcc_lo, 0, v0
	s_and_b32 s0, vcc_lo, s14
	s_delay_alu instid0(SALU_CYCLE_1)
	s_and_saveexec_b32 s1, s0
	s_cbranch_execz .LBB875_171
.LBB875_149:
	v_add_co_u32 v0, s0, s10, v19
	s_delay_alu instid0(VALU_DEP_1) | instskip(SKIP_1) | instid1(VALU_DEP_3)
	v_add_co_ci_u32_e64 v1, null, s11, 0, s0
	v_mov_b32_e32 v2, 0
	v_add_co_u32 v0, vcc_lo, v0, v20
	s_delay_alu instid0(VALU_DEP_3)
	v_add_co_ci_u32_e32 v1, vcc_lo, 0, v1, vcc_lo
	global_store_b64 v2, v[0:1], s[16:17]
	s_nop 0
	s_sendmsg sendmsg(MSG_DEALLOC_VGPRS)
	s_endpgm
.LBB875_150:
	s_and_b32 vcc_lo, exec_lo, s0
	s_cbranch_vccz .LBB875_148
; %bb.151:
	s_mov_b32 s0, exec_lo
	v_cmpx_eq_u32_e32 1, v17
	s_cbranch_execz .LBB875_153
; %bb.152:
	v_sub_nc_u32_e32 v5, v37, v20
	s_delay_alu instid0(VALU_DEP_1)
	v_lshlrev_b32_e32 v5, 2, v5
	ds_store_b32 v5, v11
.LBB875_153:
	s_or_b32 exec_lo, exec_lo, s0
	v_and_b32_e32 v5, 1, v42
	s_mov_b32 s0, exec_lo
	s_delay_alu instid0(VALU_DEP_1)
	v_cmpx_eq_u32_e32 1, v5
	s_cbranch_execz .LBB875_155
; %bb.154:
	v_sub_nc_u32_e32 v5, v35, v20
	s_delay_alu instid0(VALU_DEP_1)
	v_lshlrev_b32_e32 v5, 2, v5
	ds_store_b32 v5, v12
.LBB875_155:
	s_or_b32 exec_lo, exec_lo, s0
	v_and_b32_e32 v5, 1, v41
	s_mov_b32 s0, exec_lo
	s_delay_alu instid0(VALU_DEP_1)
	;; [unrolled: 12-line block ×7, first 2 shown]
	v_cmpx_eq_u32_e32 1, v1
	s_cbranch_execz .LBB875_167
; %bb.166:
	v_sub_nc_u32_e32 v1, v23, v20
	s_delay_alu instid0(VALU_DEP_1)
	v_lshlrev_b32_e32 v1, 2, v1
	ds_store_b32 v1, v2
.LBB875_167:
	s_or_b32 exec_lo, exec_lo, s0
	s_delay_alu instid0(SALU_CYCLE_1)
	s_mov_b32 s1, exec_lo
	s_waitcnt lgkmcnt(0)
	s_waitcnt_vscnt null, 0x0
	s_barrier
	buffer_gl0_inv
	v_cmpx_lt_u32_e64 v0, v19
	s_cbranch_execz .LBB875_170
; %bb.168:
	v_dual_mov_b32 v2, 0 :: v_dual_mov_b32 v1, v20
	s_lshl_b64 s[2:3], s[10:11], 2
	v_lshlrev_b32_e32 v3, 2, v0
	s_add_u32 s0, s8, s2
	s_addc_u32 s2, s9, s3
	v_lshlrev_b64 v[4:5], 2, v[1:2]
	v_mov_b32_e32 v1, v0
	s_delay_alu instid0(VALU_DEP_2) | instskip(NEXT) | instid1(VALU_DEP_3)
	v_add_co_u32 v4, vcc_lo, s0, v4
	v_add_co_ci_u32_e32 v5, vcc_lo, s2, v5, vcc_lo
	s_mov_b32 s2, 0
	.p2align	6
.LBB875_169:                            ; =>This Inner Loop Header: Depth=1
	ds_load_b32 v8, v3
	v_lshlrev_b64 v[6:7], 2, v[1:2]
	v_add_nc_u32_e32 v1, 0x180, v1
	v_add_nc_u32_e32 v3, 0x600, v3
	s_delay_alu instid0(VALU_DEP_2) | instskip(NEXT) | instid1(VALU_DEP_4)
	v_cmp_ge_u32_e32 vcc_lo, v1, v19
	v_add_co_u32 v6, s0, v4, v6
	s_delay_alu instid0(VALU_DEP_1)
	v_add_co_ci_u32_e64 v7, s0, v5, v7, s0
	s_or_b32 s2, vcc_lo, s2
	s_waitcnt lgkmcnt(0)
	global_store_b32 v[6:7], v8, off
	s_and_not1_b32 exec_lo, exec_lo, s2
	s_cbranch_execnz .LBB875_169
.LBB875_170:
	s_or_b32 exec_lo, exec_lo, s1
	v_cmp_eq_u32_e32 vcc_lo, 0, v0
	s_and_b32 s0, vcc_lo, s14
	s_delay_alu instid0(SALU_CYCLE_1)
	s_and_saveexec_b32 s1, s0
	s_cbranch_execnz .LBB875_149
.LBB875_171:
	s_nop 0
	s_sendmsg sendmsg(MSG_DEALLOC_VGPRS)
	s_endpgm
	.section	.rodata,"a",@progbits
	.p2align	6, 0x0
	.amdhsa_kernel _ZN7rocprim17ROCPRIM_400000_NS6detail17trampoline_kernelINS0_14default_configENS1_25partition_config_selectorILNS1_17partition_subalgoE9EjjbEEZZNS1_14partition_implILS5_9ELb0ES3_jN6thrust23THRUST_200600_302600_NS6detail15normal_iteratorINS9_10device_ptrIjEEEESE_PNS0_10empty_typeENS0_5tupleIJNS9_16discard_iteratorINS9_11use_defaultEEESF_EEENSH_IJSE_SG_EEENS0_18inequality_wrapperINS9_8equal_toIjEEEEPmJSF_EEE10hipError_tPvRmT3_T4_T5_T6_T7_T9_mT8_P12ihipStream_tbDpT10_ENKUlT_T0_E_clISt17integral_constantIbLb1EES1A_IbLb0EEEEDaS16_S17_EUlS16_E_NS1_11comp_targetILNS1_3genE9ELNS1_11target_archE1100ELNS1_3gpuE3ELNS1_3repE0EEENS1_30default_config_static_selectorELNS0_4arch9wavefront6targetE0EEEvT1_
		.amdhsa_group_segment_fixed_size 12680
		.amdhsa_private_segment_fixed_size 0
		.amdhsa_kernarg_size 120
		.amdhsa_user_sgpr_count 15
		.amdhsa_user_sgpr_dispatch_ptr 0
		.amdhsa_user_sgpr_queue_ptr 0
		.amdhsa_user_sgpr_kernarg_segment_ptr 1
		.amdhsa_user_sgpr_dispatch_id 0
		.amdhsa_user_sgpr_private_segment_size 0
		.amdhsa_wavefront_size32 1
		.amdhsa_uses_dynamic_stack 0
		.amdhsa_enable_private_segment 0
		.amdhsa_system_sgpr_workgroup_id_x 1
		.amdhsa_system_sgpr_workgroup_id_y 0
		.amdhsa_system_sgpr_workgroup_id_z 0
		.amdhsa_system_sgpr_workgroup_info 0
		.amdhsa_system_vgpr_workitem_id 0
		.amdhsa_next_free_vgpr 51
		.amdhsa_next_free_sgpr 25
		.amdhsa_reserve_vcc 1
		.amdhsa_float_round_mode_32 0
		.amdhsa_float_round_mode_16_64 0
		.amdhsa_float_denorm_mode_32 3
		.amdhsa_float_denorm_mode_16_64 3
		.amdhsa_dx10_clamp 1
		.amdhsa_ieee_mode 1
		.amdhsa_fp16_overflow 0
		.amdhsa_workgroup_processor_mode 1
		.amdhsa_memory_ordered 1
		.amdhsa_forward_progress 0
		.amdhsa_shared_vgpr_count 0
		.amdhsa_exception_fp_ieee_invalid_op 0
		.amdhsa_exception_fp_denorm_src 0
		.amdhsa_exception_fp_ieee_div_zero 0
		.amdhsa_exception_fp_ieee_overflow 0
		.amdhsa_exception_fp_ieee_underflow 0
		.amdhsa_exception_fp_ieee_inexact 0
		.amdhsa_exception_int_div_zero 0
	.end_amdhsa_kernel
	.section	.text._ZN7rocprim17ROCPRIM_400000_NS6detail17trampoline_kernelINS0_14default_configENS1_25partition_config_selectorILNS1_17partition_subalgoE9EjjbEEZZNS1_14partition_implILS5_9ELb0ES3_jN6thrust23THRUST_200600_302600_NS6detail15normal_iteratorINS9_10device_ptrIjEEEESE_PNS0_10empty_typeENS0_5tupleIJNS9_16discard_iteratorINS9_11use_defaultEEESF_EEENSH_IJSE_SG_EEENS0_18inequality_wrapperINS9_8equal_toIjEEEEPmJSF_EEE10hipError_tPvRmT3_T4_T5_T6_T7_T9_mT8_P12ihipStream_tbDpT10_ENKUlT_T0_E_clISt17integral_constantIbLb1EES1A_IbLb0EEEEDaS16_S17_EUlS16_E_NS1_11comp_targetILNS1_3genE9ELNS1_11target_archE1100ELNS1_3gpuE3ELNS1_3repE0EEENS1_30default_config_static_selectorELNS0_4arch9wavefront6targetE0EEEvT1_,"axG",@progbits,_ZN7rocprim17ROCPRIM_400000_NS6detail17trampoline_kernelINS0_14default_configENS1_25partition_config_selectorILNS1_17partition_subalgoE9EjjbEEZZNS1_14partition_implILS5_9ELb0ES3_jN6thrust23THRUST_200600_302600_NS6detail15normal_iteratorINS9_10device_ptrIjEEEESE_PNS0_10empty_typeENS0_5tupleIJNS9_16discard_iteratorINS9_11use_defaultEEESF_EEENSH_IJSE_SG_EEENS0_18inequality_wrapperINS9_8equal_toIjEEEEPmJSF_EEE10hipError_tPvRmT3_T4_T5_T6_T7_T9_mT8_P12ihipStream_tbDpT10_ENKUlT_T0_E_clISt17integral_constantIbLb1EES1A_IbLb0EEEEDaS16_S17_EUlS16_E_NS1_11comp_targetILNS1_3genE9ELNS1_11target_archE1100ELNS1_3gpuE3ELNS1_3repE0EEENS1_30default_config_static_selectorELNS0_4arch9wavefront6targetE0EEEvT1_,comdat
.Lfunc_end875:
	.size	_ZN7rocprim17ROCPRIM_400000_NS6detail17trampoline_kernelINS0_14default_configENS1_25partition_config_selectorILNS1_17partition_subalgoE9EjjbEEZZNS1_14partition_implILS5_9ELb0ES3_jN6thrust23THRUST_200600_302600_NS6detail15normal_iteratorINS9_10device_ptrIjEEEESE_PNS0_10empty_typeENS0_5tupleIJNS9_16discard_iteratorINS9_11use_defaultEEESF_EEENSH_IJSE_SG_EEENS0_18inequality_wrapperINS9_8equal_toIjEEEEPmJSF_EEE10hipError_tPvRmT3_T4_T5_T6_T7_T9_mT8_P12ihipStream_tbDpT10_ENKUlT_T0_E_clISt17integral_constantIbLb1EES1A_IbLb0EEEEDaS16_S17_EUlS16_E_NS1_11comp_targetILNS1_3genE9ELNS1_11target_archE1100ELNS1_3gpuE3ELNS1_3repE0EEENS1_30default_config_static_selectorELNS0_4arch9wavefront6targetE0EEEvT1_, .Lfunc_end875-_ZN7rocprim17ROCPRIM_400000_NS6detail17trampoline_kernelINS0_14default_configENS1_25partition_config_selectorILNS1_17partition_subalgoE9EjjbEEZZNS1_14partition_implILS5_9ELb0ES3_jN6thrust23THRUST_200600_302600_NS6detail15normal_iteratorINS9_10device_ptrIjEEEESE_PNS0_10empty_typeENS0_5tupleIJNS9_16discard_iteratorINS9_11use_defaultEEESF_EEENSH_IJSE_SG_EEENS0_18inequality_wrapperINS9_8equal_toIjEEEEPmJSF_EEE10hipError_tPvRmT3_T4_T5_T6_T7_T9_mT8_P12ihipStream_tbDpT10_ENKUlT_T0_E_clISt17integral_constantIbLb1EES1A_IbLb0EEEEDaS16_S17_EUlS16_E_NS1_11comp_targetILNS1_3genE9ELNS1_11target_archE1100ELNS1_3gpuE3ELNS1_3repE0EEENS1_30default_config_static_selectorELNS0_4arch9wavefront6targetE0EEEvT1_
                                        ; -- End function
	.section	.AMDGPU.csdata,"",@progbits
; Kernel info:
; codeLenInByte = 8452
; NumSgprs: 27
; NumVgprs: 51
; ScratchSize: 0
; MemoryBound: 0
; FloatMode: 240
; IeeeMode: 1
; LDSByteSize: 12680 bytes/workgroup (compile time only)
; SGPRBlocks: 3
; VGPRBlocks: 6
; NumSGPRsForWavesPerEU: 27
; NumVGPRsForWavesPerEU: 51
; Occupancy: 15
; WaveLimiterHint : 1
; COMPUTE_PGM_RSRC2:SCRATCH_EN: 0
; COMPUTE_PGM_RSRC2:USER_SGPR: 15
; COMPUTE_PGM_RSRC2:TRAP_HANDLER: 0
; COMPUTE_PGM_RSRC2:TGID_X_EN: 1
; COMPUTE_PGM_RSRC2:TGID_Y_EN: 0
; COMPUTE_PGM_RSRC2:TGID_Z_EN: 0
; COMPUTE_PGM_RSRC2:TIDIG_COMP_CNT: 0
	.section	.text._ZN7rocprim17ROCPRIM_400000_NS6detail17trampoline_kernelINS0_14default_configENS1_25partition_config_selectorILNS1_17partition_subalgoE9EjjbEEZZNS1_14partition_implILS5_9ELb0ES3_jN6thrust23THRUST_200600_302600_NS6detail15normal_iteratorINS9_10device_ptrIjEEEESE_PNS0_10empty_typeENS0_5tupleIJNS9_16discard_iteratorINS9_11use_defaultEEESF_EEENSH_IJSE_SG_EEENS0_18inequality_wrapperINS9_8equal_toIjEEEEPmJSF_EEE10hipError_tPvRmT3_T4_T5_T6_T7_T9_mT8_P12ihipStream_tbDpT10_ENKUlT_T0_E_clISt17integral_constantIbLb1EES1A_IbLb0EEEEDaS16_S17_EUlS16_E_NS1_11comp_targetILNS1_3genE8ELNS1_11target_archE1030ELNS1_3gpuE2ELNS1_3repE0EEENS1_30default_config_static_selectorELNS0_4arch9wavefront6targetE0EEEvT1_,"axG",@progbits,_ZN7rocprim17ROCPRIM_400000_NS6detail17trampoline_kernelINS0_14default_configENS1_25partition_config_selectorILNS1_17partition_subalgoE9EjjbEEZZNS1_14partition_implILS5_9ELb0ES3_jN6thrust23THRUST_200600_302600_NS6detail15normal_iteratorINS9_10device_ptrIjEEEESE_PNS0_10empty_typeENS0_5tupleIJNS9_16discard_iteratorINS9_11use_defaultEEESF_EEENSH_IJSE_SG_EEENS0_18inequality_wrapperINS9_8equal_toIjEEEEPmJSF_EEE10hipError_tPvRmT3_T4_T5_T6_T7_T9_mT8_P12ihipStream_tbDpT10_ENKUlT_T0_E_clISt17integral_constantIbLb1EES1A_IbLb0EEEEDaS16_S17_EUlS16_E_NS1_11comp_targetILNS1_3genE8ELNS1_11target_archE1030ELNS1_3gpuE2ELNS1_3repE0EEENS1_30default_config_static_selectorELNS0_4arch9wavefront6targetE0EEEvT1_,comdat
	.protected	_ZN7rocprim17ROCPRIM_400000_NS6detail17trampoline_kernelINS0_14default_configENS1_25partition_config_selectorILNS1_17partition_subalgoE9EjjbEEZZNS1_14partition_implILS5_9ELb0ES3_jN6thrust23THRUST_200600_302600_NS6detail15normal_iteratorINS9_10device_ptrIjEEEESE_PNS0_10empty_typeENS0_5tupleIJNS9_16discard_iteratorINS9_11use_defaultEEESF_EEENSH_IJSE_SG_EEENS0_18inequality_wrapperINS9_8equal_toIjEEEEPmJSF_EEE10hipError_tPvRmT3_T4_T5_T6_T7_T9_mT8_P12ihipStream_tbDpT10_ENKUlT_T0_E_clISt17integral_constantIbLb1EES1A_IbLb0EEEEDaS16_S17_EUlS16_E_NS1_11comp_targetILNS1_3genE8ELNS1_11target_archE1030ELNS1_3gpuE2ELNS1_3repE0EEENS1_30default_config_static_selectorELNS0_4arch9wavefront6targetE0EEEvT1_ ; -- Begin function _ZN7rocprim17ROCPRIM_400000_NS6detail17trampoline_kernelINS0_14default_configENS1_25partition_config_selectorILNS1_17partition_subalgoE9EjjbEEZZNS1_14partition_implILS5_9ELb0ES3_jN6thrust23THRUST_200600_302600_NS6detail15normal_iteratorINS9_10device_ptrIjEEEESE_PNS0_10empty_typeENS0_5tupleIJNS9_16discard_iteratorINS9_11use_defaultEEESF_EEENSH_IJSE_SG_EEENS0_18inequality_wrapperINS9_8equal_toIjEEEEPmJSF_EEE10hipError_tPvRmT3_T4_T5_T6_T7_T9_mT8_P12ihipStream_tbDpT10_ENKUlT_T0_E_clISt17integral_constantIbLb1EES1A_IbLb0EEEEDaS16_S17_EUlS16_E_NS1_11comp_targetILNS1_3genE8ELNS1_11target_archE1030ELNS1_3gpuE2ELNS1_3repE0EEENS1_30default_config_static_selectorELNS0_4arch9wavefront6targetE0EEEvT1_
	.globl	_ZN7rocprim17ROCPRIM_400000_NS6detail17trampoline_kernelINS0_14default_configENS1_25partition_config_selectorILNS1_17partition_subalgoE9EjjbEEZZNS1_14partition_implILS5_9ELb0ES3_jN6thrust23THRUST_200600_302600_NS6detail15normal_iteratorINS9_10device_ptrIjEEEESE_PNS0_10empty_typeENS0_5tupleIJNS9_16discard_iteratorINS9_11use_defaultEEESF_EEENSH_IJSE_SG_EEENS0_18inequality_wrapperINS9_8equal_toIjEEEEPmJSF_EEE10hipError_tPvRmT3_T4_T5_T6_T7_T9_mT8_P12ihipStream_tbDpT10_ENKUlT_T0_E_clISt17integral_constantIbLb1EES1A_IbLb0EEEEDaS16_S17_EUlS16_E_NS1_11comp_targetILNS1_3genE8ELNS1_11target_archE1030ELNS1_3gpuE2ELNS1_3repE0EEENS1_30default_config_static_selectorELNS0_4arch9wavefront6targetE0EEEvT1_
	.p2align	8
	.type	_ZN7rocprim17ROCPRIM_400000_NS6detail17trampoline_kernelINS0_14default_configENS1_25partition_config_selectorILNS1_17partition_subalgoE9EjjbEEZZNS1_14partition_implILS5_9ELb0ES3_jN6thrust23THRUST_200600_302600_NS6detail15normal_iteratorINS9_10device_ptrIjEEEESE_PNS0_10empty_typeENS0_5tupleIJNS9_16discard_iteratorINS9_11use_defaultEEESF_EEENSH_IJSE_SG_EEENS0_18inequality_wrapperINS9_8equal_toIjEEEEPmJSF_EEE10hipError_tPvRmT3_T4_T5_T6_T7_T9_mT8_P12ihipStream_tbDpT10_ENKUlT_T0_E_clISt17integral_constantIbLb1EES1A_IbLb0EEEEDaS16_S17_EUlS16_E_NS1_11comp_targetILNS1_3genE8ELNS1_11target_archE1030ELNS1_3gpuE2ELNS1_3repE0EEENS1_30default_config_static_selectorELNS0_4arch9wavefront6targetE0EEEvT1_,@function
_ZN7rocprim17ROCPRIM_400000_NS6detail17trampoline_kernelINS0_14default_configENS1_25partition_config_selectorILNS1_17partition_subalgoE9EjjbEEZZNS1_14partition_implILS5_9ELb0ES3_jN6thrust23THRUST_200600_302600_NS6detail15normal_iteratorINS9_10device_ptrIjEEEESE_PNS0_10empty_typeENS0_5tupleIJNS9_16discard_iteratorINS9_11use_defaultEEESF_EEENSH_IJSE_SG_EEENS0_18inequality_wrapperINS9_8equal_toIjEEEEPmJSF_EEE10hipError_tPvRmT3_T4_T5_T6_T7_T9_mT8_P12ihipStream_tbDpT10_ENKUlT_T0_E_clISt17integral_constantIbLb1EES1A_IbLb0EEEEDaS16_S17_EUlS16_E_NS1_11comp_targetILNS1_3genE8ELNS1_11target_archE1030ELNS1_3gpuE2ELNS1_3repE0EEENS1_30default_config_static_selectorELNS0_4arch9wavefront6targetE0EEEvT1_: ; @_ZN7rocprim17ROCPRIM_400000_NS6detail17trampoline_kernelINS0_14default_configENS1_25partition_config_selectorILNS1_17partition_subalgoE9EjjbEEZZNS1_14partition_implILS5_9ELb0ES3_jN6thrust23THRUST_200600_302600_NS6detail15normal_iteratorINS9_10device_ptrIjEEEESE_PNS0_10empty_typeENS0_5tupleIJNS9_16discard_iteratorINS9_11use_defaultEEESF_EEENSH_IJSE_SG_EEENS0_18inequality_wrapperINS9_8equal_toIjEEEEPmJSF_EEE10hipError_tPvRmT3_T4_T5_T6_T7_T9_mT8_P12ihipStream_tbDpT10_ENKUlT_T0_E_clISt17integral_constantIbLb1EES1A_IbLb0EEEEDaS16_S17_EUlS16_E_NS1_11comp_targetILNS1_3genE8ELNS1_11target_archE1030ELNS1_3gpuE2ELNS1_3repE0EEENS1_30default_config_static_selectorELNS0_4arch9wavefront6targetE0EEEvT1_
; %bb.0:
	.section	.rodata,"a",@progbits
	.p2align	6, 0x0
	.amdhsa_kernel _ZN7rocprim17ROCPRIM_400000_NS6detail17trampoline_kernelINS0_14default_configENS1_25partition_config_selectorILNS1_17partition_subalgoE9EjjbEEZZNS1_14partition_implILS5_9ELb0ES3_jN6thrust23THRUST_200600_302600_NS6detail15normal_iteratorINS9_10device_ptrIjEEEESE_PNS0_10empty_typeENS0_5tupleIJNS9_16discard_iteratorINS9_11use_defaultEEESF_EEENSH_IJSE_SG_EEENS0_18inequality_wrapperINS9_8equal_toIjEEEEPmJSF_EEE10hipError_tPvRmT3_T4_T5_T6_T7_T9_mT8_P12ihipStream_tbDpT10_ENKUlT_T0_E_clISt17integral_constantIbLb1EES1A_IbLb0EEEEDaS16_S17_EUlS16_E_NS1_11comp_targetILNS1_3genE8ELNS1_11target_archE1030ELNS1_3gpuE2ELNS1_3repE0EEENS1_30default_config_static_selectorELNS0_4arch9wavefront6targetE0EEEvT1_
		.amdhsa_group_segment_fixed_size 0
		.amdhsa_private_segment_fixed_size 0
		.amdhsa_kernarg_size 120
		.amdhsa_user_sgpr_count 15
		.amdhsa_user_sgpr_dispatch_ptr 0
		.amdhsa_user_sgpr_queue_ptr 0
		.amdhsa_user_sgpr_kernarg_segment_ptr 1
		.amdhsa_user_sgpr_dispatch_id 0
		.amdhsa_user_sgpr_private_segment_size 0
		.amdhsa_wavefront_size32 1
		.amdhsa_uses_dynamic_stack 0
		.amdhsa_enable_private_segment 0
		.amdhsa_system_sgpr_workgroup_id_x 1
		.amdhsa_system_sgpr_workgroup_id_y 0
		.amdhsa_system_sgpr_workgroup_id_z 0
		.amdhsa_system_sgpr_workgroup_info 0
		.amdhsa_system_vgpr_workitem_id 0
		.amdhsa_next_free_vgpr 1
		.amdhsa_next_free_sgpr 1
		.amdhsa_reserve_vcc 0
		.amdhsa_float_round_mode_32 0
		.amdhsa_float_round_mode_16_64 0
		.amdhsa_float_denorm_mode_32 3
		.amdhsa_float_denorm_mode_16_64 3
		.amdhsa_dx10_clamp 1
		.amdhsa_ieee_mode 1
		.amdhsa_fp16_overflow 0
		.amdhsa_workgroup_processor_mode 1
		.amdhsa_memory_ordered 1
		.amdhsa_forward_progress 0
		.amdhsa_shared_vgpr_count 0
		.amdhsa_exception_fp_ieee_invalid_op 0
		.amdhsa_exception_fp_denorm_src 0
		.amdhsa_exception_fp_ieee_div_zero 0
		.amdhsa_exception_fp_ieee_overflow 0
		.amdhsa_exception_fp_ieee_underflow 0
		.amdhsa_exception_fp_ieee_inexact 0
		.amdhsa_exception_int_div_zero 0
	.end_amdhsa_kernel
	.section	.text._ZN7rocprim17ROCPRIM_400000_NS6detail17trampoline_kernelINS0_14default_configENS1_25partition_config_selectorILNS1_17partition_subalgoE9EjjbEEZZNS1_14partition_implILS5_9ELb0ES3_jN6thrust23THRUST_200600_302600_NS6detail15normal_iteratorINS9_10device_ptrIjEEEESE_PNS0_10empty_typeENS0_5tupleIJNS9_16discard_iteratorINS9_11use_defaultEEESF_EEENSH_IJSE_SG_EEENS0_18inequality_wrapperINS9_8equal_toIjEEEEPmJSF_EEE10hipError_tPvRmT3_T4_T5_T6_T7_T9_mT8_P12ihipStream_tbDpT10_ENKUlT_T0_E_clISt17integral_constantIbLb1EES1A_IbLb0EEEEDaS16_S17_EUlS16_E_NS1_11comp_targetILNS1_3genE8ELNS1_11target_archE1030ELNS1_3gpuE2ELNS1_3repE0EEENS1_30default_config_static_selectorELNS0_4arch9wavefront6targetE0EEEvT1_,"axG",@progbits,_ZN7rocprim17ROCPRIM_400000_NS6detail17trampoline_kernelINS0_14default_configENS1_25partition_config_selectorILNS1_17partition_subalgoE9EjjbEEZZNS1_14partition_implILS5_9ELb0ES3_jN6thrust23THRUST_200600_302600_NS6detail15normal_iteratorINS9_10device_ptrIjEEEESE_PNS0_10empty_typeENS0_5tupleIJNS9_16discard_iteratorINS9_11use_defaultEEESF_EEENSH_IJSE_SG_EEENS0_18inequality_wrapperINS9_8equal_toIjEEEEPmJSF_EEE10hipError_tPvRmT3_T4_T5_T6_T7_T9_mT8_P12ihipStream_tbDpT10_ENKUlT_T0_E_clISt17integral_constantIbLb1EES1A_IbLb0EEEEDaS16_S17_EUlS16_E_NS1_11comp_targetILNS1_3genE8ELNS1_11target_archE1030ELNS1_3gpuE2ELNS1_3repE0EEENS1_30default_config_static_selectorELNS0_4arch9wavefront6targetE0EEEvT1_,comdat
.Lfunc_end876:
	.size	_ZN7rocprim17ROCPRIM_400000_NS6detail17trampoline_kernelINS0_14default_configENS1_25partition_config_selectorILNS1_17partition_subalgoE9EjjbEEZZNS1_14partition_implILS5_9ELb0ES3_jN6thrust23THRUST_200600_302600_NS6detail15normal_iteratorINS9_10device_ptrIjEEEESE_PNS0_10empty_typeENS0_5tupleIJNS9_16discard_iteratorINS9_11use_defaultEEESF_EEENSH_IJSE_SG_EEENS0_18inequality_wrapperINS9_8equal_toIjEEEEPmJSF_EEE10hipError_tPvRmT3_T4_T5_T6_T7_T9_mT8_P12ihipStream_tbDpT10_ENKUlT_T0_E_clISt17integral_constantIbLb1EES1A_IbLb0EEEEDaS16_S17_EUlS16_E_NS1_11comp_targetILNS1_3genE8ELNS1_11target_archE1030ELNS1_3gpuE2ELNS1_3repE0EEENS1_30default_config_static_selectorELNS0_4arch9wavefront6targetE0EEEvT1_, .Lfunc_end876-_ZN7rocprim17ROCPRIM_400000_NS6detail17trampoline_kernelINS0_14default_configENS1_25partition_config_selectorILNS1_17partition_subalgoE9EjjbEEZZNS1_14partition_implILS5_9ELb0ES3_jN6thrust23THRUST_200600_302600_NS6detail15normal_iteratorINS9_10device_ptrIjEEEESE_PNS0_10empty_typeENS0_5tupleIJNS9_16discard_iteratorINS9_11use_defaultEEESF_EEENSH_IJSE_SG_EEENS0_18inequality_wrapperINS9_8equal_toIjEEEEPmJSF_EEE10hipError_tPvRmT3_T4_T5_T6_T7_T9_mT8_P12ihipStream_tbDpT10_ENKUlT_T0_E_clISt17integral_constantIbLb1EES1A_IbLb0EEEEDaS16_S17_EUlS16_E_NS1_11comp_targetILNS1_3genE8ELNS1_11target_archE1030ELNS1_3gpuE2ELNS1_3repE0EEENS1_30default_config_static_selectorELNS0_4arch9wavefront6targetE0EEEvT1_
                                        ; -- End function
	.section	.AMDGPU.csdata,"",@progbits
; Kernel info:
; codeLenInByte = 0
; NumSgprs: 0
; NumVgprs: 0
; ScratchSize: 0
; MemoryBound: 0
; FloatMode: 240
; IeeeMode: 1
; LDSByteSize: 0 bytes/workgroup (compile time only)
; SGPRBlocks: 0
; VGPRBlocks: 0
; NumSGPRsForWavesPerEU: 1
; NumVGPRsForWavesPerEU: 1
; Occupancy: 16
; WaveLimiterHint : 0
; COMPUTE_PGM_RSRC2:SCRATCH_EN: 0
; COMPUTE_PGM_RSRC2:USER_SGPR: 15
; COMPUTE_PGM_RSRC2:TRAP_HANDLER: 0
; COMPUTE_PGM_RSRC2:TGID_X_EN: 1
; COMPUTE_PGM_RSRC2:TGID_Y_EN: 0
; COMPUTE_PGM_RSRC2:TGID_Z_EN: 0
; COMPUTE_PGM_RSRC2:TIDIG_COMP_CNT: 0
	.section	.text._ZN7rocprim17ROCPRIM_400000_NS6detail17trampoline_kernelINS0_14default_configENS1_25partition_config_selectorILNS1_17partition_subalgoE9EjjbEEZZNS1_14partition_implILS5_9ELb0ES3_jN6thrust23THRUST_200600_302600_NS6detail15normal_iteratorINS9_10device_ptrIjEEEESE_PNS0_10empty_typeENS0_5tupleIJNS9_16discard_iteratorINS9_11use_defaultEEESF_EEENSH_IJSE_SG_EEENS0_18inequality_wrapperINS9_8equal_toIjEEEEPmJSF_EEE10hipError_tPvRmT3_T4_T5_T6_T7_T9_mT8_P12ihipStream_tbDpT10_ENKUlT_T0_E_clISt17integral_constantIbLb0EES1A_IbLb1EEEEDaS16_S17_EUlS16_E_NS1_11comp_targetILNS1_3genE0ELNS1_11target_archE4294967295ELNS1_3gpuE0ELNS1_3repE0EEENS1_30default_config_static_selectorELNS0_4arch9wavefront6targetE0EEEvT1_,"axG",@progbits,_ZN7rocprim17ROCPRIM_400000_NS6detail17trampoline_kernelINS0_14default_configENS1_25partition_config_selectorILNS1_17partition_subalgoE9EjjbEEZZNS1_14partition_implILS5_9ELb0ES3_jN6thrust23THRUST_200600_302600_NS6detail15normal_iteratorINS9_10device_ptrIjEEEESE_PNS0_10empty_typeENS0_5tupleIJNS9_16discard_iteratorINS9_11use_defaultEEESF_EEENSH_IJSE_SG_EEENS0_18inequality_wrapperINS9_8equal_toIjEEEEPmJSF_EEE10hipError_tPvRmT3_T4_T5_T6_T7_T9_mT8_P12ihipStream_tbDpT10_ENKUlT_T0_E_clISt17integral_constantIbLb0EES1A_IbLb1EEEEDaS16_S17_EUlS16_E_NS1_11comp_targetILNS1_3genE0ELNS1_11target_archE4294967295ELNS1_3gpuE0ELNS1_3repE0EEENS1_30default_config_static_selectorELNS0_4arch9wavefront6targetE0EEEvT1_,comdat
	.protected	_ZN7rocprim17ROCPRIM_400000_NS6detail17trampoline_kernelINS0_14default_configENS1_25partition_config_selectorILNS1_17partition_subalgoE9EjjbEEZZNS1_14partition_implILS5_9ELb0ES3_jN6thrust23THRUST_200600_302600_NS6detail15normal_iteratorINS9_10device_ptrIjEEEESE_PNS0_10empty_typeENS0_5tupleIJNS9_16discard_iteratorINS9_11use_defaultEEESF_EEENSH_IJSE_SG_EEENS0_18inequality_wrapperINS9_8equal_toIjEEEEPmJSF_EEE10hipError_tPvRmT3_T4_T5_T6_T7_T9_mT8_P12ihipStream_tbDpT10_ENKUlT_T0_E_clISt17integral_constantIbLb0EES1A_IbLb1EEEEDaS16_S17_EUlS16_E_NS1_11comp_targetILNS1_3genE0ELNS1_11target_archE4294967295ELNS1_3gpuE0ELNS1_3repE0EEENS1_30default_config_static_selectorELNS0_4arch9wavefront6targetE0EEEvT1_ ; -- Begin function _ZN7rocprim17ROCPRIM_400000_NS6detail17trampoline_kernelINS0_14default_configENS1_25partition_config_selectorILNS1_17partition_subalgoE9EjjbEEZZNS1_14partition_implILS5_9ELb0ES3_jN6thrust23THRUST_200600_302600_NS6detail15normal_iteratorINS9_10device_ptrIjEEEESE_PNS0_10empty_typeENS0_5tupleIJNS9_16discard_iteratorINS9_11use_defaultEEESF_EEENSH_IJSE_SG_EEENS0_18inequality_wrapperINS9_8equal_toIjEEEEPmJSF_EEE10hipError_tPvRmT3_T4_T5_T6_T7_T9_mT8_P12ihipStream_tbDpT10_ENKUlT_T0_E_clISt17integral_constantIbLb0EES1A_IbLb1EEEEDaS16_S17_EUlS16_E_NS1_11comp_targetILNS1_3genE0ELNS1_11target_archE4294967295ELNS1_3gpuE0ELNS1_3repE0EEENS1_30default_config_static_selectorELNS0_4arch9wavefront6targetE0EEEvT1_
	.globl	_ZN7rocprim17ROCPRIM_400000_NS6detail17trampoline_kernelINS0_14default_configENS1_25partition_config_selectorILNS1_17partition_subalgoE9EjjbEEZZNS1_14partition_implILS5_9ELb0ES3_jN6thrust23THRUST_200600_302600_NS6detail15normal_iteratorINS9_10device_ptrIjEEEESE_PNS0_10empty_typeENS0_5tupleIJNS9_16discard_iteratorINS9_11use_defaultEEESF_EEENSH_IJSE_SG_EEENS0_18inequality_wrapperINS9_8equal_toIjEEEEPmJSF_EEE10hipError_tPvRmT3_T4_T5_T6_T7_T9_mT8_P12ihipStream_tbDpT10_ENKUlT_T0_E_clISt17integral_constantIbLb0EES1A_IbLb1EEEEDaS16_S17_EUlS16_E_NS1_11comp_targetILNS1_3genE0ELNS1_11target_archE4294967295ELNS1_3gpuE0ELNS1_3repE0EEENS1_30default_config_static_selectorELNS0_4arch9wavefront6targetE0EEEvT1_
	.p2align	8
	.type	_ZN7rocprim17ROCPRIM_400000_NS6detail17trampoline_kernelINS0_14default_configENS1_25partition_config_selectorILNS1_17partition_subalgoE9EjjbEEZZNS1_14partition_implILS5_9ELb0ES3_jN6thrust23THRUST_200600_302600_NS6detail15normal_iteratorINS9_10device_ptrIjEEEESE_PNS0_10empty_typeENS0_5tupleIJNS9_16discard_iteratorINS9_11use_defaultEEESF_EEENSH_IJSE_SG_EEENS0_18inequality_wrapperINS9_8equal_toIjEEEEPmJSF_EEE10hipError_tPvRmT3_T4_T5_T6_T7_T9_mT8_P12ihipStream_tbDpT10_ENKUlT_T0_E_clISt17integral_constantIbLb0EES1A_IbLb1EEEEDaS16_S17_EUlS16_E_NS1_11comp_targetILNS1_3genE0ELNS1_11target_archE4294967295ELNS1_3gpuE0ELNS1_3repE0EEENS1_30default_config_static_selectorELNS0_4arch9wavefront6targetE0EEEvT1_,@function
_ZN7rocprim17ROCPRIM_400000_NS6detail17trampoline_kernelINS0_14default_configENS1_25partition_config_selectorILNS1_17partition_subalgoE9EjjbEEZZNS1_14partition_implILS5_9ELb0ES3_jN6thrust23THRUST_200600_302600_NS6detail15normal_iteratorINS9_10device_ptrIjEEEESE_PNS0_10empty_typeENS0_5tupleIJNS9_16discard_iteratorINS9_11use_defaultEEESF_EEENSH_IJSE_SG_EEENS0_18inequality_wrapperINS9_8equal_toIjEEEEPmJSF_EEE10hipError_tPvRmT3_T4_T5_T6_T7_T9_mT8_P12ihipStream_tbDpT10_ENKUlT_T0_E_clISt17integral_constantIbLb0EES1A_IbLb1EEEEDaS16_S17_EUlS16_E_NS1_11comp_targetILNS1_3genE0ELNS1_11target_archE4294967295ELNS1_3gpuE0ELNS1_3repE0EEENS1_30default_config_static_selectorELNS0_4arch9wavefront6targetE0EEEvT1_: ; @_ZN7rocprim17ROCPRIM_400000_NS6detail17trampoline_kernelINS0_14default_configENS1_25partition_config_selectorILNS1_17partition_subalgoE9EjjbEEZZNS1_14partition_implILS5_9ELb0ES3_jN6thrust23THRUST_200600_302600_NS6detail15normal_iteratorINS9_10device_ptrIjEEEESE_PNS0_10empty_typeENS0_5tupleIJNS9_16discard_iteratorINS9_11use_defaultEEESF_EEENSH_IJSE_SG_EEENS0_18inequality_wrapperINS9_8equal_toIjEEEEPmJSF_EEE10hipError_tPvRmT3_T4_T5_T6_T7_T9_mT8_P12ihipStream_tbDpT10_ENKUlT_T0_E_clISt17integral_constantIbLb0EES1A_IbLb1EEEEDaS16_S17_EUlS16_E_NS1_11comp_targetILNS1_3genE0ELNS1_11target_archE4294967295ELNS1_3gpuE0ELNS1_3repE0EEENS1_30default_config_static_selectorELNS0_4arch9wavefront6targetE0EEEvT1_
; %bb.0:
	.section	.rodata,"a",@progbits
	.p2align	6, 0x0
	.amdhsa_kernel _ZN7rocprim17ROCPRIM_400000_NS6detail17trampoline_kernelINS0_14default_configENS1_25partition_config_selectorILNS1_17partition_subalgoE9EjjbEEZZNS1_14partition_implILS5_9ELb0ES3_jN6thrust23THRUST_200600_302600_NS6detail15normal_iteratorINS9_10device_ptrIjEEEESE_PNS0_10empty_typeENS0_5tupleIJNS9_16discard_iteratorINS9_11use_defaultEEESF_EEENSH_IJSE_SG_EEENS0_18inequality_wrapperINS9_8equal_toIjEEEEPmJSF_EEE10hipError_tPvRmT3_T4_T5_T6_T7_T9_mT8_P12ihipStream_tbDpT10_ENKUlT_T0_E_clISt17integral_constantIbLb0EES1A_IbLb1EEEEDaS16_S17_EUlS16_E_NS1_11comp_targetILNS1_3genE0ELNS1_11target_archE4294967295ELNS1_3gpuE0ELNS1_3repE0EEENS1_30default_config_static_selectorELNS0_4arch9wavefront6targetE0EEEvT1_
		.amdhsa_group_segment_fixed_size 0
		.amdhsa_private_segment_fixed_size 0
		.amdhsa_kernarg_size 136
		.amdhsa_user_sgpr_count 15
		.amdhsa_user_sgpr_dispatch_ptr 0
		.amdhsa_user_sgpr_queue_ptr 0
		.amdhsa_user_sgpr_kernarg_segment_ptr 1
		.amdhsa_user_sgpr_dispatch_id 0
		.amdhsa_user_sgpr_private_segment_size 0
		.amdhsa_wavefront_size32 1
		.amdhsa_uses_dynamic_stack 0
		.amdhsa_enable_private_segment 0
		.amdhsa_system_sgpr_workgroup_id_x 1
		.amdhsa_system_sgpr_workgroup_id_y 0
		.amdhsa_system_sgpr_workgroup_id_z 0
		.amdhsa_system_sgpr_workgroup_info 0
		.amdhsa_system_vgpr_workitem_id 0
		.amdhsa_next_free_vgpr 1
		.amdhsa_next_free_sgpr 1
		.amdhsa_reserve_vcc 0
		.amdhsa_float_round_mode_32 0
		.amdhsa_float_round_mode_16_64 0
		.amdhsa_float_denorm_mode_32 3
		.amdhsa_float_denorm_mode_16_64 3
		.amdhsa_dx10_clamp 1
		.amdhsa_ieee_mode 1
		.amdhsa_fp16_overflow 0
		.amdhsa_workgroup_processor_mode 1
		.amdhsa_memory_ordered 1
		.amdhsa_forward_progress 0
		.amdhsa_shared_vgpr_count 0
		.amdhsa_exception_fp_ieee_invalid_op 0
		.amdhsa_exception_fp_denorm_src 0
		.amdhsa_exception_fp_ieee_div_zero 0
		.amdhsa_exception_fp_ieee_overflow 0
		.amdhsa_exception_fp_ieee_underflow 0
		.amdhsa_exception_fp_ieee_inexact 0
		.amdhsa_exception_int_div_zero 0
	.end_amdhsa_kernel
	.section	.text._ZN7rocprim17ROCPRIM_400000_NS6detail17trampoline_kernelINS0_14default_configENS1_25partition_config_selectorILNS1_17partition_subalgoE9EjjbEEZZNS1_14partition_implILS5_9ELb0ES3_jN6thrust23THRUST_200600_302600_NS6detail15normal_iteratorINS9_10device_ptrIjEEEESE_PNS0_10empty_typeENS0_5tupleIJNS9_16discard_iteratorINS9_11use_defaultEEESF_EEENSH_IJSE_SG_EEENS0_18inequality_wrapperINS9_8equal_toIjEEEEPmJSF_EEE10hipError_tPvRmT3_T4_T5_T6_T7_T9_mT8_P12ihipStream_tbDpT10_ENKUlT_T0_E_clISt17integral_constantIbLb0EES1A_IbLb1EEEEDaS16_S17_EUlS16_E_NS1_11comp_targetILNS1_3genE0ELNS1_11target_archE4294967295ELNS1_3gpuE0ELNS1_3repE0EEENS1_30default_config_static_selectorELNS0_4arch9wavefront6targetE0EEEvT1_,"axG",@progbits,_ZN7rocprim17ROCPRIM_400000_NS6detail17trampoline_kernelINS0_14default_configENS1_25partition_config_selectorILNS1_17partition_subalgoE9EjjbEEZZNS1_14partition_implILS5_9ELb0ES3_jN6thrust23THRUST_200600_302600_NS6detail15normal_iteratorINS9_10device_ptrIjEEEESE_PNS0_10empty_typeENS0_5tupleIJNS9_16discard_iteratorINS9_11use_defaultEEESF_EEENSH_IJSE_SG_EEENS0_18inequality_wrapperINS9_8equal_toIjEEEEPmJSF_EEE10hipError_tPvRmT3_T4_T5_T6_T7_T9_mT8_P12ihipStream_tbDpT10_ENKUlT_T0_E_clISt17integral_constantIbLb0EES1A_IbLb1EEEEDaS16_S17_EUlS16_E_NS1_11comp_targetILNS1_3genE0ELNS1_11target_archE4294967295ELNS1_3gpuE0ELNS1_3repE0EEENS1_30default_config_static_selectorELNS0_4arch9wavefront6targetE0EEEvT1_,comdat
.Lfunc_end877:
	.size	_ZN7rocprim17ROCPRIM_400000_NS6detail17trampoline_kernelINS0_14default_configENS1_25partition_config_selectorILNS1_17partition_subalgoE9EjjbEEZZNS1_14partition_implILS5_9ELb0ES3_jN6thrust23THRUST_200600_302600_NS6detail15normal_iteratorINS9_10device_ptrIjEEEESE_PNS0_10empty_typeENS0_5tupleIJNS9_16discard_iteratorINS9_11use_defaultEEESF_EEENSH_IJSE_SG_EEENS0_18inequality_wrapperINS9_8equal_toIjEEEEPmJSF_EEE10hipError_tPvRmT3_T4_T5_T6_T7_T9_mT8_P12ihipStream_tbDpT10_ENKUlT_T0_E_clISt17integral_constantIbLb0EES1A_IbLb1EEEEDaS16_S17_EUlS16_E_NS1_11comp_targetILNS1_3genE0ELNS1_11target_archE4294967295ELNS1_3gpuE0ELNS1_3repE0EEENS1_30default_config_static_selectorELNS0_4arch9wavefront6targetE0EEEvT1_, .Lfunc_end877-_ZN7rocprim17ROCPRIM_400000_NS6detail17trampoline_kernelINS0_14default_configENS1_25partition_config_selectorILNS1_17partition_subalgoE9EjjbEEZZNS1_14partition_implILS5_9ELb0ES3_jN6thrust23THRUST_200600_302600_NS6detail15normal_iteratorINS9_10device_ptrIjEEEESE_PNS0_10empty_typeENS0_5tupleIJNS9_16discard_iteratorINS9_11use_defaultEEESF_EEENSH_IJSE_SG_EEENS0_18inequality_wrapperINS9_8equal_toIjEEEEPmJSF_EEE10hipError_tPvRmT3_T4_T5_T6_T7_T9_mT8_P12ihipStream_tbDpT10_ENKUlT_T0_E_clISt17integral_constantIbLb0EES1A_IbLb1EEEEDaS16_S17_EUlS16_E_NS1_11comp_targetILNS1_3genE0ELNS1_11target_archE4294967295ELNS1_3gpuE0ELNS1_3repE0EEENS1_30default_config_static_selectorELNS0_4arch9wavefront6targetE0EEEvT1_
                                        ; -- End function
	.section	.AMDGPU.csdata,"",@progbits
; Kernel info:
; codeLenInByte = 0
; NumSgprs: 0
; NumVgprs: 0
; ScratchSize: 0
; MemoryBound: 0
; FloatMode: 240
; IeeeMode: 1
; LDSByteSize: 0 bytes/workgroup (compile time only)
; SGPRBlocks: 0
; VGPRBlocks: 0
; NumSGPRsForWavesPerEU: 1
; NumVGPRsForWavesPerEU: 1
; Occupancy: 16
; WaveLimiterHint : 0
; COMPUTE_PGM_RSRC2:SCRATCH_EN: 0
; COMPUTE_PGM_RSRC2:USER_SGPR: 15
; COMPUTE_PGM_RSRC2:TRAP_HANDLER: 0
; COMPUTE_PGM_RSRC2:TGID_X_EN: 1
; COMPUTE_PGM_RSRC2:TGID_Y_EN: 0
; COMPUTE_PGM_RSRC2:TGID_Z_EN: 0
; COMPUTE_PGM_RSRC2:TIDIG_COMP_CNT: 0
	.section	.text._ZN7rocprim17ROCPRIM_400000_NS6detail17trampoline_kernelINS0_14default_configENS1_25partition_config_selectorILNS1_17partition_subalgoE9EjjbEEZZNS1_14partition_implILS5_9ELb0ES3_jN6thrust23THRUST_200600_302600_NS6detail15normal_iteratorINS9_10device_ptrIjEEEESE_PNS0_10empty_typeENS0_5tupleIJNS9_16discard_iteratorINS9_11use_defaultEEESF_EEENSH_IJSE_SG_EEENS0_18inequality_wrapperINS9_8equal_toIjEEEEPmJSF_EEE10hipError_tPvRmT3_T4_T5_T6_T7_T9_mT8_P12ihipStream_tbDpT10_ENKUlT_T0_E_clISt17integral_constantIbLb0EES1A_IbLb1EEEEDaS16_S17_EUlS16_E_NS1_11comp_targetILNS1_3genE5ELNS1_11target_archE942ELNS1_3gpuE9ELNS1_3repE0EEENS1_30default_config_static_selectorELNS0_4arch9wavefront6targetE0EEEvT1_,"axG",@progbits,_ZN7rocprim17ROCPRIM_400000_NS6detail17trampoline_kernelINS0_14default_configENS1_25partition_config_selectorILNS1_17partition_subalgoE9EjjbEEZZNS1_14partition_implILS5_9ELb0ES3_jN6thrust23THRUST_200600_302600_NS6detail15normal_iteratorINS9_10device_ptrIjEEEESE_PNS0_10empty_typeENS0_5tupleIJNS9_16discard_iteratorINS9_11use_defaultEEESF_EEENSH_IJSE_SG_EEENS0_18inequality_wrapperINS9_8equal_toIjEEEEPmJSF_EEE10hipError_tPvRmT3_T4_T5_T6_T7_T9_mT8_P12ihipStream_tbDpT10_ENKUlT_T0_E_clISt17integral_constantIbLb0EES1A_IbLb1EEEEDaS16_S17_EUlS16_E_NS1_11comp_targetILNS1_3genE5ELNS1_11target_archE942ELNS1_3gpuE9ELNS1_3repE0EEENS1_30default_config_static_selectorELNS0_4arch9wavefront6targetE0EEEvT1_,comdat
	.protected	_ZN7rocprim17ROCPRIM_400000_NS6detail17trampoline_kernelINS0_14default_configENS1_25partition_config_selectorILNS1_17partition_subalgoE9EjjbEEZZNS1_14partition_implILS5_9ELb0ES3_jN6thrust23THRUST_200600_302600_NS6detail15normal_iteratorINS9_10device_ptrIjEEEESE_PNS0_10empty_typeENS0_5tupleIJNS9_16discard_iteratorINS9_11use_defaultEEESF_EEENSH_IJSE_SG_EEENS0_18inequality_wrapperINS9_8equal_toIjEEEEPmJSF_EEE10hipError_tPvRmT3_T4_T5_T6_T7_T9_mT8_P12ihipStream_tbDpT10_ENKUlT_T0_E_clISt17integral_constantIbLb0EES1A_IbLb1EEEEDaS16_S17_EUlS16_E_NS1_11comp_targetILNS1_3genE5ELNS1_11target_archE942ELNS1_3gpuE9ELNS1_3repE0EEENS1_30default_config_static_selectorELNS0_4arch9wavefront6targetE0EEEvT1_ ; -- Begin function _ZN7rocprim17ROCPRIM_400000_NS6detail17trampoline_kernelINS0_14default_configENS1_25partition_config_selectorILNS1_17partition_subalgoE9EjjbEEZZNS1_14partition_implILS5_9ELb0ES3_jN6thrust23THRUST_200600_302600_NS6detail15normal_iteratorINS9_10device_ptrIjEEEESE_PNS0_10empty_typeENS0_5tupleIJNS9_16discard_iteratorINS9_11use_defaultEEESF_EEENSH_IJSE_SG_EEENS0_18inequality_wrapperINS9_8equal_toIjEEEEPmJSF_EEE10hipError_tPvRmT3_T4_T5_T6_T7_T9_mT8_P12ihipStream_tbDpT10_ENKUlT_T0_E_clISt17integral_constantIbLb0EES1A_IbLb1EEEEDaS16_S17_EUlS16_E_NS1_11comp_targetILNS1_3genE5ELNS1_11target_archE942ELNS1_3gpuE9ELNS1_3repE0EEENS1_30default_config_static_selectorELNS0_4arch9wavefront6targetE0EEEvT1_
	.globl	_ZN7rocprim17ROCPRIM_400000_NS6detail17trampoline_kernelINS0_14default_configENS1_25partition_config_selectorILNS1_17partition_subalgoE9EjjbEEZZNS1_14partition_implILS5_9ELb0ES3_jN6thrust23THRUST_200600_302600_NS6detail15normal_iteratorINS9_10device_ptrIjEEEESE_PNS0_10empty_typeENS0_5tupleIJNS9_16discard_iteratorINS9_11use_defaultEEESF_EEENSH_IJSE_SG_EEENS0_18inequality_wrapperINS9_8equal_toIjEEEEPmJSF_EEE10hipError_tPvRmT3_T4_T5_T6_T7_T9_mT8_P12ihipStream_tbDpT10_ENKUlT_T0_E_clISt17integral_constantIbLb0EES1A_IbLb1EEEEDaS16_S17_EUlS16_E_NS1_11comp_targetILNS1_3genE5ELNS1_11target_archE942ELNS1_3gpuE9ELNS1_3repE0EEENS1_30default_config_static_selectorELNS0_4arch9wavefront6targetE0EEEvT1_
	.p2align	8
	.type	_ZN7rocprim17ROCPRIM_400000_NS6detail17trampoline_kernelINS0_14default_configENS1_25partition_config_selectorILNS1_17partition_subalgoE9EjjbEEZZNS1_14partition_implILS5_9ELb0ES3_jN6thrust23THRUST_200600_302600_NS6detail15normal_iteratorINS9_10device_ptrIjEEEESE_PNS0_10empty_typeENS0_5tupleIJNS9_16discard_iteratorINS9_11use_defaultEEESF_EEENSH_IJSE_SG_EEENS0_18inequality_wrapperINS9_8equal_toIjEEEEPmJSF_EEE10hipError_tPvRmT3_T4_T5_T6_T7_T9_mT8_P12ihipStream_tbDpT10_ENKUlT_T0_E_clISt17integral_constantIbLb0EES1A_IbLb1EEEEDaS16_S17_EUlS16_E_NS1_11comp_targetILNS1_3genE5ELNS1_11target_archE942ELNS1_3gpuE9ELNS1_3repE0EEENS1_30default_config_static_selectorELNS0_4arch9wavefront6targetE0EEEvT1_,@function
_ZN7rocprim17ROCPRIM_400000_NS6detail17trampoline_kernelINS0_14default_configENS1_25partition_config_selectorILNS1_17partition_subalgoE9EjjbEEZZNS1_14partition_implILS5_9ELb0ES3_jN6thrust23THRUST_200600_302600_NS6detail15normal_iteratorINS9_10device_ptrIjEEEESE_PNS0_10empty_typeENS0_5tupleIJNS9_16discard_iteratorINS9_11use_defaultEEESF_EEENSH_IJSE_SG_EEENS0_18inequality_wrapperINS9_8equal_toIjEEEEPmJSF_EEE10hipError_tPvRmT3_T4_T5_T6_T7_T9_mT8_P12ihipStream_tbDpT10_ENKUlT_T0_E_clISt17integral_constantIbLb0EES1A_IbLb1EEEEDaS16_S17_EUlS16_E_NS1_11comp_targetILNS1_3genE5ELNS1_11target_archE942ELNS1_3gpuE9ELNS1_3repE0EEENS1_30default_config_static_selectorELNS0_4arch9wavefront6targetE0EEEvT1_: ; @_ZN7rocprim17ROCPRIM_400000_NS6detail17trampoline_kernelINS0_14default_configENS1_25partition_config_selectorILNS1_17partition_subalgoE9EjjbEEZZNS1_14partition_implILS5_9ELb0ES3_jN6thrust23THRUST_200600_302600_NS6detail15normal_iteratorINS9_10device_ptrIjEEEESE_PNS0_10empty_typeENS0_5tupleIJNS9_16discard_iteratorINS9_11use_defaultEEESF_EEENSH_IJSE_SG_EEENS0_18inequality_wrapperINS9_8equal_toIjEEEEPmJSF_EEE10hipError_tPvRmT3_T4_T5_T6_T7_T9_mT8_P12ihipStream_tbDpT10_ENKUlT_T0_E_clISt17integral_constantIbLb0EES1A_IbLb1EEEEDaS16_S17_EUlS16_E_NS1_11comp_targetILNS1_3genE5ELNS1_11target_archE942ELNS1_3gpuE9ELNS1_3repE0EEENS1_30default_config_static_selectorELNS0_4arch9wavefront6targetE0EEEvT1_
; %bb.0:
	.section	.rodata,"a",@progbits
	.p2align	6, 0x0
	.amdhsa_kernel _ZN7rocprim17ROCPRIM_400000_NS6detail17trampoline_kernelINS0_14default_configENS1_25partition_config_selectorILNS1_17partition_subalgoE9EjjbEEZZNS1_14partition_implILS5_9ELb0ES3_jN6thrust23THRUST_200600_302600_NS6detail15normal_iteratorINS9_10device_ptrIjEEEESE_PNS0_10empty_typeENS0_5tupleIJNS9_16discard_iteratorINS9_11use_defaultEEESF_EEENSH_IJSE_SG_EEENS0_18inequality_wrapperINS9_8equal_toIjEEEEPmJSF_EEE10hipError_tPvRmT3_T4_T5_T6_T7_T9_mT8_P12ihipStream_tbDpT10_ENKUlT_T0_E_clISt17integral_constantIbLb0EES1A_IbLb1EEEEDaS16_S17_EUlS16_E_NS1_11comp_targetILNS1_3genE5ELNS1_11target_archE942ELNS1_3gpuE9ELNS1_3repE0EEENS1_30default_config_static_selectorELNS0_4arch9wavefront6targetE0EEEvT1_
		.amdhsa_group_segment_fixed_size 0
		.amdhsa_private_segment_fixed_size 0
		.amdhsa_kernarg_size 136
		.amdhsa_user_sgpr_count 15
		.amdhsa_user_sgpr_dispatch_ptr 0
		.amdhsa_user_sgpr_queue_ptr 0
		.amdhsa_user_sgpr_kernarg_segment_ptr 1
		.amdhsa_user_sgpr_dispatch_id 0
		.amdhsa_user_sgpr_private_segment_size 0
		.amdhsa_wavefront_size32 1
		.amdhsa_uses_dynamic_stack 0
		.amdhsa_enable_private_segment 0
		.amdhsa_system_sgpr_workgroup_id_x 1
		.amdhsa_system_sgpr_workgroup_id_y 0
		.amdhsa_system_sgpr_workgroup_id_z 0
		.amdhsa_system_sgpr_workgroup_info 0
		.amdhsa_system_vgpr_workitem_id 0
		.amdhsa_next_free_vgpr 1
		.amdhsa_next_free_sgpr 1
		.amdhsa_reserve_vcc 0
		.amdhsa_float_round_mode_32 0
		.amdhsa_float_round_mode_16_64 0
		.amdhsa_float_denorm_mode_32 3
		.amdhsa_float_denorm_mode_16_64 3
		.amdhsa_dx10_clamp 1
		.amdhsa_ieee_mode 1
		.amdhsa_fp16_overflow 0
		.amdhsa_workgroup_processor_mode 1
		.amdhsa_memory_ordered 1
		.amdhsa_forward_progress 0
		.amdhsa_shared_vgpr_count 0
		.amdhsa_exception_fp_ieee_invalid_op 0
		.amdhsa_exception_fp_denorm_src 0
		.amdhsa_exception_fp_ieee_div_zero 0
		.amdhsa_exception_fp_ieee_overflow 0
		.amdhsa_exception_fp_ieee_underflow 0
		.amdhsa_exception_fp_ieee_inexact 0
		.amdhsa_exception_int_div_zero 0
	.end_amdhsa_kernel
	.section	.text._ZN7rocprim17ROCPRIM_400000_NS6detail17trampoline_kernelINS0_14default_configENS1_25partition_config_selectorILNS1_17partition_subalgoE9EjjbEEZZNS1_14partition_implILS5_9ELb0ES3_jN6thrust23THRUST_200600_302600_NS6detail15normal_iteratorINS9_10device_ptrIjEEEESE_PNS0_10empty_typeENS0_5tupleIJNS9_16discard_iteratorINS9_11use_defaultEEESF_EEENSH_IJSE_SG_EEENS0_18inequality_wrapperINS9_8equal_toIjEEEEPmJSF_EEE10hipError_tPvRmT3_T4_T5_T6_T7_T9_mT8_P12ihipStream_tbDpT10_ENKUlT_T0_E_clISt17integral_constantIbLb0EES1A_IbLb1EEEEDaS16_S17_EUlS16_E_NS1_11comp_targetILNS1_3genE5ELNS1_11target_archE942ELNS1_3gpuE9ELNS1_3repE0EEENS1_30default_config_static_selectorELNS0_4arch9wavefront6targetE0EEEvT1_,"axG",@progbits,_ZN7rocprim17ROCPRIM_400000_NS6detail17trampoline_kernelINS0_14default_configENS1_25partition_config_selectorILNS1_17partition_subalgoE9EjjbEEZZNS1_14partition_implILS5_9ELb0ES3_jN6thrust23THRUST_200600_302600_NS6detail15normal_iteratorINS9_10device_ptrIjEEEESE_PNS0_10empty_typeENS0_5tupleIJNS9_16discard_iteratorINS9_11use_defaultEEESF_EEENSH_IJSE_SG_EEENS0_18inequality_wrapperINS9_8equal_toIjEEEEPmJSF_EEE10hipError_tPvRmT3_T4_T5_T6_T7_T9_mT8_P12ihipStream_tbDpT10_ENKUlT_T0_E_clISt17integral_constantIbLb0EES1A_IbLb1EEEEDaS16_S17_EUlS16_E_NS1_11comp_targetILNS1_3genE5ELNS1_11target_archE942ELNS1_3gpuE9ELNS1_3repE0EEENS1_30default_config_static_selectorELNS0_4arch9wavefront6targetE0EEEvT1_,comdat
.Lfunc_end878:
	.size	_ZN7rocprim17ROCPRIM_400000_NS6detail17trampoline_kernelINS0_14default_configENS1_25partition_config_selectorILNS1_17partition_subalgoE9EjjbEEZZNS1_14partition_implILS5_9ELb0ES3_jN6thrust23THRUST_200600_302600_NS6detail15normal_iteratorINS9_10device_ptrIjEEEESE_PNS0_10empty_typeENS0_5tupleIJNS9_16discard_iteratorINS9_11use_defaultEEESF_EEENSH_IJSE_SG_EEENS0_18inequality_wrapperINS9_8equal_toIjEEEEPmJSF_EEE10hipError_tPvRmT3_T4_T5_T6_T7_T9_mT8_P12ihipStream_tbDpT10_ENKUlT_T0_E_clISt17integral_constantIbLb0EES1A_IbLb1EEEEDaS16_S17_EUlS16_E_NS1_11comp_targetILNS1_3genE5ELNS1_11target_archE942ELNS1_3gpuE9ELNS1_3repE0EEENS1_30default_config_static_selectorELNS0_4arch9wavefront6targetE0EEEvT1_, .Lfunc_end878-_ZN7rocprim17ROCPRIM_400000_NS6detail17trampoline_kernelINS0_14default_configENS1_25partition_config_selectorILNS1_17partition_subalgoE9EjjbEEZZNS1_14partition_implILS5_9ELb0ES3_jN6thrust23THRUST_200600_302600_NS6detail15normal_iteratorINS9_10device_ptrIjEEEESE_PNS0_10empty_typeENS0_5tupleIJNS9_16discard_iteratorINS9_11use_defaultEEESF_EEENSH_IJSE_SG_EEENS0_18inequality_wrapperINS9_8equal_toIjEEEEPmJSF_EEE10hipError_tPvRmT3_T4_T5_T6_T7_T9_mT8_P12ihipStream_tbDpT10_ENKUlT_T0_E_clISt17integral_constantIbLb0EES1A_IbLb1EEEEDaS16_S17_EUlS16_E_NS1_11comp_targetILNS1_3genE5ELNS1_11target_archE942ELNS1_3gpuE9ELNS1_3repE0EEENS1_30default_config_static_selectorELNS0_4arch9wavefront6targetE0EEEvT1_
                                        ; -- End function
	.section	.AMDGPU.csdata,"",@progbits
; Kernel info:
; codeLenInByte = 0
; NumSgprs: 0
; NumVgprs: 0
; ScratchSize: 0
; MemoryBound: 0
; FloatMode: 240
; IeeeMode: 1
; LDSByteSize: 0 bytes/workgroup (compile time only)
; SGPRBlocks: 0
; VGPRBlocks: 0
; NumSGPRsForWavesPerEU: 1
; NumVGPRsForWavesPerEU: 1
; Occupancy: 16
; WaveLimiterHint : 0
; COMPUTE_PGM_RSRC2:SCRATCH_EN: 0
; COMPUTE_PGM_RSRC2:USER_SGPR: 15
; COMPUTE_PGM_RSRC2:TRAP_HANDLER: 0
; COMPUTE_PGM_RSRC2:TGID_X_EN: 1
; COMPUTE_PGM_RSRC2:TGID_Y_EN: 0
; COMPUTE_PGM_RSRC2:TGID_Z_EN: 0
; COMPUTE_PGM_RSRC2:TIDIG_COMP_CNT: 0
	.section	.text._ZN7rocprim17ROCPRIM_400000_NS6detail17trampoline_kernelINS0_14default_configENS1_25partition_config_selectorILNS1_17partition_subalgoE9EjjbEEZZNS1_14partition_implILS5_9ELb0ES3_jN6thrust23THRUST_200600_302600_NS6detail15normal_iteratorINS9_10device_ptrIjEEEESE_PNS0_10empty_typeENS0_5tupleIJNS9_16discard_iteratorINS9_11use_defaultEEESF_EEENSH_IJSE_SG_EEENS0_18inequality_wrapperINS9_8equal_toIjEEEEPmJSF_EEE10hipError_tPvRmT3_T4_T5_T6_T7_T9_mT8_P12ihipStream_tbDpT10_ENKUlT_T0_E_clISt17integral_constantIbLb0EES1A_IbLb1EEEEDaS16_S17_EUlS16_E_NS1_11comp_targetILNS1_3genE4ELNS1_11target_archE910ELNS1_3gpuE8ELNS1_3repE0EEENS1_30default_config_static_selectorELNS0_4arch9wavefront6targetE0EEEvT1_,"axG",@progbits,_ZN7rocprim17ROCPRIM_400000_NS6detail17trampoline_kernelINS0_14default_configENS1_25partition_config_selectorILNS1_17partition_subalgoE9EjjbEEZZNS1_14partition_implILS5_9ELb0ES3_jN6thrust23THRUST_200600_302600_NS6detail15normal_iteratorINS9_10device_ptrIjEEEESE_PNS0_10empty_typeENS0_5tupleIJNS9_16discard_iteratorINS9_11use_defaultEEESF_EEENSH_IJSE_SG_EEENS0_18inequality_wrapperINS9_8equal_toIjEEEEPmJSF_EEE10hipError_tPvRmT3_T4_T5_T6_T7_T9_mT8_P12ihipStream_tbDpT10_ENKUlT_T0_E_clISt17integral_constantIbLb0EES1A_IbLb1EEEEDaS16_S17_EUlS16_E_NS1_11comp_targetILNS1_3genE4ELNS1_11target_archE910ELNS1_3gpuE8ELNS1_3repE0EEENS1_30default_config_static_selectorELNS0_4arch9wavefront6targetE0EEEvT1_,comdat
	.protected	_ZN7rocprim17ROCPRIM_400000_NS6detail17trampoline_kernelINS0_14default_configENS1_25partition_config_selectorILNS1_17partition_subalgoE9EjjbEEZZNS1_14partition_implILS5_9ELb0ES3_jN6thrust23THRUST_200600_302600_NS6detail15normal_iteratorINS9_10device_ptrIjEEEESE_PNS0_10empty_typeENS0_5tupleIJNS9_16discard_iteratorINS9_11use_defaultEEESF_EEENSH_IJSE_SG_EEENS0_18inequality_wrapperINS9_8equal_toIjEEEEPmJSF_EEE10hipError_tPvRmT3_T4_T5_T6_T7_T9_mT8_P12ihipStream_tbDpT10_ENKUlT_T0_E_clISt17integral_constantIbLb0EES1A_IbLb1EEEEDaS16_S17_EUlS16_E_NS1_11comp_targetILNS1_3genE4ELNS1_11target_archE910ELNS1_3gpuE8ELNS1_3repE0EEENS1_30default_config_static_selectorELNS0_4arch9wavefront6targetE0EEEvT1_ ; -- Begin function _ZN7rocprim17ROCPRIM_400000_NS6detail17trampoline_kernelINS0_14default_configENS1_25partition_config_selectorILNS1_17partition_subalgoE9EjjbEEZZNS1_14partition_implILS5_9ELb0ES3_jN6thrust23THRUST_200600_302600_NS6detail15normal_iteratorINS9_10device_ptrIjEEEESE_PNS0_10empty_typeENS0_5tupleIJNS9_16discard_iteratorINS9_11use_defaultEEESF_EEENSH_IJSE_SG_EEENS0_18inequality_wrapperINS9_8equal_toIjEEEEPmJSF_EEE10hipError_tPvRmT3_T4_T5_T6_T7_T9_mT8_P12ihipStream_tbDpT10_ENKUlT_T0_E_clISt17integral_constantIbLb0EES1A_IbLb1EEEEDaS16_S17_EUlS16_E_NS1_11comp_targetILNS1_3genE4ELNS1_11target_archE910ELNS1_3gpuE8ELNS1_3repE0EEENS1_30default_config_static_selectorELNS0_4arch9wavefront6targetE0EEEvT1_
	.globl	_ZN7rocprim17ROCPRIM_400000_NS6detail17trampoline_kernelINS0_14default_configENS1_25partition_config_selectorILNS1_17partition_subalgoE9EjjbEEZZNS1_14partition_implILS5_9ELb0ES3_jN6thrust23THRUST_200600_302600_NS6detail15normal_iteratorINS9_10device_ptrIjEEEESE_PNS0_10empty_typeENS0_5tupleIJNS9_16discard_iteratorINS9_11use_defaultEEESF_EEENSH_IJSE_SG_EEENS0_18inequality_wrapperINS9_8equal_toIjEEEEPmJSF_EEE10hipError_tPvRmT3_T4_T5_T6_T7_T9_mT8_P12ihipStream_tbDpT10_ENKUlT_T0_E_clISt17integral_constantIbLb0EES1A_IbLb1EEEEDaS16_S17_EUlS16_E_NS1_11comp_targetILNS1_3genE4ELNS1_11target_archE910ELNS1_3gpuE8ELNS1_3repE0EEENS1_30default_config_static_selectorELNS0_4arch9wavefront6targetE0EEEvT1_
	.p2align	8
	.type	_ZN7rocprim17ROCPRIM_400000_NS6detail17trampoline_kernelINS0_14default_configENS1_25partition_config_selectorILNS1_17partition_subalgoE9EjjbEEZZNS1_14partition_implILS5_9ELb0ES3_jN6thrust23THRUST_200600_302600_NS6detail15normal_iteratorINS9_10device_ptrIjEEEESE_PNS0_10empty_typeENS0_5tupleIJNS9_16discard_iteratorINS9_11use_defaultEEESF_EEENSH_IJSE_SG_EEENS0_18inequality_wrapperINS9_8equal_toIjEEEEPmJSF_EEE10hipError_tPvRmT3_T4_T5_T6_T7_T9_mT8_P12ihipStream_tbDpT10_ENKUlT_T0_E_clISt17integral_constantIbLb0EES1A_IbLb1EEEEDaS16_S17_EUlS16_E_NS1_11comp_targetILNS1_3genE4ELNS1_11target_archE910ELNS1_3gpuE8ELNS1_3repE0EEENS1_30default_config_static_selectorELNS0_4arch9wavefront6targetE0EEEvT1_,@function
_ZN7rocprim17ROCPRIM_400000_NS6detail17trampoline_kernelINS0_14default_configENS1_25partition_config_selectorILNS1_17partition_subalgoE9EjjbEEZZNS1_14partition_implILS5_9ELb0ES3_jN6thrust23THRUST_200600_302600_NS6detail15normal_iteratorINS9_10device_ptrIjEEEESE_PNS0_10empty_typeENS0_5tupleIJNS9_16discard_iteratorINS9_11use_defaultEEESF_EEENSH_IJSE_SG_EEENS0_18inequality_wrapperINS9_8equal_toIjEEEEPmJSF_EEE10hipError_tPvRmT3_T4_T5_T6_T7_T9_mT8_P12ihipStream_tbDpT10_ENKUlT_T0_E_clISt17integral_constantIbLb0EES1A_IbLb1EEEEDaS16_S17_EUlS16_E_NS1_11comp_targetILNS1_3genE4ELNS1_11target_archE910ELNS1_3gpuE8ELNS1_3repE0EEENS1_30default_config_static_selectorELNS0_4arch9wavefront6targetE0EEEvT1_: ; @_ZN7rocprim17ROCPRIM_400000_NS6detail17trampoline_kernelINS0_14default_configENS1_25partition_config_selectorILNS1_17partition_subalgoE9EjjbEEZZNS1_14partition_implILS5_9ELb0ES3_jN6thrust23THRUST_200600_302600_NS6detail15normal_iteratorINS9_10device_ptrIjEEEESE_PNS0_10empty_typeENS0_5tupleIJNS9_16discard_iteratorINS9_11use_defaultEEESF_EEENSH_IJSE_SG_EEENS0_18inequality_wrapperINS9_8equal_toIjEEEEPmJSF_EEE10hipError_tPvRmT3_T4_T5_T6_T7_T9_mT8_P12ihipStream_tbDpT10_ENKUlT_T0_E_clISt17integral_constantIbLb0EES1A_IbLb1EEEEDaS16_S17_EUlS16_E_NS1_11comp_targetILNS1_3genE4ELNS1_11target_archE910ELNS1_3gpuE8ELNS1_3repE0EEENS1_30default_config_static_selectorELNS0_4arch9wavefront6targetE0EEEvT1_
; %bb.0:
	.section	.rodata,"a",@progbits
	.p2align	6, 0x0
	.amdhsa_kernel _ZN7rocprim17ROCPRIM_400000_NS6detail17trampoline_kernelINS0_14default_configENS1_25partition_config_selectorILNS1_17partition_subalgoE9EjjbEEZZNS1_14partition_implILS5_9ELb0ES3_jN6thrust23THRUST_200600_302600_NS6detail15normal_iteratorINS9_10device_ptrIjEEEESE_PNS0_10empty_typeENS0_5tupleIJNS9_16discard_iteratorINS9_11use_defaultEEESF_EEENSH_IJSE_SG_EEENS0_18inequality_wrapperINS9_8equal_toIjEEEEPmJSF_EEE10hipError_tPvRmT3_T4_T5_T6_T7_T9_mT8_P12ihipStream_tbDpT10_ENKUlT_T0_E_clISt17integral_constantIbLb0EES1A_IbLb1EEEEDaS16_S17_EUlS16_E_NS1_11comp_targetILNS1_3genE4ELNS1_11target_archE910ELNS1_3gpuE8ELNS1_3repE0EEENS1_30default_config_static_selectorELNS0_4arch9wavefront6targetE0EEEvT1_
		.amdhsa_group_segment_fixed_size 0
		.amdhsa_private_segment_fixed_size 0
		.amdhsa_kernarg_size 136
		.amdhsa_user_sgpr_count 15
		.amdhsa_user_sgpr_dispatch_ptr 0
		.amdhsa_user_sgpr_queue_ptr 0
		.amdhsa_user_sgpr_kernarg_segment_ptr 1
		.amdhsa_user_sgpr_dispatch_id 0
		.amdhsa_user_sgpr_private_segment_size 0
		.amdhsa_wavefront_size32 1
		.amdhsa_uses_dynamic_stack 0
		.amdhsa_enable_private_segment 0
		.amdhsa_system_sgpr_workgroup_id_x 1
		.amdhsa_system_sgpr_workgroup_id_y 0
		.amdhsa_system_sgpr_workgroup_id_z 0
		.amdhsa_system_sgpr_workgroup_info 0
		.amdhsa_system_vgpr_workitem_id 0
		.amdhsa_next_free_vgpr 1
		.amdhsa_next_free_sgpr 1
		.amdhsa_reserve_vcc 0
		.amdhsa_float_round_mode_32 0
		.amdhsa_float_round_mode_16_64 0
		.amdhsa_float_denorm_mode_32 3
		.amdhsa_float_denorm_mode_16_64 3
		.amdhsa_dx10_clamp 1
		.amdhsa_ieee_mode 1
		.amdhsa_fp16_overflow 0
		.amdhsa_workgroup_processor_mode 1
		.amdhsa_memory_ordered 1
		.amdhsa_forward_progress 0
		.amdhsa_shared_vgpr_count 0
		.amdhsa_exception_fp_ieee_invalid_op 0
		.amdhsa_exception_fp_denorm_src 0
		.amdhsa_exception_fp_ieee_div_zero 0
		.amdhsa_exception_fp_ieee_overflow 0
		.amdhsa_exception_fp_ieee_underflow 0
		.amdhsa_exception_fp_ieee_inexact 0
		.amdhsa_exception_int_div_zero 0
	.end_amdhsa_kernel
	.section	.text._ZN7rocprim17ROCPRIM_400000_NS6detail17trampoline_kernelINS0_14default_configENS1_25partition_config_selectorILNS1_17partition_subalgoE9EjjbEEZZNS1_14partition_implILS5_9ELb0ES3_jN6thrust23THRUST_200600_302600_NS6detail15normal_iteratorINS9_10device_ptrIjEEEESE_PNS0_10empty_typeENS0_5tupleIJNS9_16discard_iteratorINS9_11use_defaultEEESF_EEENSH_IJSE_SG_EEENS0_18inequality_wrapperINS9_8equal_toIjEEEEPmJSF_EEE10hipError_tPvRmT3_T4_T5_T6_T7_T9_mT8_P12ihipStream_tbDpT10_ENKUlT_T0_E_clISt17integral_constantIbLb0EES1A_IbLb1EEEEDaS16_S17_EUlS16_E_NS1_11comp_targetILNS1_3genE4ELNS1_11target_archE910ELNS1_3gpuE8ELNS1_3repE0EEENS1_30default_config_static_selectorELNS0_4arch9wavefront6targetE0EEEvT1_,"axG",@progbits,_ZN7rocprim17ROCPRIM_400000_NS6detail17trampoline_kernelINS0_14default_configENS1_25partition_config_selectorILNS1_17partition_subalgoE9EjjbEEZZNS1_14partition_implILS5_9ELb0ES3_jN6thrust23THRUST_200600_302600_NS6detail15normal_iteratorINS9_10device_ptrIjEEEESE_PNS0_10empty_typeENS0_5tupleIJNS9_16discard_iteratorINS9_11use_defaultEEESF_EEENSH_IJSE_SG_EEENS0_18inequality_wrapperINS9_8equal_toIjEEEEPmJSF_EEE10hipError_tPvRmT3_T4_T5_T6_T7_T9_mT8_P12ihipStream_tbDpT10_ENKUlT_T0_E_clISt17integral_constantIbLb0EES1A_IbLb1EEEEDaS16_S17_EUlS16_E_NS1_11comp_targetILNS1_3genE4ELNS1_11target_archE910ELNS1_3gpuE8ELNS1_3repE0EEENS1_30default_config_static_selectorELNS0_4arch9wavefront6targetE0EEEvT1_,comdat
.Lfunc_end879:
	.size	_ZN7rocprim17ROCPRIM_400000_NS6detail17trampoline_kernelINS0_14default_configENS1_25partition_config_selectorILNS1_17partition_subalgoE9EjjbEEZZNS1_14partition_implILS5_9ELb0ES3_jN6thrust23THRUST_200600_302600_NS6detail15normal_iteratorINS9_10device_ptrIjEEEESE_PNS0_10empty_typeENS0_5tupleIJNS9_16discard_iteratorINS9_11use_defaultEEESF_EEENSH_IJSE_SG_EEENS0_18inequality_wrapperINS9_8equal_toIjEEEEPmJSF_EEE10hipError_tPvRmT3_T4_T5_T6_T7_T9_mT8_P12ihipStream_tbDpT10_ENKUlT_T0_E_clISt17integral_constantIbLb0EES1A_IbLb1EEEEDaS16_S17_EUlS16_E_NS1_11comp_targetILNS1_3genE4ELNS1_11target_archE910ELNS1_3gpuE8ELNS1_3repE0EEENS1_30default_config_static_selectorELNS0_4arch9wavefront6targetE0EEEvT1_, .Lfunc_end879-_ZN7rocprim17ROCPRIM_400000_NS6detail17trampoline_kernelINS0_14default_configENS1_25partition_config_selectorILNS1_17partition_subalgoE9EjjbEEZZNS1_14partition_implILS5_9ELb0ES3_jN6thrust23THRUST_200600_302600_NS6detail15normal_iteratorINS9_10device_ptrIjEEEESE_PNS0_10empty_typeENS0_5tupleIJNS9_16discard_iteratorINS9_11use_defaultEEESF_EEENSH_IJSE_SG_EEENS0_18inequality_wrapperINS9_8equal_toIjEEEEPmJSF_EEE10hipError_tPvRmT3_T4_T5_T6_T7_T9_mT8_P12ihipStream_tbDpT10_ENKUlT_T0_E_clISt17integral_constantIbLb0EES1A_IbLb1EEEEDaS16_S17_EUlS16_E_NS1_11comp_targetILNS1_3genE4ELNS1_11target_archE910ELNS1_3gpuE8ELNS1_3repE0EEENS1_30default_config_static_selectorELNS0_4arch9wavefront6targetE0EEEvT1_
                                        ; -- End function
	.section	.AMDGPU.csdata,"",@progbits
; Kernel info:
; codeLenInByte = 0
; NumSgprs: 0
; NumVgprs: 0
; ScratchSize: 0
; MemoryBound: 0
; FloatMode: 240
; IeeeMode: 1
; LDSByteSize: 0 bytes/workgroup (compile time only)
; SGPRBlocks: 0
; VGPRBlocks: 0
; NumSGPRsForWavesPerEU: 1
; NumVGPRsForWavesPerEU: 1
; Occupancy: 15
; WaveLimiterHint : 0
; COMPUTE_PGM_RSRC2:SCRATCH_EN: 0
; COMPUTE_PGM_RSRC2:USER_SGPR: 15
; COMPUTE_PGM_RSRC2:TRAP_HANDLER: 0
; COMPUTE_PGM_RSRC2:TGID_X_EN: 1
; COMPUTE_PGM_RSRC2:TGID_Y_EN: 0
; COMPUTE_PGM_RSRC2:TGID_Z_EN: 0
; COMPUTE_PGM_RSRC2:TIDIG_COMP_CNT: 0
	.section	.text._ZN7rocprim17ROCPRIM_400000_NS6detail17trampoline_kernelINS0_14default_configENS1_25partition_config_selectorILNS1_17partition_subalgoE9EjjbEEZZNS1_14partition_implILS5_9ELb0ES3_jN6thrust23THRUST_200600_302600_NS6detail15normal_iteratorINS9_10device_ptrIjEEEESE_PNS0_10empty_typeENS0_5tupleIJNS9_16discard_iteratorINS9_11use_defaultEEESF_EEENSH_IJSE_SG_EEENS0_18inequality_wrapperINS9_8equal_toIjEEEEPmJSF_EEE10hipError_tPvRmT3_T4_T5_T6_T7_T9_mT8_P12ihipStream_tbDpT10_ENKUlT_T0_E_clISt17integral_constantIbLb0EES1A_IbLb1EEEEDaS16_S17_EUlS16_E_NS1_11comp_targetILNS1_3genE3ELNS1_11target_archE908ELNS1_3gpuE7ELNS1_3repE0EEENS1_30default_config_static_selectorELNS0_4arch9wavefront6targetE0EEEvT1_,"axG",@progbits,_ZN7rocprim17ROCPRIM_400000_NS6detail17trampoline_kernelINS0_14default_configENS1_25partition_config_selectorILNS1_17partition_subalgoE9EjjbEEZZNS1_14partition_implILS5_9ELb0ES3_jN6thrust23THRUST_200600_302600_NS6detail15normal_iteratorINS9_10device_ptrIjEEEESE_PNS0_10empty_typeENS0_5tupleIJNS9_16discard_iteratorINS9_11use_defaultEEESF_EEENSH_IJSE_SG_EEENS0_18inequality_wrapperINS9_8equal_toIjEEEEPmJSF_EEE10hipError_tPvRmT3_T4_T5_T6_T7_T9_mT8_P12ihipStream_tbDpT10_ENKUlT_T0_E_clISt17integral_constantIbLb0EES1A_IbLb1EEEEDaS16_S17_EUlS16_E_NS1_11comp_targetILNS1_3genE3ELNS1_11target_archE908ELNS1_3gpuE7ELNS1_3repE0EEENS1_30default_config_static_selectorELNS0_4arch9wavefront6targetE0EEEvT1_,comdat
	.protected	_ZN7rocprim17ROCPRIM_400000_NS6detail17trampoline_kernelINS0_14default_configENS1_25partition_config_selectorILNS1_17partition_subalgoE9EjjbEEZZNS1_14partition_implILS5_9ELb0ES3_jN6thrust23THRUST_200600_302600_NS6detail15normal_iteratorINS9_10device_ptrIjEEEESE_PNS0_10empty_typeENS0_5tupleIJNS9_16discard_iteratorINS9_11use_defaultEEESF_EEENSH_IJSE_SG_EEENS0_18inequality_wrapperINS9_8equal_toIjEEEEPmJSF_EEE10hipError_tPvRmT3_T4_T5_T6_T7_T9_mT8_P12ihipStream_tbDpT10_ENKUlT_T0_E_clISt17integral_constantIbLb0EES1A_IbLb1EEEEDaS16_S17_EUlS16_E_NS1_11comp_targetILNS1_3genE3ELNS1_11target_archE908ELNS1_3gpuE7ELNS1_3repE0EEENS1_30default_config_static_selectorELNS0_4arch9wavefront6targetE0EEEvT1_ ; -- Begin function _ZN7rocprim17ROCPRIM_400000_NS6detail17trampoline_kernelINS0_14default_configENS1_25partition_config_selectorILNS1_17partition_subalgoE9EjjbEEZZNS1_14partition_implILS5_9ELb0ES3_jN6thrust23THRUST_200600_302600_NS6detail15normal_iteratorINS9_10device_ptrIjEEEESE_PNS0_10empty_typeENS0_5tupleIJNS9_16discard_iteratorINS9_11use_defaultEEESF_EEENSH_IJSE_SG_EEENS0_18inequality_wrapperINS9_8equal_toIjEEEEPmJSF_EEE10hipError_tPvRmT3_T4_T5_T6_T7_T9_mT8_P12ihipStream_tbDpT10_ENKUlT_T0_E_clISt17integral_constantIbLb0EES1A_IbLb1EEEEDaS16_S17_EUlS16_E_NS1_11comp_targetILNS1_3genE3ELNS1_11target_archE908ELNS1_3gpuE7ELNS1_3repE0EEENS1_30default_config_static_selectorELNS0_4arch9wavefront6targetE0EEEvT1_
	.globl	_ZN7rocprim17ROCPRIM_400000_NS6detail17trampoline_kernelINS0_14default_configENS1_25partition_config_selectorILNS1_17partition_subalgoE9EjjbEEZZNS1_14partition_implILS5_9ELb0ES3_jN6thrust23THRUST_200600_302600_NS6detail15normal_iteratorINS9_10device_ptrIjEEEESE_PNS0_10empty_typeENS0_5tupleIJNS9_16discard_iteratorINS9_11use_defaultEEESF_EEENSH_IJSE_SG_EEENS0_18inequality_wrapperINS9_8equal_toIjEEEEPmJSF_EEE10hipError_tPvRmT3_T4_T5_T6_T7_T9_mT8_P12ihipStream_tbDpT10_ENKUlT_T0_E_clISt17integral_constantIbLb0EES1A_IbLb1EEEEDaS16_S17_EUlS16_E_NS1_11comp_targetILNS1_3genE3ELNS1_11target_archE908ELNS1_3gpuE7ELNS1_3repE0EEENS1_30default_config_static_selectorELNS0_4arch9wavefront6targetE0EEEvT1_
	.p2align	8
	.type	_ZN7rocprim17ROCPRIM_400000_NS6detail17trampoline_kernelINS0_14default_configENS1_25partition_config_selectorILNS1_17partition_subalgoE9EjjbEEZZNS1_14partition_implILS5_9ELb0ES3_jN6thrust23THRUST_200600_302600_NS6detail15normal_iteratorINS9_10device_ptrIjEEEESE_PNS0_10empty_typeENS0_5tupleIJNS9_16discard_iteratorINS9_11use_defaultEEESF_EEENSH_IJSE_SG_EEENS0_18inequality_wrapperINS9_8equal_toIjEEEEPmJSF_EEE10hipError_tPvRmT3_T4_T5_T6_T7_T9_mT8_P12ihipStream_tbDpT10_ENKUlT_T0_E_clISt17integral_constantIbLb0EES1A_IbLb1EEEEDaS16_S17_EUlS16_E_NS1_11comp_targetILNS1_3genE3ELNS1_11target_archE908ELNS1_3gpuE7ELNS1_3repE0EEENS1_30default_config_static_selectorELNS0_4arch9wavefront6targetE0EEEvT1_,@function
_ZN7rocprim17ROCPRIM_400000_NS6detail17trampoline_kernelINS0_14default_configENS1_25partition_config_selectorILNS1_17partition_subalgoE9EjjbEEZZNS1_14partition_implILS5_9ELb0ES3_jN6thrust23THRUST_200600_302600_NS6detail15normal_iteratorINS9_10device_ptrIjEEEESE_PNS0_10empty_typeENS0_5tupleIJNS9_16discard_iteratorINS9_11use_defaultEEESF_EEENSH_IJSE_SG_EEENS0_18inequality_wrapperINS9_8equal_toIjEEEEPmJSF_EEE10hipError_tPvRmT3_T4_T5_T6_T7_T9_mT8_P12ihipStream_tbDpT10_ENKUlT_T0_E_clISt17integral_constantIbLb0EES1A_IbLb1EEEEDaS16_S17_EUlS16_E_NS1_11comp_targetILNS1_3genE3ELNS1_11target_archE908ELNS1_3gpuE7ELNS1_3repE0EEENS1_30default_config_static_selectorELNS0_4arch9wavefront6targetE0EEEvT1_: ; @_ZN7rocprim17ROCPRIM_400000_NS6detail17trampoline_kernelINS0_14default_configENS1_25partition_config_selectorILNS1_17partition_subalgoE9EjjbEEZZNS1_14partition_implILS5_9ELb0ES3_jN6thrust23THRUST_200600_302600_NS6detail15normal_iteratorINS9_10device_ptrIjEEEESE_PNS0_10empty_typeENS0_5tupleIJNS9_16discard_iteratorINS9_11use_defaultEEESF_EEENSH_IJSE_SG_EEENS0_18inequality_wrapperINS9_8equal_toIjEEEEPmJSF_EEE10hipError_tPvRmT3_T4_T5_T6_T7_T9_mT8_P12ihipStream_tbDpT10_ENKUlT_T0_E_clISt17integral_constantIbLb0EES1A_IbLb1EEEEDaS16_S17_EUlS16_E_NS1_11comp_targetILNS1_3genE3ELNS1_11target_archE908ELNS1_3gpuE7ELNS1_3repE0EEENS1_30default_config_static_selectorELNS0_4arch9wavefront6targetE0EEEvT1_
; %bb.0:
	.section	.rodata,"a",@progbits
	.p2align	6, 0x0
	.amdhsa_kernel _ZN7rocprim17ROCPRIM_400000_NS6detail17trampoline_kernelINS0_14default_configENS1_25partition_config_selectorILNS1_17partition_subalgoE9EjjbEEZZNS1_14partition_implILS5_9ELb0ES3_jN6thrust23THRUST_200600_302600_NS6detail15normal_iteratorINS9_10device_ptrIjEEEESE_PNS0_10empty_typeENS0_5tupleIJNS9_16discard_iteratorINS9_11use_defaultEEESF_EEENSH_IJSE_SG_EEENS0_18inequality_wrapperINS9_8equal_toIjEEEEPmJSF_EEE10hipError_tPvRmT3_T4_T5_T6_T7_T9_mT8_P12ihipStream_tbDpT10_ENKUlT_T0_E_clISt17integral_constantIbLb0EES1A_IbLb1EEEEDaS16_S17_EUlS16_E_NS1_11comp_targetILNS1_3genE3ELNS1_11target_archE908ELNS1_3gpuE7ELNS1_3repE0EEENS1_30default_config_static_selectorELNS0_4arch9wavefront6targetE0EEEvT1_
		.amdhsa_group_segment_fixed_size 0
		.amdhsa_private_segment_fixed_size 0
		.amdhsa_kernarg_size 136
		.amdhsa_user_sgpr_count 15
		.amdhsa_user_sgpr_dispatch_ptr 0
		.amdhsa_user_sgpr_queue_ptr 0
		.amdhsa_user_sgpr_kernarg_segment_ptr 1
		.amdhsa_user_sgpr_dispatch_id 0
		.amdhsa_user_sgpr_private_segment_size 0
		.amdhsa_wavefront_size32 1
		.amdhsa_uses_dynamic_stack 0
		.amdhsa_enable_private_segment 0
		.amdhsa_system_sgpr_workgroup_id_x 1
		.amdhsa_system_sgpr_workgroup_id_y 0
		.amdhsa_system_sgpr_workgroup_id_z 0
		.amdhsa_system_sgpr_workgroup_info 0
		.amdhsa_system_vgpr_workitem_id 0
		.amdhsa_next_free_vgpr 1
		.amdhsa_next_free_sgpr 1
		.amdhsa_reserve_vcc 0
		.amdhsa_float_round_mode_32 0
		.amdhsa_float_round_mode_16_64 0
		.amdhsa_float_denorm_mode_32 3
		.amdhsa_float_denorm_mode_16_64 3
		.amdhsa_dx10_clamp 1
		.amdhsa_ieee_mode 1
		.amdhsa_fp16_overflow 0
		.amdhsa_workgroup_processor_mode 1
		.amdhsa_memory_ordered 1
		.amdhsa_forward_progress 0
		.amdhsa_shared_vgpr_count 0
		.amdhsa_exception_fp_ieee_invalid_op 0
		.amdhsa_exception_fp_denorm_src 0
		.amdhsa_exception_fp_ieee_div_zero 0
		.amdhsa_exception_fp_ieee_overflow 0
		.amdhsa_exception_fp_ieee_underflow 0
		.amdhsa_exception_fp_ieee_inexact 0
		.amdhsa_exception_int_div_zero 0
	.end_amdhsa_kernel
	.section	.text._ZN7rocprim17ROCPRIM_400000_NS6detail17trampoline_kernelINS0_14default_configENS1_25partition_config_selectorILNS1_17partition_subalgoE9EjjbEEZZNS1_14partition_implILS5_9ELb0ES3_jN6thrust23THRUST_200600_302600_NS6detail15normal_iteratorINS9_10device_ptrIjEEEESE_PNS0_10empty_typeENS0_5tupleIJNS9_16discard_iteratorINS9_11use_defaultEEESF_EEENSH_IJSE_SG_EEENS0_18inequality_wrapperINS9_8equal_toIjEEEEPmJSF_EEE10hipError_tPvRmT3_T4_T5_T6_T7_T9_mT8_P12ihipStream_tbDpT10_ENKUlT_T0_E_clISt17integral_constantIbLb0EES1A_IbLb1EEEEDaS16_S17_EUlS16_E_NS1_11comp_targetILNS1_3genE3ELNS1_11target_archE908ELNS1_3gpuE7ELNS1_3repE0EEENS1_30default_config_static_selectorELNS0_4arch9wavefront6targetE0EEEvT1_,"axG",@progbits,_ZN7rocprim17ROCPRIM_400000_NS6detail17trampoline_kernelINS0_14default_configENS1_25partition_config_selectorILNS1_17partition_subalgoE9EjjbEEZZNS1_14partition_implILS5_9ELb0ES3_jN6thrust23THRUST_200600_302600_NS6detail15normal_iteratorINS9_10device_ptrIjEEEESE_PNS0_10empty_typeENS0_5tupleIJNS9_16discard_iteratorINS9_11use_defaultEEESF_EEENSH_IJSE_SG_EEENS0_18inequality_wrapperINS9_8equal_toIjEEEEPmJSF_EEE10hipError_tPvRmT3_T4_T5_T6_T7_T9_mT8_P12ihipStream_tbDpT10_ENKUlT_T0_E_clISt17integral_constantIbLb0EES1A_IbLb1EEEEDaS16_S17_EUlS16_E_NS1_11comp_targetILNS1_3genE3ELNS1_11target_archE908ELNS1_3gpuE7ELNS1_3repE0EEENS1_30default_config_static_selectorELNS0_4arch9wavefront6targetE0EEEvT1_,comdat
.Lfunc_end880:
	.size	_ZN7rocprim17ROCPRIM_400000_NS6detail17trampoline_kernelINS0_14default_configENS1_25partition_config_selectorILNS1_17partition_subalgoE9EjjbEEZZNS1_14partition_implILS5_9ELb0ES3_jN6thrust23THRUST_200600_302600_NS6detail15normal_iteratorINS9_10device_ptrIjEEEESE_PNS0_10empty_typeENS0_5tupleIJNS9_16discard_iteratorINS9_11use_defaultEEESF_EEENSH_IJSE_SG_EEENS0_18inequality_wrapperINS9_8equal_toIjEEEEPmJSF_EEE10hipError_tPvRmT3_T4_T5_T6_T7_T9_mT8_P12ihipStream_tbDpT10_ENKUlT_T0_E_clISt17integral_constantIbLb0EES1A_IbLb1EEEEDaS16_S17_EUlS16_E_NS1_11comp_targetILNS1_3genE3ELNS1_11target_archE908ELNS1_3gpuE7ELNS1_3repE0EEENS1_30default_config_static_selectorELNS0_4arch9wavefront6targetE0EEEvT1_, .Lfunc_end880-_ZN7rocprim17ROCPRIM_400000_NS6detail17trampoline_kernelINS0_14default_configENS1_25partition_config_selectorILNS1_17partition_subalgoE9EjjbEEZZNS1_14partition_implILS5_9ELb0ES3_jN6thrust23THRUST_200600_302600_NS6detail15normal_iteratorINS9_10device_ptrIjEEEESE_PNS0_10empty_typeENS0_5tupleIJNS9_16discard_iteratorINS9_11use_defaultEEESF_EEENSH_IJSE_SG_EEENS0_18inequality_wrapperINS9_8equal_toIjEEEEPmJSF_EEE10hipError_tPvRmT3_T4_T5_T6_T7_T9_mT8_P12ihipStream_tbDpT10_ENKUlT_T0_E_clISt17integral_constantIbLb0EES1A_IbLb1EEEEDaS16_S17_EUlS16_E_NS1_11comp_targetILNS1_3genE3ELNS1_11target_archE908ELNS1_3gpuE7ELNS1_3repE0EEENS1_30default_config_static_selectorELNS0_4arch9wavefront6targetE0EEEvT1_
                                        ; -- End function
	.section	.AMDGPU.csdata,"",@progbits
; Kernel info:
; codeLenInByte = 0
; NumSgprs: 0
; NumVgprs: 0
; ScratchSize: 0
; MemoryBound: 0
; FloatMode: 240
; IeeeMode: 1
; LDSByteSize: 0 bytes/workgroup (compile time only)
; SGPRBlocks: 0
; VGPRBlocks: 0
; NumSGPRsForWavesPerEU: 1
; NumVGPRsForWavesPerEU: 1
; Occupancy: 16
; WaveLimiterHint : 0
; COMPUTE_PGM_RSRC2:SCRATCH_EN: 0
; COMPUTE_PGM_RSRC2:USER_SGPR: 15
; COMPUTE_PGM_RSRC2:TRAP_HANDLER: 0
; COMPUTE_PGM_RSRC2:TGID_X_EN: 1
; COMPUTE_PGM_RSRC2:TGID_Y_EN: 0
; COMPUTE_PGM_RSRC2:TGID_Z_EN: 0
; COMPUTE_PGM_RSRC2:TIDIG_COMP_CNT: 0
	.section	.text._ZN7rocprim17ROCPRIM_400000_NS6detail17trampoline_kernelINS0_14default_configENS1_25partition_config_selectorILNS1_17partition_subalgoE9EjjbEEZZNS1_14partition_implILS5_9ELb0ES3_jN6thrust23THRUST_200600_302600_NS6detail15normal_iteratorINS9_10device_ptrIjEEEESE_PNS0_10empty_typeENS0_5tupleIJNS9_16discard_iteratorINS9_11use_defaultEEESF_EEENSH_IJSE_SG_EEENS0_18inequality_wrapperINS9_8equal_toIjEEEEPmJSF_EEE10hipError_tPvRmT3_T4_T5_T6_T7_T9_mT8_P12ihipStream_tbDpT10_ENKUlT_T0_E_clISt17integral_constantIbLb0EES1A_IbLb1EEEEDaS16_S17_EUlS16_E_NS1_11comp_targetILNS1_3genE2ELNS1_11target_archE906ELNS1_3gpuE6ELNS1_3repE0EEENS1_30default_config_static_selectorELNS0_4arch9wavefront6targetE0EEEvT1_,"axG",@progbits,_ZN7rocprim17ROCPRIM_400000_NS6detail17trampoline_kernelINS0_14default_configENS1_25partition_config_selectorILNS1_17partition_subalgoE9EjjbEEZZNS1_14partition_implILS5_9ELb0ES3_jN6thrust23THRUST_200600_302600_NS6detail15normal_iteratorINS9_10device_ptrIjEEEESE_PNS0_10empty_typeENS0_5tupleIJNS9_16discard_iteratorINS9_11use_defaultEEESF_EEENSH_IJSE_SG_EEENS0_18inequality_wrapperINS9_8equal_toIjEEEEPmJSF_EEE10hipError_tPvRmT3_T4_T5_T6_T7_T9_mT8_P12ihipStream_tbDpT10_ENKUlT_T0_E_clISt17integral_constantIbLb0EES1A_IbLb1EEEEDaS16_S17_EUlS16_E_NS1_11comp_targetILNS1_3genE2ELNS1_11target_archE906ELNS1_3gpuE6ELNS1_3repE0EEENS1_30default_config_static_selectorELNS0_4arch9wavefront6targetE0EEEvT1_,comdat
	.protected	_ZN7rocprim17ROCPRIM_400000_NS6detail17trampoline_kernelINS0_14default_configENS1_25partition_config_selectorILNS1_17partition_subalgoE9EjjbEEZZNS1_14partition_implILS5_9ELb0ES3_jN6thrust23THRUST_200600_302600_NS6detail15normal_iteratorINS9_10device_ptrIjEEEESE_PNS0_10empty_typeENS0_5tupleIJNS9_16discard_iteratorINS9_11use_defaultEEESF_EEENSH_IJSE_SG_EEENS0_18inequality_wrapperINS9_8equal_toIjEEEEPmJSF_EEE10hipError_tPvRmT3_T4_T5_T6_T7_T9_mT8_P12ihipStream_tbDpT10_ENKUlT_T0_E_clISt17integral_constantIbLb0EES1A_IbLb1EEEEDaS16_S17_EUlS16_E_NS1_11comp_targetILNS1_3genE2ELNS1_11target_archE906ELNS1_3gpuE6ELNS1_3repE0EEENS1_30default_config_static_selectorELNS0_4arch9wavefront6targetE0EEEvT1_ ; -- Begin function _ZN7rocprim17ROCPRIM_400000_NS6detail17trampoline_kernelINS0_14default_configENS1_25partition_config_selectorILNS1_17partition_subalgoE9EjjbEEZZNS1_14partition_implILS5_9ELb0ES3_jN6thrust23THRUST_200600_302600_NS6detail15normal_iteratorINS9_10device_ptrIjEEEESE_PNS0_10empty_typeENS0_5tupleIJNS9_16discard_iteratorINS9_11use_defaultEEESF_EEENSH_IJSE_SG_EEENS0_18inequality_wrapperINS9_8equal_toIjEEEEPmJSF_EEE10hipError_tPvRmT3_T4_T5_T6_T7_T9_mT8_P12ihipStream_tbDpT10_ENKUlT_T0_E_clISt17integral_constantIbLb0EES1A_IbLb1EEEEDaS16_S17_EUlS16_E_NS1_11comp_targetILNS1_3genE2ELNS1_11target_archE906ELNS1_3gpuE6ELNS1_3repE0EEENS1_30default_config_static_selectorELNS0_4arch9wavefront6targetE0EEEvT1_
	.globl	_ZN7rocprim17ROCPRIM_400000_NS6detail17trampoline_kernelINS0_14default_configENS1_25partition_config_selectorILNS1_17partition_subalgoE9EjjbEEZZNS1_14partition_implILS5_9ELb0ES3_jN6thrust23THRUST_200600_302600_NS6detail15normal_iteratorINS9_10device_ptrIjEEEESE_PNS0_10empty_typeENS0_5tupleIJNS9_16discard_iteratorINS9_11use_defaultEEESF_EEENSH_IJSE_SG_EEENS0_18inequality_wrapperINS9_8equal_toIjEEEEPmJSF_EEE10hipError_tPvRmT3_T4_T5_T6_T7_T9_mT8_P12ihipStream_tbDpT10_ENKUlT_T0_E_clISt17integral_constantIbLb0EES1A_IbLb1EEEEDaS16_S17_EUlS16_E_NS1_11comp_targetILNS1_3genE2ELNS1_11target_archE906ELNS1_3gpuE6ELNS1_3repE0EEENS1_30default_config_static_selectorELNS0_4arch9wavefront6targetE0EEEvT1_
	.p2align	8
	.type	_ZN7rocprim17ROCPRIM_400000_NS6detail17trampoline_kernelINS0_14default_configENS1_25partition_config_selectorILNS1_17partition_subalgoE9EjjbEEZZNS1_14partition_implILS5_9ELb0ES3_jN6thrust23THRUST_200600_302600_NS6detail15normal_iteratorINS9_10device_ptrIjEEEESE_PNS0_10empty_typeENS0_5tupleIJNS9_16discard_iteratorINS9_11use_defaultEEESF_EEENSH_IJSE_SG_EEENS0_18inequality_wrapperINS9_8equal_toIjEEEEPmJSF_EEE10hipError_tPvRmT3_T4_T5_T6_T7_T9_mT8_P12ihipStream_tbDpT10_ENKUlT_T0_E_clISt17integral_constantIbLb0EES1A_IbLb1EEEEDaS16_S17_EUlS16_E_NS1_11comp_targetILNS1_3genE2ELNS1_11target_archE906ELNS1_3gpuE6ELNS1_3repE0EEENS1_30default_config_static_selectorELNS0_4arch9wavefront6targetE0EEEvT1_,@function
_ZN7rocprim17ROCPRIM_400000_NS6detail17trampoline_kernelINS0_14default_configENS1_25partition_config_selectorILNS1_17partition_subalgoE9EjjbEEZZNS1_14partition_implILS5_9ELb0ES3_jN6thrust23THRUST_200600_302600_NS6detail15normal_iteratorINS9_10device_ptrIjEEEESE_PNS0_10empty_typeENS0_5tupleIJNS9_16discard_iteratorINS9_11use_defaultEEESF_EEENSH_IJSE_SG_EEENS0_18inequality_wrapperINS9_8equal_toIjEEEEPmJSF_EEE10hipError_tPvRmT3_T4_T5_T6_T7_T9_mT8_P12ihipStream_tbDpT10_ENKUlT_T0_E_clISt17integral_constantIbLb0EES1A_IbLb1EEEEDaS16_S17_EUlS16_E_NS1_11comp_targetILNS1_3genE2ELNS1_11target_archE906ELNS1_3gpuE6ELNS1_3repE0EEENS1_30default_config_static_selectorELNS0_4arch9wavefront6targetE0EEEvT1_: ; @_ZN7rocprim17ROCPRIM_400000_NS6detail17trampoline_kernelINS0_14default_configENS1_25partition_config_selectorILNS1_17partition_subalgoE9EjjbEEZZNS1_14partition_implILS5_9ELb0ES3_jN6thrust23THRUST_200600_302600_NS6detail15normal_iteratorINS9_10device_ptrIjEEEESE_PNS0_10empty_typeENS0_5tupleIJNS9_16discard_iteratorINS9_11use_defaultEEESF_EEENSH_IJSE_SG_EEENS0_18inequality_wrapperINS9_8equal_toIjEEEEPmJSF_EEE10hipError_tPvRmT3_T4_T5_T6_T7_T9_mT8_P12ihipStream_tbDpT10_ENKUlT_T0_E_clISt17integral_constantIbLb0EES1A_IbLb1EEEEDaS16_S17_EUlS16_E_NS1_11comp_targetILNS1_3genE2ELNS1_11target_archE906ELNS1_3gpuE6ELNS1_3repE0EEENS1_30default_config_static_selectorELNS0_4arch9wavefront6targetE0EEEvT1_
; %bb.0:
	.section	.rodata,"a",@progbits
	.p2align	6, 0x0
	.amdhsa_kernel _ZN7rocprim17ROCPRIM_400000_NS6detail17trampoline_kernelINS0_14default_configENS1_25partition_config_selectorILNS1_17partition_subalgoE9EjjbEEZZNS1_14partition_implILS5_9ELb0ES3_jN6thrust23THRUST_200600_302600_NS6detail15normal_iteratorINS9_10device_ptrIjEEEESE_PNS0_10empty_typeENS0_5tupleIJNS9_16discard_iteratorINS9_11use_defaultEEESF_EEENSH_IJSE_SG_EEENS0_18inequality_wrapperINS9_8equal_toIjEEEEPmJSF_EEE10hipError_tPvRmT3_T4_T5_T6_T7_T9_mT8_P12ihipStream_tbDpT10_ENKUlT_T0_E_clISt17integral_constantIbLb0EES1A_IbLb1EEEEDaS16_S17_EUlS16_E_NS1_11comp_targetILNS1_3genE2ELNS1_11target_archE906ELNS1_3gpuE6ELNS1_3repE0EEENS1_30default_config_static_selectorELNS0_4arch9wavefront6targetE0EEEvT1_
		.amdhsa_group_segment_fixed_size 0
		.amdhsa_private_segment_fixed_size 0
		.amdhsa_kernarg_size 136
		.amdhsa_user_sgpr_count 15
		.amdhsa_user_sgpr_dispatch_ptr 0
		.amdhsa_user_sgpr_queue_ptr 0
		.amdhsa_user_sgpr_kernarg_segment_ptr 1
		.amdhsa_user_sgpr_dispatch_id 0
		.amdhsa_user_sgpr_private_segment_size 0
		.amdhsa_wavefront_size32 1
		.amdhsa_uses_dynamic_stack 0
		.amdhsa_enable_private_segment 0
		.amdhsa_system_sgpr_workgroup_id_x 1
		.amdhsa_system_sgpr_workgroup_id_y 0
		.amdhsa_system_sgpr_workgroup_id_z 0
		.amdhsa_system_sgpr_workgroup_info 0
		.amdhsa_system_vgpr_workitem_id 0
		.amdhsa_next_free_vgpr 1
		.amdhsa_next_free_sgpr 1
		.amdhsa_reserve_vcc 0
		.amdhsa_float_round_mode_32 0
		.amdhsa_float_round_mode_16_64 0
		.amdhsa_float_denorm_mode_32 3
		.amdhsa_float_denorm_mode_16_64 3
		.amdhsa_dx10_clamp 1
		.amdhsa_ieee_mode 1
		.amdhsa_fp16_overflow 0
		.amdhsa_workgroup_processor_mode 1
		.amdhsa_memory_ordered 1
		.amdhsa_forward_progress 0
		.amdhsa_shared_vgpr_count 0
		.amdhsa_exception_fp_ieee_invalid_op 0
		.amdhsa_exception_fp_denorm_src 0
		.amdhsa_exception_fp_ieee_div_zero 0
		.amdhsa_exception_fp_ieee_overflow 0
		.amdhsa_exception_fp_ieee_underflow 0
		.amdhsa_exception_fp_ieee_inexact 0
		.amdhsa_exception_int_div_zero 0
	.end_amdhsa_kernel
	.section	.text._ZN7rocprim17ROCPRIM_400000_NS6detail17trampoline_kernelINS0_14default_configENS1_25partition_config_selectorILNS1_17partition_subalgoE9EjjbEEZZNS1_14partition_implILS5_9ELb0ES3_jN6thrust23THRUST_200600_302600_NS6detail15normal_iteratorINS9_10device_ptrIjEEEESE_PNS0_10empty_typeENS0_5tupleIJNS9_16discard_iteratorINS9_11use_defaultEEESF_EEENSH_IJSE_SG_EEENS0_18inequality_wrapperINS9_8equal_toIjEEEEPmJSF_EEE10hipError_tPvRmT3_T4_T5_T6_T7_T9_mT8_P12ihipStream_tbDpT10_ENKUlT_T0_E_clISt17integral_constantIbLb0EES1A_IbLb1EEEEDaS16_S17_EUlS16_E_NS1_11comp_targetILNS1_3genE2ELNS1_11target_archE906ELNS1_3gpuE6ELNS1_3repE0EEENS1_30default_config_static_selectorELNS0_4arch9wavefront6targetE0EEEvT1_,"axG",@progbits,_ZN7rocprim17ROCPRIM_400000_NS6detail17trampoline_kernelINS0_14default_configENS1_25partition_config_selectorILNS1_17partition_subalgoE9EjjbEEZZNS1_14partition_implILS5_9ELb0ES3_jN6thrust23THRUST_200600_302600_NS6detail15normal_iteratorINS9_10device_ptrIjEEEESE_PNS0_10empty_typeENS0_5tupleIJNS9_16discard_iteratorINS9_11use_defaultEEESF_EEENSH_IJSE_SG_EEENS0_18inequality_wrapperINS9_8equal_toIjEEEEPmJSF_EEE10hipError_tPvRmT3_T4_T5_T6_T7_T9_mT8_P12ihipStream_tbDpT10_ENKUlT_T0_E_clISt17integral_constantIbLb0EES1A_IbLb1EEEEDaS16_S17_EUlS16_E_NS1_11comp_targetILNS1_3genE2ELNS1_11target_archE906ELNS1_3gpuE6ELNS1_3repE0EEENS1_30default_config_static_selectorELNS0_4arch9wavefront6targetE0EEEvT1_,comdat
.Lfunc_end881:
	.size	_ZN7rocprim17ROCPRIM_400000_NS6detail17trampoline_kernelINS0_14default_configENS1_25partition_config_selectorILNS1_17partition_subalgoE9EjjbEEZZNS1_14partition_implILS5_9ELb0ES3_jN6thrust23THRUST_200600_302600_NS6detail15normal_iteratorINS9_10device_ptrIjEEEESE_PNS0_10empty_typeENS0_5tupleIJNS9_16discard_iteratorINS9_11use_defaultEEESF_EEENSH_IJSE_SG_EEENS0_18inequality_wrapperINS9_8equal_toIjEEEEPmJSF_EEE10hipError_tPvRmT3_T4_T5_T6_T7_T9_mT8_P12ihipStream_tbDpT10_ENKUlT_T0_E_clISt17integral_constantIbLb0EES1A_IbLb1EEEEDaS16_S17_EUlS16_E_NS1_11comp_targetILNS1_3genE2ELNS1_11target_archE906ELNS1_3gpuE6ELNS1_3repE0EEENS1_30default_config_static_selectorELNS0_4arch9wavefront6targetE0EEEvT1_, .Lfunc_end881-_ZN7rocprim17ROCPRIM_400000_NS6detail17trampoline_kernelINS0_14default_configENS1_25partition_config_selectorILNS1_17partition_subalgoE9EjjbEEZZNS1_14partition_implILS5_9ELb0ES3_jN6thrust23THRUST_200600_302600_NS6detail15normal_iteratorINS9_10device_ptrIjEEEESE_PNS0_10empty_typeENS0_5tupleIJNS9_16discard_iteratorINS9_11use_defaultEEESF_EEENSH_IJSE_SG_EEENS0_18inequality_wrapperINS9_8equal_toIjEEEEPmJSF_EEE10hipError_tPvRmT3_T4_T5_T6_T7_T9_mT8_P12ihipStream_tbDpT10_ENKUlT_T0_E_clISt17integral_constantIbLb0EES1A_IbLb1EEEEDaS16_S17_EUlS16_E_NS1_11comp_targetILNS1_3genE2ELNS1_11target_archE906ELNS1_3gpuE6ELNS1_3repE0EEENS1_30default_config_static_selectorELNS0_4arch9wavefront6targetE0EEEvT1_
                                        ; -- End function
	.section	.AMDGPU.csdata,"",@progbits
; Kernel info:
; codeLenInByte = 0
; NumSgprs: 0
; NumVgprs: 0
; ScratchSize: 0
; MemoryBound: 0
; FloatMode: 240
; IeeeMode: 1
; LDSByteSize: 0 bytes/workgroup (compile time only)
; SGPRBlocks: 0
; VGPRBlocks: 0
; NumSGPRsForWavesPerEU: 1
; NumVGPRsForWavesPerEU: 1
; Occupancy: 16
; WaveLimiterHint : 0
; COMPUTE_PGM_RSRC2:SCRATCH_EN: 0
; COMPUTE_PGM_RSRC2:USER_SGPR: 15
; COMPUTE_PGM_RSRC2:TRAP_HANDLER: 0
; COMPUTE_PGM_RSRC2:TGID_X_EN: 1
; COMPUTE_PGM_RSRC2:TGID_Y_EN: 0
; COMPUTE_PGM_RSRC2:TGID_Z_EN: 0
; COMPUTE_PGM_RSRC2:TIDIG_COMP_CNT: 0
	.section	.text._ZN7rocprim17ROCPRIM_400000_NS6detail17trampoline_kernelINS0_14default_configENS1_25partition_config_selectorILNS1_17partition_subalgoE9EjjbEEZZNS1_14partition_implILS5_9ELb0ES3_jN6thrust23THRUST_200600_302600_NS6detail15normal_iteratorINS9_10device_ptrIjEEEESE_PNS0_10empty_typeENS0_5tupleIJNS9_16discard_iteratorINS9_11use_defaultEEESF_EEENSH_IJSE_SG_EEENS0_18inequality_wrapperINS9_8equal_toIjEEEEPmJSF_EEE10hipError_tPvRmT3_T4_T5_T6_T7_T9_mT8_P12ihipStream_tbDpT10_ENKUlT_T0_E_clISt17integral_constantIbLb0EES1A_IbLb1EEEEDaS16_S17_EUlS16_E_NS1_11comp_targetILNS1_3genE10ELNS1_11target_archE1200ELNS1_3gpuE4ELNS1_3repE0EEENS1_30default_config_static_selectorELNS0_4arch9wavefront6targetE0EEEvT1_,"axG",@progbits,_ZN7rocprim17ROCPRIM_400000_NS6detail17trampoline_kernelINS0_14default_configENS1_25partition_config_selectorILNS1_17partition_subalgoE9EjjbEEZZNS1_14partition_implILS5_9ELb0ES3_jN6thrust23THRUST_200600_302600_NS6detail15normal_iteratorINS9_10device_ptrIjEEEESE_PNS0_10empty_typeENS0_5tupleIJNS9_16discard_iteratorINS9_11use_defaultEEESF_EEENSH_IJSE_SG_EEENS0_18inequality_wrapperINS9_8equal_toIjEEEEPmJSF_EEE10hipError_tPvRmT3_T4_T5_T6_T7_T9_mT8_P12ihipStream_tbDpT10_ENKUlT_T0_E_clISt17integral_constantIbLb0EES1A_IbLb1EEEEDaS16_S17_EUlS16_E_NS1_11comp_targetILNS1_3genE10ELNS1_11target_archE1200ELNS1_3gpuE4ELNS1_3repE0EEENS1_30default_config_static_selectorELNS0_4arch9wavefront6targetE0EEEvT1_,comdat
	.protected	_ZN7rocprim17ROCPRIM_400000_NS6detail17trampoline_kernelINS0_14default_configENS1_25partition_config_selectorILNS1_17partition_subalgoE9EjjbEEZZNS1_14partition_implILS5_9ELb0ES3_jN6thrust23THRUST_200600_302600_NS6detail15normal_iteratorINS9_10device_ptrIjEEEESE_PNS0_10empty_typeENS0_5tupleIJNS9_16discard_iteratorINS9_11use_defaultEEESF_EEENSH_IJSE_SG_EEENS0_18inequality_wrapperINS9_8equal_toIjEEEEPmJSF_EEE10hipError_tPvRmT3_T4_T5_T6_T7_T9_mT8_P12ihipStream_tbDpT10_ENKUlT_T0_E_clISt17integral_constantIbLb0EES1A_IbLb1EEEEDaS16_S17_EUlS16_E_NS1_11comp_targetILNS1_3genE10ELNS1_11target_archE1200ELNS1_3gpuE4ELNS1_3repE0EEENS1_30default_config_static_selectorELNS0_4arch9wavefront6targetE0EEEvT1_ ; -- Begin function _ZN7rocprim17ROCPRIM_400000_NS6detail17trampoline_kernelINS0_14default_configENS1_25partition_config_selectorILNS1_17partition_subalgoE9EjjbEEZZNS1_14partition_implILS5_9ELb0ES3_jN6thrust23THRUST_200600_302600_NS6detail15normal_iteratorINS9_10device_ptrIjEEEESE_PNS0_10empty_typeENS0_5tupleIJNS9_16discard_iteratorINS9_11use_defaultEEESF_EEENSH_IJSE_SG_EEENS0_18inequality_wrapperINS9_8equal_toIjEEEEPmJSF_EEE10hipError_tPvRmT3_T4_T5_T6_T7_T9_mT8_P12ihipStream_tbDpT10_ENKUlT_T0_E_clISt17integral_constantIbLb0EES1A_IbLb1EEEEDaS16_S17_EUlS16_E_NS1_11comp_targetILNS1_3genE10ELNS1_11target_archE1200ELNS1_3gpuE4ELNS1_3repE0EEENS1_30default_config_static_selectorELNS0_4arch9wavefront6targetE0EEEvT1_
	.globl	_ZN7rocprim17ROCPRIM_400000_NS6detail17trampoline_kernelINS0_14default_configENS1_25partition_config_selectorILNS1_17partition_subalgoE9EjjbEEZZNS1_14partition_implILS5_9ELb0ES3_jN6thrust23THRUST_200600_302600_NS6detail15normal_iteratorINS9_10device_ptrIjEEEESE_PNS0_10empty_typeENS0_5tupleIJNS9_16discard_iteratorINS9_11use_defaultEEESF_EEENSH_IJSE_SG_EEENS0_18inequality_wrapperINS9_8equal_toIjEEEEPmJSF_EEE10hipError_tPvRmT3_T4_T5_T6_T7_T9_mT8_P12ihipStream_tbDpT10_ENKUlT_T0_E_clISt17integral_constantIbLb0EES1A_IbLb1EEEEDaS16_S17_EUlS16_E_NS1_11comp_targetILNS1_3genE10ELNS1_11target_archE1200ELNS1_3gpuE4ELNS1_3repE0EEENS1_30default_config_static_selectorELNS0_4arch9wavefront6targetE0EEEvT1_
	.p2align	8
	.type	_ZN7rocprim17ROCPRIM_400000_NS6detail17trampoline_kernelINS0_14default_configENS1_25partition_config_selectorILNS1_17partition_subalgoE9EjjbEEZZNS1_14partition_implILS5_9ELb0ES3_jN6thrust23THRUST_200600_302600_NS6detail15normal_iteratorINS9_10device_ptrIjEEEESE_PNS0_10empty_typeENS0_5tupleIJNS9_16discard_iteratorINS9_11use_defaultEEESF_EEENSH_IJSE_SG_EEENS0_18inequality_wrapperINS9_8equal_toIjEEEEPmJSF_EEE10hipError_tPvRmT3_T4_T5_T6_T7_T9_mT8_P12ihipStream_tbDpT10_ENKUlT_T0_E_clISt17integral_constantIbLb0EES1A_IbLb1EEEEDaS16_S17_EUlS16_E_NS1_11comp_targetILNS1_3genE10ELNS1_11target_archE1200ELNS1_3gpuE4ELNS1_3repE0EEENS1_30default_config_static_selectorELNS0_4arch9wavefront6targetE0EEEvT1_,@function
_ZN7rocprim17ROCPRIM_400000_NS6detail17trampoline_kernelINS0_14default_configENS1_25partition_config_selectorILNS1_17partition_subalgoE9EjjbEEZZNS1_14partition_implILS5_9ELb0ES3_jN6thrust23THRUST_200600_302600_NS6detail15normal_iteratorINS9_10device_ptrIjEEEESE_PNS0_10empty_typeENS0_5tupleIJNS9_16discard_iteratorINS9_11use_defaultEEESF_EEENSH_IJSE_SG_EEENS0_18inequality_wrapperINS9_8equal_toIjEEEEPmJSF_EEE10hipError_tPvRmT3_T4_T5_T6_T7_T9_mT8_P12ihipStream_tbDpT10_ENKUlT_T0_E_clISt17integral_constantIbLb0EES1A_IbLb1EEEEDaS16_S17_EUlS16_E_NS1_11comp_targetILNS1_3genE10ELNS1_11target_archE1200ELNS1_3gpuE4ELNS1_3repE0EEENS1_30default_config_static_selectorELNS0_4arch9wavefront6targetE0EEEvT1_: ; @_ZN7rocprim17ROCPRIM_400000_NS6detail17trampoline_kernelINS0_14default_configENS1_25partition_config_selectorILNS1_17partition_subalgoE9EjjbEEZZNS1_14partition_implILS5_9ELb0ES3_jN6thrust23THRUST_200600_302600_NS6detail15normal_iteratorINS9_10device_ptrIjEEEESE_PNS0_10empty_typeENS0_5tupleIJNS9_16discard_iteratorINS9_11use_defaultEEESF_EEENSH_IJSE_SG_EEENS0_18inequality_wrapperINS9_8equal_toIjEEEEPmJSF_EEE10hipError_tPvRmT3_T4_T5_T6_T7_T9_mT8_P12ihipStream_tbDpT10_ENKUlT_T0_E_clISt17integral_constantIbLb0EES1A_IbLb1EEEEDaS16_S17_EUlS16_E_NS1_11comp_targetILNS1_3genE10ELNS1_11target_archE1200ELNS1_3gpuE4ELNS1_3repE0EEENS1_30default_config_static_selectorELNS0_4arch9wavefront6targetE0EEEvT1_
; %bb.0:
	.section	.rodata,"a",@progbits
	.p2align	6, 0x0
	.amdhsa_kernel _ZN7rocprim17ROCPRIM_400000_NS6detail17trampoline_kernelINS0_14default_configENS1_25partition_config_selectorILNS1_17partition_subalgoE9EjjbEEZZNS1_14partition_implILS5_9ELb0ES3_jN6thrust23THRUST_200600_302600_NS6detail15normal_iteratorINS9_10device_ptrIjEEEESE_PNS0_10empty_typeENS0_5tupleIJNS9_16discard_iteratorINS9_11use_defaultEEESF_EEENSH_IJSE_SG_EEENS0_18inequality_wrapperINS9_8equal_toIjEEEEPmJSF_EEE10hipError_tPvRmT3_T4_T5_T6_T7_T9_mT8_P12ihipStream_tbDpT10_ENKUlT_T0_E_clISt17integral_constantIbLb0EES1A_IbLb1EEEEDaS16_S17_EUlS16_E_NS1_11comp_targetILNS1_3genE10ELNS1_11target_archE1200ELNS1_3gpuE4ELNS1_3repE0EEENS1_30default_config_static_selectorELNS0_4arch9wavefront6targetE0EEEvT1_
		.amdhsa_group_segment_fixed_size 0
		.amdhsa_private_segment_fixed_size 0
		.amdhsa_kernarg_size 136
		.amdhsa_user_sgpr_count 15
		.amdhsa_user_sgpr_dispatch_ptr 0
		.amdhsa_user_sgpr_queue_ptr 0
		.amdhsa_user_sgpr_kernarg_segment_ptr 1
		.amdhsa_user_sgpr_dispatch_id 0
		.amdhsa_user_sgpr_private_segment_size 0
		.amdhsa_wavefront_size32 1
		.amdhsa_uses_dynamic_stack 0
		.amdhsa_enable_private_segment 0
		.amdhsa_system_sgpr_workgroup_id_x 1
		.amdhsa_system_sgpr_workgroup_id_y 0
		.amdhsa_system_sgpr_workgroup_id_z 0
		.amdhsa_system_sgpr_workgroup_info 0
		.amdhsa_system_vgpr_workitem_id 0
		.amdhsa_next_free_vgpr 1
		.amdhsa_next_free_sgpr 1
		.amdhsa_reserve_vcc 0
		.amdhsa_float_round_mode_32 0
		.amdhsa_float_round_mode_16_64 0
		.amdhsa_float_denorm_mode_32 3
		.amdhsa_float_denorm_mode_16_64 3
		.amdhsa_dx10_clamp 1
		.amdhsa_ieee_mode 1
		.amdhsa_fp16_overflow 0
		.amdhsa_workgroup_processor_mode 1
		.amdhsa_memory_ordered 1
		.amdhsa_forward_progress 0
		.amdhsa_shared_vgpr_count 0
		.amdhsa_exception_fp_ieee_invalid_op 0
		.amdhsa_exception_fp_denorm_src 0
		.amdhsa_exception_fp_ieee_div_zero 0
		.amdhsa_exception_fp_ieee_overflow 0
		.amdhsa_exception_fp_ieee_underflow 0
		.amdhsa_exception_fp_ieee_inexact 0
		.amdhsa_exception_int_div_zero 0
	.end_amdhsa_kernel
	.section	.text._ZN7rocprim17ROCPRIM_400000_NS6detail17trampoline_kernelINS0_14default_configENS1_25partition_config_selectorILNS1_17partition_subalgoE9EjjbEEZZNS1_14partition_implILS5_9ELb0ES3_jN6thrust23THRUST_200600_302600_NS6detail15normal_iteratorINS9_10device_ptrIjEEEESE_PNS0_10empty_typeENS0_5tupleIJNS9_16discard_iteratorINS9_11use_defaultEEESF_EEENSH_IJSE_SG_EEENS0_18inequality_wrapperINS9_8equal_toIjEEEEPmJSF_EEE10hipError_tPvRmT3_T4_T5_T6_T7_T9_mT8_P12ihipStream_tbDpT10_ENKUlT_T0_E_clISt17integral_constantIbLb0EES1A_IbLb1EEEEDaS16_S17_EUlS16_E_NS1_11comp_targetILNS1_3genE10ELNS1_11target_archE1200ELNS1_3gpuE4ELNS1_3repE0EEENS1_30default_config_static_selectorELNS0_4arch9wavefront6targetE0EEEvT1_,"axG",@progbits,_ZN7rocprim17ROCPRIM_400000_NS6detail17trampoline_kernelINS0_14default_configENS1_25partition_config_selectorILNS1_17partition_subalgoE9EjjbEEZZNS1_14partition_implILS5_9ELb0ES3_jN6thrust23THRUST_200600_302600_NS6detail15normal_iteratorINS9_10device_ptrIjEEEESE_PNS0_10empty_typeENS0_5tupleIJNS9_16discard_iteratorINS9_11use_defaultEEESF_EEENSH_IJSE_SG_EEENS0_18inequality_wrapperINS9_8equal_toIjEEEEPmJSF_EEE10hipError_tPvRmT3_T4_T5_T6_T7_T9_mT8_P12ihipStream_tbDpT10_ENKUlT_T0_E_clISt17integral_constantIbLb0EES1A_IbLb1EEEEDaS16_S17_EUlS16_E_NS1_11comp_targetILNS1_3genE10ELNS1_11target_archE1200ELNS1_3gpuE4ELNS1_3repE0EEENS1_30default_config_static_selectorELNS0_4arch9wavefront6targetE0EEEvT1_,comdat
.Lfunc_end882:
	.size	_ZN7rocprim17ROCPRIM_400000_NS6detail17trampoline_kernelINS0_14default_configENS1_25partition_config_selectorILNS1_17partition_subalgoE9EjjbEEZZNS1_14partition_implILS5_9ELb0ES3_jN6thrust23THRUST_200600_302600_NS6detail15normal_iteratorINS9_10device_ptrIjEEEESE_PNS0_10empty_typeENS0_5tupleIJNS9_16discard_iteratorINS9_11use_defaultEEESF_EEENSH_IJSE_SG_EEENS0_18inequality_wrapperINS9_8equal_toIjEEEEPmJSF_EEE10hipError_tPvRmT3_T4_T5_T6_T7_T9_mT8_P12ihipStream_tbDpT10_ENKUlT_T0_E_clISt17integral_constantIbLb0EES1A_IbLb1EEEEDaS16_S17_EUlS16_E_NS1_11comp_targetILNS1_3genE10ELNS1_11target_archE1200ELNS1_3gpuE4ELNS1_3repE0EEENS1_30default_config_static_selectorELNS0_4arch9wavefront6targetE0EEEvT1_, .Lfunc_end882-_ZN7rocprim17ROCPRIM_400000_NS6detail17trampoline_kernelINS0_14default_configENS1_25partition_config_selectorILNS1_17partition_subalgoE9EjjbEEZZNS1_14partition_implILS5_9ELb0ES3_jN6thrust23THRUST_200600_302600_NS6detail15normal_iteratorINS9_10device_ptrIjEEEESE_PNS0_10empty_typeENS0_5tupleIJNS9_16discard_iteratorINS9_11use_defaultEEESF_EEENSH_IJSE_SG_EEENS0_18inequality_wrapperINS9_8equal_toIjEEEEPmJSF_EEE10hipError_tPvRmT3_T4_T5_T6_T7_T9_mT8_P12ihipStream_tbDpT10_ENKUlT_T0_E_clISt17integral_constantIbLb0EES1A_IbLb1EEEEDaS16_S17_EUlS16_E_NS1_11comp_targetILNS1_3genE10ELNS1_11target_archE1200ELNS1_3gpuE4ELNS1_3repE0EEENS1_30default_config_static_selectorELNS0_4arch9wavefront6targetE0EEEvT1_
                                        ; -- End function
	.section	.AMDGPU.csdata,"",@progbits
; Kernel info:
; codeLenInByte = 0
; NumSgprs: 0
; NumVgprs: 0
; ScratchSize: 0
; MemoryBound: 0
; FloatMode: 240
; IeeeMode: 1
; LDSByteSize: 0 bytes/workgroup (compile time only)
; SGPRBlocks: 0
; VGPRBlocks: 0
; NumSGPRsForWavesPerEU: 1
; NumVGPRsForWavesPerEU: 1
; Occupancy: 15
; WaveLimiterHint : 0
; COMPUTE_PGM_RSRC2:SCRATCH_EN: 0
; COMPUTE_PGM_RSRC2:USER_SGPR: 15
; COMPUTE_PGM_RSRC2:TRAP_HANDLER: 0
; COMPUTE_PGM_RSRC2:TGID_X_EN: 1
; COMPUTE_PGM_RSRC2:TGID_Y_EN: 0
; COMPUTE_PGM_RSRC2:TGID_Z_EN: 0
; COMPUTE_PGM_RSRC2:TIDIG_COMP_CNT: 0
	.section	.text._ZN7rocprim17ROCPRIM_400000_NS6detail17trampoline_kernelINS0_14default_configENS1_25partition_config_selectorILNS1_17partition_subalgoE9EjjbEEZZNS1_14partition_implILS5_9ELb0ES3_jN6thrust23THRUST_200600_302600_NS6detail15normal_iteratorINS9_10device_ptrIjEEEESE_PNS0_10empty_typeENS0_5tupleIJNS9_16discard_iteratorINS9_11use_defaultEEESF_EEENSH_IJSE_SG_EEENS0_18inequality_wrapperINS9_8equal_toIjEEEEPmJSF_EEE10hipError_tPvRmT3_T4_T5_T6_T7_T9_mT8_P12ihipStream_tbDpT10_ENKUlT_T0_E_clISt17integral_constantIbLb0EES1A_IbLb1EEEEDaS16_S17_EUlS16_E_NS1_11comp_targetILNS1_3genE9ELNS1_11target_archE1100ELNS1_3gpuE3ELNS1_3repE0EEENS1_30default_config_static_selectorELNS0_4arch9wavefront6targetE0EEEvT1_,"axG",@progbits,_ZN7rocprim17ROCPRIM_400000_NS6detail17trampoline_kernelINS0_14default_configENS1_25partition_config_selectorILNS1_17partition_subalgoE9EjjbEEZZNS1_14partition_implILS5_9ELb0ES3_jN6thrust23THRUST_200600_302600_NS6detail15normal_iteratorINS9_10device_ptrIjEEEESE_PNS0_10empty_typeENS0_5tupleIJNS9_16discard_iteratorINS9_11use_defaultEEESF_EEENSH_IJSE_SG_EEENS0_18inequality_wrapperINS9_8equal_toIjEEEEPmJSF_EEE10hipError_tPvRmT3_T4_T5_T6_T7_T9_mT8_P12ihipStream_tbDpT10_ENKUlT_T0_E_clISt17integral_constantIbLb0EES1A_IbLb1EEEEDaS16_S17_EUlS16_E_NS1_11comp_targetILNS1_3genE9ELNS1_11target_archE1100ELNS1_3gpuE3ELNS1_3repE0EEENS1_30default_config_static_selectorELNS0_4arch9wavefront6targetE0EEEvT1_,comdat
	.protected	_ZN7rocprim17ROCPRIM_400000_NS6detail17trampoline_kernelINS0_14default_configENS1_25partition_config_selectorILNS1_17partition_subalgoE9EjjbEEZZNS1_14partition_implILS5_9ELb0ES3_jN6thrust23THRUST_200600_302600_NS6detail15normal_iteratorINS9_10device_ptrIjEEEESE_PNS0_10empty_typeENS0_5tupleIJNS9_16discard_iteratorINS9_11use_defaultEEESF_EEENSH_IJSE_SG_EEENS0_18inequality_wrapperINS9_8equal_toIjEEEEPmJSF_EEE10hipError_tPvRmT3_T4_T5_T6_T7_T9_mT8_P12ihipStream_tbDpT10_ENKUlT_T0_E_clISt17integral_constantIbLb0EES1A_IbLb1EEEEDaS16_S17_EUlS16_E_NS1_11comp_targetILNS1_3genE9ELNS1_11target_archE1100ELNS1_3gpuE3ELNS1_3repE0EEENS1_30default_config_static_selectorELNS0_4arch9wavefront6targetE0EEEvT1_ ; -- Begin function _ZN7rocprim17ROCPRIM_400000_NS6detail17trampoline_kernelINS0_14default_configENS1_25partition_config_selectorILNS1_17partition_subalgoE9EjjbEEZZNS1_14partition_implILS5_9ELb0ES3_jN6thrust23THRUST_200600_302600_NS6detail15normal_iteratorINS9_10device_ptrIjEEEESE_PNS0_10empty_typeENS0_5tupleIJNS9_16discard_iteratorINS9_11use_defaultEEESF_EEENSH_IJSE_SG_EEENS0_18inequality_wrapperINS9_8equal_toIjEEEEPmJSF_EEE10hipError_tPvRmT3_T4_T5_T6_T7_T9_mT8_P12ihipStream_tbDpT10_ENKUlT_T0_E_clISt17integral_constantIbLb0EES1A_IbLb1EEEEDaS16_S17_EUlS16_E_NS1_11comp_targetILNS1_3genE9ELNS1_11target_archE1100ELNS1_3gpuE3ELNS1_3repE0EEENS1_30default_config_static_selectorELNS0_4arch9wavefront6targetE0EEEvT1_
	.globl	_ZN7rocprim17ROCPRIM_400000_NS6detail17trampoline_kernelINS0_14default_configENS1_25partition_config_selectorILNS1_17partition_subalgoE9EjjbEEZZNS1_14partition_implILS5_9ELb0ES3_jN6thrust23THRUST_200600_302600_NS6detail15normal_iteratorINS9_10device_ptrIjEEEESE_PNS0_10empty_typeENS0_5tupleIJNS9_16discard_iteratorINS9_11use_defaultEEESF_EEENSH_IJSE_SG_EEENS0_18inequality_wrapperINS9_8equal_toIjEEEEPmJSF_EEE10hipError_tPvRmT3_T4_T5_T6_T7_T9_mT8_P12ihipStream_tbDpT10_ENKUlT_T0_E_clISt17integral_constantIbLb0EES1A_IbLb1EEEEDaS16_S17_EUlS16_E_NS1_11comp_targetILNS1_3genE9ELNS1_11target_archE1100ELNS1_3gpuE3ELNS1_3repE0EEENS1_30default_config_static_selectorELNS0_4arch9wavefront6targetE0EEEvT1_
	.p2align	8
	.type	_ZN7rocprim17ROCPRIM_400000_NS6detail17trampoline_kernelINS0_14default_configENS1_25partition_config_selectorILNS1_17partition_subalgoE9EjjbEEZZNS1_14partition_implILS5_9ELb0ES3_jN6thrust23THRUST_200600_302600_NS6detail15normal_iteratorINS9_10device_ptrIjEEEESE_PNS0_10empty_typeENS0_5tupleIJNS9_16discard_iteratorINS9_11use_defaultEEESF_EEENSH_IJSE_SG_EEENS0_18inequality_wrapperINS9_8equal_toIjEEEEPmJSF_EEE10hipError_tPvRmT3_T4_T5_T6_T7_T9_mT8_P12ihipStream_tbDpT10_ENKUlT_T0_E_clISt17integral_constantIbLb0EES1A_IbLb1EEEEDaS16_S17_EUlS16_E_NS1_11comp_targetILNS1_3genE9ELNS1_11target_archE1100ELNS1_3gpuE3ELNS1_3repE0EEENS1_30default_config_static_selectorELNS0_4arch9wavefront6targetE0EEEvT1_,@function
_ZN7rocprim17ROCPRIM_400000_NS6detail17trampoline_kernelINS0_14default_configENS1_25partition_config_selectorILNS1_17partition_subalgoE9EjjbEEZZNS1_14partition_implILS5_9ELb0ES3_jN6thrust23THRUST_200600_302600_NS6detail15normal_iteratorINS9_10device_ptrIjEEEESE_PNS0_10empty_typeENS0_5tupleIJNS9_16discard_iteratorINS9_11use_defaultEEESF_EEENSH_IJSE_SG_EEENS0_18inequality_wrapperINS9_8equal_toIjEEEEPmJSF_EEE10hipError_tPvRmT3_T4_T5_T6_T7_T9_mT8_P12ihipStream_tbDpT10_ENKUlT_T0_E_clISt17integral_constantIbLb0EES1A_IbLb1EEEEDaS16_S17_EUlS16_E_NS1_11comp_targetILNS1_3genE9ELNS1_11target_archE1100ELNS1_3gpuE3ELNS1_3repE0EEENS1_30default_config_static_selectorELNS0_4arch9wavefront6targetE0EEEvT1_: ; @_ZN7rocprim17ROCPRIM_400000_NS6detail17trampoline_kernelINS0_14default_configENS1_25partition_config_selectorILNS1_17partition_subalgoE9EjjbEEZZNS1_14partition_implILS5_9ELb0ES3_jN6thrust23THRUST_200600_302600_NS6detail15normal_iteratorINS9_10device_ptrIjEEEESE_PNS0_10empty_typeENS0_5tupleIJNS9_16discard_iteratorINS9_11use_defaultEEESF_EEENSH_IJSE_SG_EEENS0_18inequality_wrapperINS9_8equal_toIjEEEEPmJSF_EEE10hipError_tPvRmT3_T4_T5_T6_T7_T9_mT8_P12ihipStream_tbDpT10_ENKUlT_T0_E_clISt17integral_constantIbLb0EES1A_IbLb1EEEEDaS16_S17_EUlS16_E_NS1_11comp_targetILNS1_3genE9ELNS1_11target_archE1100ELNS1_3gpuE3ELNS1_3repE0EEENS1_30default_config_static_selectorELNS0_4arch9wavefront6targetE0EEEvT1_
; %bb.0:
	s_clause 0x5
	s_load_b128 s[4:7], s[0:1], 0x8
	s_load_b64 s[8:9], s[0:1], 0x18
	s_load_b64 s[10:11], s[0:1], 0x38
	s_load_b128 s[12:15], s[0:1], 0x48
	s_load_b64 s[18:19], s[0:1], 0x58
	s_load_b64 s[16:17], s[0:1], 0x68
	v_cmp_ne_u32_e64 s3, 0, v0
	v_cmp_eq_u32_e64 s2, 0, v0
	s_delay_alu instid0(VALU_DEP_1)
	s_and_saveexec_b32 s20, s2
	s_cbranch_execz .LBB883_4
; %bb.1:
	s_mov_b32 s22, exec_lo
	s_mov_b32 s21, exec_lo
	v_mbcnt_lo_u32_b32 v1, s22, 0
                                        ; implicit-def: $vgpr2
	s_delay_alu instid0(VALU_DEP_1)
	v_cmpx_eq_u32_e32 0, v1
	s_cbranch_execz .LBB883_3
; %bb.2:
	s_load_b64 s[24:25], s[0:1], 0x78
	s_bcnt1_i32_b32 s22, s22
	s_delay_alu instid0(SALU_CYCLE_1)
	v_dual_mov_b32 v2, 0 :: v_dual_mov_b32 v3, s22
	s_waitcnt lgkmcnt(0)
	global_atomic_add_u32 v2, v2, v3, s[24:25] glc
.LBB883_3:
	s_or_b32 exec_lo, exec_lo, s21
	s_waitcnt vmcnt(0)
	v_readfirstlane_b32 s21, v2
	s_delay_alu instid0(VALU_DEP_1)
	v_dual_mov_b32 v2, 0 :: v_dual_add_nc_u32 v1, s21, v1
	ds_store_b32 v2, v1
.LBB883_4:
	s_or_b32 exec_lo, exec_lo, s20
	v_dual_mov_b32 v1, 0 :: v_dual_add_nc_u32 v24, 0x300, v0
	s_waitcnt lgkmcnt(0)
	s_barrier
	buffer_gl0_inv
	ds_load_b32 v2, v1
	s_waitcnt lgkmcnt(0)
	s_barrier
	buffer_gl0_inv
	global_load_b64 v[9:10], v1, s[14:15]
	s_load_b32 s0, s[0:1], 0x70
	s_lshl_b64 s[14:15], s[6:7], 2
	v_lshrrev_b32_e32 v23, 3, v0
	s_add_u32 s23, s4, s14
	s_addc_u32 s24, s5, s15
	v_add_nc_u32_e32 v25, 0x180, v0
	v_add_nc_u32_e32 v22, 0x480, v0
	v_or_b32_e32 v20, 0x600, v0
	v_add_nc_u32_e32 v19, 0x780, v0
	v_add_nc_u32_e32 v14, 0x900, v0
	v_add_nc_u32_e32 v13, 0xa80, v0
	v_readfirstlane_b32 s20, v2
	s_waitcnt lgkmcnt(0)
	s_mul_i32 s1, s0, 0xc00
	s_delay_alu instid0(SALU_CYCLE_1) | instskip(NEXT) | instid1(SALU_CYCLE_1)
	s_add_i32 s4, s1, s6
	s_sub_i32 s21, s18, s4
	s_add_i32 s4, s0, -1
	s_addk_i32 s21, 0xc00
	s_add_u32 s0, s6, s1
	s_addc_u32 s1, s7, 0
	s_cmp_eq_u32 s20, s4
	v_cmp_ge_u64_e64 s5, s[0:1], s[18:19]
	s_cselect_b32 s18, -1, 0
	s_mul_i32 s0, s20, 0xc00
	s_mov_b32 s1, 0
	s_delay_alu instid0(VALU_DEP_1)
	s_and_b32 s22, s5, s18
	s_lshl_b64 s[4:5], s[0:1], 2
	s_xor_b32 s19, s22, -1
	s_add_u32 s23, s23, s4
	s_addc_u32 s1, s24, s5
	s_and_b32 vcc_lo, exec_lo, s19
	s_mov_b32 s24, -1
	s_cbranch_vccz .LBB883_6
; %bb.5:
	v_lshlrev_b32_e32 v7, 2, v0
	v_lshrrev_b32_e32 v15, 3, v25
	v_lshrrev_b32_e32 v16, 3, v24
	;; [unrolled: 1-line block ×4, first 2 shown]
	v_add_co_u32 v1, s0, s23, v7
	s_delay_alu instid0(VALU_DEP_1) | instskip(SKIP_1) | instid1(VALU_DEP_3)
	v_add_co_ci_u32_e64 v2, null, s1, 0, s0
	v_lshrrev_b32_e32 v21, 3, v19
	v_add_co_u32 v3, vcc_lo, 0x1000, v1
	s_delay_alu instid0(VALU_DEP_3)
	v_add_co_ci_u32_e32 v4, vcc_lo, 0, v2, vcc_lo
	v_add_co_u32 v5, vcc_lo, 0x2000, v1
	v_add_co_ci_u32_e32 v6, vcc_lo, 0, v2, vcc_lo
	s_clause 0x7
	flat_load_b32 v8, v[1:2]
	flat_load_b32 v11, v[1:2] offset:1536
	flat_load_b32 v1, v[1:2] offset:3072
	;; [unrolled: 1-line block ×7, first 2 shown]
	v_and_b32_e32 v6, 60, v23
	v_lshrrev_b32_e32 v26, 3, v14
	v_lshrrev_b32_e32 v27, 3, v13
	v_and_b32_e32 v15, 0x7c, v15
	v_and_b32_e32 v16, 0xfc, v16
	;; [unrolled: 1-line block ×4, first 2 shown]
	v_add_nc_u32_e32 v6, v6, v7
	v_and_b32_e32 v21, 0x1fc, v21
	v_and_b32_e32 v26, 0x17c, v26
	;; [unrolled: 1-line block ×3, first 2 shown]
	v_add_nc_u32_e32 v15, v15, v7
	v_add_nc_u32_e32 v16, v16, v7
	;; [unrolled: 1-line block ×4, first 2 shown]
	s_mov_b32 s24, 0
	v_add_nc_u32_e32 v21, v21, v7
	v_add_nc_u32_e32 v26, v26, v7
	;; [unrolled: 1-line block ×3, first 2 shown]
	s_waitcnt vmcnt(7) lgkmcnt(7)
	ds_store_b32 v6, v8
	s_waitcnt vmcnt(6) lgkmcnt(7)
	ds_store_b32 v15, v11 offset:1536
	s_waitcnt vmcnt(5) lgkmcnt(7)
	ds_store_b32 v16, v1 offset:3072
	;; [unrolled: 2-line block ×7, first 2 shown]
	s_waitcnt lgkmcnt(0)
	s_barrier
.LBB883_6:
	v_cmp_gt_u32_e64 s0, s21, v0
	s_and_not1_b32 vcc_lo, exec_lo, s24
	s_cbranch_vccnz .LBB883_24
; %bb.7:
                                        ; implicit-def: $vgpr1_vgpr2_vgpr3_vgpr4_vgpr5_vgpr6_vgpr7_vgpr8
	s_delay_alu instid0(VALU_DEP_1)
	s_and_saveexec_b32 s24, s0
	s_cbranch_execz .LBB883_15
; %bb.8:
	v_lshlrev_b32_e32 v1, 2, v0
	s_delay_alu instid0(VALU_DEP_1) | instskip(NEXT) | instid1(VALU_DEP_1)
	v_add_co_u32 v1, s0, s23, v1
	v_add_co_ci_u32_e64 v2, null, s1, 0, s0
	flat_load_b32 v1, v[1:2]
	s_or_b32 exec_lo, exec_lo, s24
	s_delay_alu instid0(SALU_CYCLE_1)
	s_mov_b32 s0, exec_lo
	v_cmpx_gt_u32_e64 s21, v25
	s_cbranch_execnz .LBB883_16
.LBB883_9:
	s_or_b32 exec_lo, exec_lo, s0
	s_delay_alu instid0(SALU_CYCLE_1)
	s_mov_b32 s0, exec_lo
	v_cmpx_gt_u32_e64 s21, v24
	s_cbranch_execz .LBB883_17
.LBB883_10:
	v_lshlrev_b32_e32 v3, 2, v0
	s_delay_alu instid0(VALU_DEP_1) | instskip(NEXT) | instid1(VALU_DEP_1)
	v_add_co_u32 v11, s24, s23, v3
	v_add_co_ci_u32_e64 v12, null, s1, 0, s24
	flat_load_b32 v3, v[11:12] offset:3072
	s_or_b32 exec_lo, exec_lo, s0
	s_delay_alu instid0(SALU_CYCLE_1)
	s_mov_b32 s0, exec_lo
	v_cmpx_gt_u32_e64 s21, v22
	s_cbranch_execnz .LBB883_18
.LBB883_11:
	s_or_b32 exec_lo, exec_lo, s0
	s_delay_alu instid0(SALU_CYCLE_1)
	s_mov_b32 s0, exec_lo
	v_cmpx_gt_u32_e64 s21, v20
	s_cbranch_execz .LBB883_19
.LBB883_12:
	v_lshlrev_b32_e32 v5, 2, v20
	s_delay_alu instid0(VALU_DEP_1) | instskip(NEXT) | instid1(VALU_DEP_1)
	v_add_co_u32 v11, s24, s23, v5
	v_add_co_ci_u32_e64 v12, null, s1, 0, s24
	flat_load_b32 v5, v[11:12]
	s_or_b32 exec_lo, exec_lo, s0
	s_delay_alu instid0(SALU_CYCLE_1)
	s_mov_b32 s0, exec_lo
	v_cmpx_gt_u32_e64 s21, v19
	s_cbranch_execnz .LBB883_20
.LBB883_13:
	s_or_b32 exec_lo, exec_lo, s0
	s_delay_alu instid0(SALU_CYCLE_1)
	s_mov_b32 s0, exec_lo
	v_cmpx_gt_u32_e64 s21, v14
	s_cbranch_execz .LBB883_21
.LBB883_14:
	v_lshlrev_b32_e32 v7, 2, v14
	s_delay_alu instid0(VALU_DEP_1) | instskip(NEXT) | instid1(VALU_DEP_1)
	v_add_co_u32 v11, s24, s23, v7
	v_add_co_ci_u32_e64 v12, null, s1, 0, s24
	flat_load_b32 v7, v[11:12]
	s_or_b32 exec_lo, exec_lo, s0
	s_delay_alu instid0(SALU_CYCLE_1)
	s_mov_b32 s0, exec_lo
	v_cmpx_gt_u32_e64 s21, v13
	s_cbranch_execnz .LBB883_22
	s_branch .LBB883_23
.LBB883_15:
	s_or_b32 exec_lo, exec_lo, s24
	s_delay_alu instid0(SALU_CYCLE_1)
	s_mov_b32 s0, exec_lo
	v_cmpx_gt_u32_e64 s21, v25
	s_cbranch_execz .LBB883_9
.LBB883_16:
	v_lshlrev_b32_e32 v2, 2, v0
	s_delay_alu instid0(VALU_DEP_1) | instskip(NEXT) | instid1(VALU_DEP_1)
	v_add_co_u32 v11, s24, s23, v2
	v_add_co_ci_u32_e64 v12, null, s1, 0, s24
	flat_load_b32 v2, v[11:12] offset:1536
	s_or_b32 exec_lo, exec_lo, s0
	s_delay_alu instid0(SALU_CYCLE_1)
	s_mov_b32 s0, exec_lo
	v_cmpx_gt_u32_e64 s21, v24
	s_cbranch_execnz .LBB883_10
.LBB883_17:
	s_or_b32 exec_lo, exec_lo, s0
	s_delay_alu instid0(SALU_CYCLE_1)
	s_mov_b32 s0, exec_lo
	v_cmpx_gt_u32_e64 s21, v22
	s_cbranch_execz .LBB883_11
.LBB883_18:
	v_lshlrev_b32_e32 v4, 2, v22
	s_delay_alu instid0(VALU_DEP_1) | instskip(NEXT) | instid1(VALU_DEP_1)
	v_add_co_u32 v11, s24, s23, v4
	v_add_co_ci_u32_e64 v12, null, s1, 0, s24
	flat_load_b32 v4, v[11:12]
	s_or_b32 exec_lo, exec_lo, s0
	s_delay_alu instid0(SALU_CYCLE_1)
	s_mov_b32 s0, exec_lo
	v_cmpx_gt_u32_e64 s21, v20
	s_cbranch_execnz .LBB883_12
.LBB883_19:
	s_or_b32 exec_lo, exec_lo, s0
	s_delay_alu instid0(SALU_CYCLE_1)
	s_mov_b32 s0, exec_lo
	v_cmpx_gt_u32_e64 s21, v19
	s_cbranch_execz .LBB883_13
.LBB883_20:
	v_lshlrev_b32_e32 v6, 2, v19
	s_delay_alu instid0(VALU_DEP_1) | instskip(NEXT) | instid1(VALU_DEP_1)
	v_add_co_u32 v11, s24, s23, v6
	v_add_co_ci_u32_e64 v12, null, s1, 0, s24
	flat_load_b32 v6, v[11:12]
	s_or_b32 exec_lo, exec_lo, s0
	s_delay_alu instid0(SALU_CYCLE_1)
	s_mov_b32 s0, exec_lo
	v_cmpx_gt_u32_e64 s21, v14
	s_cbranch_execnz .LBB883_14
.LBB883_21:
	s_or_b32 exec_lo, exec_lo, s0
	s_delay_alu instid0(SALU_CYCLE_1)
	s_mov_b32 s0, exec_lo
	v_cmpx_gt_u32_e64 s21, v13
	s_cbranch_execz .LBB883_23
.LBB883_22:
	v_lshlrev_b32_e32 v8, 2, v13
	s_delay_alu instid0(VALU_DEP_1) | instskip(NEXT) | instid1(VALU_DEP_1)
	v_add_co_u32 v11, s24, s23, v8
	v_add_co_ci_u32_e64 v12, null, s1, 0, s24
	flat_load_b32 v8, v[11:12]
.LBB883_23:
	s_or_b32 exec_lo, exec_lo, s0
	v_lshrrev_b32_e32 v11, 3, v25
	v_lshrrev_b32_e32 v12, 3, v24
	;; [unrolled: 1-line block ×4, first 2 shown]
	v_and_b32_e32 v15, 60, v23
	v_lshlrev_b32_e32 v16, 2, v0
	v_lshrrev_b32_e32 v21, 3, v19
	v_lshrrev_b32_e32 v26, 3, v14
	;; [unrolled: 1-line block ×3, first 2 shown]
	v_and_b32_e32 v11, 0x7c, v11
	v_and_b32_e32 v12, 0xfc, v12
	;; [unrolled: 1-line block ×4, first 2 shown]
	v_add_nc_u32_e32 v15, v15, v16
	v_and_b32_e32 v21, 0x1fc, v21
	v_and_b32_e32 v26, 0x1fc, v26
	;; [unrolled: 1-line block ×3, first 2 shown]
	v_add_nc_u32_e32 v11, v11, v16
	v_add_nc_u32_e32 v12, v12, v16
	;; [unrolled: 1-line block ×7, first 2 shown]
	s_waitcnt vmcnt(0) lgkmcnt(0)
	ds_store_b32 v15, v1
	ds_store_b32 v11, v2 offset:1536
	ds_store_b32 v12, v3 offset:3072
	;; [unrolled: 1-line block ×7, first 2 shown]
	s_waitcnt lgkmcnt(0)
	s_barrier
.LBB883_24:
	v_lshlrev_b32_e32 v21, 3, v0
	v_lshrrev_b32_e32 v1, 2, v0
	s_waitcnt vmcnt(0)
	buffer_gl0_inv
	s_add_u32 s0, s8, s14
	s_addc_u32 s8, s9, s15
	s_add_u32 s0, s0, s4
	v_add_lshl_u32 v1, v1, v21, 2
	s_addc_u32 s4, s8, s5
	s_and_b32 vcc_lo, exec_lo, s19
	s_mov_b32 s5, -1
	ds_load_2addr_b32 v[17:18], v1 offset1:1
	ds_load_2addr_b32 v[15:16], v1 offset0:2 offset1:3
	ds_load_2addr_b32 v[11:12], v1 offset0:4 offset1:5
	;; [unrolled: 1-line block ×3, first 2 shown]
	s_waitcnt lgkmcnt(0)
	s_barrier
	buffer_gl0_inv
	s_cbranch_vccz .LBB883_26
; %bb.25:
	v_lshlrev_b32_e32 v4, 2, v0
	v_lshrrev_b32_e32 v31, 3, v25
	v_lshrrev_b32_e32 v32, 3, v24
	v_lshrrev_b32_e32 v33, 3, v22
	v_lshrrev_b32_e32 v34, 3, v20
	v_add_co_u32 v2, s5, s0, v4
	s_delay_alu instid0(VALU_DEP_1) | instskip(SKIP_1) | instid1(VALU_DEP_3)
	v_add_co_ci_u32_e64 v3, null, s4, 0, s5
	v_lshrrev_b32_e32 v35, 3, v19
	v_add_co_u32 v7, vcc_lo, 0x1000, v2
	s_delay_alu instid0(VALU_DEP_3)
	v_add_co_ci_u32_e32 v8, vcc_lo, 0, v3, vcc_lo
	v_add_co_u32 v26, vcc_lo, 0x2000, v2
	v_add_co_ci_u32_e32 v27, vcc_lo, 0, v3, vcc_lo
	s_clause 0x7
	flat_load_b32 v28, v[2:3]
	flat_load_b32 v29, v[2:3] offset:1536
	flat_load_b32 v2, v[2:3] offset:3072
	;; [unrolled: 1-line block ×7, first 2 shown]
	v_and_b32_e32 v27, 60, v23
	v_lshrrev_b32_e32 v36, 3, v14
	v_lshrrev_b32_e32 v37, 3, v13
	v_and_b32_e32 v31, 0x7c, v31
	v_and_b32_e32 v32, 0xfc, v32
	;; [unrolled: 1-line block ×4, first 2 shown]
	v_add_nc_u32_e32 v27, v27, v4
	v_and_b32_e32 v35, 0x1fc, v35
	v_and_b32_e32 v36, 0x17c, v36
	;; [unrolled: 1-line block ×3, first 2 shown]
	v_add_nc_u32_e32 v31, v31, v4
	v_add_nc_u32_e32 v32, v32, v4
	;; [unrolled: 1-line block ×4, first 2 shown]
	s_mov_b32 s5, 0
	v_add_nc_u32_e32 v35, v35, v4
	v_add_nc_u32_e32 v36, v36, v4
	;; [unrolled: 1-line block ×3, first 2 shown]
	s_waitcnt vmcnt(7) lgkmcnt(7)
	ds_store_b32 v27, v28
	s_waitcnt vmcnt(6) lgkmcnt(7)
	ds_store_b32 v31, v29 offset:1536
	s_waitcnt vmcnt(5) lgkmcnt(7)
	ds_store_b32 v32, v2 offset:3072
	;; [unrolled: 2-line block ×7, first 2 shown]
	s_waitcnt lgkmcnt(0)
	s_barrier
.LBB883_26:
	s_and_not1_b32 vcc_lo, exec_lo, s5
	s_cbranch_vccnz .LBB883_44
; %bb.27:
	s_mov_b32 s5, exec_lo
                                        ; implicit-def: $vgpr2
	v_cmpx_gt_u32_e64 s21, v0
	s_cbranch_execz .LBB883_29
; %bb.28:
	v_lshlrev_b32_e32 v2, 2, v0
	s_delay_alu instid0(VALU_DEP_1) | instskip(NEXT) | instid1(VALU_DEP_1)
	v_add_co_u32 v2, s8, s0, v2
	v_add_co_ci_u32_e64 v3, null, s4, 0, s8
	flat_load_b32 v2, v[2:3]
.LBB883_29:
	s_or_b32 exec_lo, exec_lo, s5
	s_delay_alu instid0(SALU_CYCLE_1)
	s_mov_b32 s5, exec_lo
                                        ; implicit-def: $vgpr3
	v_cmpx_gt_u32_e64 s21, v25
	s_cbranch_execz .LBB883_31
; %bb.30:
	v_lshlrev_b32_e32 v3, 2, v0
	s_delay_alu instid0(VALU_DEP_1) | instskip(NEXT) | instid1(VALU_DEP_1)
	v_add_co_u32 v3, s8, s0, v3
	v_add_co_ci_u32_e64 v4, null, s4, 0, s8
	flat_load_b32 v3, v[3:4] offset:1536
.LBB883_31:
	s_or_b32 exec_lo, exec_lo, s5
	s_delay_alu instid0(SALU_CYCLE_1)
	s_mov_b32 s5, exec_lo
                                        ; implicit-def: $vgpr4
	v_cmpx_gt_u32_e64 s21, v24
	s_cbranch_execz .LBB883_33
; %bb.32:
	v_lshlrev_b32_e32 v4, 2, v0
	s_delay_alu instid0(VALU_DEP_1) | instskip(NEXT) | instid1(VALU_DEP_1)
	v_add_co_u32 v7, s8, s0, v4
	v_add_co_ci_u32_e64 v8, null, s4, 0, s8
	flat_load_b32 v4, v[7:8] offset:3072
.LBB883_33:
	s_or_b32 exec_lo, exec_lo, s5
	s_delay_alu instid0(SALU_CYCLE_1)
	s_mov_b32 s5, exec_lo
                                        ; implicit-def: $vgpr7
	v_cmpx_gt_u32_e64 s21, v22
	s_cbranch_execz .LBB883_35
; %bb.34:
	v_lshlrev_b32_e32 v7, 2, v22
	s_delay_alu instid0(VALU_DEP_1) | instskip(NEXT) | instid1(VALU_DEP_1)
	v_add_co_u32 v7, s8, s0, v7
	v_add_co_ci_u32_e64 v8, null, s4, 0, s8
	flat_load_b32 v7, v[7:8]
.LBB883_35:
	s_or_b32 exec_lo, exec_lo, s5
	s_delay_alu instid0(SALU_CYCLE_1)
	s_mov_b32 s5, exec_lo
                                        ; implicit-def: $vgpr8
	v_cmpx_gt_u32_e64 s21, v20
	s_cbranch_execz .LBB883_37
; %bb.36:
	v_lshlrev_b32_e32 v8, 2, v20
	s_delay_alu instid0(VALU_DEP_1) | instskip(NEXT) | instid1(VALU_DEP_1)
	v_add_co_u32 v26, s8, s0, v8
	v_add_co_ci_u32_e64 v27, null, s4, 0, s8
	flat_load_b32 v8, v[26:27]
.LBB883_37:
	s_or_b32 exec_lo, exec_lo, s5
	s_delay_alu instid0(SALU_CYCLE_1)
	s_mov_b32 s5, exec_lo
                                        ; implicit-def: $vgpr26
	v_cmpx_gt_u32_e64 s21, v19
	s_cbranch_execz .LBB883_39
; %bb.38:
	v_lshlrev_b32_e32 v26, 2, v19
	s_delay_alu instid0(VALU_DEP_1) | instskip(NEXT) | instid1(VALU_DEP_1)
	v_add_co_u32 v26, s8, s0, v26
	v_add_co_ci_u32_e64 v27, null, s4, 0, s8
	flat_load_b32 v26, v[26:27]
.LBB883_39:
	s_or_b32 exec_lo, exec_lo, s5
	s_delay_alu instid0(SALU_CYCLE_1)
	s_mov_b32 s5, exec_lo
                                        ; implicit-def: $vgpr27
	v_cmpx_gt_u32_e64 s21, v14
	s_cbranch_execz .LBB883_41
; %bb.40:
	v_lshlrev_b32_e32 v27, 2, v14
	s_delay_alu instid0(VALU_DEP_1) | instskip(NEXT) | instid1(VALU_DEP_1)
	v_add_co_u32 v27, s8, s0, v27
	v_add_co_ci_u32_e64 v28, null, s4, 0, s8
	flat_load_b32 v27, v[27:28]
.LBB883_41:
	s_or_b32 exec_lo, exec_lo, s5
	s_delay_alu instid0(SALU_CYCLE_1)
	s_mov_b32 s5, exec_lo
                                        ; implicit-def: $vgpr28
	v_cmpx_gt_u32_e64 s21, v13
	s_cbranch_execz .LBB883_43
; %bb.42:
	v_lshlrev_b32_e32 v28, 2, v13
	s_delay_alu instid0(VALU_DEP_1) | instskip(NEXT) | instid1(VALU_DEP_1)
	v_add_co_u32 v28, s0, s0, v28
	v_add_co_ci_u32_e64 v29, null, s4, 0, s0
	flat_load_b32 v28, v[28:29]
.LBB883_43:
	s_or_b32 exec_lo, exec_lo, s5
	v_lshrrev_b32_e32 v25, 3, v25
	v_lshrrev_b32_e32 v24, 3, v24
	v_lshrrev_b32_e32 v22, 3, v22
	v_lshrrev_b32_e32 v20, 3, v20
	v_and_b32_e32 v23, 60, v23
	v_lshlrev_b32_e32 v29, 2, v0
	v_lshrrev_b32_e32 v19, 3, v19
	v_lshrrev_b32_e32 v14, 3, v14
	;; [unrolled: 1-line block ×3, first 2 shown]
	v_and_b32_e32 v25, 0x7c, v25
	v_and_b32_e32 v24, 0xfc, v24
	;; [unrolled: 1-line block ×4, first 2 shown]
	v_add_nc_u32_e32 v23, v23, v29
	v_and_b32_e32 v19, 0x1fc, v19
	v_and_b32_e32 v14, 0x1fc, v14
	;; [unrolled: 1-line block ×3, first 2 shown]
	v_add_nc_u32_e32 v25, v25, v29
	v_add_nc_u32_e32 v24, v24, v29
	v_add_nc_u32_e32 v22, v22, v29
	v_add_nc_u32_e32 v20, v20, v29
	v_add_nc_u32_e32 v19, v19, v29
	v_add_nc_u32_e32 v14, v14, v29
	v_add_nc_u32_e32 v13, v13, v29
	s_waitcnt vmcnt(0) lgkmcnt(0)
	ds_store_b32 v23, v2
	ds_store_b32 v25, v3 offset:1536
	ds_store_b32 v24, v4 offset:3072
	;; [unrolled: 1-line block ×7, first 2 shown]
	s_waitcnt lgkmcnt(0)
	s_barrier
.LBB883_44:
	buffer_gl0_inv
	ds_load_2addr_b32 v[13:14], v1 offset1:1
	ds_load_2addr_b32 v[7:8], v1 offset0:2 offset1:3
	ds_load_2addr_b32 v[3:4], v1 offset0:4 offset1:5
	;; [unrolled: 1-line block ×3, first 2 shown]
	s_cmp_lg_u32 s20, 0
	s_mov_b32 s14, 0
	s_cselect_b32 s9, -1, 0
	s_cmp_lg_u64 s[6:7], 0
	s_waitcnt lgkmcnt(0)
	s_cselect_b32 s0, -1, 0
	s_barrier
	s_or_b32 s0, s0, s9
	buffer_gl0_inv
	s_and_b32 vcc_lo, exec_lo, s0
	s_cbranch_vccz .LBB883_49
; %bb.45:
	v_add_co_u32 v19, s0, -4, s23
	s_delay_alu instid0(VALU_DEP_1)
	v_add_co_ci_u32_e64 v20, null, -1, s1, s0
	v_lshlrev_b32_e32 v23, 2, v0
	s_mov_b32 s1, -1
	s_and_b32 vcc_lo, exec_lo, s19
	flat_load_b32 v22, v[19:20]
	ds_store_b32 v23, v6
	s_cbranch_vccz .LBB883_50
; %bb.46:
	s_waitcnt vmcnt(0) lgkmcnt(1)
	v_mov_b32_e32 v19, v22
	s_waitcnt lgkmcnt(0)
	s_barrier
	buffer_gl0_inv
	s_and_saveexec_b32 s0, s3
	s_cbranch_execz .LBB883_48
; %bb.47:
	v_add_nc_u32_e32 v19, -4, v23
	ds_load_b32 v19, v19
.LBB883_48:
	s_or_b32 exec_lo, exec_lo, s0
	v_cmp_ne_u32_e32 vcc_lo, v5, v6
	s_waitcnt lgkmcnt(0)
	v_cmp_ne_u32_e64 s0, v19, v17
	v_cndmask_b32_e64 v20, 0, 1, vcc_lo
	v_cmp_ne_u32_e32 vcc_lo, v12, v5
	s_delay_alu instid0(VALU_DEP_2) | instskip(SKIP_2) | instid1(VALU_DEP_2)
	v_lshlrev_b16 v20, 8, v20
	v_cndmask_b32_e64 v24, 0, 1, vcc_lo
	v_cmp_ne_u32_e32 vcc_lo, v11, v12
	v_or_b32_e32 v20, v24, v20
	v_cndmask_b32_e64 v25, 0, 1, vcc_lo
	v_cmp_ne_u32_e32 vcc_lo, v15, v16
	s_delay_alu instid0(VALU_DEP_3) | instskip(NEXT) | instid1(VALU_DEP_3)
	v_lshlrev_b32_e32 v20, 16, v20
	v_lshlrev_b16 v25, 8, v25
	v_cndmask_b32_e64 v26, 0, 1, vcc_lo
	v_cmp_ne_u32_e32 vcc_lo, v16, v11
	s_delay_alu instid0(VALU_DEP_2) | instskip(SKIP_2) | instid1(VALU_DEP_2)
	v_lshlrev_b16 v26, 8, v26
	v_cndmask_b32_e64 v27, 0, 1, vcc_lo
	v_cmp_ne_u32_e32 vcc_lo, v18, v15
	v_or_b32_e32 v25, v27, v25
	v_cndmask_b32_e64 v28, 0, 1, vcc_lo
	v_cmp_ne_u32_e32 vcc_lo, v17, v18
	s_delay_alu instid0(VALU_DEP_3) | instskip(NEXT) | instid1(VALU_DEP_3)
	v_and_b32_e32 v25, 0xffff, v25
	v_or_b32_e32 v26, v28, v26
	v_cndmask_b32_e64 v29, 0, 1, vcc_lo
	s_delay_alu instid0(VALU_DEP_3) | instskip(NEXT) | instid1(VALU_DEP_3)
	v_or_b32_e32 v20, v25, v20
	v_lshlrev_b32_e32 v24, 16, v26
	s_delay_alu instid0(VALU_DEP_3) | instskip(NEXT) | instid1(VALU_DEP_1)
	v_lshlrev_b16 v28, 8, v29
	v_and_b32_e32 v26, 0xffff, v28
	s_delay_alu instid0(VALU_DEP_1)
	v_or_b32_e32 v19, v26, v24
	s_branch .LBB883_54
.LBB883_49:
                                        ; implicit-def: $sgpr0
                                        ; implicit-def: $vgpr20
	s_branch .LBB883_55
.LBB883_50:
                                        ; implicit-def: $sgpr0
                                        ; implicit-def: $vgpr20
	s_and_b32 vcc_lo, exec_lo, s1
	s_cbranch_vccz .LBB883_54
; %bb.51:
	s_waitcnt vmcnt(0) lgkmcnt(0)
	s_barrier
	buffer_gl0_inv
	s_and_saveexec_b32 s0, s3
	s_cbranch_execz .LBB883_53
; %bb.52:
	v_add_nc_u32_e32 v19, -4, v23
	ds_load_b32 v22, v19
.LBB883_53:
	s_or_b32 exec_lo, exec_lo, s0
	v_or_b32_e32 v19, 7, v21
	v_or_b32_e32 v20, 6, v21
	;; [unrolled: 1-line block ×3, first 2 shown]
	v_cmp_ne_u32_e32 vcc_lo, v5, v6
	v_cmp_ne_u32_e64 s1, v12, v5
	v_cmp_gt_u32_e64 s0, s21, v19
	v_cmp_gt_u32_e64 s5, s21, v20
	v_cmp_ne_u32_e64 s4, v11, v12
	v_cmp_gt_u32_e64 s6, s21, v23
	v_or_b32_e32 v20, 3, v21
	s_and_b32 s0, s0, vcc_lo
	v_or_b32_e32 v24, 4, v21
	v_cndmask_b32_e64 v19, 0, 1, s0
	s_and_b32 s0, s5, s1
	v_cmp_gt_u32_e32 vcc_lo, s21, v20
	v_cndmask_b32_e64 v23, 0, 1, s0
	s_and_b32 s0, s6, s4
	v_or_b32_e32 v20, 2, v21
	v_cndmask_b32_e64 v25, 0, 1, s0
	v_cmp_ne_u32_e64 s0, v15, v16
	v_cmp_gt_u32_e64 s1, s21, v24
	v_or_b32_e32 v24, 1, v21
	v_cmp_ne_u32_e64 s4, v16, v11
	v_cmp_ne_u32_e64 s6, v17, v18
	s_and_b32 s0, vcc_lo, s0
	v_cmp_gt_u32_e32 vcc_lo, s21, v20
	v_cndmask_b32_e64 v26, 0, 1, s0
	v_cmp_ne_u32_e64 s0, v18, v15
	v_cmp_gt_u32_e64 s5, s21, v24
	s_and_b32 s1, s1, s4
	v_lshlrev_b16 v25, 8, v25
	v_cndmask_b32_e64 v20, 0, 1, s1
	s_and_b32 s0, vcc_lo, s0
	v_lshlrev_b16 v26, 8, v26
	v_cndmask_b32_e64 v24, 0, 1, s0
	s_and_b32 s0, s5, s6
	v_lshlrev_b16 v19, 8, v19
	v_cndmask_b32_e64 v27, 0, 1, s0
	v_or_b32_e32 v20, v20, v25
	v_or_b32_e32 v24, v24, v26
	v_cmp_gt_u32_e32 vcc_lo, s21, v21
	v_or_b32_e32 v19, v23, v19
	v_lshlrev_b16 v26, 8, v27
	v_and_b32_e32 v20, 0xffff, v20
	v_lshlrev_b32_e32 v23, 16, v24
	s_waitcnt lgkmcnt(0)
	v_cmp_ne_u32_e64 s0, v22, v17
	v_lshlrev_b32_e32 v25, 16, v19
	v_and_b32_e32 v24, 0xffff, v26
	s_delay_alu instid0(VALU_DEP_3) | instskip(NEXT) | instid1(VALU_DEP_2)
	s_and_b32 s0, vcc_lo, s0
	v_or_b32_e32 v20, v20, v25
	s_delay_alu instid0(VALU_DEP_2)
	v_or_b32_e32 v19, v24, v23
.LBB883_54:
	s_mov_b32 s14, -1
	s_cbranch_execnz .LBB883_63
.LBB883_55:
	s_waitcnt vmcnt(0) lgkmcnt(1)
	v_lshlrev_b32_e32 v22, 2, v0
	v_cmp_ne_u32_e64 s1, v5, v6
	v_cmp_ne_u32_e64 s4, v12, v5
	;; [unrolled: 1-line block ×7, first 2 shown]
	s_and_b32 vcc_lo, exec_lo, s19
	ds_store_b32 v22, v6
	s_cbranch_vccz .LBB883_59
; %bb.56:
	v_cndmask_b32_e64 v19, 0, 1, s1
	v_cndmask_b32_e64 v23, 0, 1, s5
	;; [unrolled: 1-line block ×7, first 2 shown]
	v_lshlrev_b16 v23, 8, v23
	v_lshlrev_b16 v19, 8, v19
	v_lshlrev_b16 v25, 8, v25
	v_lshlrev_b16 v26, 8, v26
	s_waitcnt lgkmcnt(0)
	v_or_b32_e32 v23, v24, v23
	v_or_b32_e32 v19, v20, v19
	;; [unrolled: 1-line block ×4, first 2 shown]
	s_barrier
	v_and_b32_e32 v23, 0xffff, v23
	v_lshlrev_b32_e32 v19, 16, v19
	v_lshlrev_b32_e32 v25, 16, v20
	v_and_b32_e32 v24, 0xffff, v24
	buffer_gl0_inv
                                        ; implicit-def: $sgpr0
	v_or_b32_e32 v20, v23, v19
	v_or_b32_e32 v19, v24, v25
	s_and_saveexec_b32 s1, s3
	s_delay_alu instid0(SALU_CYCLE_1)
	s_xor_b32 s1, exec_lo, s1
	s_cbranch_execz .LBB883_58
; %bb.57:
	v_add_nc_u32_e32 v23, -4, v22
	s_or_b32 s14, s14, exec_lo
	ds_load_b32 v23, v23
	s_waitcnt lgkmcnt(0)
	v_cmp_ne_u32_e32 vcc_lo, v23, v17
	s_and_b32 s0, vcc_lo, exec_lo
.LBB883_58:
	s_or_b32 exec_lo, exec_lo, s1
	s_branch .LBB883_63
.LBB883_59:
                                        ; implicit-def: $sgpr0
                                        ; implicit-def: $vgpr20
	s_cbranch_execz .LBB883_63
; %bb.60:
	v_or_b32_e32 v19, 7, v21
	v_or_b32_e32 v20, 6, v21
	v_cmp_ne_u32_e32 vcc_lo, v5, v6
	v_cmp_ne_u32_e64 s1, v12, v5
	v_or_b32_e32 v23, 5, v21
	v_cmp_gt_u32_e64 s0, s21, v19
	v_cmp_gt_u32_e64 s4, s21, v20
	v_or_b32_e32 v19, 4, v21
	v_or_b32_e32 v24, 3, v21
	v_cmp_gt_u32_e64 s5, s21, v23
	s_and_b32 s0, s0, vcc_lo
	v_cmp_ne_u32_e32 vcc_lo, v11, v12
	v_cndmask_b32_e64 v20, 0, 1, s0
	s_and_b32 s0, s4, s1
	v_cmp_ne_u32_e64 s1, v16, v11
	v_cndmask_b32_e64 v23, 0, 1, s0
	v_cmp_gt_u32_e64 s0, s21, v19
	v_or_b32_e32 v25, 1, v21
	s_and_b32 s4, s5, vcc_lo
	v_cmp_gt_u32_e32 vcc_lo, s21, v24
	v_cndmask_b32_e64 v19, 0, 1, s4
	s_and_b32 s0, s0, s1
	v_or_b32_e32 v27, 2, v21
	v_cndmask_b32_e64 v26, 0, 1, s0
	v_cmp_ne_u32_e64 s0, v15, v16
	v_cmp_gt_u32_e64 s1, s21, v25
	v_cmp_ne_u32_e64 s4, v17, v18
	v_cmp_gt_u32_e64 s5, s21, v27
	v_cmp_ne_u32_e64 s6, v18, v15
	s_and_b32 s0, vcc_lo, s0
	v_lshlrev_b16 v19, 8, v19
	v_cndmask_b32_e64 v24, 0, 1, s0
	s_and_b32 s0, s1, s4
	v_lshlrev_b16 v20, 8, v20
	v_cndmask_b32_e64 v25, 0, 1, s0
	s_and_b32 s0, s5, s6
	v_lshlrev_b16 v24, 8, v24
	v_cndmask_b32_e64 v27, 0, 1, s0
	v_or_b32_e32 v19, v26, v19
	v_lshlrev_b16 v25, 8, v25
	v_or_b32_e32 v20, v23, v20
	s_waitcnt lgkmcnt(0)
	v_or_b32_e32 v23, v27, v24
	v_and_b32_e32 v19, 0xffff, v19
	v_or_b32_e32 v24, 1, v25
	v_lshlrev_b32_e32 v20, 16, v20
	s_barrier
	v_lshlrev_b32_e32 v23, 16, v23
	buffer_gl0_inv
	v_and_b32_e32 v24, 0xffff, v24
	v_or_b32_e32 v20, v19, v20
                                        ; implicit-def: $sgpr0
	s_delay_alu instid0(VALU_DEP_2)
	v_or_b32_e32 v19, v24, v23
	s_and_saveexec_b32 s1, s3
	s_cbranch_execz .LBB883_62
; %bb.61:
	v_add_nc_u32_e32 v22, -4, v22
	v_cmp_gt_u32_e32 vcc_lo, s21, v21
	s_or_b32 s14, s14, exec_lo
	ds_load_b32 v22, v22
	s_waitcnt lgkmcnt(0)
	v_cmp_ne_u32_e64 s0, v22, v17
	s_delay_alu instid0(VALU_DEP_1) | instskip(NEXT) | instid1(SALU_CYCLE_1)
	s_and_b32 s0, vcc_lo, s0
	s_and_b32 s0, s0, exec_lo
.LBB883_62:
	s_or_b32 exec_lo, exec_lo, s1
.LBB883_63:
	s_and_saveexec_b32 s1, s14
	s_cbranch_execz .LBB883_65
; %bb.64:
	s_waitcnt vmcnt(0) lgkmcnt(1)
	v_and_b32_e32 v22, 0xffffff00, v19
	v_cndmask_b32_e64 v23, 0, 1, s0
	s_delay_alu instid0(VALU_DEP_1) | instskip(NEXT) | instid1(VALU_DEP_1)
	v_or_b32_e32 v22, v23, v22
	v_and_b32_e32 v22, 0xffff, v22
	s_delay_alu instid0(VALU_DEP_1)
	v_and_or_b32 v19, 0xffff0000, v19, v22
.LBB883_65:
	s_or_b32 exec_lo, exec_lo, s1
	s_delay_alu instid0(SALU_CYCLE_1)
	s_and_not1_b32 vcc_lo, exec_lo, s22
	s_cbranch_vccnz .LBB883_67
; %bb.66:
	v_cmp_gt_u32_e32 vcc_lo, s21, v21
	v_or_b32_e32 v23, 1, v21
	v_and_b32_e32 v24, 0xffffff00, v20
	v_or_b32_e32 v25, 2, v21
	s_waitcnt vmcnt(0) lgkmcnt(1)
	v_cndmask_b32_e32 v22, 0, v19, vcc_lo
	v_cmp_gt_u32_e32 vcc_lo, s21, v23
	v_or_b32_e32 v23, 4, v21
	v_cmp_gt_u32_e64 s0, s21, v25
	v_or_b32_e32 v25, 3, v21
	v_and_b32_e32 v22, 0xff, v22
	s_delay_alu instid0(VALU_DEP_2) | instskip(NEXT) | instid1(VALU_DEP_2)
	v_cmp_gt_u32_e64 s1, s21, v25
	v_cndmask_b32_e32 v22, v22, v19, vcc_lo
	v_cmp_gt_u32_e32 vcc_lo, s21, v23
	s_delay_alu instid0(VALU_DEP_2) | instskip(SKIP_1) | instid1(VALU_DEP_2)
	v_dual_cndmask_b32 v23, v24, v20 :: v_dual_and_b32 v22, 0xffff, v22
	v_or_b32_e32 v24, 5, v21
	v_cndmask_b32_e64 v22, v22, v19, s0
	s_delay_alu instid0(VALU_DEP_3) | instskip(NEXT) | instid1(VALU_DEP_3)
	v_and_b32_e32 v23, 0xffff00ff, v23
	v_cmp_gt_u32_e64 s0, s21, v24
	v_or_b32_e32 v24, 6, v21
	v_or_b32_e32 v21, 7, v21
	v_and_b32_e32 v22, 0xffffff, v22
	s_delay_alu instid0(VALU_DEP_4) | instskip(NEXT) | instid1(VALU_DEP_2)
	v_cndmask_b32_e64 v23, v23, v20, s0
	v_cndmask_b32_e64 v22, v22, v19, s1
	s_delay_alu instid0(VALU_DEP_2) | instskip(NEXT) | instid1(VALU_DEP_2)
	v_and_b32_e32 v23, 0xff00ffff, v23
	v_cndmask_b32_e32 v22, v22, v19, vcc_lo
	v_cmp_gt_u32_e32 vcc_lo, s21, v24
	s_delay_alu instid0(VALU_DEP_2) | instskip(NEXT) | instid1(VALU_DEP_1)
	v_cndmask_b32_e64 v22, v22, v19, s0
	v_dual_cndmask_b32 v23, v23, v20 :: v_dual_cndmask_b32 v22, v22, v19
	s_delay_alu instid0(VALU_DEP_1) | instskip(SKIP_1) | instid1(VALU_DEP_2)
	v_and_b32_e32 v23, 0xffffff, v23
	v_cmp_gt_u32_e32 vcc_lo, s21, v21
	v_dual_cndmask_b32 v20, v23, v20 :: v_dual_cndmask_b32 v19, v22, v19
.LBB883_67:
	s_delay_alu instid0(VALU_DEP_1) | instskip(NEXT) | instid1(VALU_DEP_2)
	v_and_b32_e32 v30, 0xff, v19
	v_alignbit_b32 v21, v20, v19, 24
	v_bfe_u32 v32, v19, 8, 8
	v_bfe_u32 v34, v19, 16, 8
	v_and_b32_e32 v38, 0xff, v20
	v_bfe_u32 v40, v20, 8, 8
	v_and_b32_e32 v36, 0xff, v21
	v_add_nc_u32_e32 v21, v32, v30
	s_waitcnt vmcnt(0) lgkmcnt(1)
	v_and_b32_e32 v22, 0x1e0, v0
	v_mbcnt_lo_u32_b32 v43, -1, 0
	v_bfe_u32 v42, v20, 16, 8
	v_lshrrev_b32_e32 v41, 24, v20
	v_add3_u32 v21, v21, v34, v36
	v_min_u32_e32 v22, 0x160, v22
	v_and_b32_e32 v23, 15, v43
	v_lshrrev_b32_e32 v44, 5, v0
	s_and_b32 vcc_lo, exec_lo, s9
	v_add3_u32 v21, v21, v38, v40
	v_or_b32_e32 v22, 31, v22
	v_cmp_eq_u32_e64 s3, 0, v23
	v_cmp_lt_u32_e64 s4, 1, v23
	v_cmp_lt_u32_e64 s1, 3, v23
	v_add3_u32 v45, v21, v42, v41
	v_and_b32_e32 v21, 16, v43
	v_cmp_lt_u32_e64 s0, 7, v23
	v_cmp_eq_u32_e64 s5, v22, v0
	s_mov_b32 s7, -1
	s_waitcnt lgkmcnt(0)
	v_cmp_eq_u32_e64 s6, 0, v21
	s_barrier
	buffer_gl0_inv
	s_cbranch_vccz .LBB883_93
; %bb.68:
	v_mov_b32_dpp v21, v45 row_shr:1 row_mask:0xf bank_mask:0xf
	s_delay_alu instid0(VALU_DEP_1) | instskip(NEXT) | instid1(VALU_DEP_1)
	v_cndmask_b32_e64 v21, v21, 0, s3
	v_add_nc_u32_e32 v21, v21, v45
	s_delay_alu instid0(VALU_DEP_1) | instskip(NEXT) | instid1(VALU_DEP_1)
	v_mov_b32_dpp v22, v21 row_shr:2 row_mask:0xf bank_mask:0xf
	v_cndmask_b32_e64 v22, 0, v22, s4
	s_delay_alu instid0(VALU_DEP_1) | instskip(NEXT) | instid1(VALU_DEP_1)
	v_add_nc_u32_e32 v21, v21, v22
	v_mov_b32_dpp v22, v21 row_shr:4 row_mask:0xf bank_mask:0xf
	s_delay_alu instid0(VALU_DEP_1) | instskip(NEXT) | instid1(VALU_DEP_1)
	v_cndmask_b32_e64 v22, 0, v22, s1
	v_add_nc_u32_e32 v21, v21, v22
	s_delay_alu instid0(VALU_DEP_1) | instskip(NEXT) | instid1(VALU_DEP_1)
	v_mov_b32_dpp v22, v21 row_shr:8 row_mask:0xf bank_mask:0xf
	v_cndmask_b32_e64 v22, 0, v22, s0
	s_delay_alu instid0(VALU_DEP_1) | instskip(SKIP_3) | instid1(VALU_DEP_1)
	v_add_nc_u32_e32 v21, v21, v22
	ds_swizzle_b32 v22, v21 offset:swizzle(BROADCAST,32,15)
	s_waitcnt lgkmcnt(0)
	v_cndmask_b32_e64 v22, v22, 0, s6
	v_add_nc_u32_e32 v21, v21, v22
	s_and_saveexec_b32 s7, s5
	s_cbranch_execz .LBB883_70
; %bb.69:
	v_lshlrev_b32_e32 v22, 2, v44
	ds_store_b32 v22, v21
.LBB883_70:
	s_or_b32 exec_lo, exec_lo, s7
	s_delay_alu instid0(SALU_CYCLE_1)
	s_mov_b32 s7, exec_lo
	s_waitcnt lgkmcnt(0)
	s_barrier
	buffer_gl0_inv
	v_cmpx_gt_u32_e32 12, v0
	s_cbranch_execz .LBB883_72
; %bb.71:
	v_lshlrev_b32_e32 v22, 2, v0
	ds_load_b32 v23, v22
	s_waitcnt lgkmcnt(0)
	v_mov_b32_dpp v24, v23 row_shr:1 row_mask:0xf bank_mask:0xf
	s_delay_alu instid0(VALU_DEP_1) | instskip(NEXT) | instid1(VALU_DEP_1)
	v_cndmask_b32_e64 v24, v24, 0, s3
	v_add_nc_u32_e32 v23, v24, v23
	s_delay_alu instid0(VALU_DEP_1) | instskip(NEXT) | instid1(VALU_DEP_1)
	v_mov_b32_dpp v24, v23 row_shr:2 row_mask:0xf bank_mask:0xf
	v_cndmask_b32_e64 v24, 0, v24, s4
	s_delay_alu instid0(VALU_DEP_1) | instskip(NEXT) | instid1(VALU_DEP_1)
	v_add_nc_u32_e32 v23, v23, v24
	v_mov_b32_dpp v24, v23 row_shr:4 row_mask:0xf bank_mask:0xf
	s_delay_alu instid0(VALU_DEP_1) | instskip(NEXT) | instid1(VALU_DEP_1)
	v_cndmask_b32_e64 v24, 0, v24, s1
	v_add_nc_u32_e32 v23, v23, v24
	s_delay_alu instid0(VALU_DEP_1) | instskip(NEXT) | instid1(VALU_DEP_1)
	v_mov_b32_dpp v24, v23 row_shr:8 row_mask:0xf bank_mask:0xf
	v_cndmask_b32_e64 v24, 0, v24, s0
	s_delay_alu instid0(VALU_DEP_1)
	v_add_nc_u32_e32 v23, v23, v24
	ds_store_b32 v22, v23
.LBB883_72:
	s_or_b32 exec_lo, exec_lo, s7
	v_cmp_gt_u32_e32 vcc_lo, 32, v0
	s_mov_b32 s8, exec_lo
	s_waitcnt lgkmcnt(0)
	s_barrier
	buffer_gl0_inv
                                        ; implicit-def: $vgpr29
	v_cmpx_lt_u32_e32 31, v0
	s_cbranch_execz .LBB883_74
; %bb.73:
	v_lshl_add_u32 v22, v44, 2, -4
	ds_load_b32 v29, v22
	s_waitcnt lgkmcnt(0)
	v_add_nc_u32_e32 v21, v29, v21
.LBB883_74:
	s_or_b32 exec_lo, exec_lo, s8
	v_add_nc_u32_e32 v22, -1, v43
	s_delay_alu instid0(VALU_DEP_1) | instskip(NEXT) | instid1(VALU_DEP_1)
	v_cmp_gt_i32_e64 s7, 0, v22
	v_cndmask_b32_e64 v22, v22, v43, s7
	v_cmp_eq_u32_e64 s7, 0, v43
	s_delay_alu instid0(VALU_DEP_2)
	v_lshlrev_b32_e32 v22, 2, v22
	ds_bpermute_b32 v31, v22, v21
	s_and_saveexec_b32 s8, vcc_lo
	s_cbranch_execz .LBB883_92
; %bb.75:
	v_mov_b32_e32 v25, 0
	ds_load_b32 v21, v25 offset:44
	s_and_saveexec_b32 s9, s7
	s_cbranch_execz .LBB883_77
; %bb.76:
	s_add_i32 s14, s20, 32
	s_mov_b32 s15, 0
	v_mov_b32_e32 v22, 1
	s_lshl_b64 s[14:15], s[14:15], 3
	s_delay_alu instid0(SALU_CYCLE_1)
	s_add_u32 s14, s16, s14
	s_addc_u32 s15, s17, s15
	s_waitcnt lgkmcnt(0)
	global_store_b64 v25, v[21:22], s[14:15]
.LBB883_77:
	s_or_b32 exec_lo, exec_lo, s9
	v_xad_u32 v23, v43, -1, s20
	s_mov_b32 s14, 0
	s_mov_b32 s9, exec_lo
	s_delay_alu instid0(VALU_DEP_1) | instskip(NEXT) | instid1(VALU_DEP_1)
	v_add_nc_u32_e32 v24, 32, v23
	v_lshlrev_b64 v[24:25], 3, v[24:25]
	s_delay_alu instid0(VALU_DEP_1) | instskip(NEXT) | instid1(VALU_DEP_2)
	v_add_co_u32 v27, vcc_lo, s16, v24
	v_add_co_ci_u32_e32 v28, vcc_lo, s17, v25, vcc_lo
	global_load_b64 v[25:26], v[27:28], off glc
	s_waitcnt vmcnt(0)
	v_and_b32_e32 v22, 0xff, v26
	s_delay_alu instid0(VALU_DEP_1)
	v_cmpx_eq_u16_e32 0, v22
	s_cbranch_execz .LBB883_80
.LBB883_78:                             ; =>This Inner Loop Header: Depth=1
	global_load_b64 v[25:26], v[27:28], off glc
	s_waitcnt vmcnt(0)
	v_and_b32_e32 v22, 0xff, v26
	s_delay_alu instid0(VALU_DEP_1) | instskip(SKIP_1) | instid1(SALU_CYCLE_1)
	v_cmp_ne_u16_e32 vcc_lo, 0, v22
	s_or_b32 s14, vcc_lo, s14
	s_and_not1_b32 exec_lo, exec_lo, s14
	s_cbranch_execnz .LBB883_78
; %bb.79:
	s_or_b32 exec_lo, exec_lo, s14
.LBB883_80:
	s_delay_alu instid0(SALU_CYCLE_1)
	s_or_b32 exec_lo, exec_lo, s9
	v_cmp_ne_u32_e32 vcc_lo, 31, v43
	v_lshlrev_b32_e64 v35, v43, -1
	v_add_nc_u32_e32 v39, 2, v43
	v_add_nc_u32_e32 v47, 4, v43
	;; [unrolled: 1-line block ×3, first 2 shown]
	v_add_co_ci_u32_e32 v22, vcc_lo, 0, v43, vcc_lo
	v_add_nc_u32_e32 v51, 16, v43
	s_delay_alu instid0(VALU_DEP_2)
	v_lshlrev_b32_e32 v33, 2, v22
	v_and_b32_e32 v22, 0xff, v26
	ds_bpermute_b32 v24, v33, v25
	v_cmp_eq_u16_e32 vcc_lo, 2, v22
	v_and_or_b32 v22, vcc_lo, v35, 0x80000000
	v_cmp_gt_u32_e32 vcc_lo, 30, v43
	s_delay_alu instid0(VALU_DEP_2) | instskip(SKIP_1) | instid1(VALU_DEP_2)
	v_ctz_i32_b32_e32 v22, v22
	v_cndmask_b32_e64 v27, 0, 1, vcc_lo
	v_cmp_lt_u32_e32 vcc_lo, v43, v22
	s_waitcnt lgkmcnt(0)
	s_delay_alu instid0(VALU_DEP_2) | instskip(NEXT) | instid1(VALU_DEP_1)
	v_dual_cndmask_b32 v24, 0, v24 :: v_dual_lshlrev_b32 v27, 1, v27
	v_add_lshl_u32 v37, v27, v43, 2
	v_cmp_gt_u32_e32 vcc_lo, 28, v43
	s_delay_alu instid0(VALU_DEP_3) | instskip(SKIP_4) | instid1(VALU_DEP_1)
	v_add_nc_u32_e32 v24, v24, v25
	v_cndmask_b32_e64 v27, 0, 1, vcc_lo
	v_cmp_le_u32_e32 vcc_lo, v39, v22
	ds_bpermute_b32 v25, v37, v24
	v_lshlrev_b32_e32 v27, 2, v27
	v_add_lshl_u32 v46, v27, v43, 2
	s_waitcnt lgkmcnt(0)
	v_cndmask_b32_e32 v25, 0, v25, vcc_lo
	v_cmp_gt_u32_e32 vcc_lo, 24, v43
	s_delay_alu instid0(VALU_DEP_2) | instskip(SKIP_4) | instid1(VALU_DEP_1)
	v_add_nc_u32_e32 v24, v24, v25
	v_cndmask_b32_e64 v27, 0, 1, vcc_lo
	v_cmp_le_u32_e32 vcc_lo, v47, v22
	ds_bpermute_b32 v25, v46, v24
	v_lshlrev_b32_e32 v27, 3, v27
	v_add_lshl_u32 v48, v27, v43, 2
	s_waitcnt lgkmcnt(0)
	v_cndmask_b32_e32 v25, 0, v25, vcc_lo
	v_cmp_gt_u32_e32 vcc_lo, 16, v43
	s_delay_alu instid0(VALU_DEP_2) | instskip(SKIP_4) | instid1(VALU_DEP_1)
	v_add_nc_u32_e32 v24, v24, v25
	v_cndmask_b32_e64 v27, 0, 1, vcc_lo
	v_cmp_le_u32_e32 vcc_lo, v49, v22
	ds_bpermute_b32 v25, v48, v24
	v_lshlrev_b32_e32 v27, 4, v27
	v_add_lshl_u32 v50, v27, v43, 2
	s_waitcnt lgkmcnt(0)
	v_cndmask_b32_e32 v25, 0, v25, vcc_lo
	v_cmp_le_u32_e32 vcc_lo, v51, v22
	s_delay_alu instid0(VALU_DEP_2) | instskip(SKIP_3) | instid1(VALU_DEP_1)
	v_add_nc_u32_e32 v24, v24, v25
	ds_bpermute_b32 v25, v50, v24
	s_waitcnt lgkmcnt(0)
	v_cndmask_b32_e32 v22, 0, v25, vcc_lo
	v_dual_mov_b32 v24, 0 :: v_dual_add_nc_u32 v25, v24, v22
	s_branch .LBB883_82
.LBB883_81:                             ;   in Loop: Header=BB883_82 Depth=1
	s_or_b32 exec_lo, exec_lo, s9
	ds_bpermute_b32 v28, v33, v25
	v_and_b32_e32 v27, 0xff, v26
	v_subrev_nc_u32_e32 v23, 32, v23
	s_delay_alu instid0(VALU_DEP_2) | instskip(SKIP_1) | instid1(VALU_DEP_1)
	v_cmp_eq_u16_e32 vcc_lo, 2, v27
	v_and_or_b32 v27, vcc_lo, v35, 0x80000000
	v_ctz_i32_b32_e32 v27, v27
	s_delay_alu instid0(VALU_DEP_1) | instskip(SKIP_3) | instid1(VALU_DEP_2)
	v_cmp_lt_u32_e32 vcc_lo, v43, v27
	s_waitcnt lgkmcnt(0)
	v_cndmask_b32_e32 v28, 0, v28, vcc_lo
	v_cmp_le_u32_e32 vcc_lo, v39, v27
	v_add_nc_u32_e32 v25, v28, v25
	ds_bpermute_b32 v28, v37, v25
	s_waitcnt lgkmcnt(0)
	v_cndmask_b32_e32 v28, 0, v28, vcc_lo
	v_cmp_le_u32_e32 vcc_lo, v47, v27
	s_delay_alu instid0(VALU_DEP_2) | instskip(SKIP_4) | instid1(VALU_DEP_2)
	v_add_nc_u32_e32 v25, v25, v28
	ds_bpermute_b32 v28, v46, v25
	s_waitcnt lgkmcnt(0)
	v_cndmask_b32_e32 v28, 0, v28, vcc_lo
	v_cmp_le_u32_e32 vcc_lo, v49, v27
	v_add_nc_u32_e32 v25, v25, v28
	ds_bpermute_b32 v28, v48, v25
	s_waitcnt lgkmcnt(0)
	v_cndmask_b32_e32 v28, 0, v28, vcc_lo
	v_cmp_le_u32_e32 vcc_lo, v51, v27
	s_delay_alu instid0(VALU_DEP_2) | instskip(SKIP_3) | instid1(VALU_DEP_1)
	v_add_nc_u32_e32 v25, v25, v28
	ds_bpermute_b32 v28, v50, v25
	s_waitcnt lgkmcnt(0)
	v_cndmask_b32_e32 v27, 0, v28, vcc_lo
	v_add3_u32 v25, v27, v22, v25
.LBB883_82:                             ; =>This Loop Header: Depth=1
                                        ;     Child Loop BB883_85 Depth 2
	v_and_b32_e32 v22, 0xff, v26
	s_delay_alu instid0(VALU_DEP_1) | instskip(SKIP_2) | instid1(VALU_DEP_1)
	v_cmp_ne_u16_e32 vcc_lo, 2, v22
	v_cndmask_b32_e64 v22, 0, 1, vcc_lo
	;;#ASMSTART
	;;#ASMEND
	v_cmp_ne_u32_e32 vcc_lo, 0, v22
	v_mov_b32_e32 v22, v25
	s_cmp_lg_u32 vcc_lo, exec_lo
	s_cbranch_scc1 .LBB883_87
; %bb.83:                               ;   in Loop: Header=BB883_82 Depth=1
	v_lshlrev_b64 v[25:26], 3, v[23:24]
	s_mov_b32 s9, exec_lo
	s_delay_alu instid0(VALU_DEP_1) | instskip(NEXT) | instid1(VALU_DEP_2)
	v_add_co_u32 v27, vcc_lo, s16, v25
	v_add_co_ci_u32_e32 v28, vcc_lo, s17, v26, vcc_lo
	global_load_b64 v[25:26], v[27:28], off glc
	s_waitcnt vmcnt(0)
	v_and_b32_e32 v52, 0xff, v26
	s_delay_alu instid0(VALU_DEP_1)
	v_cmpx_eq_u16_e32 0, v52
	s_cbranch_execz .LBB883_81
; %bb.84:                               ;   in Loop: Header=BB883_82 Depth=1
	s_mov_b32 s14, 0
.LBB883_85:                             ;   Parent Loop BB883_82 Depth=1
                                        ; =>  This Inner Loop Header: Depth=2
	global_load_b64 v[25:26], v[27:28], off glc
	s_waitcnt vmcnt(0)
	v_and_b32_e32 v52, 0xff, v26
	s_delay_alu instid0(VALU_DEP_1) | instskip(SKIP_1) | instid1(SALU_CYCLE_1)
	v_cmp_ne_u16_e32 vcc_lo, 0, v52
	s_or_b32 s14, vcc_lo, s14
	s_and_not1_b32 exec_lo, exec_lo, s14
	s_cbranch_execnz .LBB883_85
; %bb.86:                               ;   in Loop: Header=BB883_82 Depth=1
	s_or_b32 exec_lo, exec_lo, s14
	s_branch .LBB883_81
.LBB883_87:                             ;   in Loop: Header=BB883_82 Depth=1
                                        ; implicit-def: $vgpr25
                                        ; implicit-def: $vgpr26
	s_cbranch_execz .LBB883_82
; %bb.88:
	s_and_saveexec_b32 s9, s7
	s_cbranch_execz .LBB883_90
; %bb.89:
	s_add_i32 s14, s20, 32
	s_mov_b32 s15, 0
	v_dual_mov_b32 v24, 2 :: v_dual_add_nc_u32 v23, v22, v21
	s_lshl_b64 s[14:15], s[14:15], 3
	v_mov_b32_e32 v25, 0
	s_add_u32 s14, s16, s14
	s_addc_u32 s15, s17, s15
	global_store_b64 v25, v[23:24], s[14:15]
	ds_store_b64 v25, v[21:22] offset:12672
.LBB883_90:
	s_or_b32 exec_lo, exec_lo, s9
	s_delay_alu instid0(SALU_CYCLE_1)
	s_and_b32 exec_lo, exec_lo, s2
	s_cbranch_execz .LBB883_92
; %bb.91:
	v_mov_b32_e32 v21, 0
	ds_store_b32 v21, v22 offset:44
.LBB883_92:
	s_or_b32 exec_lo, exec_lo, s8
	v_mov_b32_e32 v21, 0
	s_waitcnt lgkmcnt(0)
	s_waitcnt_vscnt null, 0x0
	s_barrier
	buffer_gl0_inv
	v_cndmask_b32_e64 v23, v31, v29, s7
	ds_load_b32 v22, v21 offset:44
	s_waitcnt lgkmcnt(0)
	s_barrier
	buffer_gl0_inv
	v_cndmask_b32_e64 v23, v23, 0, s2
	s_delay_alu instid0(VALU_DEP_1) | instskip(SKIP_2) | instid1(VALU_DEP_1)
	v_add_nc_u32_e32 v39, v22, v23
	ds_load_b64 v[21:22], v21 offset:12672
	v_add_nc_u32_e32 v37, v39, v30
	v_add_nc_u32_e32 v35, v37, v32
	s_delay_alu instid0(VALU_DEP_1) | instskip(NEXT) | instid1(VALU_DEP_1)
	v_add_nc_u32_e32 v33, v35, v34
	v_add_nc_u32_e32 v31, v33, v36
	s_delay_alu instid0(VALU_DEP_1) | instskip(NEXT) | instid1(VALU_DEP_1)
	v_add_nc_u32_e32 v29, v31, v38
	v_add_nc_u32_e32 v27, v29, v40
	s_delay_alu instid0(VALU_DEP_1)
	v_add_nc_u32_e32 v25, v27, v42
	v_lshrrev_b64 v[23:24], 24, v[19:20]
	s_branch .LBB883_103
.LBB883_93:
                                        ; implicit-def: $vgpr25
                                        ; implicit-def: $vgpr27
                                        ; implicit-def: $vgpr29
                                        ; implicit-def: $vgpr31
                                        ; implicit-def: $vgpr33
                                        ; implicit-def: $vgpr35
                                        ; implicit-def: $vgpr37
                                        ; implicit-def: $vgpr39
                                        ; implicit-def: $vgpr22
	v_lshrrev_b64 v[23:24], 24, v[19:20]
	s_and_b32 vcc_lo, exec_lo, s7
	s_cbranch_vccz .LBB883_103
; %bb.94:
	s_waitcnt lgkmcnt(0)
	v_mov_b32_dpp v21, v45 row_shr:1 row_mask:0xf bank_mask:0xf
	s_delay_alu instid0(VALU_DEP_1) | instskip(NEXT) | instid1(VALU_DEP_1)
	v_cndmask_b32_e64 v21, v21, 0, s3
	v_add_nc_u32_e32 v21, v21, v45
	s_delay_alu instid0(VALU_DEP_1) | instskip(NEXT) | instid1(VALU_DEP_1)
	v_mov_b32_dpp v22, v21 row_shr:2 row_mask:0xf bank_mask:0xf
	v_cndmask_b32_e64 v22, 0, v22, s4
	s_delay_alu instid0(VALU_DEP_1) | instskip(NEXT) | instid1(VALU_DEP_1)
	v_add_nc_u32_e32 v21, v21, v22
	v_mov_b32_dpp v22, v21 row_shr:4 row_mask:0xf bank_mask:0xf
	s_delay_alu instid0(VALU_DEP_1) | instskip(NEXT) | instid1(VALU_DEP_1)
	v_cndmask_b32_e64 v22, 0, v22, s1
	v_add_nc_u32_e32 v21, v21, v22
	s_delay_alu instid0(VALU_DEP_1) | instskip(NEXT) | instid1(VALU_DEP_1)
	v_mov_b32_dpp v22, v21 row_shr:8 row_mask:0xf bank_mask:0xf
	v_cndmask_b32_e64 v22, 0, v22, s0
	s_delay_alu instid0(VALU_DEP_1) | instskip(SKIP_3) | instid1(VALU_DEP_1)
	v_add_nc_u32_e32 v21, v21, v22
	ds_swizzle_b32 v22, v21 offset:swizzle(BROADCAST,32,15)
	s_waitcnt lgkmcnt(0)
	v_cndmask_b32_e64 v22, v22, 0, s6
	v_add_nc_u32_e32 v21, v21, v22
	s_and_saveexec_b32 s6, s5
	s_cbranch_execz .LBB883_96
; %bb.95:
	v_lshlrev_b32_e32 v22, 2, v44
	ds_store_b32 v22, v21
.LBB883_96:
	s_or_b32 exec_lo, exec_lo, s6
	s_delay_alu instid0(SALU_CYCLE_1)
	s_mov_b32 s5, exec_lo
	s_waitcnt lgkmcnt(0)
	s_barrier
	buffer_gl0_inv
	v_cmpx_gt_u32_e32 12, v0
	s_cbranch_execz .LBB883_98
; %bb.97:
	v_lshlrev_b32_e32 v22, 2, v0
	ds_load_b32 v24, v22
	s_waitcnt lgkmcnt(0)
	v_mov_b32_dpp v25, v24 row_shr:1 row_mask:0xf bank_mask:0xf
	s_delay_alu instid0(VALU_DEP_1) | instskip(NEXT) | instid1(VALU_DEP_1)
	v_cndmask_b32_e64 v25, v25, 0, s3
	v_add_nc_u32_e32 v24, v25, v24
	s_delay_alu instid0(VALU_DEP_1) | instskip(NEXT) | instid1(VALU_DEP_1)
	v_mov_b32_dpp v25, v24 row_shr:2 row_mask:0xf bank_mask:0xf
	v_cndmask_b32_e64 v25, 0, v25, s4
	s_delay_alu instid0(VALU_DEP_1) | instskip(NEXT) | instid1(VALU_DEP_1)
	v_add_nc_u32_e32 v24, v24, v25
	v_mov_b32_dpp v25, v24 row_shr:4 row_mask:0xf bank_mask:0xf
	s_delay_alu instid0(VALU_DEP_1) | instskip(NEXT) | instid1(VALU_DEP_1)
	v_cndmask_b32_e64 v25, 0, v25, s1
	v_add_nc_u32_e32 v24, v24, v25
	s_delay_alu instid0(VALU_DEP_1) | instskip(NEXT) | instid1(VALU_DEP_1)
	v_mov_b32_dpp v25, v24 row_shr:8 row_mask:0xf bank_mask:0xf
	v_cndmask_b32_e64 v25, 0, v25, s0
	s_delay_alu instid0(VALU_DEP_1)
	v_add_nc_u32_e32 v24, v24, v25
	ds_store_b32 v22, v24
.LBB883_98:
	s_or_b32 exec_lo, exec_lo, s5
	v_mov_b32_e32 v22, 0
	v_mov_b32_e32 v24, 0
	s_mov_b32 s0, exec_lo
	s_waitcnt lgkmcnt(0)
	s_barrier
	buffer_gl0_inv
	v_cmpx_lt_u32_e32 31, v0
	s_cbranch_execz .LBB883_100
; %bb.99:
	v_lshl_add_u32 v24, v44, 2, -4
	ds_load_b32 v24, v24
.LBB883_100:
	s_or_b32 exec_lo, exec_lo, s0
	v_add_nc_u32_e32 v25, -1, v43
	s_waitcnt lgkmcnt(0)
	v_add_nc_u32_e32 v21, v24, v21
	s_delay_alu instid0(VALU_DEP_2) | instskip(SKIP_1) | instid1(VALU_DEP_1)
	v_cmp_gt_i32_e32 vcc_lo, 0, v25
	v_cndmask_b32_e32 v25, v25, v43, vcc_lo
	v_lshlrev_b32_e32 v25, 2, v25
	ds_bpermute_b32 v25, v25, v21
	ds_load_b32 v21, v22 offset:44
	s_and_saveexec_b32 s0, s2
	s_cbranch_execz .LBB883_102
; %bb.101:
	v_mov_b32_e32 v26, 0
	v_mov_b32_e32 v22, 2
	s_waitcnt lgkmcnt(0)
	global_store_b64 v26, v[21:22], s[16:17] offset:256
.LBB883_102:
	s_or_b32 exec_lo, exec_lo, s0
	v_cmp_eq_u32_e32 vcc_lo, 0, v43
	s_waitcnt lgkmcnt(0)
	s_waitcnt_vscnt null, 0x0
	s_barrier
	buffer_gl0_inv
	v_cndmask_b32_e32 v22, v25, v24, vcc_lo
	s_delay_alu instid0(VALU_DEP_1) | instskip(NEXT) | instid1(VALU_DEP_1)
	v_cndmask_b32_e64 v39, v22, 0, s2
	v_dual_mov_b32 v22, 0 :: v_dual_add_nc_u32 v37, v39, v30
	s_delay_alu instid0(VALU_DEP_1) | instskip(NEXT) | instid1(VALU_DEP_1)
	v_add_nc_u32_e32 v35, v37, v32
	v_add_nc_u32_e32 v33, v35, v34
	s_delay_alu instid0(VALU_DEP_1) | instskip(NEXT) | instid1(VALU_DEP_1)
	v_add_nc_u32_e32 v31, v33, v36
	v_add_nc_u32_e32 v29, v31, v38
	;; [unrolled: 3-line block ×3, first 2 shown]
.LBB883_103:
	v_lshrrev_b32_e32 v44, 8, v19
	v_lshrrev_b32_e32 v43, 16, v19
	v_and_b32_e32 v19, 1, v19
	s_waitcnt lgkmcnt(0)
	v_cmp_gt_u32_e64 s0, 0x181, v21
	v_lshrrev_b32_e32 v42, 8, v20
	v_lshrrev_b32_e32 v24, 16, v20
	v_cmp_eq_u32_e64 s1, 1, v19
	s_delay_alu instid0(VALU_DEP_4)
	s_and_b32 vcc_lo, exec_lo, s0
	s_cbranch_vccnz .LBB883_121
; %bb.104:
	s_delay_alu instid0(VALU_DEP_1)
	s_and_saveexec_b32 s3, s1
	s_cbranch_execz .LBB883_106
; %bb.105:
	v_sub_nc_u32_e32 v26, v39, v22
	s_delay_alu instid0(VALU_DEP_1)
	v_lshlrev_b32_e32 v26, 2, v26
	ds_store_b32 v26, v17
.LBB883_106:
	s_or_b32 exec_lo, exec_lo, s3
	v_and_b32_e32 v17, 1, v44
	s_mov_b32 s1, exec_lo
	s_delay_alu instid0(VALU_DEP_1)
	v_cmpx_eq_u32_e32 1, v17
	s_cbranch_execz .LBB883_108
; %bb.107:
	v_sub_nc_u32_e32 v17, v37, v22
	s_delay_alu instid0(VALU_DEP_1)
	v_lshlrev_b32_e32 v17, 2, v17
	ds_store_b32 v17, v18
.LBB883_108:
	s_or_b32 exec_lo, exec_lo, s1
	v_and_b32_e32 v17, 1, v43
	s_mov_b32 s1, exec_lo
	s_delay_alu instid0(VALU_DEP_1)
	v_cmpx_eq_u32_e32 1, v17
	;; [unrolled: 12-line block ×7, first 2 shown]
	s_cbranch_execz .LBB883_120
; %bb.119:
	v_sub_nc_u32_e32 v5, v25, v22
	s_delay_alu instid0(VALU_DEP_1)
	v_lshlrev_b32_e32 v5, 2, v5
	ds_store_b32 v5, v6
.LBB883_120:
	s_or_b32 exec_lo, exec_lo, s1
	s_waitcnt lgkmcnt(0)
	s_barrier
	buffer_gl0_inv
.LBB883_121:
	s_and_b32 vcc_lo, exec_lo, s0
	s_mov_b32 s0, -1
	s_barrier
	buffer_gl0_inv
	s_cbranch_vccz .LBB883_149
; %bb.122:
	v_lshlrev_b64 v[5:6], 2, v[9:10]
	v_add_nc_u32_e32 v11, v22, v21
	s_delay_alu instid0(VALU_DEP_1) | instskip(NEXT) | instid1(VALU_DEP_3)
	v_cmp_lt_u32_e32 vcc_lo, v39, v11
	v_add_co_u32 v5, s0, s10, v5
	s_delay_alu instid0(VALU_DEP_1) | instskip(SKIP_1) | instid1(SALU_CYCLE_1)
	v_add_co_ci_u32_e64 v6, s0, s11, v6, s0
	s_or_b32 s1, s19, vcc_lo
	s_and_saveexec_b32 s0, s1
	s_cbranch_execz .LBB883_125
; %bb.123:
	v_cmp_eq_u32_e32 vcc_lo, 1, v19
	s_and_b32 exec_lo, exec_lo, vcc_lo
	s_cbranch_execz .LBB883_125
; %bb.124:
	v_mov_b32_e32 v40, 0
	s_delay_alu instid0(VALU_DEP_1) | instskip(NEXT) | instid1(VALU_DEP_1)
	v_lshlrev_b64 v[15:16], 2, v[39:40]
	v_add_co_u32 v15, vcc_lo, v5, v15
	s_delay_alu instid0(VALU_DEP_2)
	v_add_co_ci_u32_e32 v16, vcc_lo, v6, v16, vcc_lo
	global_store_b32 v[15:16], v13, off
.LBB883_125:
	s_or_b32 exec_lo, exec_lo, s0
	v_cmp_lt_u32_e32 vcc_lo, v37, v11
	s_or_b32 s1, s19, vcc_lo
	s_delay_alu instid0(SALU_CYCLE_1)
	s_and_saveexec_b32 s0, s1
	s_cbranch_execz .LBB883_128
; %bb.126:
	v_and_b32_e32 v12, 1, v44
	s_delay_alu instid0(VALU_DEP_1)
	v_cmp_eq_u32_e32 vcc_lo, 1, v12
	s_and_b32 exec_lo, exec_lo, vcc_lo
	s_cbranch_execz .LBB883_128
; %bb.127:
	v_mov_b32_e32 v38, 0
	s_delay_alu instid0(VALU_DEP_1) | instskip(NEXT) | instid1(VALU_DEP_1)
	v_lshlrev_b64 v[15:16], 2, v[37:38]
	v_add_co_u32 v15, vcc_lo, v5, v15
	s_delay_alu instid0(VALU_DEP_2)
	v_add_co_ci_u32_e32 v16, vcc_lo, v6, v16, vcc_lo
	global_store_b32 v[15:16], v14, off
.LBB883_128:
	s_or_b32 exec_lo, exec_lo, s0
	v_cmp_lt_u32_e32 vcc_lo, v35, v11
	s_or_b32 s1, s19, vcc_lo
	s_delay_alu instid0(SALU_CYCLE_1)
	s_and_saveexec_b32 s0, s1
	s_cbranch_execz .LBB883_131
; %bb.129:
	v_and_b32_e32 v12, 1, v43
	s_delay_alu instid0(VALU_DEP_1)
	v_cmp_eq_u32_e32 vcc_lo, 1, v12
	s_and_b32 exec_lo, exec_lo, vcc_lo
	s_cbranch_execz .LBB883_131
; %bb.130:
	v_mov_b32_e32 v36, 0
	s_delay_alu instid0(VALU_DEP_1) | instskip(NEXT) | instid1(VALU_DEP_1)
	v_lshlrev_b64 v[15:16], 2, v[35:36]
	v_add_co_u32 v15, vcc_lo, v5, v15
	s_delay_alu instid0(VALU_DEP_2)
	v_add_co_ci_u32_e32 v16, vcc_lo, v6, v16, vcc_lo
	global_store_b32 v[15:16], v7, off
.LBB883_131:
	;; [unrolled: 21-line block ×7, first 2 shown]
	s_or_b32 exec_lo, exec_lo, s0
.LBB883_147:
	s_and_b32 s0, s2, s18
	s_delay_alu instid0(SALU_CYCLE_1)
	s_and_saveexec_b32 s1, s0
	s_cbranch_execz .LBB883_170
.LBB883_148:
	v_add_co_u32 v0, vcc_lo, v9, v21
	v_add_co_ci_u32_e32 v1, vcc_lo, 0, v10, vcc_lo
	v_mov_b32_e32 v2, 0
	s_delay_alu instid0(VALU_DEP_3) | instskip(NEXT) | instid1(VALU_DEP_3)
	v_add_co_u32 v0, vcc_lo, v0, v22
	v_add_co_ci_u32_e32 v1, vcc_lo, 0, v1, vcc_lo
	global_store_b64 v2, v[0:1], s[12:13]
	s_nop 0
	s_sendmsg sendmsg(MSG_DEALLOC_VGPRS)
	s_endpgm
.LBB883_149:
	s_and_b32 vcc_lo, exec_lo, s0
	s_cbranch_vccz .LBB883_147
; %bb.150:
	s_mov_b32 s0, exec_lo
	v_cmpx_eq_u32_e32 1, v19
	s_cbranch_execz .LBB883_152
; %bb.151:
	v_sub_nc_u32_e32 v5, v39, v22
	s_delay_alu instid0(VALU_DEP_1)
	v_lshlrev_b32_e32 v5, 2, v5
	ds_store_b32 v5, v13
.LBB883_152:
	s_or_b32 exec_lo, exec_lo, s0
	v_and_b32_e32 v5, 1, v44
	s_mov_b32 s0, exec_lo
	s_delay_alu instid0(VALU_DEP_1)
	v_cmpx_eq_u32_e32 1, v5
	s_cbranch_execz .LBB883_154
; %bb.153:
	v_sub_nc_u32_e32 v5, v37, v22
	s_delay_alu instid0(VALU_DEP_1)
	v_lshlrev_b32_e32 v5, 2, v5
	ds_store_b32 v5, v14
.LBB883_154:
	s_or_b32 exec_lo, exec_lo, s0
	v_and_b32_e32 v5, 1, v43
	s_mov_b32 s0, exec_lo
	s_delay_alu instid0(VALU_DEP_1)
	;; [unrolled: 12-line block ×7, first 2 shown]
	v_cmpx_eq_u32_e32 1, v1
	s_cbranch_execz .LBB883_166
; %bb.165:
	v_sub_nc_u32_e32 v1, v25, v22
	s_delay_alu instid0(VALU_DEP_1)
	v_lshlrev_b32_e32 v1, 2, v1
	ds_store_b32 v1, v2
.LBB883_166:
	s_or_b32 exec_lo, exec_lo, s0
	s_delay_alu instid0(SALU_CYCLE_1)
	s_mov_b32 s1, exec_lo
	s_waitcnt lgkmcnt(0)
	s_waitcnt_vscnt null, 0x0
	s_barrier
	buffer_gl0_inv
	v_cmpx_lt_u32_e64 v0, v21
	s_cbranch_execz .LBB883_169
; %bb.167:
	v_dual_mov_b32 v1, 0 :: v_dual_mov_b32 v2, v22
	v_lshlrev_b64 v[4:5], 2, v[9:10]
	s_mov_b32 s3, 0
	s_delay_alu instid0(VALU_DEP_2) | instskip(NEXT) | instid1(VALU_DEP_2)
	v_mov_b32_e32 v3, v1
	v_add_co_u32 v4, vcc_lo, s10, v4
	s_delay_alu instid0(VALU_DEP_2) | instskip(NEXT) | instid1(VALU_DEP_4)
	v_lshlrev_b64 v[2:3], 2, v[2:3]
	v_add_co_ci_u32_e32 v5, vcc_lo, s11, v5, vcc_lo
	s_delay_alu instid0(VALU_DEP_2) | instskip(SKIP_1) | instid1(VALU_DEP_3)
	v_add_co_u32 v2, vcc_lo, v4, v2
	v_lshlrev_b32_e32 v4, 2, v0
	v_add_co_ci_u32_e32 v3, vcc_lo, v5, v3, vcc_lo
	.p2align	6
.LBB883_168:                            ; =>This Inner Loop Header: Depth=1
	ds_load_b32 v7, v4
	v_lshlrev_b64 v[5:6], 2, v[0:1]
	v_add_nc_u32_e32 v0, 0x180, v0
	v_add_nc_u32_e32 v4, 0x600, v4
	s_delay_alu instid0(VALU_DEP_2) | instskip(NEXT) | instid1(VALU_DEP_4)
	v_cmp_ge_u32_e32 vcc_lo, v0, v21
	v_add_co_u32 v5, s0, v2, v5
	s_delay_alu instid0(VALU_DEP_1)
	v_add_co_ci_u32_e64 v6, s0, v3, v6, s0
	s_or_b32 s3, vcc_lo, s3
	s_waitcnt lgkmcnt(0)
	global_store_b32 v[5:6], v7, off
	s_and_not1_b32 exec_lo, exec_lo, s3
	s_cbranch_execnz .LBB883_168
.LBB883_169:
	s_or_b32 exec_lo, exec_lo, s1
	s_and_b32 s0, s2, s18
	s_delay_alu instid0(SALU_CYCLE_1)
	s_and_saveexec_b32 s1, s0
	s_cbranch_execnz .LBB883_148
.LBB883_170:
	s_nop 0
	s_sendmsg sendmsg(MSG_DEALLOC_VGPRS)
	s_endpgm
	.section	.rodata,"a",@progbits
	.p2align	6, 0x0
	.amdhsa_kernel _ZN7rocprim17ROCPRIM_400000_NS6detail17trampoline_kernelINS0_14default_configENS1_25partition_config_selectorILNS1_17partition_subalgoE9EjjbEEZZNS1_14partition_implILS5_9ELb0ES3_jN6thrust23THRUST_200600_302600_NS6detail15normal_iteratorINS9_10device_ptrIjEEEESE_PNS0_10empty_typeENS0_5tupleIJNS9_16discard_iteratorINS9_11use_defaultEEESF_EEENSH_IJSE_SG_EEENS0_18inequality_wrapperINS9_8equal_toIjEEEEPmJSF_EEE10hipError_tPvRmT3_T4_T5_T6_T7_T9_mT8_P12ihipStream_tbDpT10_ENKUlT_T0_E_clISt17integral_constantIbLb0EES1A_IbLb1EEEEDaS16_S17_EUlS16_E_NS1_11comp_targetILNS1_3genE9ELNS1_11target_archE1100ELNS1_3gpuE3ELNS1_3repE0EEENS1_30default_config_static_selectorELNS0_4arch9wavefront6targetE0EEEvT1_
		.amdhsa_group_segment_fixed_size 12680
		.amdhsa_private_segment_fixed_size 0
		.amdhsa_kernarg_size 136
		.amdhsa_user_sgpr_count 15
		.amdhsa_user_sgpr_dispatch_ptr 0
		.amdhsa_user_sgpr_queue_ptr 0
		.amdhsa_user_sgpr_kernarg_segment_ptr 1
		.amdhsa_user_sgpr_dispatch_id 0
		.amdhsa_user_sgpr_private_segment_size 0
		.amdhsa_wavefront_size32 1
		.amdhsa_uses_dynamic_stack 0
		.amdhsa_enable_private_segment 0
		.amdhsa_system_sgpr_workgroup_id_x 1
		.amdhsa_system_sgpr_workgroup_id_y 0
		.amdhsa_system_sgpr_workgroup_id_z 0
		.amdhsa_system_sgpr_workgroup_info 0
		.amdhsa_system_vgpr_workitem_id 0
		.amdhsa_next_free_vgpr 53
		.amdhsa_next_free_sgpr 26
		.amdhsa_reserve_vcc 1
		.amdhsa_float_round_mode_32 0
		.amdhsa_float_round_mode_16_64 0
		.amdhsa_float_denorm_mode_32 3
		.amdhsa_float_denorm_mode_16_64 3
		.amdhsa_dx10_clamp 1
		.amdhsa_ieee_mode 1
		.amdhsa_fp16_overflow 0
		.amdhsa_workgroup_processor_mode 1
		.amdhsa_memory_ordered 1
		.amdhsa_forward_progress 0
		.amdhsa_shared_vgpr_count 0
		.amdhsa_exception_fp_ieee_invalid_op 0
		.amdhsa_exception_fp_denorm_src 0
		.amdhsa_exception_fp_ieee_div_zero 0
		.amdhsa_exception_fp_ieee_overflow 0
		.amdhsa_exception_fp_ieee_underflow 0
		.amdhsa_exception_fp_ieee_inexact 0
		.amdhsa_exception_int_div_zero 0
	.end_amdhsa_kernel
	.section	.text._ZN7rocprim17ROCPRIM_400000_NS6detail17trampoline_kernelINS0_14default_configENS1_25partition_config_selectorILNS1_17partition_subalgoE9EjjbEEZZNS1_14partition_implILS5_9ELb0ES3_jN6thrust23THRUST_200600_302600_NS6detail15normal_iteratorINS9_10device_ptrIjEEEESE_PNS0_10empty_typeENS0_5tupleIJNS9_16discard_iteratorINS9_11use_defaultEEESF_EEENSH_IJSE_SG_EEENS0_18inequality_wrapperINS9_8equal_toIjEEEEPmJSF_EEE10hipError_tPvRmT3_T4_T5_T6_T7_T9_mT8_P12ihipStream_tbDpT10_ENKUlT_T0_E_clISt17integral_constantIbLb0EES1A_IbLb1EEEEDaS16_S17_EUlS16_E_NS1_11comp_targetILNS1_3genE9ELNS1_11target_archE1100ELNS1_3gpuE3ELNS1_3repE0EEENS1_30default_config_static_selectorELNS0_4arch9wavefront6targetE0EEEvT1_,"axG",@progbits,_ZN7rocprim17ROCPRIM_400000_NS6detail17trampoline_kernelINS0_14default_configENS1_25partition_config_selectorILNS1_17partition_subalgoE9EjjbEEZZNS1_14partition_implILS5_9ELb0ES3_jN6thrust23THRUST_200600_302600_NS6detail15normal_iteratorINS9_10device_ptrIjEEEESE_PNS0_10empty_typeENS0_5tupleIJNS9_16discard_iteratorINS9_11use_defaultEEESF_EEENSH_IJSE_SG_EEENS0_18inequality_wrapperINS9_8equal_toIjEEEEPmJSF_EEE10hipError_tPvRmT3_T4_T5_T6_T7_T9_mT8_P12ihipStream_tbDpT10_ENKUlT_T0_E_clISt17integral_constantIbLb0EES1A_IbLb1EEEEDaS16_S17_EUlS16_E_NS1_11comp_targetILNS1_3genE9ELNS1_11target_archE1100ELNS1_3gpuE3ELNS1_3repE0EEENS1_30default_config_static_selectorELNS0_4arch9wavefront6targetE0EEEvT1_,comdat
.Lfunc_end883:
	.size	_ZN7rocprim17ROCPRIM_400000_NS6detail17trampoline_kernelINS0_14default_configENS1_25partition_config_selectorILNS1_17partition_subalgoE9EjjbEEZZNS1_14partition_implILS5_9ELb0ES3_jN6thrust23THRUST_200600_302600_NS6detail15normal_iteratorINS9_10device_ptrIjEEEESE_PNS0_10empty_typeENS0_5tupleIJNS9_16discard_iteratorINS9_11use_defaultEEESF_EEENSH_IJSE_SG_EEENS0_18inequality_wrapperINS9_8equal_toIjEEEEPmJSF_EEE10hipError_tPvRmT3_T4_T5_T6_T7_T9_mT8_P12ihipStream_tbDpT10_ENKUlT_T0_E_clISt17integral_constantIbLb0EES1A_IbLb1EEEEDaS16_S17_EUlS16_E_NS1_11comp_targetILNS1_3genE9ELNS1_11target_archE1100ELNS1_3gpuE3ELNS1_3repE0EEENS1_30default_config_static_selectorELNS0_4arch9wavefront6targetE0EEEvT1_, .Lfunc_end883-_ZN7rocprim17ROCPRIM_400000_NS6detail17trampoline_kernelINS0_14default_configENS1_25partition_config_selectorILNS1_17partition_subalgoE9EjjbEEZZNS1_14partition_implILS5_9ELb0ES3_jN6thrust23THRUST_200600_302600_NS6detail15normal_iteratorINS9_10device_ptrIjEEEESE_PNS0_10empty_typeENS0_5tupleIJNS9_16discard_iteratorINS9_11use_defaultEEESF_EEENSH_IJSE_SG_EEENS0_18inequality_wrapperINS9_8equal_toIjEEEEPmJSF_EEE10hipError_tPvRmT3_T4_T5_T6_T7_T9_mT8_P12ihipStream_tbDpT10_ENKUlT_T0_E_clISt17integral_constantIbLb0EES1A_IbLb1EEEEDaS16_S17_EUlS16_E_NS1_11comp_targetILNS1_3genE9ELNS1_11target_archE1100ELNS1_3gpuE3ELNS1_3repE0EEENS1_30default_config_static_selectorELNS0_4arch9wavefront6targetE0EEEvT1_
                                        ; -- End function
	.section	.AMDGPU.csdata,"",@progbits
; Kernel info:
; codeLenInByte = 8492
; NumSgprs: 28
; NumVgprs: 53
; ScratchSize: 0
; MemoryBound: 0
; FloatMode: 240
; IeeeMode: 1
; LDSByteSize: 12680 bytes/workgroup (compile time only)
; SGPRBlocks: 3
; VGPRBlocks: 6
; NumSGPRsForWavesPerEU: 28
; NumVGPRsForWavesPerEU: 53
; Occupancy: 15
; WaveLimiterHint : 1
; COMPUTE_PGM_RSRC2:SCRATCH_EN: 0
; COMPUTE_PGM_RSRC2:USER_SGPR: 15
; COMPUTE_PGM_RSRC2:TRAP_HANDLER: 0
; COMPUTE_PGM_RSRC2:TGID_X_EN: 1
; COMPUTE_PGM_RSRC2:TGID_Y_EN: 0
; COMPUTE_PGM_RSRC2:TGID_Z_EN: 0
; COMPUTE_PGM_RSRC2:TIDIG_COMP_CNT: 0
	.section	.text._ZN7rocprim17ROCPRIM_400000_NS6detail17trampoline_kernelINS0_14default_configENS1_25partition_config_selectorILNS1_17partition_subalgoE9EjjbEEZZNS1_14partition_implILS5_9ELb0ES3_jN6thrust23THRUST_200600_302600_NS6detail15normal_iteratorINS9_10device_ptrIjEEEESE_PNS0_10empty_typeENS0_5tupleIJNS9_16discard_iteratorINS9_11use_defaultEEESF_EEENSH_IJSE_SG_EEENS0_18inequality_wrapperINS9_8equal_toIjEEEEPmJSF_EEE10hipError_tPvRmT3_T4_T5_T6_T7_T9_mT8_P12ihipStream_tbDpT10_ENKUlT_T0_E_clISt17integral_constantIbLb0EES1A_IbLb1EEEEDaS16_S17_EUlS16_E_NS1_11comp_targetILNS1_3genE8ELNS1_11target_archE1030ELNS1_3gpuE2ELNS1_3repE0EEENS1_30default_config_static_selectorELNS0_4arch9wavefront6targetE0EEEvT1_,"axG",@progbits,_ZN7rocprim17ROCPRIM_400000_NS6detail17trampoline_kernelINS0_14default_configENS1_25partition_config_selectorILNS1_17partition_subalgoE9EjjbEEZZNS1_14partition_implILS5_9ELb0ES3_jN6thrust23THRUST_200600_302600_NS6detail15normal_iteratorINS9_10device_ptrIjEEEESE_PNS0_10empty_typeENS0_5tupleIJNS9_16discard_iteratorINS9_11use_defaultEEESF_EEENSH_IJSE_SG_EEENS0_18inequality_wrapperINS9_8equal_toIjEEEEPmJSF_EEE10hipError_tPvRmT3_T4_T5_T6_T7_T9_mT8_P12ihipStream_tbDpT10_ENKUlT_T0_E_clISt17integral_constantIbLb0EES1A_IbLb1EEEEDaS16_S17_EUlS16_E_NS1_11comp_targetILNS1_3genE8ELNS1_11target_archE1030ELNS1_3gpuE2ELNS1_3repE0EEENS1_30default_config_static_selectorELNS0_4arch9wavefront6targetE0EEEvT1_,comdat
	.protected	_ZN7rocprim17ROCPRIM_400000_NS6detail17trampoline_kernelINS0_14default_configENS1_25partition_config_selectorILNS1_17partition_subalgoE9EjjbEEZZNS1_14partition_implILS5_9ELb0ES3_jN6thrust23THRUST_200600_302600_NS6detail15normal_iteratorINS9_10device_ptrIjEEEESE_PNS0_10empty_typeENS0_5tupleIJNS9_16discard_iteratorINS9_11use_defaultEEESF_EEENSH_IJSE_SG_EEENS0_18inequality_wrapperINS9_8equal_toIjEEEEPmJSF_EEE10hipError_tPvRmT3_T4_T5_T6_T7_T9_mT8_P12ihipStream_tbDpT10_ENKUlT_T0_E_clISt17integral_constantIbLb0EES1A_IbLb1EEEEDaS16_S17_EUlS16_E_NS1_11comp_targetILNS1_3genE8ELNS1_11target_archE1030ELNS1_3gpuE2ELNS1_3repE0EEENS1_30default_config_static_selectorELNS0_4arch9wavefront6targetE0EEEvT1_ ; -- Begin function _ZN7rocprim17ROCPRIM_400000_NS6detail17trampoline_kernelINS0_14default_configENS1_25partition_config_selectorILNS1_17partition_subalgoE9EjjbEEZZNS1_14partition_implILS5_9ELb0ES3_jN6thrust23THRUST_200600_302600_NS6detail15normal_iteratorINS9_10device_ptrIjEEEESE_PNS0_10empty_typeENS0_5tupleIJNS9_16discard_iteratorINS9_11use_defaultEEESF_EEENSH_IJSE_SG_EEENS0_18inequality_wrapperINS9_8equal_toIjEEEEPmJSF_EEE10hipError_tPvRmT3_T4_T5_T6_T7_T9_mT8_P12ihipStream_tbDpT10_ENKUlT_T0_E_clISt17integral_constantIbLb0EES1A_IbLb1EEEEDaS16_S17_EUlS16_E_NS1_11comp_targetILNS1_3genE8ELNS1_11target_archE1030ELNS1_3gpuE2ELNS1_3repE0EEENS1_30default_config_static_selectorELNS0_4arch9wavefront6targetE0EEEvT1_
	.globl	_ZN7rocprim17ROCPRIM_400000_NS6detail17trampoline_kernelINS0_14default_configENS1_25partition_config_selectorILNS1_17partition_subalgoE9EjjbEEZZNS1_14partition_implILS5_9ELb0ES3_jN6thrust23THRUST_200600_302600_NS6detail15normal_iteratorINS9_10device_ptrIjEEEESE_PNS0_10empty_typeENS0_5tupleIJNS9_16discard_iteratorINS9_11use_defaultEEESF_EEENSH_IJSE_SG_EEENS0_18inequality_wrapperINS9_8equal_toIjEEEEPmJSF_EEE10hipError_tPvRmT3_T4_T5_T6_T7_T9_mT8_P12ihipStream_tbDpT10_ENKUlT_T0_E_clISt17integral_constantIbLb0EES1A_IbLb1EEEEDaS16_S17_EUlS16_E_NS1_11comp_targetILNS1_3genE8ELNS1_11target_archE1030ELNS1_3gpuE2ELNS1_3repE0EEENS1_30default_config_static_selectorELNS0_4arch9wavefront6targetE0EEEvT1_
	.p2align	8
	.type	_ZN7rocprim17ROCPRIM_400000_NS6detail17trampoline_kernelINS0_14default_configENS1_25partition_config_selectorILNS1_17partition_subalgoE9EjjbEEZZNS1_14partition_implILS5_9ELb0ES3_jN6thrust23THRUST_200600_302600_NS6detail15normal_iteratorINS9_10device_ptrIjEEEESE_PNS0_10empty_typeENS0_5tupleIJNS9_16discard_iteratorINS9_11use_defaultEEESF_EEENSH_IJSE_SG_EEENS0_18inequality_wrapperINS9_8equal_toIjEEEEPmJSF_EEE10hipError_tPvRmT3_T4_T5_T6_T7_T9_mT8_P12ihipStream_tbDpT10_ENKUlT_T0_E_clISt17integral_constantIbLb0EES1A_IbLb1EEEEDaS16_S17_EUlS16_E_NS1_11comp_targetILNS1_3genE8ELNS1_11target_archE1030ELNS1_3gpuE2ELNS1_3repE0EEENS1_30default_config_static_selectorELNS0_4arch9wavefront6targetE0EEEvT1_,@function
_ZN7rocprim17ROCPRIM_400000_NS6detail17trampoline_kernelINS0_14default_configENS1_25partition_config_selectorILNS1_17partition_subalgoE9EjjbEEZZNS1_14partition_implILS5_9ELb0ES3_jN6thrust23THRUST_200600_302600_NS6detail15normal_iteratorINS9_10device_ptrIjEEEESE_PNS0_10empty_typeENS0_5tupleIJNS9_16discard_iteratorINS9_11use_defaultEEESF_EEENSH_IJSE_SG_EEENS0_18inequality_wrapperINS9_8equal_toIjEEEEPmJSF_EEE10hipError_tPvRmT3_T4_T5_T6_T7_T9_mT8_P12ihipStream_tbDpT10_ENKUlT_T0_E_clISt17integral_constantIbLb0EES1A_IbLb1EEEEDaS16_S17_EUlS16_E_NS1_11comp_targetILNS1_3genE8ELNS1_11target_archE1030ELNS1_3gpuE2ELNS1_3repE0EEENS1_30default_config_static_selectorELNS0_4arch9wavefront6targetE0EEEvT1_: ; @_ZN7rocprim17ROCPRIM_400000_NS6detail17trampoline_kernelINS0_14default_configENS1_25partition_config_selectorILNS1_17partition_subalgoE9EjjbEEZZNS1_14partition_implILS5_9ELb0ES3_jN6thrust23THRUST_200600_302600_NS6detail15normal_iteratorINS9_10device_ptrIjEEEESE_PNS0_10empty_typeENS0_5tupleIJNS9_16discard_iteratorINS9_11use_defaultEEESF_EEENSH_IJSE_SG_EEENS0_18inequality_wrapperINS9_8equal_toIjEEEEPmJSF_EEE10hipError_tPvRmT3_T4_T5_T6_T7_T9_mT8_P12ihipStream_tbDpT10_ENKUlT_T0_E_clISt17integral_constantIbLb0EES1A_IbLb1EEEEDaS16_S17_EUlS16_E_NS1_11comp_targetILNS1_3genE8ELNS1_11target_archE1030ELNS1_3gpuE2ELNS1_3repE0EEENS1_30default_config_static_selectorELNS0_4arch9wavefront6targetE0EEEvT1_
; %bb.0:
	.section	.rodata,"a",@progbits
	.p2align	6, 0x0
	.amdhsa_kernel _ZN7rocprim17ROCPRIM_400000_NS6detail17trampoline_kernelINS0_14default_configENS1_25partition_config_selectorILNS1_17partition_subalgoE9EjjbEEZZNS1_14partition_implILS5_9ELb0ES3_jN6thrust23THRUST_200600_302600_NS6detail15normal_iteratorINS9_10device_ptrIjEEEESE_PNS0_10empty_typeENS0_5tupleIJNS9_16discard_iteratorINS9_11use_defaultEEESF_EEENSH_IJSE_SG_EEENS0_18inequality_wrapperINS9_8equal_toIjEEEEPmJSF_EEE10hipError_tPvRmT3_T4_T5_T6_T7_T9_mT8_P12ihipStream_tbDpT10_ENKUlT_T0_E_clISt17integral_constantIbLb0EES1A_IbLb1EEEEDaS16_S17_EUlS16_E_NS1_11comp_targetILNS1_3genE8ELNS1_11target_archE1030ELNS1_3gpuE2ELNS1_3repE0EEENS1_30default_config_static_selectorELNS0_4arch9wavefront6targetE0EEEvT1_
		.amdhsa_group_segment_fixed_size 0
		.amdhsa_private_segment_fixed_size 0
		.amdhsa_kernarg_size 136
		.amdhsa_user_sgpr_count 15
		.amdhsa_user_sgpr_dispatch_ptr 0
		.amdhsa_user_sgpr_queue_ptr 0
		.amdhsa_user_sgpr_kernarg_segment_ptr 1
		.amdhsa_user_sgpr_dispatch_id 0
		.amdhsa_user_sgpr_private_segment_size 0
		.amdhsa_wavefront_size32 1
		.amdhsa_uses_dynamic_stack 0
		.amdhsa_enable_private_segment 0
		.amdhsa_system_sgpr_workgroup_id_x 1
		.amdhsa_system_sgpr_workgroup_id_y 0
		.amdhsa_system_sgpr_workgroup_id_z 0
		.amdhsa_system_sgpr_workgroup_info 0
		.amdhsa_system_vgpr_workitem_id 0
		.amdhsa_next_free_vgpr 1
		.amdhsa_next_free_sgpr 1
		.amdhsa_reserve_vcc 0
		.amdhsa_float_round_mode_32 0
		.amdhsa_float_round_mode_16_64 0
		.amdhsa_float_denorm_mode_32 3
		.amdhsa_float_denorm_mode_16_64 3
		.amdhsa_dx10_clamp 1
		.amdhsa_ieee_mode 1
		.amdhsa_fp16_overflow 0
		.amdhsa_workgroup_processor_mode 1
		.amdhsa_memory_ordered 1
		.amdhsa_forward_progress 0
		.amdhsa_shared_vgpr_count 0
		.amdhsa_exception_fp_ieee_invalid_op 0
		.amdhsa_exception_fp_denorm_src 0
		.amdhsa_exception_fp_ieee_div_zero 0
		.amdhsa_exception_fp_ieee_overflow 0
		.amdhsa_exception_fp_ieee_underflow 0
		.amdhsa_exception_fp_ieee_inexact 0
		.amdhsa_exception_int_div_zero 0
	.end_amdhsa_kernel
	.section	.text._ZN7rocprim17ROCPRIM_400000_NS6detail17trampoline_kernelINS0_14default_configENS1_25partition_config_selectorILNS1_17partition_subalgoE9EjjbEEZZNS1_14partition_implILS5_9ELb0ES3_jN6thrust23THRUST_200600_302600_NS6detail15normal_iteratorINS9_10device_ptrIjEEEESE_PNS0_10empty_typeENS0_5tupleIJNS9_16discard_iteratorINS9_11use_defaultEEESF_EEENSH_IJSE_SG_EEENS0_18inequality_wrapperINS9_8equal_toIjEEEEPmJSF_EEE10hipError_tPvRmT3_T4_T5_T6_T7_T9_mT8_P12ihipStream_tbDpT10_ENKUlT_T0_E_clISt17integral_constantIbLb0EES1A_IbLb1EEEEDaS16_S17_EUlS16_E_NS1_11comp_targetILNS1_3genE8ELNS1_11target_archE1030ELNS1_3gpuE2ELNS1_3repE0EEENS1_30default_config_static_selectorELNS0_4arch9wavefront6targetE0EEEvT1_,"axG",@progbits,_ZN7rocprim17ROCPRIM_400000_NS6detail17trampoline_kernelINS0_14default_configENS1_25partition_config_selectorILNS1_17partition_subalgoE9EjjbEEZZNS1_14partition_implILS5_9ELb0ES3_jN6thrust23THRUST_200600_302600_NS6detail15normal_iteratorINS9_10device_ptrIjEEEESE_PNS0_10empty_typeENS0_5tupleIJNS9_16discard_iteratorINS9_11use_defaultEEESF_EEENSH_IJSE_SG_EEENS0_18inequality_wrapperINS9_8equal_toIjEEEEPmJSF_EEE10hipError_tPvRmT3_T4_T5_T6_T7_T9_mT8_P12ihipStream_tbDpT10_ENKUlT_T0_E_clISt17integral_constantIbLb0EES1A_IbLb1EEEEDaS16_S17_EUlS16_E_NS1_11comp_targetILNS1_3genE8ELNS1_11target_archE1030ELNS1_3gpuE2ELNS1_3repE0EEENS1_30default_config_static_selectorELNS0_4arch9wavefront6targetE0EEEvT1_,comdat
.Lfunc_end884:
	.size	_ZN7rocprim17ROCPRIM_400000_NS6detail17trampoline_kernelINS0_14default_configENS1_25partition_config_selectorILNS1_17partition_subalgoE9EjjbEEZZNS1_14partition_implILS5_9ELb0ES3_jN6thrust23THRUST_200600_302600_NS6detail15normal_iteratorINS9_10device_ptrIjEEEESE_PNS0_10empty_typeENS0_5tupleIJNS9_16discard_iteratorINS9_11use_defaultEEESF_EEENSH_IJSE_SG_EEENS0_18inequality_wrapperINS9_8equal_toIjEEEEPmJSF_EEE10hipError_tPvRmT3_T4_T5_T6_T7_T9_mT8_P12ihipStream_tbDpT10_ENKUlT_T0_E_clISt17integral_constantIbLb0EES1A_IbLb1EEEEDaS16_S17_EUlS16_E_NS1_11comp_targetILNS1_3genE8ELNS1_11target_archE1030ELNS1_3gpuE2ELNS1_3repE0EEENS1_30default_config_static_selectorELNS0_4arch9wavefront6targetE0EEEvT1_, .Lfunc_end884-_ZN7rocprim17ROCPRIM_400000_NS6detail17trampoline_kernelINS0_14default_configENS1_25partition_config_selectorILNS1_17partition_subalgoE9EjjbEEZZNS1_14partition_implILS5_9ELb0ES3_jN6thrust23THRUST_200600_302600_NS6detail15normal_iteratorINS9_10device_ptrIjEEEESE_PNS0_10empty_typeENS0_5tupleIJNS9_16discard_iteratorINS9_11use_defaultEEESF_EEENSH_IJSE_SG_EEENS0_18inequality_wrapperINS9_8equal_toIjEEEEPmJSF_EEE10hipError_tPvRmT3_T4_T5_T6_T7_T9_mT8_P12ihipStream_tbDpT10_ENKUlT_T0_E_clISt17integral_constantIbLb0EES1A_IbLb1EEEEDaS16_S17_EUlS16_E_NS1_11comp_targetILNS1_3genE8ELNS1_11target_archE1030ELNS1_3gpuE2ELNS1_3repE0EEENS1_30default_config_static_selectorELNS0_4arch9wavefront6targetE0EEEvT1_
                                        ; -- End function
	.section	.AMDGPU.csdata,"",@progbits
; Kernel info:
; codeLenInByte = 0
; NumSgprs: 0
; NumVgprs: 0
; ScratchSize: 0
; MemoryBound: 0
; FloatMode: 240
; IeeeMode: 1
; LDSByteSize: 0 bytes/workgroup (compile time only)
; SGPRBlocks: 0
; VGPRBlocks: 0
; NumSGPRsForWavesPerEU: 1
; NumVGPRsForWavesPerEU: 1
; Occupancy: 16
; WaveLimiterHint : 0
; COMPUTE_PGM_RSRC2:SCRATCH_EN: 0
; COMPUTE_PGM_RSRC2:USER_SGPR: 15
; COMPUTE_PGM_RSRC2:TRAP_HANDLER: 0
; COMPUTE_PGM_RSRC2:TGID_X_EN: 1
; COMPUTE_PGM_RSRC2:TGID_Y_EN: 0
; COMPUTE_PGM_RSRC2:TGID_Z_EN: 0
; COMPUTE_PGM_RSRC2:TIDIG_COMP_CNT: 0
	.section	.text._ZN7rocprim17ROCPRIM_400000_NS6detail17trampoline_kernelINS0_14default_configENS1_25partition_config_selectorILNS1_17partition_subalgoE9EtjbEEZZNS1_14partition_implILS5_9ELb0ES3_jN6thrust23THRUST_200600_302600_NS6detail15normal_iteratorINS9_10device_ptrItEEEENSB_INSC_IjEEEEPNS0_10empty_typeENS0_5tupleIJNS9_16discard_iteratorINS9_11use_defaultEEESH_EEENSJ_IJSM_SI_EEENS0_18inequality_wrapperINS9_8equal_toItEEEEPmJSH_EEE10hipError_tPvRmT3_T4_T5_T6_T7_T9_mT8_P12ihipStream_tbDpT10_ENKUlT_T0_E_clISt17integral_constantIbLb0EES1D_EEDaS18_S19_EUlS18_E_NS1_11comp_targetILNS1_3genE0ELNS1_11target_archE4294967295ELNS1_3gpuE0ELNS1_3repE0EEENS1_30default_config_static_selectorELNS0_4arch9wavefront6targetE0EEEvT1_,"axG",@progbits,_ZN7rocprim17ROCPRIM_400000_NS6detail17trampoline_kernelINS0_14default_configENS1_25partition_config_selectorILNS1_17partition_subalgoE9EtjbEEZZNS1_14partition_implILS5_9ELb0ES3_jN6thrust23THRUST_200600_302600_NS6detail15normal_iteratorINS9_10device_ptrItEEEENSB_INSC_IjEEEEPNS0_10empty_typeENS0_5tupleIJNS9_16discard_iteratorINS9_11use_defaultEEESH_EEENSJ_IJSM_SI_EEENS0_18inequality_wrapperINS9_8equal_toItEEEEPmJSH_EEE10hipError_tPvRmT3_T4_T5_T6_T7_T9_mT8_P12ihipStream_tbDpT10_ENKUlT_T0_E_clISt17integral_constantIbLb0EES1D_EEDaS18_S19_EUlS18_E_NS1_11comp_targetILNS1_3genE0ELNS1_11target_archE4294967295ELNS1_3gpuE0ELNS1_3repE0EEENS1_30default_config_static_selectorELNS0_4arch9wavefront6targetE0EEEvT1_,comdat
	.protected	_ZN7rocprim17ROCPRIM_400000_NS6detail17trampoline_kernelINS0_14default_configENS1_25partition_config_selectorILNS1_17partition_subalgoE9EtjbEEZZNS1_14partition_implILS5_9ELb0ES3_jN6thrust23THRUST_200600_302600_NS6detail15normal_iteratorINS9_10device_ptrItEEEENSB_INSC_IjEEEEPNS0_10empty_typeENS0_5tupleIJNS9_16discard_iteratorINS9_11use_defaultEEESH_EEENSJ_IJSM_SI_EEENS0_18inequality_wrapperINS9_8equal_toItEEEEPmJSH_EEE10hipError_tPvRmT3_T4_T5_T6_T7_T9_mT8_P12ihipStream_tbDpT10_ENKUlT_T0_E_clISt17integral_constantIbLb0EES1D_EEDaS18_S19_EUlS18_E_NS1_11comp_targetILNS1_3genE0ELNS1_11target_archE4294967295ELNS1_3gpuE0ELNS1_3repE0EEENS1_30default_config_static_selectorELNS0_4arch9wavefront6targetE0EEEvT1_ ; -- Begin function _ZN7rocprim17ROCPRIM_400000_NS6detail17trampoline_kernelINS0_14default_configENS1_25partition_config_selectorILNS1_17partition_subalgoE9EtjbEEZZNS1_14partition_implILS5_9ELb0ES3_jN6thrust23THRUST_200600_302600_NS6detail15normal_iteratorINS9_10device_ptrItEEEENSB_INSC_IjEEEEPNS0_10empty_typeENS0_5tupleIJNS9_16discard_iteratorINS9_11use_defaultEEESH_EEENSJ_IJSM_SI_EEENS0_18inequality_wrapperINS9_8equal_toItEEEEPmJSH_EEE10hipError_tPvRmT3_T4_T5_T6_T7_T9_mT8_P12ihipStream_tbDpT10_ENKUlT_T0_E_clISt17integral_constantIbLb0EES1D_EEDaS18_S19_EUlS18_E_NS1_11comp_targetILNS1_3genE0ELNS1_11target_archE4294967295ELNS1_3gpuE0ELNS1_3repE0EEENS1_30default_config_static_selectorELNS0_4arch9wavefront6targetE0EEEvT1_
	.globl	_ZN7rocprim17ROCPRIM_400000_NS6detail17trampoline_kernelINS0_14default_configENS1_25partition_config_selectorILNS1_17partition_subalgoE9EtjbEEZZNS1_14partition_implILS5_9ELb0ES3_jN6thrust23THRUST_200600_302600_NS6detail15normal_iteratorINS9_10device_ptrItEEEENSB_INSC_IjEEEEPNS0_10empty_typeENS0_5tupleIJNS9_16discard_iteratorINS9_11use_defaultEEESH_EEENSJ_IJSM_SI_EEENS0_18inequality_wrapperINS9_8equal_toItEEEEPmJSH_EEE10hipError_tPvRmT3_T4_T5_T6_T7_T9_mT8_P12ihipStream_tbDpT10_ENKUlT_T0_E_clISt17integral_constantIbLb0EES1D_EEDaS18_S19_EUlS18_E_NS1_11comp_targetILNS1_3genE0ELNS1_11target_archE4294967295ELNS1_3gpuE0ELNS1_3repE0EEENS1_30default_config_static_selectorELNS0_4arch9wavefront6targetE0EEEvT1_
	.p2align	8
	.type	_ZN7rocprim17ROCPRIM_400000_NS6detail17trampoline_kernelINS0_14default_configENS1_25partition_config_selectorILNS1_17partition_subalgoE9EtjbEEZZNS1_14partition_implILS5_9ELb0ES3_jN6thrust23THRUST_200600_302600_NS6detail15normal_iteratorINS9_10device_ptrItEEEENSB_INSC_IjEEEEPNS0_10empty_typeENS0_5tupleIJNS9_16discard_iteratorINS9_11use_defaultEEESH_EEENSJ_IJSM_SI_EEENS0_18inequality_wrapperINS9_8equal_toItEEEEPmJSH_EEE10hipError_tPvRmT3_T4_T5_T6_T7_T9_mT8_P12ihipStream_tbDpT10_ENKUlT_T0_E_clISt17integral_constantIbLb0EES1D_EEDaS18_S19_EUlS18_E_NS1_11comp_targetILNS1_3genE0ELNS1_11target_archE4294967295ELNS1_3gpuE0ELNS1_3repE0EEENS1_30default_config_static_selectorELNS0_4arch9wavefront6targetE0EEEvT1_,@function
_ZN7rocprim17ROCPRIM_400000_NS6detail17trampoline_kernelINS0_14default_configENS1_25partition_config_selectorILNS1_17partition_subalgoE9EtjbEEZZNS1_14partition_implILS5_9ELb0ES3_jN6thrust23THRUST_200600_302600_NS6detail15normal_iteratorINS9_10device_ptrItEEEENSB_INSC_IjEEEEPNS0_10empty_typeENS0_5tupleIJNS9_16discard_iteratorINS9_11use_defaultEEESH_EEENSJ_IJSM_SI_EEENS0_18inequality_wrapperINS9_8equal_toItEEEEPmJSH_EEE10hipError_tPvRmT3_T4_T5_T6_T7_T9_mT8_P12ihipStream_tbDpT10_ENKUlT_T0_E_clISt17integral_constantIbLb0EES1D_EEDaS18_S19_EUlS18_E_NS1_11comp_targetILNS1_3genE0ELNS1_11target_archE4294967295ELNS1_3gpuE0ELNS1_3repE0EEENS1_30default_config_static_selectorELNS0_4arch9wavefront6targetE0EEEvT1_: ; @_ZN7rocprim17ROCPRIM_400000_NS6detail17trampoline_kernelINS0_14default_configENS1_25partition_config_selectorILNS1_17partition_subalgoE9EtjbEEZZNS1_14partition_implILS5_9ELb0ES3_jN6thrust23THRUST_200600_302600_NS6detail15normal_iteratorINS9_10device_ptrItEEEENSB_INSC_IjEEEEPNS0_10empty_typeENS0_5tupleIJNS9_16discard_iteratorINS9_11use_defaultEEESH_EEENSJ_IJSM_SI_EEENS0_18inequality_wrapperINS9_8equal_toItEEEEPmJSH_EEE10hipError_tPvRmT3_T4_T5_T6_T7_T9_mT8_P12ihipStream_tbDpT10_ENKUlT_T0_E_clISt17integral_constantIbLb0EES1D_EEDaS18_S19_EUlS18_E_NS1_11comp_targetILNS1_3genE0ELNS1_11target_archE4294967295ELNS1_3gpuE0ELNS1_3repE0EEENS1_30default_config_static_selectorELNS0_4arch9wavefront6targetE0EEEvT1_
; %bb.0:
	.section	.rodata,"a",@progbits
	.p2align	6, 0x0
	.amdhsa_kernel _ZN7rocprim17ROCPRIM_400000_NS6detail17trampoline_kernelINS0_14default_configENS1_25partition_config_selectorILNS1_17partition_subalgoE9EtjbEEZZNS1_14partition_implILS5_9ELb0ES3_jN6thrust23THRUST_200600_302600_NS6detail15normal_iteratorINS9_10device_ptrItEEEENSB_INSC_IjEEEEPNS0_10empty_typeENS0_5tupleIJNS9_16discard_iteratorINS9_11use_defaultEEESH_EEENSJ_IJSM_SI_EEENS0_18inequality_wrapperINS9_8equal_toItEEEEPmJSH_EEE10hipError_tPvRmT3_T4_T5_T6_T7_T9_mT8_P12ihipStream_tbDpT10_ENKUlT_T0_E_clISt17integral_constantIbLb0EES1D_EEDaS18_S19_EUlS18_E_NS1_11comp_targetILNS1_3genE0ELNS1_11target_archE4294967295ELNS1_3gpuE0ELNS1_3repE0EEENS1_30default_config_static_selectorELNS0_4arch9wavefront6targetE0EEEvT1_
		.amdhsa_group_segment_fixed_size 0
		.amdhsa_private_segment_fixed_size 0
		.amdhsa_kernarg_size 128
		.amdhsa_user_sgpr_count 15
		.amdhsa_user_sgpr_dispatch_ptr 0
		.amdhsa_user_sgpr_queue_ptr 0
		.amdhsa_user_sgpr_kernarg_segment_ptr 1
		.amdhsa_user_sgpr_dispatch_id 0
		.amdhsa_user_sgpr_private_segment_size 0
		.amdhsa_wavefront_size32 1
		.amdhsa_uses_dynamic_stack 0
		.amdhsa_enable_private_segment 0
		.amdhsa_system_sgpr_workgroup_id_x 1
		.amdhsa_system_sgpr_workgroup_id_y 0
		.amdhsa_system_sgpr_workgroup_id_z 0
		.amdhsa_system_sgpr_workgroup_info 0
		.amdhsa_system_vgpr_workitem_id 0
		.amdhsa_next_free_vgpr 1
		.amdhsa_next_free_sgpr 1
		.amdhsa_reserve_vcc 0
		.amdhsa_float_round_mode_32 0
		.amdhsa_float_round_mode_16_64 0
		.amdhsa_float_denorm_mode_32 3
		.amdhsa_float_denorm_mode_16_64 3
		.amdhsa_dx10_clamp 1
		.amdhsa_ieee_mode 1
		.amdhsa_fp16_overflow 0
		.amdhsa_workgroup_processor_mode 1
		.amdhsa_memory_ordered 1
		.amdhsa_forward_progress 0
		.amdhsa_shared_vgpr_count 0
		.amdhsa_exception_fp_ieee_invalid_op 0
		.amdhsa_exception_fp_denorm_src 0
		.amdhsa_exception_fp_ieee_div_zero 0
		.amdhsa_exception_fp_ieee_overflow 0
		.amdhsa_exception_fp_ieee_underflow 0
		.amdhsa_exception_fp_ieee_inexact 0
		.amdhsa_exception_int_div_zero 0
	.end_amdhsa_kernel
	.section	.text._ZN7rocprim17ROCPRIM_400000_NS6detail17trampoline_kernelINS0_14default_configENS1_25partition_config_selectorILNS1_17partition_subalgoE9EtjbEEZZNS1_14partition_implILS5_9ELb0ES3_jN6thrust23THRUST_200600_302600_NS6detail15normal_iteratorINS9_10device_ptrItEEEENSB_INSC_IjEEEEPNS0_10empty_typeENS0_5tupleIJNS9_16discard_iteratorINS9_11use_defaultEEESH_EEENSJ_IJSM_SI_EEENS0_18inequality_wrapperINS9_8equal_toItEEEEPmJSH_EEE10hipError_tPvRmT3_T4_T5_T6_T7_T9_mT8_P12ihipStream_tbDpT10_ENKUlT_T0_E_clISt17integral_constantIbLb0EES1D_EEDaS18_S19_EUlS18_E_NS1_11comp_targetILNS1_3genE0ELNS1_11target_archE4294967295ELNS1_3gpuE0ELNS1_3repE0EEENS1_30default_config_static_selectorELNS0_4arch9wavefront6targetE0EEEvT1_,"axG",@progbits,_ZN7rocprim17ROCPRIM_400000_NS6detail17trampoline_kernelINS0_14default_configENS1_25partition_config_selectorILNS1_17partition_subalgoE9EtjbEEZZNS1_14partition_implILS5_9ELb0ES3_jN6thrust23THRUST_200600_302600_NS6detail15normal_iteratorINS9_10device_ptrItEEEENSB_INSC_IjEEEEPNS0_10empty_typeENS0_5tupleIJNS9_16discard_iteratorINS9_11use_defaultEEESH_EEENSJ_IJSM_SI_EEENS0_18inequality_wrapperINS9_8equal_toItEEEEPmJSH_EEE10hipError_tPvRmT3_T4_T5_T6_T7_T9_mT8_P12ihipStream_tbDpT10_ENKUlT_T0_E_clISt17integral_constantIbLb0EES1D_EEDaS18_S19_EUlS18_E_NS1_11comp_targetILNS1_3genE0ELNS1_11target_archE4294967295ELNS1_3gpuE0ELNS1_3repE0EEENS1_30default_config_static_selectorELNS0_4arch9wavefront6targetE0EEEvT1_,comdat
.Lfunc_end885:
	.size	_ZN7rocprim17ROCPRIM_400000_NS6detail17trampoline_kernelINS0_14default_configENS1_25partition_config_selectorILNS1_17partition_subalgoE9EtjbEEZZNS1_14partition_implILS5_9ELb0ES3_jN6thrust23THRUST_200600_302600_NS6detail15normal_iteratorINS9_10device_ptrItEEEENSB_INSC_IjEEEEPNS0_10empty_typeENS0_5tupleIJNS9_16discard_iteratorINS9_11use_defaultEEESH_EEENSJ_IJSM_SI_EEENS0_18inequality_wrapperINS9_8equal_toItEEEEPmJSH_EEE10hipError_tPvRmT3_T4_T5_T6_T7_T9_mT8_P12ihipStream_tbDpT10_ENKUlT_T0_E_clISt17integral_constantIbLb0EES1D_EEDaS18_S19_EUlS18_E_NS1_11comp_targetILNS1_3genE0ELNS1_11target_archE4294967295ELNS1_3gpuE0ELNS1_3repE0EEENS1_30default_config_static_selectorELNS0_4arch9wavefront6targetE0EEEvT1_, .Lfunc_end885-_ZN7rocprim17ROCPRIM_400000_NS6detail17trampoline_kernelINS0_14default_configENS1_25partition_config_selectorILNS1_17partition_subalgoE9EtjbEEZZNS1_14partition_implILS5_9ELb0ES3_jN6thrust23THRUST_200600_302600_NS6detail15normal_iteratorINS9_10device_ptrItEEEENSB_INSC_IjEEEEPNS0_10empty_typeENS0_5tupleIJNS9_16discard_iteratorINS9_11use_defaultEEESH_EEENSJ_IJSM_SI_EEENS0_18inequality_wrapperINS9_8equal_toItEEEEPmJSH_EEE10hipError_tPvRmT3_T4_T5_T6_T7_T9_mT8_P12ihipStream_tbDpT10_ENKUlT_T0_E_clISt17integral_constantIbLb0EES1D_EEDaS18_S19_EUlS18_E_NS1_11comp_targetILNS1_3genE0ELNS1_11target_archE4294967295ELNS1_3gpuE0ELNS1_3repE0EEENS1_30default_config_static_selectorELNS0_4arch9wavefront6targetE0EEEvT1_
                                        ; -- End function
	.section	.AMDGPU.csdata,"",@progbits
; Kernel info:
; codeLenInByte = 0
; NumSgprs: 0
; NumVgprs: 0
; ScratchSize: 0
; MemoryBound: 0
; FloatMode: 240
; IeeeMode: 1
; LDSByteSize: 0 bytes/workgroup (compile time only)
; SGPRBlocks: 0
; VGPRBlocks: 0
; NumSGPRsForWavesPerEU: 1
; NumVGPRsForWavesPerEU: 1
; Occupancy: 16
; WaveLimiterHint : 0
; COMPUTE_PGM_RSRC2:SCRATCH_EN: 0
; COMPUTE_PGM_RSRC2:USER_SGPR: 15
; COMPUTE_PGM_RSRC2:TRAP_HANDLER: 0
; COMPUTE_PGM_RSRC2:TGID_X_EN: 1
; COMPUTE_PGM_RSRC2:TGID_Y_EN: 0
; COMPUTE_PGM_RSRC2:TGID_Z_EN: 0
; COMPUTE_PGM_RSRC2:TIDIG_COMP_CNT: 0
	.section	.text._ZN7rocprim17ROCPRIM_400000_NS6detail17trampoline_kernelINS0_14default_configENS1_25partition_config_selectorILNS1_17partition_subalgoE9EtjbEEZZNS1_14partition_implILS5_9ELb0ES3_jN6thrust23THRUST_200600_302600_NS6detail15normal_iteratorINS9_10device_ptrItEEEENSB_INSC_IjEEEEPNS0_10empty_typeENS0_5tupleIJNS9_16discard_iteratorINS9_11use_defaultEEESH_EEENSJ_IJSM_SI_EEENS0_18inequality_wrapperINS9_8equal_toItEEEEPmJSH_EEE10hipError_tPvRmT3_T4_T5_T6_T7_T9_mT8_P12ihipStream_tbDpT10_ENKUlT_T0_E_clISt17integral_constantIbLb0EES1D_EEDaS18_S19_EUlS18_E_NS1_11comp_targetILNS1_3genE5ELNS1_11target_archE942ELNS1_3gpuE9ELNS1_3repE0EEENS1_30default_config_static_selectorELNS0_4arch9wavefront6targetE0EEEvT1_,"axG",@progbits,_ZN7rocprim17ROCPRIM_400000_NS6detail17trampoline_kernelINS0_14default_configENS1_25partition_config_selectorILNS1_17partition_subalgoE9EtjbEEZZNS1_14partition_implILS5_9ELb0ES3_jN6thrust23THRUST_200600_302600_NS6detail15normal_iteratorINS9_10device_ptrItEEEENSB_INSC_IjEEEEPNS0_10empty_typeENS0_5tupleIJNS9_16discard_iteratorINS9_11use_defaultEEESH_EEENSJ_IJSM_SI_EEENS0_18inequality_wrapperINS9_8equal_toItEEEEPmJSH_EEE10hipError_tPvRmT3_T4_T5_T6_T7_T9_mT8_P12ihipStream_tbDpT10_ENKUlT_T0_E_clISt17integral_constantIbLb0EES1D_EEDaS18_S19_EUlS18_E_NS1_11comp_targetILNS1_3genE5ELNS1_11target_archE942ELNS1_3gpuE9ELNS1_3repE0EEENS1_30default_config_static_selectorELNS0_4arch9wavefront6targetE0EEEvT1_,comdat
	.protected	_ZN7rocprim17ROCPRIM_400000_NS6detail17trampoline_kernelINS0_14default_configENS1_25partition_config_selectorILNS1_17partition_subalgoE9EtjbEEZZNS1_14partition_implILS5_9ELb0ES3_jN6thrust23THRUST_200600_302600_NS6detail15normal_iteratorINS9_10device_ptrItEEEENSB_INSC_IjEEEEPNS0_10empty_typeENS0_5tupleIJNS9_16discard_iteratorINS9_11use_defaultEEESH_EEENSJ_IJSM_SI_EEENS0_18inequality_wrapperINS9_8equal_toItEEEEPmJSH_EEE10hipError_tPvRmT3_T4_T5_T6_T7_T9_mT8_P12ihipStream_tbDpT10_ENKUlT_T0_E_clISt17integral_constantIbLb0EES1D_EEDaS18_S19_EUlS18_E_NS1_11comp_targetILNS1_3genE5ELNS1_11target_archE942ELNS1_3gpuE9ELNS1_3repE0EEENS1_30default_config_static_selectorELNS0_4arch9wavefront6targetE0EEEvT1_ ; -- Begin function _ZN7rocprim17ROCPRIM_400000_NS6detail17trampoline_kernelINS0_14default_configENS1_25partition_config_selectorILNS1_17partition_subalgoE9EtjbEEZZNS1_14partition_implILS5_9ELb0ES3_jN6thrust23THRUST_200600_302600_NS6detail15normal_iteratorINS9_10device_ptrItEEEENSB_INSC_IjEEEEPNS0_10empty_typeENS0_5tupleIJNS9_16discard_iteratorINS9_11use_defaultEEESH_EEENSJ_IJSM_SI_EEENS0_18inequality_wrapperINS9_8equal_toItEEEEPmJSH_EEE10hipError_tPvRmT3_T4_T5_T6_T7_T9_mT8_P12ihipStream_tbDpT10_ENKUlT_T0_E_clISt17integral_constantIbLb0EES1D_EEDaS18_S19_EUlS18_E_NS1_11comp_targetILNS1_3genE5ELNS1_11target_archE942ELNS1_3gpuE9ELNS1_3repE0EEENS1_30default_config_static_selectorELNS0_4arch9wavefront6targetE0EEEvT1_
	.globl	_ZN7rocprim17ROCPRIM_400000_NS6detail17trampoline_kernelINS0_14default_configENS1_25partition_config_selectorILNS1_17partition_subalgoE9EtjbEEZZNS1_14partition_implILS5_9ELb0ES3_jN6thrust23THRUST_200600_302600_NS6detail15normal_iteratorINS9_10device_ptrItEEEENSB_INSC_IjEEEEPNS0_10empty_typeENS0_5tupleIJNS9_16discard_iteratorINS9_11use_defaultEEESH_EEENSJ_IJSM_SI_EEENS0_18inequality_wrapperINS9_8equal_toItEEEEPmJSH_EEE10hipError_tPvRmT3_T4_T5_T6_T7_T9_mT8_P12ihipStream_tbDpT10_ENKUlT_T0_E_clISt17integral_constantIbLb0EES1D_EEDaS18_S19_EUlS18_E_NS1_11comp_targetILNS1_3genE5ELNS1_11target_archE942ELNS1_3gpuE9ELNS1_3repE0EEENS1_30default_config_static_selectorELNS0_4arch9wavefront6targetE0EEEvT1_
	.p2align	8
	.type	_ZN7rocprim17ROCPRIM_400000_NS6detail17trampoline_kernelINS0_14default_configENS1_25partition_config_selectorILNS1_17partition_subalgoE9EtjbEEZZNS1_14partition_implILS5_9ELb0ES3_jN6thrust23THRUST_200600_302600_NS6detail15normal_iteratorINS9_10device_ptrItEEEENSB_INSC_IjEEEEPNS0_10empty_typeENS0_5tupleIJNS9_16discard_iteratorINS9_11use_defaultEEESH_EEENSJ_IJSM_SI_EEENS0_18inequality_wrapperINS9_8equal_toItEEEEPmJSH_EEE10hipError_tPvRmT3_T4_T5_T6_T7_T9_mT8_P12ihipStream_tbDpT10_ENKUlT_T0_E_clISt17integral_constantIbLb0EES1D_EEDaS18_S19_EUlS18_E_NS1_11comp_targetILNS1_3genE5ELNS1_11target_archE942ELNS1_3gpuE9ELNS1_3repE0EEENS1_30default_config_static_selectorELNS0_4arch9wavefront6targetE0EEEvT1_,@function
_ZN7rocprim17ROCPRIM_400000_NS6detail17trampoline_kernelINS0_14default_configENS1_25partition_config_selectorILNS1_17partition_subalgoE9EtjbEEZZNS1_14partition_implILS5_9ELb0ES3_jN6thrust23THRUST_200600_302600_NS6detail15normal_iteratorINS9_10device_ptrItEEEENSB_INSC_IjEEEEPNS0_10empty_typeENS0_5tupleIJNS9_16discard_iteratorINS9_11use_defaultEEESH_EEENSJ_IJSM_SI_EEENS0_18inequality_wrapperINS9_8equal_toItEEEEPmJSH_EEE10hipError_tPvRmT3_T4_T5_T6_T7_T9_mT8_P12ihipStream_tbDpT10_ENKUlT_T0_E_clISt17integral_constantIbLb0EES1D_EEDaS18_S19_EUlS18_E_NS1_11comp_targetILNS1_3genE5ELNS1_11target_archE942ELNS1_3gpuE9ELNS1_3repE0EEENS1_30default_config_static_selectorELNS0_4arch9wavefront6targetE0EEEvT1_: ; @_ZN7rocprim17ROCPRIM_400000_NS6detail17trampoline_kernelINS0_14default_configENS1_25partition_config_selectorILNS1_17partition_subalgoE9EtjbEEZZNS1_14partition_implILS5_9ELb0ES3_jN6thrust23THRUST_200600_302600_NS6detail15normal_iteratorINS9_10device_ptrItEEEENSB_INSC_IjEEEEPNS0_10empty_typeENS0_5tupleIJNS9_16discard_iteratorINS9_11use_defaultEEESH_EEENSJ_IJSM_SI_EEENS0_18inequality_wrapperINS9_8equal_toItEEEEPmJSH_EEE10hipError_tPvRmT3_T4_T5_T6_T7_T9_mT8_P12ihipStream_tbDpT10_ENKUlT_T0_E_clISt17integral_constantIbLb0EES1D_EEDaS18_S19_EUlS18_E_NS1_11comp_targetILNS1_3genE5ELNS1_11target_archE942ELNS1_3gpuE9ELNS1_3repE0EEENS1_30default_config_static_selectorELNS0_4arch9wavefront6targetE0EEEvT1_
; %bb.0:
	.section	.rodata,"a",@progbits
	.p2align	6, 0x0
	.amdhsa_kernel _ZN7rocprim17ROCPRIM_400000_NS6detail17trampoline_kernelINS0_14default_configENS1_25partition_config_selectorILNS1_17partition_subalgoE9EtjbEEZZNS1_14partition_implILS5_9ELb0ES3_jN6thrust23THRUST_200600_302600_NS6detail15normal_iteratorINS9_10device_ptrItEEEENSB_INSC_IjEEEEPNS0_10empty_typeENS0_5tupleIJNS9_16discard_iteratorINS9_11use_defaultEEESH_EEENSJ_IJSM_SI_EEENS0_18inequality_wrapperINS9_8equal_toItEEEEPmJSH_EEE10hipError_tPvRmT3_T4_T5_T6_T7_T9_mT8_P12ihipStream_tbDpT10_ENKUlT_T0_E_clISt17integral_constantIbLb0EES1D_EEDaS18_S19_EUlS18_E_NS1_11comp_targetILNS1_3genE5ELNS1_11target_archE942ELNS1_3gpuE9ELNS1_3repE0EEENS1_30default_config_static_selectorELNS0_4arch9wavefront6targetE0EEEvT1_
		.amdhsa_group_segment_fixed_size 0
		.amdhsa_private_segment_fixed_size 0
		.amdhsa_kernarg_size 128
		.amdhsa_user_sgpr_count 15
		.amdhsa_user_sgpr_dispatch_ptr 0
		.amdhsa_user_sgpr_queue_ptr 0
		.amdhsa_user_sgpr_kernarg_segment_ptr 1
		.amdhsa_user_sgpr_dispatch_id 0
		.amdhsa_user_sgpr_private_segment_size 0
		.amdhsa_wavefront_size32 1
		.amdhsa_uses_dynamic_stack 0
		.amdhsa_enable_private_segment 0
		.amdhsa_system_sgpr_workgroup_id_x 1
		.amdhsa_system_sgpr_workgroup_id_y 0
		.amdhsa_system_sgpr_workgroup_id_z 0
		.amdhsa_system_sgpr_workgroup_info 0
		.amdhsa_system_vgpr_workitem_id 0
		.amdhsa_next_free_vgpr 1
		.amdhsa_next_free_sgpr 1
		.amdhsa_reserve_vcc 0
		.amdhsa_float_round_mode_32 0
		.amdhsa_float_round_mode_16_64 0
		.amdhsa_float_denorm_mode_32 3
		.amdhsa_float_denorm_mode_16_64 3
		.amdhsa_dx10_clamp 1
		.amdhsa_ieee_mode 1
		.amdhsa_fp16_overflow 0
		.amdhsa_workgroup_processor_mode 1
		.amdhsa_memory_ordered 1
		.amdhsa_forward_progress 0
		.amdhsa_shared_vgpr_count 0
		.amdhsa_exception_fp_ieee_invalid_op 0
		.amdhsa_exception_fp_denorm_src 0
		.amdhsa_exception_fp_ieee_div_zero 0
		.amdhsa_exception_fp_ieee_overflow 0
		.amdhsa_exception_fp_ieee_underflow 0
		.amdhsa_exception_fp_ieee_inexact 0
		.amdhsa_exception_int_div_zero 0
	.end_amdhsa_kernel
	.section	.text._ZN7rocprim17ROCPRIM_400000_NS6detail17trampoline_kernelINS0_14default_configENS1_25partition_config_selectorILNS1_17partition_subalgoE9EtjbEEZZNS1_14partition_implILS5_9ELb0ES3_jN6thrust23THRUST_200600_302600_NS6detail15normal_iteratorINS9_10device_ptrItEEEENSB_INSC_IjEEEEPNS0_10empty_typeENS0_5tupleIJNS9_16discard_iteratorINS9_11use_defaultEEESH_EEENSJ_IJSM_SI_EEENS0_18inequality_wrapperINS9_8equal_toItEEEEPmJSH_EEE10hipError_tPvRmT3_T4_T5_T6_T7_T9_mT8_P12ihipStream_tbDpT10_ENKUlT_T0_E_clISt17integral_constantIbLb0EES1D_EEDaS18_S19_EUlS18_E_NS1_11comp_targetILNS1_3genE5ELNS1_11target_archE942ELNS1_3gpuE9ELNS1_3repE0EEENS1_30default_config_static_selectorELNS0_4arch9wavefront6targetE0EEEvT1_,"axG",@progbits,_ZN7rocprim17ROCPRIM_400000_NS6detail17trampoline_kernelINS0_14default_configENS1_25partition_config_selectorILNS1_17partition_subalgoE9EtjbEEZZNS1_14partition_implILS5_9ELb0ES3_jN6thrust23THRUST_200600_302600_NS6detail15normal_iteratorINS9_10device_ptrItEEEENSB_INSC_IjEEEEPNS0_10empty_typeENS0_5tupleIJNS9_16discard_iteratorINS9_11use_defaultEEESH_EEENSJ_IJSM_SI_EEENS0_18inequality_wrapperINS9_8equal_toItEEEEPmJSH_EEE10hipError_tPvRmT3_T4_T5_T6_T7_T9_mT8_P12ihipStream_tbDpT10_ENKUlT_T0_E_clISt17integral_constantIbLb0EES1D_EEDaS18_S19_EUlS18_E_NS1_11comp_targetILNS1_3genE5ELNS1_11target_archE942ELNS1_3gpuE9ELNS1_3repE0EEENS1_30default_config_static_selectorELNS0_4arch9wavefront6targetE0EEEvT1_,comdat
.Lfunc_end886:
	.size	_ZN7rocprim17ROCPRIM_400000_NS6detail17trampoline_kernelINS0_14default_configENS1_25partition_config_selectorILNS1_17partition_subalgoE9EtjbEEZZNS1_14partition_implILS5_9ELb0ES3_jN6thrust23THRUST_200600_302600_NS6detail15normal_iteratorINS9_10device_ptrItEEEENSB_INSC_IjEEEEPNS0_10empty_typeENS0_5tupleIJNS9_16discard_iteratorINS9_11use_defaultEEESH_EEENSJ_IJSM_SI_EEENS0_18inequality_wrapperINS9_8equal_toItEEEEPmJSH_EEE10hipError_tPvRmT3_T4_T5_T6_T7_T9_mT8_P12ihipStream_tbDpT10_ENKUlT_T0_E_clISt17integral_constantIbLb0EES1D_EEDaS18_S19_EUlS18_E_NS1_11comp_targetILNS1_3genE5ELNS1_11target_archE942ELNS1_3gpuE9ELNS1_3repE0EEENS1_30default_config_static_selectorELNS0_4arch9wavefront6targetE0EEEvT1_, .Lfunc_end886-_ZN7rocprim17ROCPRIM_400000_NS6detail17trampoline_kernelINS0_14default_configENS1_25partition_config_selectorILNS1_17partition_subalgoE9EtjbEEZZNS1_14partition_implILS5_9ELb0ES3_jN6thrust23THRUST_200600_302600_NS6detail15normal_iteratorINS9_10device_ptrItEEEENSB_INSC_IjEEEEPNS0_10empty_typeENS0_5tupleIJNS9_16discard_iteratorINS9_11use_defaultEEESH_EEENSJ_IJSM_SI_EEENS0_18inequality_wrapperINS9_8equal_toItEEEEPmJSH_EEE10hipError_tPvRmT3_T4_T5_T6_T7_T9_mT8_P12ihipStream_tbDpT10_ENKUlT_T0_E_clISt17integral_constantIbLb0EES1D_EEDaS18_S19_EUlS18_E_NS1_11comp_targetILNS1_3genE5ELNS1_11target_archE942ELNS1_3gpuE9ELNS1_3repE0EEENS1_30default_config_static_selectorELNS0_4arch9wavefront6targetE0EEEvT1_
                                        ; -- End function
	.section	.AMDGPU.csdata,"",@progbits
; Kernel info:
; codeLenInByte = 0
; NumSgprs: 0
; NumVgprs: 0
; ScratchSize: 0
; MemoryBound: 0
; FloatMode: 240
; IeeeMode: 1
; LDSByteSize: 0 bytes/workgroup (compile time only)
; SGPRBlocks: 0
; VGPRBlocks: 0
; NumSGPRsForWavesPerEU: 1
; NumVGPRsForWavesPerEU: 1
; Occupancy: 16
; WaveLimiterHint : 0
; COMPUTE_PGM_RSRC2:SCRATCH_EN: 0
; COMPUTE_PGM_RSRC2:USER_SGPR: 15
; COMPUTE_PGM_RSRC2:TRAP_HANDLER: 0
; COMPUTE_PGM_RSRC2:TGID_X_EN: 1
; COMPUTE_PGM_RSRC2:TGID_Y_EN: 0
; COMPUTE_PGM_RSRC2:TGID_Z_EN: 0
; COMPUTE_PGM_RSRC2:TIDIG_COMP_CNT: 0
	.section	.text._ZN7rocprim17ROCPRIM_400000_NS6detail17trampoline_kernelINS0_14default_configENS1_25partition_config_selectorILNS1_17partition_subalgoE9EtjbEEZZNS1_14partition_implILS5_9ELb0ES3_jN6thrust23THRUST_200600_302600_NS6detail15normal_iteratorINS9_10device_ptrItEEEENSB_INSC_IjEEEEPNS0_10empty_typeENS0_5tupleIJNS9_16discard_iteratorINS9_11use_defaultEEESH_EEENSJ_IJSM_SI_EEENS0_18inequality_wrapperINS9_8equal_toItEEEEPmJSH_EEE10hipError_tPvRmT3_T4_T5_T6_T7_T9_mT8_P12ihipStream_tbDpT10_ENKUlT_T0_E_clISt17integral_constantIbLb0EES1D_EEDaS18_S19_EUlS18_E_NS1_11comp_targetILNS1_3genE4ELNS1_11target_archE910ELNS1_3gpuE8ELNS1_3repE0EEENS1_30default_config_static_selectorELNS0_4arch9wavefront6targetE0EEEvT1_,"axG",@progbits,_ZN7rocprim17ROCPRIM_400000_NS6detail17trampoline_kernelINS0_14default_configENS1_25partition_config_selectorILNS1_17partition_subalgoE9EtjbEEZZNS1_14partition_implILS5_9ELb0ES3_jN6thrust23THRUST_200600_302600_NS6detail15normal_iteratorINS9_10device_ptrItEEEENSB_INSC_IjEEEEPNS0_10empty_typeENS0_5tupleIJNS9_16discard_iteratorINS9_11use_defaultEEESH_EEENSJ_IJSM_SI_EEENS0_18inequality_wrapperINS9_8equal_toItEEEEPmJSH_EEE10hipError_tPvRmT3_T4_T5_T6_T7_T9_mT8_P12ihipStream_tbDpT10_ENKUlT_T0_E_clISt17integral_constantIbLb0EES1D_EEDaS18_S19_EUlS18_E_NS1_11comp_targetILNS1_3genE4ELNS1_11target_archE910ELNS1_3gpuE8ELNS1_3repE0EEENS1_30default_config_static_selectorELNS0_4arch9wavefront6targetE0EEEvT1_,comdat
	.protected	_ZN7rocprim17ROCPRIM_400000_NS6detail17trampoline_kernelINS0_14default_configENS1_25partition_config_selectorILNS1_17partition_subalgoE9EtjbEEZZNS1_14partition_implILS5_9ELb0ES3_jN6thrust23THRUST_200600_302600_NS6detail15normal_iteratorINS9_10device_ptrItEEEENSB_INSC_IjEEEEPNS0_10empty_typeENS0_5tupleIJNS9_16discard_iteratorINS9_11use_defaultEEESH_EEENSJ_IJSM_SI_EEENS0_18inequality_wrapperINS9_8equal_toItEEEEPmJSH_EEE10hipError_tPvRmT3_T4_T5_T6_T7_T9_mT8_P12ihipStream_tbDpT10_ENKUlT_T0_E_clISt17integral_constantIbLb0EES1D_EEDaS18_S19_EUlS18_E_NS1_11comp_targetILNS1_3genE4ELNS1_11target_archE910ELNS1_3gpuE8ELNS1_3repE0EEENS1_30default_config_static_selectorELNS0_4arch9wavefront6targetE0EEEvT1_ ; -- Begin function _ZN7rocprim17ROCPRIM_400000_NS6detail17trampoline_kernelINS0_14default_configENS1_25partition_config_selectorILNS1_17partition_subalgoE9EtjbEEZZNS1_14partition_implILS5_9ELb0ES3_jN6thrust23THRUST_200600_302600_NS6detail15normal_iteratorINS9_10device_ptrItEEEENSB_INSC_IjEEEEPNS0_10empty_typeENS0_5tupleIJNS9_16discard_iteratorINS9_11use_defaultEEESH_EEENSJ_IJSM_SI_EEENS0_18inequality_wrapperINS9_8equal_toItEEEEPmJSH_EEE10hipError_tPvRmT3_T4_T5_T6_T7_T9_mT8_P12ihipStream_tbDpT10_ENKUlT_T0_E_clISt17integral_constantIbLb0EES1D_EEDaS18_S19_EUlS18_E_NS1_11comp_targetILNS1_3genE4ELNS1_11target_archE910ELNS1_3gpuE8ELNS1_3repE0EEENS1_30default_config_static_selectorELNS0_4arch9wavefront6targetE0EEEvT1_
	.globl	_ZN7rocprim17ROCPRIM_400000_NS6detail17trampoline_kernelINS0_14default_configENS1_25partition_config_selectorILNS1_17partition_subalgoE9EtjbEEZZNS1_14partition_implILS5_9ELb0ES3_jN6thrust23THRUST_200600_302600_NS6detail15normal_iteratorINS9_10device_ptrItEEEENSB_INSC_IjEEEEPNS0_10empty_typeENS0_5tupleIJNS9_16discard_iteratorINS9_11use_defaultEEESH_EEENSJ_IJSM_SI_EEENS0_18inequality_wrapperINS9_8equal_toItEEEEPmJSH_EEE10hipError_tPvRmT3_T4_T5_T6_T7_T9_mT8_P12ihipStream_tbDpT10_ENKUlT_T0_E_clISt17integral_constantIbLb0EES1D_EEDaS18_S19_EUlS18_E_NS1_11comp_targetILNS1_3genE4ELNS1_11target_archE910ELNS1_3gpuE8ELNS1_3repE0EEENS1_30default_config_static_selectorELNS0_4arch9wavefront6targetE0EEEvT1_
	.p2align	8
	.type	_ZN7rocprim17ROCPRIM_400000_NS6detail17trampoline_kernelINS0_14default_configENS1_25partition_config_selectorILNS1_17partition_subalgoE9EtjbEEZZNS1_14partition_implILS5_9ELb0ES3_jN6thrust23THRUST_200600_302600_NS6detail15normal_iteratorINS9_10device_ptrItEEEENSB_INSC_IjEEEEPNS0_10empty_typeENS0_5tupleIJNS9_16discard_iteratorINS9_11use_defaultEEESH_EEENSJ_IJSM_SI_EEENS0_18inequality_wrapperINS9_8equal_toItEEEEPmJSH_EEE10hipError_tPvRmT3_T4_T5_T6_T7_T9_mT8_P12ihipStream_tbDpT10_ENKUlT_T0_E_clISt17integral_constantIbLb0EES1D_EEDaS18_S19_EUlS18_E_NS1_11comp_targetILNS1_3genE4ELNS1_11target_archE910ELNS1_3gpuE8ELNS1_3repE0EEENS1_30default_config_static_selectorELNS0_4arch9wavefront6targetE0EEEvT1_,@function
_ZN7rocprim17ROCPRIM_400000_NS6detail17trampoline_kernelINS0_14default_configENS1_25partition_config_selectorILNS1_17partition_subalgoE9EtjbEEZZNS1_14partition_implILS5_9ELb0ES3_jN6thrust23THRUST_200600_302600_NS6detail15normal_iteratorINS9_10device_ptrItEEEENSB_INSC_IjEEEEPNS0_10empty_typeENS0_5tupleIJNS9_16discard_iteratorINS9_11use_defaultEEESH_EEENSJ_IJSM_SI_EEENS0_18inequality_wrapperINS9_8equal_toItEEEEPmJSH_EEE10hipError_tPvRmT3_T4_T5_T6_T7_T9_mT8_P12ihipStream_tbDpT10_ENKUlT_T0_E_clISt17integral_constantIbLb0EES1D_EEDaS18_S19_EUlS18_E_NS1_11comp_targetILNS1_3genE4ELNS1_11target_archE910ELNS1_3gpuE8ELNS1_3repE0EEENS1_30default_config_static_selectorELNS0_4arch9wavefront6targetE0EEEvT1_: ; @_ZN7rocprim17ROCPRIM_400000_NS6detail17trampoline_kernelINS0_14default_configENS1_25partition_config_selectorILNS1_17partition_subalgoE9EtjbEEZZNS1_14partition_implILS5_9ELb0ES3_jN6thrust23THRUST_200600_302600_NS6detail15normal_iteratorINS9_10device_ptrItEEEENSB_INSC_IjEEEEPNS0_10empty_typeENS0_5tupleIJNS9_16discard_iteratorINS9_11use_defaultEEESH_EEENSJ_IJSM_SI_EEENS0_18inequality_wrapperINS9_8equal_toItEEEEPmJSH_EEE10hipError_tPvRmT3_T4_T5_T6_T7_T9_mT8_P12ihipStream_tbDpT10_ENKUlT_T0_E_clISt17integral_constantIbLb0EES1D_EEDaS18_S19_EUlS18_E_NS1_11comp_targetILNS1_3genE4ELNS1_11target_archE910ELNS1_3gpuE8ELNS1_3repE0EEENS1_30default_config_static_selectorELNS0_4arch9wavefront6targetE0EEEvT1_
; %bb.0:
	.section	.rodata,"a",@progbits
	.p2align	6, 0x0
	.amdhsa_kernel _ZN7rocprim17ROCPRIM_400000_NS6detail17trampoline_kernelINS0_14default_configENS1_25partition_config_selectorILNS1_17partition_subalgoE9EtjbEEZZNS1_14partition_implILS5_9ELb0ES3_jN6thrust23THRUST_200600_302600_NS6detail15normal_iteratorINS9_10device_ptrItEEEENSB_INSC_IjEEEEPNS0_10empty_typeENS0_5tupleIJNS9_16discard_iteratorINS9_11use_defaultEEESH_EEENSJ_IJSM_SI_EEENS0_18inequality_wrapperINS9_8equal_toItEEEEPmJSH_EEE10hipError_tPvRmT3_T4_T5_T6_T7_T9_mT8_P12ihipStream_tbDpT10_ENKUlT_T0_E_clISt17integral_constantIbLb0EES1D_EEDaS18_S19_EUlS18_E_NS1_11comp_targetILNS1_3genE4ELNS1_11target_archE910ELNS1_3gpuE8ELNS1_3repE0EEENS1_30default_config_static_selectorELNS0_4arch9wavefront6targetE0EEEvT1_
		.amdhsa_group_segment_fixed_size 0
		.amdhsa_private_segment_fixed_size 0
		.amdhsa_kernarg_size 128
		.amdhsa_user_sgpr_count 15
		.amdhsa_user_sgpr_dispatch_ptr 0
		.amdhsa_user_sgpr_queue_ptr 0
		.amdhsa_user_sgpr_kernarg_segment_ptr 1
		.amdhsa_user_sgpr_dispatch_id 0
		.amdhsa_user_sgpr_private_segment_size 0
		.amdhsa_wavefront_size32 1
		.amdhsa_uses_dynamic_stack 0
		.amdhsa_enable_private_segment 0
		.amdhsa_system_sgpr_workgroup_id_x 1
		.amdhsa_system_sgpr_workgroup_id_y 0
		.amdhsa_system_sgpr_workgroup_id_z 0
		.amdhsa_system_sgpr_workgroup_info 0
		.amdhsa_system_vgpr_workitem_id 0
		.amdhsa_next_free_vgpr 1
		.amdhsa_next_free_sgpr 1
		.amdhsa_reserve_vcc 0
		.amdhsa_float_round_mode_32 0
		.amdhsa_float_round_mode_16_64 0
		.amdhsa_float_denorm_mode_32 3
		.amdhsa_float_denorm_mode_16_64 3
		.amdhsa_dx10_clamp 1
		.amdhsa_ieee_mode 1
		.amdhsa_fp16_overflow 0
		.amdhsa_workgroup_processor_mode 1
		.amdhsa_memory_ordered 1
		.amdhsa_forward_progress 0
		.amdhsa_shared_vgpr_count 0
		.amdhsa_exception_fp_ieee_invalid_op 0
		.amdhsa_exception_fp_denorm_src 0
		.amdhsa_exception_fp_ieee_div_zero 0
		.amdhsa_exception_fp_ieee_overflow 0
		.amdhsa_exception_fp_ieee_underflow 0
		.amdhsa_exception_fp_ieee_inexact 0
		.amdhsa_exception_int_div_zero 0
	.end_amdhsa_kernel
	.section	.text._ZN7rocprim17ROCPRIM_400000_NS6detail17trampoline_kernelINS0_14default_configENS1_25partition_config_selectorILNS1_17partition_subalgoE9EtjbEEZZNS1_14partition_implILS5_9ELb0ES3_jN6thrust23THRUST_200600_302600_NS6detail15normal_iteratorINS9_10device_ptrItEEEENSB_INSC_IjEEEEPNS0_10empty_typeENS0_5tupleIJNS9_16discard_iteratorINS9_11use_defaultEEESH_EEENSJ_IJSM_SI_EEENS0_18inequality_wrapperINS9_8equal_toItEEEEPmJSH_EEE10hipError_tPvRmT3_T4_T5_T6_T7_T9_mT8_P12ihipStream_tbDpT10_ENKUlT_T0_E_clISt17integral_constantIbLb0EES1D_EEDaS18_S19_EUlS18_E_NS1_11comp_targetILNS1_3genE4ELNS1_11target_archE910ELNS1_3gpuE8ELNS1_3repE0EEENS1_30default_config_static_selectorELNS0_4arch9wavefront6targetE0EEEvT1_,"axG",@progbits,_ZN7rocprim17ROCPRIM_400000_NS6detail17trampoline_kernelINS0_14default_configENS1_25partition_config_selectorILNS1_17partition_subalgoE9EtjbEEZZNS1_14partition_implILS5_9ELb0ES3_jN6thrust23THRUST_200600_302600_NS6detail15normal_iteratorINS9_10device_ptrItEEEENSB_INSC_IjEEEEPNS0_10empty_typeENS0_5tupleIJNS9_16discard_iteratorINS9_11use_defaultEEESH_EEENSJ_IJSM_SI_EEENS0_18inequality_wrapperINS9_8equal_toItEEEEPmJSH_EEE10hipError_tPvRmT3_T4_T5_T6_T7_T9_mT8_P12ihipStream_tbDpT10_ENKUlT_T0_E_clISt17integral_constantIbLb0EES1D_EEDaS18_S19_EUlS18_E_NS1_11comp_targetILNS1_3genE4ELNS1_11target_archE910ELNS1_3gpuE8ELNS1_3repE0EEENS1_30default_config_static_selectorELNS0_4arch9wavefront6targetE0EEEvT1_,comdat
.Lfunc_end887:
	.size	_ZN7rocprim17ROCPRIM_400000_NS6detail17trampoline_kernelINS0_14default_configENS1_25partition_config_selectorILNS1_17partition_subalgoE9EtjbEEZZNS1_14partition_implILS5_9ELb0ES3_jN6thrust23THRUST_200600_302600_NS6detail15normal_iteratorINS9_10device_ptrItEEEENSB_INSC_IjEEEEPNS0_10empty_typeENS0_5tupleIJNS9_16discard_iteratorINS9_11use_defaultEEESH_EEENSJ_IJSM_SI_EEENS0_18inequality_wrapperINS9_8equal_toItEEEEPmJSH_EEE10hipError_tPvRmT3_T4_T5_T6_T7_T9_mT8_P12ihipStream_tbDpT10_ENKUlT_T0_E_clISt17integral_constantIbLb0EES1D_EEDaS18_S19_EUlS18_E_NS1_11comp_targetILNS1_3genE4ELNS1_11target_archE910ELNS1_3gpuE8ELNS1_3repE0EEENS1_30default_config_static_selectorELNS0_4arch9wavefront6targetE0EEEvT1_, .Lfunc_end887-_ZN7rocprim17ROCPRIM_400000_NS6detail17trampoline_kernelINS0_14default_configENS1_25partition_config_selectorILNS1_17partition_subalgoE9EtjbEEZZNS1_14partition_implILS5_9ELb0ES3_jN6thrust23THRUST_200600_302600_NS6detail15normal_iteratorINS9_10device_ptrItEEEENSB_INSC_IjEEEEPNS0_10empty_typeENS0_5tupleIJNS9_16discard_iteratorINS9_11use_defaultEEESH_EEENSJ_IJSM_SI_EEENS0_18inequality_wrapperINS9_8equal_toItEEEEPmJSH_EEE10hipError_tPvRmT3_T4_T5_T6_T7_T9_mT8_P12ihipStream_tbDpT10_ENKUlT_T0_E_clISt17integral_constantIbLb0EES1D_EEDaS18_S19_EUlS18_E_NS1_11comp_targetILNS1_3genE4ELNS1_11target_archE910ELNS1_3gpuE8ELNS1_3repE0EEENS1_30default_config_static_selectorELNS0_4arch9wavefront6targetE0EEEvT1_
                                        ; -- End function
	.section	.AMDGPU.csdata,"",@progbits
; Kernel info:
; codeLenInByte = 0
; NumSgprs: 0
; NumVgprs: 0
; ScratchSize: 0
; MemoryBound: 0
; FloatMode: 240
; IeeeMode: 1
; LDSByteSize: 0 bytes/workgroup (compile time only)
; SGPRBlocks: 0
; VGPRBlocks: 0
; NumSGPRsForWavesPerEU: 1
; NumVGPRsForWavesPerEU: 1
; Occupancy: 15
; WaveLimiterHint : 0
; COMPUTE_PGM_RSRC2:SCRATCH_EN: 0
; COMPUTE_PGM_RSRC2:USER_SGPR: 15
; COMPUTE_PGM_RSRC2:TRAP_HANDLER: 0
; COMPUTE_PGM_RSRC2:TGID_X_EN: 1
; COMPUTE_PGM_RSRC2:TGID_Y_EN: 0
; COMPUTE_PGM_RSRC2:TGID_Z_EN: 0
; COMPUTE_PGM_RSRC2:TIDIG_COMP_CNT: 0
	.section	.text._ZN7rocprim17ROCPRIM_400000_NS6detail17trampoline_kernelINS0_14default_configENS1_25partition_config_selectorILNS1_17partition_subalgoE9EtjbEEZZNS1_14partition_implILS5_9ELb0ES3_jN6thrust23THRUST_200600_302600_NS6detail15normal_iteratorINS9_10device_ptrItEEEENSB_INSC_IjEEEEPNS0_10empty_typeENS0_5tupleIJNS9_16discard_iteratorINS9_11use_defaultEEESH_EEENSJ_IJSM_SI_EEENS0_18inequality_wrapperINS9_8equal_toItEEEEPmJSH_EEE10hipError_tPvRmT3_T4_T5_T6_T7_T9_mT8_P12ihipStream_tbDpT10_ENKUlT_T0_E_clISt17integral_constantIbLb0EES1D_EEDaS18_S19_EUlS18_E_NS1_11comp_targetILNS1_3genE3ELNS1_11target_archE908ELNS1_3gpuE7ELNS1_3repE0EEENS1_30default_config_static_selectorELNS0_4arch9wavefront6targetE0EEEvT1_,"axG",@progbits,_ZN7rocprim17ROCPRIM_400000_NS6detail17trampoline_kernelINS0_14default_configENS1_25partition_config_selectorILNS1_17partition_subalgoE9EtjbEEZZNS1_14partition_implILS5_9ELb0ES3_jN6thrust23THRUST_200600_302600_NS6detail15normal_iteratorINS9_10device_ptrItEEEENSB_INSC_IjEEEEPNS0_10empty_typeENS0_5tupleIJNS9_16discard_iteratorINS9_11use_defaultEEESH_EEENSJ_IJSM_SI_EEENS0_18inequality_wrapperINS9_8equal_toItEEEEPmJSH_EEE10hipError_tPvRmT3_T4_T5_T6_T7_T9_mT8_P12ihipStream_tbDpT10_ENKUlT_T0_E_clISt17integral_constantIbLb0EES1D_EEDaS18_S19_EUlS18_E_NS1_11comp_targetILNS1_3genE3ELNS1_11target_archE908ELNS1_3gpuE7ELNS1_3repE0EEENS1_30default_config_static_selectorELNS0_4arch9wavefront6targetE0EEEvT1_,comdat
	.protected	_ZN7rocprim17ROCPRIM_400000_NS6detail17trampoline_kernelINS0_14default_configENS1_25partition_config_selectorILNS1_17partition_subalgoE9EtjbEEZZNS1_14partition_implILS5_9ELb0ES3_jN6thrust23THRUST_200600_302600_NS6detail15normal_iteratorINS9_10device_ptrItEEEENSB_INSC_IjEEEEPNS0_10empty_typeENS0_5tupleIJNS9_16discard_iteratorINS9_11use_defaultEEESH_EEENSJ_IJSM_SI_EEENS0_18inequality_wrapperINS9_8equal_toItEEEEPmJSH_EEE10hipError_tPvRmT3_T4_T5_T6_T7_T9_mT8_P12ihipStream_tbDpT10_ENKUlT_T0_E_clISt17integral_constantIbLb0EES1D_EEDaS18_S19_EUlS18_E_NS1_11comp_targetILNS1_3genE3ELNS1_11target_archE908ELNS1_3gpuE7ELNS1_3repE0EEENS1_30default_config_static_selectorELNS0_4arch9wavefront6targetE0EEEvT1_ ; -- Begin function _ZN7rocprim17ROCPRIM_400000_NS6detail17trampoline_kernelINS0_14default_configENS1_25partition_config_selectorILNS1_17partition_subalgoE9EtjbEEZZNS1_14partition_implILS5_9ELb0ES3_jN6thrust23THRUST_200600_302600_NS6detail15normal_iteratorINS9_10device_ptrItEEEENSB_INSC_IjEEEEPNS0_10empty_typeENS0_5tupleIJNS9_16discard_iteratorINS9_11use_defaultEEESH_EEENSJ_IJSM_SI_EEENS0_18inequality_wrapperINS9_8equal_toItEEEEPmJSH_EEE10hipError_tPvRmT3_T4_T5_T6_T7_T9_mT8_P12ihipStream_tbDpT10_ENKUlT_T0_E_clISt17integral_constantIbLb0EES1D_EEDaS18_S19_EUlS18_E_NS1_11comp_targetILNS1_3genE3ELNS1_11target_archE908ELNS1_3gpuE7ELNS1_3repE0EEENS1_30default_config_static_selectorELNS0_4arch9wavefront6targetE0EEEvT1_
	.globl	_ZN7rocprim17ROCPRIM_400000_NS6detail17trampoline_kernelINS0_14default_configENS1_25partition_config_selectorILNS1_17partition_subalgoE9EtjbEEZZNS1_14partition_implILS5_9ELb0ES3_jN6thrust23THRUST_200600_302600_NS6detail15normal_iteratorINS9_10device_ptrItEEEENSB_INSC_IjEEEEPNS0_10empty_typeENS0_5tupleIJNS9_16discard_iteratorINS9_11use_defaultEEESH_EEENSJ_IJSM_SI_EEENS0_18inequality_wrapperINS9_8equal_toItEEEEPmJSH_EEE10hipError_tPvRmT3_T4_T5_T6_T7_T9_mT8_P12ihipStream_tbDpT10_ENKUlT_T0_E_clISt17integral_constantIbLb0EES1D_EEDaS18_S19_EUlS18_E_NS1_11comp_targetILNS1_3genE3ELNS1_11target_archE908ELNS1_3gpuE7ELNS1_3repE0EEENS1_30default_config_static_selectorELNS0_4arch9wavefront6targetE0EEEvT1_
	.p2align	8
	.type	_ZN7rocprim17ROCPRIM_400000_NS6detail17trampoline_kernelINS0_14default_configENS1_25partition_config_selectorILNS1_17partition_subalgoE9EtjbEEZZNS1_14partition_implILS5_9ELb0ES3_jN6thrust23THRUST_200600_302600_NS6detail15normal_iteratorINS9_10device_ptrItEEEENSB_INSC_IjEEEEPNS0_10empty_typeENS0_5tupleIJNS9_16discard_iteratorINS9_11use_defaultEEESH_EEENSJ_IJSM_SI_EEENS0_18inequality_wrapperINS9_8equal_toItEEEEPmJSH_EEE10hipError_tPvRmT3_T4_T5_T6_T7_T9_mT8_P12ihipStream_tbDpT10_ENKUlT_T0_E_clISt17integral_constantIbLb0EES1D_EEDaS18_S19_EUlS18_E_NS1_11comp_targetILNS1_3genE3ELNS1_11target_archE908ELNS1_3gpuE7ELNS1_3repE0EEENS1_30default_config_static_selectorELNS0_4arch9wavefront6targetE0EEEvT1_,@function
_ZN7rocprim17ROCPRIM_400000_NS6detail17trampoline_kernelINS0_14default_configENS1_25partition_config_selectorILNS1_17partition_subalgoE9EtjbEEZZNS1_14partition_implILS5_9ELb0ES3_jN6thrust23THRUST_200600_302600_NS6detail15normal_iteratorINS9_10device_ptrItEEEENSB_INSC_IjEEEEPNS0_10empty_typeENS0_5tupleIJNS9_16discard_iteratorINS9_11use_defaultEEESH_EEENSJ_IJSM_SI_EEENS0_18inequality_wrapperINS9_8equal_toItEEEEPmJSH_EEE10hipError_tPvRmT3_T4_T5_T6_T7_T9_mT8_P12ihipStream_tbDpT10_ENKUlT_T0_E_clISt17integral_constantIbLb0EES1D_EEDaS18_S19_EUlS18_E_NS1_11comp_targetILNS1_3genE3ELNS1_11target_archE908ELNS1_3gpuE7ELNS1_3repE0EEENS1_30default_config_static_selectorELNS0_4arch9wavefront6targetE0EEEvT1_: ; @_ZN7rocprim17ROCPRIM_400000_NS6detail17trampoline_kernelINS0_14default_configENS1_25partition_config_selectorILNS1_17partition_subalgoE9EtjbEEZZNS1_14partition_implILS5_9ELb0ES3_jN6thrust23THRUST_200600_302600_NS6detail15normal_iteratorINS9_10device_ptrItEEEENSB_INSC_IjEEEEPNS0_10empty_typeENS0_5tupleIJNS9_16discard_iteratorINS9_11use_defaultEEESH_EEENSJ_IJSM_SI_EEENS0_18inequality_wrapperINS9_8equal_toItEEEEPmJSH_EEE10hipError_tPvRmT3_T4_T5_T6_T7_T9_mT8_P12ihipStream_tbDpT10_ENKUlT_T0_E_clISt17integral_constantIbLb0EES1D_EEDaS18_S19_EUlS18_E_NS1_11comp_targetILNS1_3genE3ELNS1_11target_archE908ELNS1_3gpuE7ELNS1_3repE0EEENS1_30default_config_static_selectorELNS0_4arch9wavefront6targetE0EEEvT1_
; %bb.0:
	.section	.rodata,"a",@progbits
	.p2align	6, 0x0
	.amdhsa_kernel _ZN7rocprim17ROCPRIM_400000_NS6detail17trampoline_kernelINS0_14default_configENS1_25partition_config_selectorILNS1_17partition_subalgoE9EtjbEEZZNS1_14partition_implILS5_9ELb0ES3_jN6thrust23THRUST_200600_302600_NS6detail15normal_iteratorINS9_10device_ptrItEEEENSB_INSC_IjEEEEPNS0_10empty_typeENS0_5tupleIJNS9_16discard_iteratorINS9_11use_defaultEEESH_EEENSJ_IJSM_SI_EEENS0_18inequality_wrapperINS9_8equal_toItEEEEPmJSH_EEE10hipError_tPvRmT3_T4_T5_T6_T7_T9_mT8_P12ihipStream_tbDpT10_ENKUlT_T0_E_clISt17integral_constantIbLb0EES1D_EEDaS18_S19_EUlS18_E_NS1_11comp_targetILNS1_3genE3ELNS1_11target_archE908ELNS1_3gpuE7ELNS1_3repE0EEENS1_30default_config_static_selectorELNS0_4arch9wavefront6targetE0EEEvT1_
		.amdhsa_group_segment_fixed_size 0
		.amdhsa_private_segment_fixed_size 0
		.amdhsa_kernarg_size 128
		.amdhsa_user_sgpr_count 15
		.amdhsa_user_sgpr_dispatch_ptr 0
		.amdhsa_user_sgpr_queue_ptr 0
		.amdhsa_user_sgpr_kernarg_segment_ptr 1
		.amdhsa_user_sgpr_dispatch_id 0
		.amdhsa_user_sgpr_private_segment_size 0
		.amdhsa_wavefront_size32 1
		.amdhsa_uses_dynamic_stack 0
		.amdhsa_enable_private_segment 0
		.amdhsa_system_sgpr_workgroup_id_x 1
		.amdhsa_system_sgpr_workgroup_id_y 0
		.amdhsa_system_sgpr_workgroup_id_z 0
		.amdhsa_system_sgpr_workgroup_info 0
		.amdhsa_system_vgpr_workitem_id 0
		.amdhsa_next_free_vgpr 1
		.amdhsa_next_free_sgpr 1
		.amdhsa_reserve_vcc 0
		.amdhsa_float_round_mode_32 0
		.amdhsa_float_round_mode_16_64 0
		.amdhsa_float_denorm_mode_32 3
		.amdhsa_float_denorm_mode_16_64 3
		.amdhsa_dx10_clamp 1
		.amdhsa_ieee_mode 1
		.amdhsa_fp16_overflow 0
		.amdhsa_workgroup_processor_mode 1
		.amdhsa_memory_ordered 1
		.amdhsa_forward_progress 0
		.amdhsa_shared_vgpr_count 0
		.amdhsa_exception_fp_ieee_invalid_op 0
		.amdhsa_exception_fp_denorm_src 0
		.amdhsa_exception_fp_ieee_div_zero 0
		.amdhsa_exception_fp_ieee_overflow 0
		.amdhsa_exception_fp_ieee_underflow 0
		.amdhsa_exception_fp_ieee_inexact 0
		.amdhsa_exception_int_div_zero 0
	.end_amdhsa_kernel
	.section	.text._ZN7rocprim17ROCPRIM_400000_NS6detail17trampoline_kernelINS0_14default_configENS1_25partition_config_selectorILNS1_17partition_subalgoE9EtjbEEZZNS1_14partition_implILS5_9ELb0ES3_jN6thrust23THRUST_200600_302600_NS6detail15normal_iteratorINS9_10device_ptrItEEEENSB_INSC_IjEEEEPNS0_10empty_typeENS0_5tupleIJNS9_16discard_iteratorINS9_11use_defaultEEESH_EEENSJ_IJSM_SI_EEENS0_18inequality_wrapperINS9_8equal_toItEEEEPmJSH_EEE10hipError_tPvRmT3_T4_T5_T6_T7_T9_mT8_P12ihipStream_tbDpT10_ENKUlT_T0_E_clISt17integral_constantIbLb0EES1D_EEDaS18_S19_EUlS18_E_NS1_11comp_targetILNS1_3genE3ELNS1_11target_archE908ELNS1_3gpuE7ELNS1_3repE0EEENS1_30default_config_static_selectorELNS0_4arch9wavefront6targetE0EEEvT1_,"axG",@progbits,_ZN7rocprim17ROCPRIM_400000_NS6detail17trampoline_kernelINS0_14default_configENS1_25partition_config_selectorILNS1_17partition_subalgoE9EtjbEEZZNS1_14partition_implILS5_9ELb0ES3_jN6thrust23THRUST_200600_302600_NS6detail15normal_iteratorINS9_10device_ptrItEEEENSB_INSC_IjEEEEPNS0_10empty_typeENS0_5tupleIJNS9_16discard_iteratorINS9_11use_defaultEEESH_EEENSJ_IJSM_SI_EEENS0_18inequality_wrapperINS9_8equal_toItEEEEPmJSH_EEE10hipError_tPvRmT3_T4_T5_T6_T7_T9_mT8_P12ihipStream_tbDpT10_ENKUlT_T0_E_clISt17integral_constantIbLb0EES1D_EEDaS18_S19_EUlS18_E_NS1_11comp_targetILNS1_3genE3ELNS1_11target_archE908ELNS1_3gpuE7ELNS1_3repE0EEENS1_30default_config_static_selectorELNS0_4arch9wavefront6targetE0EEEvT1_,comdat
.Lfunc_end888:
	.size	_ZN7rocprim17ROCPRIM_400000_NS6detail17trampoline_kernelINS0_14default_configENS1_25partition_config_selectorILNS1_17partition_subalgoE9EtjbEEZZNS1_14partition_implILS5_9ELb0ES3_jN6thrust23THRUST_200600_302600_NS6detail15normal_iteratorINS9_10device_ptrItEEEENSB_INSC_IjEEEEPNS0_10empty_typeENS0_5tupleIJNS9_16discard_iteratorINS9_11use_defaultEEESH_EEENSJ_IJSM_SI_EEENS0_18inequality_wrapperINS9_8equal_toItEEEEPmJSH_EEE10hipError_tPvRmT3_T4_T5_T6_T7_T9_mT8_P12ihipStream_tbDpT10_ENKUlT_T0_E_clISt17integral_constantIbLb0EES1D_EEDaS18_S19_EUlS18_E_NS1_11comp_targetILNS1_3genE3ELNS1_11target_archE908ELNS1_3gpuE7ELNS1_3repE0EEENS1_30default_config_static_selectorELNS0_4arch9wavefront6targetE0EEEvT1_, .Lfunc_end888-_ZN7rocprim17ROCPRIM_400000_NS6detail17trampoline_kernelINS0_14default_configENS1_25partition_config_selectorILNS1_17partition_subalgoE9EtjbEEZZNS1_14partition_implILS5_9ELb0ES3_jN6thrust23THRUST_200600_302600_NS6detail15normal_iteratorINS9_10device_ptrItEEEENSB_INSC_IjEEEEPNS0_10empty_typeENS0_5tupleIJNS9_16discard_iteratorINS9_11use_defaultEEESH_EEENSJ_IJSM_SI_EEENS0_18inequality_wrapperINS9_8equal_toItEEEEPmJSH_EEE10hipError_tPvRmT3_T4_T5_T6_T7_T9_mT8_P12ihipStream_tbDpT10_ENKUlT_T0_E_clISt17integral_constantIbLb0EES1D_EEDaS18_S19_EUlS18_E_NS1_11comp_targetILNS1_3genE3ELNS1_11target_archE908ELNS1_3gpuE7ELNS1_3repE0EEENS1_30default_config_static_selectorELNS0_4arch9wavefront6targetE0EEEvT1_
                                        ; -- End function
	.section	.AMDGPU.csdata,"",@progbits
; Kernel info:
; codeLenInByte = 0
; NumSgprs: 0
; NumVgprs: 0
; ScratchSize: 0
; MemoryBound: 0
; FloatMode: 240
; IeeeMode: 1
; LDSByteSize: 0 bytes/workgroup (compile time only)
; SGPRBlocks: 0
; VGPRBlocks: 0
; NumSGPRsForWavesPerEU: 1
; NumVGPRsForWavesPerEU: 1
; Occupancy: 16
; WaveLimiterHint : 0
; COMPUTE_PGM_RSRC2:SCRATCH_EN: 0
; COMPUTE_PGM_RSRC2:USER_SGPR: 15
; COMPUTE_PGM_RSRC2:TRAP_HANDLER: 0
; COMPUTE_PGM_RSRC2:TGID_X_EN: 1
; COMPUTE_PGM_RSRC2:TGID_Y_EN: 0
; COMPUTE_PGM_RSRC2:TGID_Z_EN: 0
; COMPUTE_PGM_RSRC2:TIDIG_COMP_CNT: 0
	.section	.text._ZN7rocprim17ROCPRIM_400000_NS6detail17trampoline_kernelINS0_14default_configENS1_25partition_config_selectorILNS1_17partition_subalgoE9EtjbEEZZNS1_14partition_implILS5_9ELb0ES3_jN6thrust23THRUST_200600_302600_NS6detail15normal_iteratorINS9_10device_ptrItEEEENSB_INSC_IjEEEEPNS0_10empty_typeENS0_5tupleIJNS9_16discard_iteratorINS9_11use_defaultEEESH_EEENSJ_IJSM_SI_EEENS0_18inequality_wrapperINS9_8equal_toItEEEEPmJSH_EEE10hipError_tPvRmT3_T4_T5_T6_T7_T9_mT8_P12ihipStream_tbDpT10_ENKUlT_T0_E_clISt17integral_constantIbLb0EES1D_EEDaS18_S19_EUlS18_E_NS1_11comp_targetILNS1_3genE2ELNS1_11target_archE906ELNS1_3gpuE6ELNS1_3repE0EEENS1_30default_config_static_selectorELNS0_4arch9wavefront6targetE0EEEvT1_,"axG",@progbits,_ZN7rocprim17ROCPRIM_400000_NS6detail17trampoline_kernelINS0_14default_configENS1_25partition_config_selectorILNS1_17partition_subalgoE9EtjbEEZZNS1_14partition_implILS5_9ELb0ES3_jN6thrust23THRUST_200600_302600_NS6detail15normal_iteratorINS9_10device_ptrItEEEENSB_INSC_IjEEEEPNS0_10empty_typeENS0_5tupleIJNS9_16discard_iteratorINS9_11use_defaultEEESH_EEENSJ_IJSM_SI_EEENS0_18inequality_wrapperINS9_8equal_toItEEEEPmJSH_EEE10hipError_tPvRmT3_T4_T5_T6_T7_T9_mT8_P12ihipStream_tbDpT10_ENKUlT_T0_E_clISt17integral_constantIbLb0EES1D_EEDaS18_S19_EUlS18_E_NS1_11comp_targetILNS1_3genE2ELNS1_11target_archE906ELNS1_3gpuE6ELNS1_3repE0EEENS1_30default_config_static_selectorELNS0_4arch9wavefront6targetE0EEEvT1_,comdat
	.protected	_ZN7rocprim17ROCPRIM_400000_NS6detail17trampoline_kernelINS0_14default_configENS1_25partition_config_selectorILNS1_17partition_subalgoE9EtjbEEZZNS1_14partition_implILS5_9ELb0ES3_jN6thrust23THRUST_200600_302600_NS6detail15normal_iteratorINS9_10device_ptrItEEEENSB_INSC_IjEEEEPNS0_10empty_typeENS0_5tupleIJNS9_16discard_iteratorINS9_11use_defaultEEESH_EEENSJ_IJSM_SI_EEENS0_18inequality_wrapperINS9_8equal_toItEEEEPmJSH_EEE10hipError_tPvRmT3_T4_T5_T6_T7_T9_mT8_P12ihipStream_tbDpT10_ENKUlT_T0_E_clISt17integral_constantIbLb0EES1D_EEDaS18_S19_EUlS18_E_NS1_11comp_targetILNS1_3genE2ELNS1_11target_archE906ELNS1_3gpuE6ELNS1_3repE0EEENS1_30default_config_static_selectorELNS0_4arch9wavefront6targetE0EEEvT1_ ; -- Begin function _ZN7rocprim17ROCPRIM_400000_NS6detail17trampoline_kernelINS0_14default_configENS1_25partition_config_selectorILNS1_17partition_subalgoE9EtjbEEZZNS1_14partition_implILS5_9ELb0ES3_jN6thrust23THRUST_200600_302600_NS6detail15normal_iteratorINS9_10device_ptrItEEEENSB_INSC_IjEEEEPNS0_10empty_typeENS0_5tupleIJNS9_16discard_iteratorINS9_11use_defaultEEESH_EEENSJ_IJSM_SI_EEENS0_18inequality_wrapperINS9_8equal_toItEEEEPmJSH_EEE10hipError_tPvRmT3_T4_T5_T6_T7_T9_mT8_P12ihipStream_tbDpT10_ENKUlT_T0_E_clISt17integral_constantIbLb0EES1D_EEDaS18_S19_EUlS18_E_NS1_11comp_targetILNS1_3genE2ELNS1_11target_archE906ELNS1_3gpuE6ELNS1_3repE0EEENS1_30default_config_static_selectorELNS0_4arch9wavefront6targetE0EEEvT1_
	.globl	_ZN7rocprim17ROCPRIM_400000_NS6detail17trampoline_kernelINS0_14default_configENS1_25partition_config_selectorILNS1_17partition_subalgoE9EtjbEEZZNS1_14partition_implILS5_9ELb0ES3_jN6thrust23THRUST_200600_302600_NS6detail15normal_iteratorINS9_10device_ptrItEEEENSB_INSC_IjEEEEPNS0_10empty_typeENS0_5tupleIJNS9_16discard_iteratorINS9_11use_defaultEEESH_EEENSJ_IJSM_SI_EEENS0_18inequality_wrapperINS9_8equal_toItEEEEPmJSH_EEE10hipError_tPvRmT3_T4_T5_T6_T7_T9_mT8_P12ihipStream_tbDpT10_ENKUlT_T0_E_clISt17integral_constantIbLb0EES1D_EEDaS18_S19_EUlS18_E_NS1_11comp_targetILNS1_3genE2ELNS1_11target_archE906ELNS1_3gpuE6ELNS1_3repE0EEENS1_30default_config_static_selectorELNS0_4arch9wavefront6targetE0EEEvT1_
	.p2align	8
	.type	_ZN7rocprim17ROCPRIM_400000_NS6detail17trampoline_kernelINS0_14default_configENS1_25partition_config_selectorILNS1_17partition_subalgoE9EtjbEEZZNS1_14partition_implILS5_9ELb0ES3_jN6thrust23THRUST_200600_302600_NS6detail15normal_iteratorINS9_10device_ptrItEEEENSB_INSC_IjEEEEPNS0_10empty_typeENS0_5tupleIJNS9_16discard_iteratorINS9_11use_defaultEEESH_EEENSJ_IJSM_SI_EEENS0_18inequality_wrapperINS9_8equal_toItEEEEPmJSH_EEE10hipError_tPvRmT3_T4_T5_T6_T7_T9_mT8_P12ihipStream_tbDpT10_ENKUlT_T0_E_clISt17integral_constantIbLb0EES1D_EEDaS18_S19_EUlS18_E_NS1_11comp_targetILNS1_3genE2ELNS1_11target_archE906ELNS1_3gpuE6ELNS1_3repE0EEENS1_30default_config_static_selectorELNS0_4arch9wavefront6targetE0EEEvT1_,@function
_ZN7rocprim17ROCPRIM_400000_NS6detail17trampoline_kernelINS0_14default_configENS1_25partition_config_selectorILNS1_17partition_subalgoE9EtjbEEZZNS1_14partition_implILS5_9ELb0ES3_jN6thrust23THRUST_200600_302600_NS6detail15normal_iteratorINS9_10device_ptrItEEEENSB_INSC_IjEEEEPNS0_10empty_typeENS0_5tupleIJNS9_16discard_iteratorINS9_11use_defaultEEESH_EEENSJ_IJSM_SI_EEENS0_18inequality_wrapperINS9_8equal_toItEEEEPmJSH_EEE10hipError_tPvRmT3_T4_T5_T6_T7_T9_mT8_P12ihipStream_tbDpT10_ENKUlT_T0_E_clISt17integral_constantIbLb0EES1D_EEDaS18_S19_EUlS18_E_NS1_11comp_targetILNS1_3genE2ELNS1_11target_archE906ELNS1_3gpuE6ELNS1_3repE0EEENS1_30default_config_static_selectorELNS0_4arch9wavefront6targetE0EEEvT1_: ; @_ZN7rocprim17ROCPRIM_400000_NS6detail17trampoline_kernelINS0_14default_configENS1_25partition_config_selectorILNS1_17partition_subalgoE9EtjbEEZZNS1_14partition_implILS5_9ELb0ES3_jN6thrust23THRUST_200600_302600_NS6detail15normal_iteratorINS9_10device_ptrItEEEENSB_INSC_IjEEEEPNS0_10empty_typeENS0_5tupleIJNS9_16discard_iteratorINS9_11use_defaultEEESH_EEENSJ_IJSM_SI_EEENS0_18inequality_wrapperINS9_8equal_toItEEEEPmJSH_EEE10hipError_tPvRmT3_T4_T5_T6_T7_T9_mT8_P12ihipStream_tbDpT10_ENKUlT_T0_E_clISt17integral_constantIbLb0EES1D_EEDaS18_S19_EUlS18_E_NS1_11comp_targetILNS1_3genE2ELNS1_11target_archE906ELNS1_3gpuE6ELNS1_3repE0EEENS1_30default_config_static_selectorELNS0_4arch9wavefront6targetE0EEEvT1_
; %bb.0:
	.section	.rodata,"a",@progbits
	.p2align	6, 0x0
	.amdhsa_kernel _ZN7rocprim17ROCPRIM_400000_NS6detail17trampoline_kernelINS0_14default_configENS1_25partition_config_selectorILNS1_17partition_subalgoE9EtjbEEZZNS1_14partition_implILS5_9ELb0ES3_jN6thrust23THRUST_200600_302600_NS6detail15normal_iteratorINS9_10device_ptrItEEEENSB_INSC_IjEEEEPNS0_10empty_typeENS0_5tupleIJNS9_16discard_iteratorINS9_11use_defaultEEESH_EEENSJ_IJSM_SI_EEENS0_18inequality_wrapperINS9_8equal_toItEEEEPmJSH_EEE10hipError_tPvRmT3_T4_T5_T6_T7_T9_mT8_P12ihipStream_tbDpT10_ENKUlT_T0_E_clISt17integral_constantIbLb0EES1D_EEDaS18_S19_EUlS18_E_NS1_11comp_targetILNS1_3genE2ELNS1_11target_archE906ELNS1_3gpuE6ELNS1_3repE0EEENS1_30default_config_static_selectorELNS0_4arch9wavefront6targetE0EEEvT1_
		.amdhsa_group_segment_fixed_size 0
		.amdhsa_private_segment_fixed_size 0
		.amdhsa_kernarg_size 128
		.amdhsa_user_sgpr_count 15
		.amdhsa_user_sgpr_dispatch_ptr 0
		.amdhsa_user_sgpr_queue_ptr 0
		.amdhsa_user_sgpr_kernarg_segment_ptr 1
		.amdhsa_user_sgpr_dispatch_id 0
		.amdhsa_user_sgpr_private_segment_size 0
		.amdhsa_wavefront_size32 1
		.amdhsa_uses_dynamic_stack 0
		.amdhsa_enable_private_segment 0
		.amdhsa_system_sgpr_workgroup_id_x 1
		.amdhsa_system_sgpr_workgroup_id_y 0
		.amdhsa_system_sgpr_workgroup_id_z 0
		.amdhsa_system_sgpr_workgroup_info 0
		.amdhsa_system_vgpr_workitem_id 0
		.amdhsa_next_free_vgpr 1
		.amdhsa_next_free_sgpr 1
		.amdhsa_reserve_vcc 0
		.amdhsa_float_round_mode_32 0
		.amdhsa_float_round_mode_16_64 0
		.amdhsa_float_denorm_mode_32 3
		.amdhsa_float_denorm_mode_16_64 3
		.amdhsa_dx10_clamp 1
		.amdhsa_ieee_mode 1
		.amdhsa_fp16_overflow 0
		.amdhsa_workgroup_processor_mode 1
		.amdhsa_memory_ordered 1
		.amdhsa_forward_progress 0
		.amdhsa_shared_vgpr_count 0
		.amdhsa_exception_fp_ieee_invalid_op 0
		.amdhsa_exception_fp_denorm_src 0
		.amdhsa_exception_fp_ieee_div_zero 0
		.amdhsa_exception_fp_ieee_overflow 0
		.amdhsa_exception_fp_ieee_underflow 0
		.amdhsa_exception_fp_ieee_inexact 0
		.amdhsa_exception_int_div_zero 0
	.end_amdhsa_kernel
	.section	.text._ZN7rocprim17ROCPRIM_400000_NS6detail17trampoline_kernelINS0_14default_configENS1_25partition_config_selectorILNS1_17partition_subalgoE9EtjbEEZZNS1_14partition_implILS5_9ELb0ES3_jN6thrust23THRUST_200600_302600_NS6detail15normal_iteratorINS9_10device_ptrItEEEENSB_INSC_IjEEEEPNS0_10empty_typeENS0_5tupleIJNS9_16discard_iteratorINS9_11use_defaultEEESH_EEENSJ_IJSM_SI_EEENS0_18inequality_wrapperINS9_8equal_toItEEEEPmJSH_EEE10hipError_tPvRmT3_T4_T5_T6_T7_T9_mT8_P12ihipStream_tbDpT10_ENKUlT_T0_E_clISt17integral_constantIbLb0EES1D_EEDaS18_S19_EUlS18_E_NS1_11comp_targetILNS1_3genE2ELNS1_11target_archE906ELNS1_3gpuE6ELNS1_3repE0EEENS1_30default_config_static_selectorELNS0_4arch9wavefront6targetE0EEEvT1_,"axG",@progbits,_ZN7rocprim17ROCPRIM_400000_NS6detail17trampoline_kernelINS0_14default_configENS1_25partition_config_selectorILNS1_17partition_subalgoE9EtjbEEZZNS1_14partition_implILS5_9ELb0ES3_jN6thrust23THRUST_200600_302600_NS6detail15normal_iteratorINS9_10device_ptrItEEEENSB_INSC_IjEEEEPNS0_10empty_typeENS0_5tupleIJNS9_16discard_iteratorINS9_11use_defaultEEESH_EEENSJ_IJSM_SI_EEENS0_18inequality_wrapperINS9_8equal_toItEEEEPmJSH_EEE10hipError_tPvRmT3_T4_T5_T6_T7_T9_mT8_P12ihipStream_tbDpT10_ENKUlT_T0_E_clISt17integral_constantIbLb0EES1D_EEDaS18_S19_EUlS18_E_NS1_11comp_targetILNS1_3genE2ELNS1_11target_archE906ELNS1_3gpuE6ELNS1_3repE0EEENS1_30default_config_static_selectorELNS0_4arch9wavefront6targetE0EEEvT1_,comdat
.Lfunc_end889:
	.size	_ZN7rocprim17ROCPRIM_400000_NS6detail17trampoline_kernelINS0_14default_configENS1_25partition_config_selectorILNS1_17partition_subalgoE9EtjbEEZZNS1_14partition_implILS5_9ELb0ES3_jN6thrust23THRUST_200600_302600_NS6detail15normal_iteratorINS9_10device_ptrItEEEENSB_INSC_IjEEEEPNS0_10empty_typeENS0_5tupleIJNS9_16discard_iteratorINS9_11use_defaultEEESH_EEENSJ_IJSM_SI_EEENS0_18inequality_wrapperINS9_8equal_toItEEEEPmJSH_EEE10hipError_tPvRmT3_T4_T5_T6_T7_T9_mT8_P12ihipStream_tbDpT10_ENKUlT_T0_E_clISt17integral_constantIbLb0EES1D_EEDaS18_S19_EUlS18_E_NS1_11comp_targetILNS1_3genE2ELNS1_11target_archE906ELNS1_3gpuE6ELNS1_3repE0EEENS1_30default_config_static_selectorELNS0_4arch9wavefront6targetE0EEEvT1_, .Lfunc_end889-_ZN7rocprim17ROCPRIM_400000_NS6detail17trampoline_kernelINS0_14default_configENS1_25partition_config_selectorILNS1_17partition_subalgoE9EtjbEEZZNS1_14partition_implILS5_9ELb0ES3_jN6thrust23THRUST_200600_302600_NS6detail15normal_iteratorINS9_10device_ptrItEEEENSB_INSC_IjEEEEPNS0_10empty_typeENS0_5tupleIJNS9_16discard_iteratorINS9_11use_defaultEEESH_EEENSJ_IJSM_SI_EEENS0_18inequality_wrapperINS9_8equal_toItEEEEPmJSH_EEE10hipError_tPvRmT3_T4_T5_T6_T7_T9_mT8_P12ihipStream_tbDpT10_ENKUlT_T0_E_clISt17integral_constantIbLb0EES1D_EEDaS18_S19_EUlS18_E_NS1_11comp_targetILNS1_3genE2ELNS1_11target_archE906ELNS1_3gpuE6ELNS1_3repE0EEENS1_30default_config_static_selectorELNS0_4arch9wavefront6targetE0EEEvT1_
                                        ; -- End function
	.section	.AMDGPU.csdata,"",@progbits
; Kernel info:
; codeLenInByte = 0
; NumSgprs: 0
; NumVgprs: 0
; ScratchSize: 0
; MemoryBound: 0
; FloatMode: 240
; IeeeMode: 1
; LDSByteSize: 0 bytes/workgroup (compile time only)
; SGPRBlocks: 0
; VGPRBlocks: 0
; NumSGPRsForWavesPerEU: 1
; NumVGPRsForWavesPerEU: 1
; Occupancy: 16
; WaveLimiterHint : 0
; COMPUTE_PGM_RSRC2:SCRATCH_EN: 0
; COMPUTE_PGM_RSRC2:USER_SGPR: 15
; COMPUTE_PGM_RSRC2:TRAP_HANDLER: 0
; COMPUTE_PGM_RSRC2:TGID_X_EN: 1
; COMPUTE_PGM_RSRC2:TGID_Y_EN: 0
; COMPUTE_PGM_RSRC2:TGID_Z_EN: 0
; COMPUTE_PGM_RSRC2:TIDIG_COMP_CNT: 0
	.section	.text._ZN7rocprim17ROCPRIM_400000_NS6detail17trampoline_kernelINS0_14default_configENS1_25partition_config_selectorILNS1_17partition_subalgoE9EtjbEEZZNS1_14partition_implILS5_9ELb0ES3_jN6thrust23THRUST_200600_302600_NS6detail15normal_iteratorINS9_10device_ptrItEEEENSB_INSC_IjEEEEPNS0_10empty_typeENS0_5tupleIJNS9_16discard_iteratorINS9_11use_defaultEEESH_EEENSJ_IJSM_SI_EEENS0_18inequality_wrapperINS9_8equal_toItEEEEPmJSH_EEE10hipError_tPvRmT3_T4_T5_T6_T7_T9_mT8_P12ihipStream_tbDpT10_ENKUlT_T0_E_clISt17integral_constantIbLb0EES1D_EEDaS18_S19_EUlS18_E_NS1_11comp_targetILNS1_3genE10ELNS1_11target_archE1200ELNS1_3gpuE4ELNS1_3repE0EEENS1_30default_config_static_selectorELNS0_4arch9wavefront6targetE0EEEvT1_,"axG",@progbits,_ZN7rocprim17ROCPRIM_400000_NS6detail17trampoline_kernelINS0_14default_configENS1_25partition_config_selectorILNS1_17partition_subalgoE9EtjbEEZZNS1_14partition_implILS5_9ELb0ES3_jN6thrust23THRUST_200600_302600_NS6detail15normal_iteratorINS9_10device_ptrItEEEENSB_INSC_IjEEEEPNS0_10empty_typeENS0_5tupleIJNS9_16discard_iteratorINS9_11use_defaultEEESH_EEENSJ_IJSM_SI_EEENS0_18inequality_wrapperINS9_8equal_toItEEEEPmJSH_EEE10hipError_tPvRmT3_T4_T5_T6_T7_T9_mT8_P12ihipStream_tbDpT10_ENKUlT_T0_E_clISt17integral_constantIbLb0EES1D_EEDaS18_S19_EUlS18_E_NS1_11comp_targetILNS1_3genE10ELNS1_11target_archE1200ELNS1_3gpuE4ELNS1_3repE0EEENS1_30default_config_static_selectorELNS0_4arch9wavefront6targetE0EEEvT1_,comdat
	.protected	_ZN7rocprim17ROCPRIM_400000_NS6detail17trampoline_kernelINS0_14default_configENS1_25partition_config_selectorILNS1_17partition_subalgoE9EtjbEEZZNS1_14partition_implILS5_9ELb0ES3_jN6thrust23THRUST_200600_302600_NS6detail15normal_iteratorINS9_10device_ptrItEEEENSB_INSC_IjEEEEPNS0_10empty_typeENS0_5tupleIJNS9_16discard_iteratorINS9_11use_defaultEEESH_EEENSJ_IJSM_SI_EEENS0_18inequality_wrapperINS9_8equal_toItEEEEPmJSH_EEE10hipError_tPvRmT3_T4_T5_T6_T7_T9_mT8_P12ihipStream_tbDpT10_ENKUlT_T0_E_clISt17integral_constantIbLb0EES1D_EEDaS18_S19_EUlS18_E_NS1_11comp_targetILNS1_3genE10ELNS1_11target_archE1200ELNS1_3gpuE4ELNS1_3repE0EEENS1_30default_config_static_selectorELNS0_4arch9wavefront6targetE0EEEvT1_ ; -- Begin function _ZN7rocprim17ROCPRIM_400000_NS6detail17trampoline_kernelINS0_14default_configENS1_25partition_config_selectorILNS1_17partition_subalgoE9EtjbEEZZNS1_14partition_implILS5_9ELb0ES3_jN6thrust23THRUST_200600_302600_NS6detail15normal_iteratorINS9_10device_ptrItEEEENSB_INSC_IjEEEEPNS0_10empty_typeENS0_5tupleIJNS9_16discard_iteratorINS9_11use_defaultEEESH_EEENSJ_IJSM_SI_EEENS0_18inequality_wrapperINS9_8equal_toItEEEEPmJSH_EEE10hipError_tPvRmT3_T4_T5_T6_T7_T9_mT8_P12ihipStream_tbDpT10_ENKUlT_T0_E_clISt17integral_constantIbLb0EES1D_EEDaS18_S19_EUlS18_E_NS1_11comp_targetILNS1_3genE10ELNS1_11target_archE1200ELNS1_3gpuE4ELNS1_3repE0EEENS1_30default_config_static_selectorELNS0_4arch9wavefront6targetE0EEEvT1_
	.globl	_ZN7rocprim17ROCPRIM_400000_NS6detail17trampoline_kernelINS0_14default_configENS1_25partition_config_selectorILNS1_17partition_subalgoE9EtjbEEZZNS1_14partition_implILS5_9ELb0ES3_jN6thrust23THRUST_200600_302600_NS6detail15normal_iteratorINS9_10device_ptrItEEEENSB_INSC_IjEEEEPNS0_10empty_typeENS0_5tupleIJNS9_16discard_iteratorINS9_11use_defaultEEESH_EEENSJ_IJSM_SI_EEENS0_18inequality_wrapperINS9_8equal_toItEEEEPmJSH_EEE10hipError_tPvRmT3_T4_T5_T6_T7_T9_mT8_P12ihipStream_tbDpT10_ENKUlT_T0_E_clISt17integral_constantIbLb0EES1D_EEDaS18_S19_EUlS18_E_NS1_11comp_targetILNS1_3genE10ELNS1_11target_archE1200ELNS1_3gpuE4ELNS1_3repE0EEENS1_30default_config_static_selectorELNS0_4arch9wavefront6targetE0EEEvT1_
	.p2align	8
	.type	_ZN7rocprim17ROCPRIM_400000_NS6detail17trampoline_kernelINS0_14default_configENS1_25partition_config_selectorILNS1_17partition_subalgoE9EtjbEEZZNS1_14partition_implILS5_9ELb0ES3_jN6thrust23THRUST_200600_302600_NS6detail15normal_iteratorINS9_10device_ptrItEEEENSB_INSC_IjEEEEPNS0_10empty_typeENS0_5tupleIJNS9_16discard_iteratorINS9_11use_defaultEEESH_EEENSJ_IJSM_SI_EEENS0_18inequality_wrapperINS9_8equal_toItEEEEPmJSH_EEE10hipError_tPvRmT3_T4_T5_T6_T7_T9_mT8_P12ihipStream_tbDpT10_ENKUlT_T0_E_clISt17integral_constantIbLb0EES1D_EEDaS18_S19_EUlS18_E_NS1_11comp_targetILNS1_3genE10ELNS1_11target_archE1200ELNS1_3gpuE4ELNS1_3repE0EEENS1_30default_config_static_selectorELNS0_4arch9wavefront6targetE0EEEvT1_,@function
_ZN7rocprim17ROCPRIM_400000_NS6detail17trampoline_kernelINS0_14default_configENS1_25partition_config_selectorILNS1_17partition_subalgoE9EtjbEEZZNS1_14partition_implILS5_9ELb0ES3_jN6thrust23THRUST_200600_302600_NS6detail15normal_iteratorINS9_10device_ptrItEEEENSB_INSC_IjEEEEPNS0_10empty_typeENS0_5tupleIJNS9_16discard_iteratorINS9_11use_defaultEEESH_EEENSJ_IJSM_SI_EEENS0_18inequality_wrapperINS9_8equal_toItEEEEPmJSH_EEE10hipError_tPvRmT3_T4_T5_T6_T7_T9_mT8_P12ihipStream_tbDpT10_ENKUlT_T0_E_clISt17integral_constantIbLb0EES1D_EEDaS18_S19_EUlS18_E_NS1_11comp_targetILNS1_3genE10ELNS1_11target_archE1200ELNS1_3gpuE4ELNS1_3repE0EEENS1_30default_config_static_selectorELNS0_4arch9wavefront6targetE0EEEvT1_: ; @_ZN7rocprim17ROCPRIM_400000_NS6detail17trampoline_kernelINS0_14default_configENS1_25partition_config_selectorILNS1_17partition_subalgoE9EtjbEEZZNS1_14partition_implILS5_9ELb0ES3_jN6thrust23THRUST_200600_302600_NS6detail15normal_iteratorINS9_10device_ptrItEEEENSB_INSC_IjEEEEPNS0_10empty_typeENS0_5tupleIJNS9_16discard_iteratorINS9_11use_defaultEEESH_EEENSJ_IJSM_SI_EEENS0_18inequality_wrapperINS9_8equal_toItEEEEPmJSH_EEE10hipError_tPvRmT3_T4_T5_T6_T7_T9_mT8_P12ihipStream_tbDpT10_ENKUlT_T0_E_clISt17integral_constantIbLb0EES1D_EEDaS18_S19_EUlS18_E_NS1_11comp_targetILNS1_3genE10ELNS1_11target_archE1200ELNS1_3gpuE4ELNS1_3repE0EEENS1_30default_config_static_selectorELNS0_4arch9wavefront6targetE0EEEvT1_
; %bb.0:
	.section	.rodata,"a",@progbits
	.p2align	6, 0x0
	.amdhsa_kernel _ZN7rocprim17ROCPRIM_400000_NS6detail17trampoline_kernelINS0_14default_configENS1_25partition_config_selectorILNS1_17partition_subalgoE9EtjbEEZZNS1_14partition_implILS5_9ELb0ES3_jN6thrust23THRUST_200600_302600_NS6detail15normal_iteratorINS9_10device_ptrItEEEENSB_INSC_IjEEEEPNS0_10empty_typeENS0_5tupleIJNS9_16discard_iteratorINS9_11use_defaultEEESH_EEENSJ_IJSM_SI_EEENS0_18inequality_wrapperINS9_8equal_toItEEEEPmJSH_EEE10hipError_tPvRmT3_T4_T5_T6_T7_T9_mT8_P12ihipStream_tbDpT10_ENKUlT_T0_E_clISt17integral_constantIbLb0EES1D_EEDaS18_S19_EUlS18_E_NS1_11comp_targetILNS1_3genE10ELNS1_11target_archE1200ELNS1_3gpuE4ELNS1_3repE0EEENS1_30default_config_static_selectorELNS0_4arch9wavefront6targetE0EEEvT1_
		.amdhsa_group_segment_fixed_size 0
		.amdhsa_private_segment_fixed_size 0
		.amdhsa_kernarg_size 128
		.amdhsa_user_sgpr_count 15
		.amdhsa_user_sgpr_dispatch_ptr 0
		.amdhsa_user_sgpr_queue_ptr 0
		.amdhsa_user_sgpr_kernarg_segment_ptr 1
		.amdhsa_user_sgpr_dispatch_id 0
		.amdhsa_user_sgpr_private_segment_size 0
		.amdhsa_wavefront_size32 1
		.amdhsa_uses_dynamic_stack 0
		.amdhsa_enable_private_segment 0
		.amdhsa_system_sgpr_workgroup_id_x 1
		.amdhsa_system_sgpr_workgroup_id_y 0
		.amdhsa_system_sgpr_workgroup_id_z 0
		.amdhsa_system_sgpr_workgroup_info 0
		.amdhsa_system_vgpr_workitem_id 0
		.amdhsa_next_free_vgpr 1
		.amdhsa_next_free_sgpr 1
		.amdhsa_reserve_vcc 0
		.amdhsa_float_round_mode_32 0
		.amdhsa_float_round_mode_16_64 0
		.amdhsa_float_denorm_mode_32 3
		.amdhsa_float_denorm_mode_16_64 3
		.amdhsa_dx10_clamp 1
		.amdhsa_ieee_mode 1
		.amdhsa_fp16_overflow 0
		.amdhsa_workgroup_processor_mode 1
		.amdhsa_memory_ordered 1
		.amdhsa_forward_progress 0
		.amdhsa_shared_vgpr_count 0
		.amdhsa_exception_fp_ieee_invalid_op 0
		.amdhsa_exception_fp_denorm_src 0
		.amdhsa_exception_fp_ieee_div_zero 0
		.amdhsa_exception_fp_ieee_overflow 0
		.amdhsa_exception_fp_ieee_underflow 0
		.amdhsa_exception_fp_ieee_inexact 0
		.amdhsa_exception_int_div_zero 0
	.end_amdhsa_kernel
	.section	.text._ZN7rocprim17ROCPRIM_400000_NS6detail17trampoline_kernelINS0_14default_configENS1_25partition_config_selectorILNS1_17partition_subalgoE9EtjbEEZZNS1_14partition_implILS5_9ELb0ES3_jN6thrust23THRUST_200600_302600_NS6detail15normal_iteratorINS9_10device_ptrItEEEENSB_INSC_IjEEEEPNS0_10empty_typeENS0_5tupleIJNS9_16discard_iteratorINS9_11use_defaultEEESH_EEENSJ_IJSM_SI_EEENS0_18inequality_wrapperINS9_8equal_toItEEEEPmJSH_EEE10hipError_tPvRmT3_T4_T5_T6_T7_T9_mT8_P12ihipStream_tbDpT10_ENKUlT_T0_E_clISt17integral_constantIbLb0EES1D_EEDaS18_S19_EUlS18_E_NS1_11comp_targetILNS1_3genE10ELNS1_11target_archE1200ELNS1_3gpuE4ELNS1_3repE0EEENS1_30default_config_static_selectorELNS0_4arch9wavefront6targetE0EEEvT1_,"axG",@progbits,_ZN7rocprim17ROCPRIM_400000_NS6detail17trampoline_kernelINS0_14default_configENS1_25partition_config_selectorILNS1_17partition_subalgoE9EtjbEEZZNS1_14partition_implILS5_9ELb0ES3_jN6thrust23THRUST_200600_302600_NS6detail15normal_iteratorINS9_10device_ptrItEEEENSB_INSC_IjEEEEPNS0_10empty_typeENS0_5tupleIJNS9_16discard_iteratorINS9_11use_defaultEEESH_EEENSJ_IJSM_SI_EEENS0_18inequality_wrapperINS9_8equal_toItEEEEPmJSH_EEE10hipError_tPvRmT3_T4_T5_T6_T7_T9_mT8_P12ihipStream_tbDpT10_ENKUlT_T0_E_clISt17integral_constantIbLb0EES1D_EEDaS18_S19_EUlS18_E_NS1_11comp_targetILNS1_3genE10ELNS1_11target_archE1200ELNS1_3gpuE4ELNS1_3repE0EEENS1_30default_config_static_selectorELNS0_4arch9wavefront6targetE0EEEvT1_,comdat
.Lfunc_end890:
	.size	_ZN7rocprim17ROCPRIM_400000_NS6detail17trampoline_kernelINS0_14default_configENS1_25partition_config_selectorILNS1_17partition_subalgoE9EtjbEEZZNS1_14partition_implILS5_9ELb0ES3_jN6thrust23THRUST_200600_302600_NS6detail15normal_iteratorINS9_10device_ptrItEEEENSB_INSC_IjEEEEPNS0_10empty_typeENS0_5tupleIJNS9_16discard_iteratorINS9_11use_defaultEEESH_EEENSJ_IJSM_SI_EEENS0_18inequality_wrapperINS9_8equal_toItEEEEPmJSH_EEE10hipError_tPvRmT3_T4_T5_T6_T7_T9_mT8_P12ihipStream_tbDpT10_ENKUlT_T0_E_clISt17integral_constantIbLb0EES1D_EEDaS18_S19_EUlS18_E_NS1_11comp_targetILNS1_3genE10ELNS1_11target_archE1200ELNS1_3gpuE4ELNS1_3repE0EEENS1_30default_config_static_selectorELNS0_4arch9wavefront6targetE0EEEvT1_, .Lfunc_end890-_ZN7rocprim17ROCPRIM_400000_NS6detail17trampoline_kernelINS0_14default_configENS1_25partition_config_selectorILNS1_17partition_subalgoE9EtjbEEZZNS1_14partition_implILS5_9ELb0ES3_jN6thrust23THRUST_200600_302600_NS6detail15normal_iteratorINS9_10device_ptrItEEEENSB_INSC_IjEEEEPNS0_10empty_typeENS0_5tupleIJNS9_16discard_iteratorINS9_11use_defaultEEESH_EEENSJ_IJSM_SI_EEENS0_18inequality_wrapperINS9_8equal_toItEEEEPmJSH_EEE10hipError_tPvRmT3_T4_T5_T6_T7_T9_mT8_P12ihipStream_tbDpT10_ENKUlT_T0_E_clISt17integral_constantIbLb0EES1D_EEDaS18_S19_EUlS18_E_NS1_11comp_targetILNS1_3genE10ELNS1_11target_archE1200ELNS1_3gpuE4ELNS1_3repE0EEENS1_30default_config_static_selectorELNS0_4arch9wavefront6targetE0EEEvT1_
                                        ; -- End function
	.section	.AMDGPU.csdata,"",@progbits
; Kernel info:
; codeLenInByte = 0
; NumSgprs: 0
; NumVgprs: 0
; ScratchSize: 0
; MemoryBound: 0
; FloatMode: 240
; IeeeMode: 1
; LDSByteSize: 0 bytes/workgroup (compile time only)
; SGPRBlocks: 0
; VGPRBlocks: 0
; NumSGPRsForWavesPerEU: 1
; NumVGPRsForWavesPerEU: 1
; Occupancy: 16
; WaveLimiterHint : 0
; COMPUTE_PGM_RSRC2:SCRATCH_EN: 0
; COMPUTE_PGM_RSRC2:USER_SGPR: 15
; COMPUTE_PGM_RSRC2:TRAP_HANDLER: 0
; COMPUTE_PGM_RSRC2:TGID_X_EN: 1
; COMPUTE_PGM_RSRC2:TGID_Y_EN: 0
; COMPUTE_PGM_RSRC2:TGID_Z_EN: 0
; COMPUTE_PGM_RSRC2:TIDIG_COMP_CNT: 0
	.section	.text._ZN7rocprim17ROCPRIM_400000_NS6detail17trampoline_kernelINS0_14default_configENS1_25partition_config_selectorILNS1_17partition_subalgoE9EtjbEEZZNS1_14partition_implILS5_9ELb0ES3_jN6thrust23THRUST_200600_302600_NS6detail15normal_iteratorINS9_10device_ptrItEEEENSB_INSC_IjEEEEPNS0_10empty_typeENS0_5tupleIJNS9_16discard_iteratorINS9_11use_defaultEEESH_EEENSJ_IJSM_SI_EEENS0_18inequality_wrapperINS9_8equal_toItEEEEPmJSH_EEE10hipError_tPvRmT3_T4_T5_T6_T7_T9_mT8_P12ihipStream_tbDpT10_ENKUlT_T0_E_clISt17integral_constantIbLb0EES1D_EEDaS18_S19_EUlS18_E_NS1_11comp_targetILNS1_3genE9ELNS1_11target_archE1100ELNS1_3gpuE3ELNS1_3repE0EEENS1_30default_config_static_selectorELNS0_4arch9wavefront6targetE0EEEvT1_,"axG",@progbits,_ZN7rocprim17ROCPRIM_400000_NS6detail17trampoline_kernelINS0_14default_configENS1_25partition_config_selectorILNS1_17partition_subalgoE9EtjbEEZZNS1_14partition_implILS5_9ELb0ES3_jN6thrust23THRUST_200600_302600_NS6detail15normal_iteratorINS9_10device_ptrItEEEENSB_INSC_IjEEEEPNS0_10empty_typeENS0_5tupleIJNS9_16discard_iteratorINS9_11use_defaultEEESH_EEENSJ_IJSM_SI_EEENS0_18inequality_wrapperINS9_8equal_toItEEEEPmJSH_EEE10hipError_tPvRmT3_T4_T5_T6_T7_T9_mT8_P12ihipStream_tbDpT10_ENKUlT_T0_E_clISt17integral_constantIbLb0EES1D_EEDaS18_S19_EUlS18_E_NS1_11comp_targetILNS1_3genE9ELNS1_11target_archE1100ELNS1_3gpuE3ELNS1_3repE0EEENS1_30default_config_static_selectorELNS0_4arch9wavefront6targetE0EEEvT1_,comdat
	.protected	_ZN7rocprim17ROCPRIM_400000_NS6detail17trampoline_kernelINS0_14default_configENS1_25partition_config_selectorILNS1_17partition_subalgoE9EtjbEEZZNS1_14partition_implILS5_9ELb0ES3_jN6thrust23THRUST_200600_302600_NS6detail15normal_iteratorINS9_10device_ptrItEEEENSB_INSC_IjEEEEPNS0_10empty_typeENS0_5tupleIJNS9_16discard_iteratorINS9_11use_defaultEEESH_EEENSJ_IJSM_SI_EEENS0_18inequality_wrapperINS9_8equal_toItEEEEPmJSH_EEE10hipError_tPvRmT3_T4_T5_T6_T7_T9_mT8_P12ihipStream_tbDpT10_ENKUlT_T0_E_clISt17integral_constantIbLb0EES1D_EEDaS18_S19_EUlS18_E_NS1_11comp_targetILNS1_3genE9ELNS1_11target_archE1100ELNS1_3gpuE3ELNS1_3repE0EEENS1_30default_config_static_selectorELNS0_4arch9wavefront6targetE0EEEvT1_ ; -- Begin function _ZN7rocprim17ROCPRIM_400000_NS6detail17trampoline_kernelINS0_14default_configENS1_25partition_config_selectorILNS1_17partition_subalgoE9EtjbEEZZNS1_14partition_implILS5_9ELb0ES3_jN6thrust23THRUST_200600_302600_NS6detail15normal_iteratorINS9_10device_ptrItEEEENSB_INSC_IjEEEEPNS0_10empty_typeENS0_5tupleIJNS9_16discard_iteratorINS9_11use_defaultEEESH_EEENSJ_IJSM_SI_EEENS0_18inequality_wrapperINS9_8equal_toItEEEEPmJSH_EEE10hipError_tPvRmT3_T4_T5_T6_T7_T9_mT8_P12ihipStream_tbDpT10_ENKUlT_T0_E_clISt17integral_constantIbLb0EES1D_EEDaS18_S19_EUlS18_E_NS1_11comp_targetILNS1_3genE9ELNS1_11target_archE1100ELNS1_3gpuE3ELNS1_3repE0EEENS1_30default_config_static_selectorELNS0_4arch9wavefront6targetE0EEEvT1_
	.globl	_ZN7rocprim17ROCPRIM_400000_NS6detail17trampoline_kernelINS0_14default_configENS1_25partition_config_selectorILNS1_17partition_subalgoE9EtjbEEZZNS1_14partition_implILS5_9ELb0ES3_jN6thrust23THRUST_200600_302600_NS6detail15normal_iteratorINS9_10device_ptrItEEEENSB_INSC_IjEEEEPNS0_10empty_typeENS0_5tupleIJNS9_16discard_iteratorINS9_11use_defaultEEESH_EEENSJ_IJSM_SI_EEENS0_18inequality_wrapperINS9_8equal_toItEEEEPmJSH_EEE10hipError_tPvRmT3_T4_T5_T6_T7_T9_mT8_P12ihipStream_tbDpT10_ENKUlT_T0_E_clISt17integral_constantIbLb0EES1D_EEDaS18_S19_EUlS18_E_NS1_11comp_targetILNS1_3genE9ELNS1_11target_archE1100ELNS1_3gpuE3ELNS1_3repE0EEENS1_30default_config_static_selectorELNS0_4arch9wavefront6targetE0EEEvT1_
	.p2align	8
	.type	_ZN7rocprim17ROCPRIM_400000_NS6detail17trampoline_kernelINS0_14default_configENS1_25partition_config_selectorILNS1_17partition_subalgoE9EtjbEEZZNS1_14partition_implILS5_9ELb0ES3_jN6thrust23THRUST_200600_302600_NS6detail15normal_iteratorINS9_10device_ptrItEEEENSB_INSC_IjEEEEPNS0_10empty_typeENS0_5tupleIJNS9_16discard_iteratorINS9_11use_defaultEEESH_EEENSJ_IJSM_SI_EEENS0_18inequality_wrapperINS9_8equal_toItEEEEPmJSH_EEE10hipError_tPvRmT3_T4_T5_T6_T7_T9_mT8_P12ihipStream_tbDpT10_ENKUlT_T0_E_clISt17integral_constantIbLb0EES1D_EEDaS18_S19_EUlS18_E_NS1_11comp_targetILNS1_3genE9ELNS1_11target_archE1100ELNS1_3gpuE3ELNS1_3repE0EEENS1_30default_config_static_selectorELNS0_4arch9wavefront6targetE0EEEvT1_,@function
_ZN7rocprim17ROCPRIM_400000_NS6detail17trampoline_kernelINS0_14default_configENS1_25partition_config_selectorILNS1_17partition_subalgoE9EtjbEEZZNS1_14partition_implILS5_9ELb0ES3_jN6thrust23THRUST_200600_302600_NS6detail15normal_iteratorINS9_10device_ptrItEEEENSB_INSC_IjEEEEPNS0_10empty_typeENS0_5tupleIJNS9_16discard_iteratorINS9_11use_defaultEEESH_EEENSJ_IJSM_SI_EEENS0_18inequality_wrapperINS9_8equal_toItEEEEPmJSH_EEE10hipError_tPvRmT3_T4_T5_T6_T7_T9_mT8_P12ihipStream_tbDpT10_ENKUlT_T0_E_clISt17integral_constantIbLb0EES1D_EEDaS18_S19_EUlS18_E_NS1_11comp_targetILNS1_3genE9ELNS1_11target_archE1100ELNS1_3gpuE3ELNS1_3repE0EEENS1_30default_config_static_selectorELNS0_4arch9wavefront6targetE0EEEvT1_: ; @_ZN7rocprim17ROCPRIM_400000_NS6detail17trampoline_kernelINS0_14default_configENS1_25partition_config_selectorILNS1_17partition_subalgoE9EtjbEEZZNS1_14partition_implILS5_9ELb0ES3_jN6thrust23THRUST_200600_302600_NS6detail15normal_iteratorINS9_10device_ptrItEEEENSB_INSC_IjEEEEPNS0_10empty_typeENS0_5tupleIJNS9_16discard_iteratorINS9_11use_defaultEEESH_EEENSJ_IJSM_SI_EEENS0_18inequality_wrapperINS9_8equal_toItEEEEPmJSH_EEE10hipError_tPvRmT3_T4_T5_T6_T7_T9_mT8_P12ihipStream_tbDpT10_ENKUlT_T0_E_clISt17integral_constantIbLb0EES1D_EEDaS18_S19_EUlS18_E_NS1_11comp_targetILNS1_3genE9ELNS1_11target_archE1100ELNS1_3gpuE3ELNS1_3repE0EEENS1_30default_config_static_selectorELNS0_4arch9wavefront6targetE0EEEvT1_
; %bb.0:
	s_clause 0x4
	s_load_b128 s[4:7], s[0:1], 0x8
	s_load_b32 s14, s[0:1], 0x78
	s_load_b128 s[16:19], s[0:1], 0x50
	s_load_b64 s[2:3], s[0:1], 0x60
	s_load_b64 s[8:9], s[0:1], 0x18
	v_lshlrev_b32_e32 v9, 1, v0
	s_waitcnt lgkmcnt(0)
	s_lshl_b64 s[10:11], s[6:7], 1
	s_mul_i32 s20, s14, 0x580
	s_add_u32 s21, s4, s10
	s_addc_u32 s22, s5, s11
	s_add_i32 s4, s20, s6
	s_load_b64 s[12:13], s[18:19], 0x0
	s_sub_i32 s18, s2, s4
	s_add_i32 s14, s14, -1
	s_addk_i32 s18, 0x580
	s_add_u32 s4, s6, s20
	s_addc_u32 s5, s7, 0
	s_cmp_eq_u32 s15, s14
	v_cmp_ge_u64_e64 s2, s[4:5], s[2:3]
	s_cselect_b32 s14, -1, 0
	s_mov_b32 s5, 0
	s_mul_i32 s4, s15, 0x580
	s_mov_b32 s20, -1
	s_delay_alu instid0(VALU_DEP_1)
	s_and_b32 s19, s14, s2
	s_lshl_b64 s[2:3], s[4:5], 1
	s_xor_b32 s10, s19, -1
	s_add_u32 s11, s21, s2
	s_addc_u32 s3, s22, s3
	s_and_b32 vcc_lo, exec_lo, s10
	s_cbranch_vccz .LBB891_2
; %bb.1:
	v_add_co_u32 v1, s2, s11, v9
	s_delay_alu instid0(VALU_DEP_1)
	v_add_co_ci_u32_e64 v2, null, s3, 0, s2
	s_mov_b32 s20, s5
	s_clause 0xa
	flat_load_u16 v3, v[1:2]
	flat_load_u16 v4, v[1:2] offset:256
	flat_load_u16 v5, v[1:2] offset:512
	flat_load_u16 v6, v[1:2] offset:768
	flat_load_u16 v7, v[1:2] offset:1024
	flat_load_u16 v8, v[1:2] offset:1280
	flat_load_u16 v10, v[1:2] offset:1536
	flat_load_u16 v11, v[1:2] offset:1792
	flat_load_u16 v12, v[1:2] offset:2048
	flat_load_u16 v13, v[1:2] offset:2304
	flat_load_u16 v1, v[1:2] offset:2560
	s_waitcnt vmcnt(10) lgkmcnt(0)
	ds_store_b16 v9, v3
	s_waitcnt vmcnt(9)
	ds_store_b16 v9, v4 offset:256
	s_waitcnt vmcnt(8)
	ds_store_b16 v9, v5 offset:512
	;; [unrolled: 2-line block ×10, first 2 shown]
	s_waitcnt lgkmcnt(0)
	s_barrier
.LBB891_2:
	v_cmp_gt_u32_e64 s2, s18, v0
	s_and_not1_b32 vcc_lo, exec_lo, s20
	s_cbranch_vccnz .LBB891_26
; %bb.3:
                                        ; implicit-def: $vgpr1_vgpr2_vgpr3_vgpr4_vgpr5_vgpr6_vgpr7_vgpr8
	s_delay_alu instid0(VALU_DEP_1)
	s_and_saveexec_b32 s20, s2
	s_cbranch_execz .LBB891_5
; %bb.4:
	v_add_co_u32 v1, s2, s11, v9
	s_delay_alu instid0(VALU_DEP_1)
	v_add_co_ci_u32_e64 v2, null, s3, 0, s2
	flat_load_d16_b16 v1, v[1:2]
.LBB891_5:
	s_or_b32 exec_lo, exec_lo, s20
	v_or_b32_e32 v7, 0x80, v0
	s_mov_b32 s2, exec_lo
	s_delay_alu instid0(VALU_DEP_1)
	v_cmpx_gt_u32_e64 s18, v7
	s_cbranch_execz .LBB891_7
; %bb.6:
	v_add_co_u32 v7, s20, s11, v9
	s_delay_alu instid0(VALU_DEP_1)
	v_add_co_ci_u32_e64 v8, null, s3, 0, s20
	s_waitcnt vmcnt(0) lgkmcnt(0)
	flat_load_d16_hi_b16 v1, v[7:8] offset:256
.LBB891_7:
	s_or_b32 exec_lo, exec_lo, s2
	v_or_b32_e32 v7, 0x100, v0
	s_mov_b32 s2, exec_lo
	s_delay_alu instid0(VALU_DEP_1)
	v_cmpx_gt_u32_e64 s18, v7
	s_cbranch_execz .LBB891_9
; %bb.8:
	v_add_co_u32 v7, s20, s11, v9
	s_delay_alu instid0(VALU_DEP_1)
	v_add_co_ci_u32_e64 v8, null, s3, 0, s20
	flat_load_d16_b16 v2, v[7:8] offset:512
.LBB891_9:
	s_or_b32 exec_lo, exec_lo, s2
	v_or_b32_e32 v7, 0x180, v0
	s_mov_b32 s2, exec_lo
	s_delay_alu instid0(VALU_DEP_1)
	v_cmpx_gt_u32_e64 s18, v7
	s_cbranch_execz .LBB891_11
; %bb.10:
	v_add_co_u32 v7, s20, s11, v9
	s_delay_alu instid0(VALU_DEP_1)
	v_add_co_ci_u32_e64 v8, null, s3, 0, s20
	s_waitcnt vmcnt(0) lgkmcnt(0)
	flat_load_d16_hi_b16 v2, v[7:8] offset:768
.LBB891_11:
	s_or_b32 exec_lo, exec_lo, s2
	v_or_b32_e32 v7, 0x200, v0
	s_mov_b32 s2, exec_lo
	s_delay_alu instid0(VALU_DEP_1)
	v_cmpx_gt_u32_e64 s18, v7
	s_cbranch_execz .LBB891_13
; %bb.12:
	v_add_co_u32 v7, s20, s11, v9
	s_delay_alu instid0(VALU_DEP_1)
	v_add_co_ci_u32_e64 v8, null, s3, 0, s20
	flat_load_d16_b16 v3, v[7:8] offset:1024
.LBB891_13:
	;; [unrolled: 25-line block ×5, first 2 shown]
	s_or_b32 exec_lo, exec_lo, s2
	s_waitcnt vmcnt(0) lgkmcnt(0)
	ds_store_b16 v9, v1
	ds_store_b16_d16_hi v9, v1 offset:256
	ds_store_b16 v9, v2 offset:512
	ds_store_b16_d16_hi v9, v2 offset:768
	ds_store_b16 v9, v3 offset:1024
	;; [unrolled: 2-line block ×5, first 2 shown]
	s_waitcnt lgkmcnt(0)
	s_barrier
.LBB891_26:
	v_mul_u32_u24_e32 v1, 11, v0
	s_waitcnt lgkmcnt(0)
	buffer_gl0_inv
	s_lshl_b64 s[20:21], s[6:7], 2
	s_delay_alu instid0(SALU_CYCLE_1)
	s_add_u32 s2, s8, s20
	v_lshlrev_b32_e32 v2, 1, v1
	s_addc_u32 s8, s9, s21
	s_lshl_b64 s[4:5], s[4:5], 2
	ds_load_b128 v[12:15], v2
	ds_load_u16 v35, v2 offset:16
	ds_load_u16 v34, v2 offset:18
	ds_load_u16 v33, v2 offset:20
	s_add_u32 s2, s2, s4
	s_addc_u32 s4, s8, s5
	s_and_b32 vcc_lo, exec_lo, s10
	s_mov_b32 s5, -1
	s_waitcnt lgkmcnt(0)
	s_barrier
	buffer_gl0_inv
	s_cbranch_vccz .LBB891_28
; %bb.27:
	v_lshlrev_b32_e32 v7, 2, v0
	s_delay_alu instid0(VALU_DEP_1) | instskip(NEXT) | instid1(VALU_DEP_1)
	v_add_co_u32 v3, s5, s2, v7
	v_add_co_ci_u32_e64 v4, null, s4, 0, s5
	s_mov_b32 s5, 0
	s_delay_alu instid0(VALU_DEP_2) | instskip(NEXT) | instid1(VALU_DEP_2)
	v_add_co_u32 v5, vcc_lo, 0x1000, v3
	v_add_co_ci_u32_e32 v6, vcc_lo, 0, v4, vcc_lo
	s_clause 0xa
	flat_load_b32 v8, v[3:4]
	flat_load_b32 v10, v[3:4] offset:512
	flat_load_b32 v11, v[3:4] offset:1024
	;; [unrolled: 1-line block ×7, first 2 shown]
	flat_load_b32 v4, v[5:6]
	flat_load_b32 v20, v[5:6] offset:512
	flat_load_b32 v5, v[5:6] offset:1024
	s_waitcnt vmcnt(9) lgkmcnt(9)
	ds_store_2addr_stride64_b32 v7, v8, v10 offset1:2
	s_waitcnt vmcnt(7) lgkmcnt(8)
	ds_store_2addr_stride64_b32 v7, v11, v16 offset0:4 offset1:6
	s_waitcnt vmcnt(5) lgkmcnt(7)
	ds_store_2addr_stride64_b32 v7, v17, v18 offset0:8 offset1:10
	;; [unrolled: 2-line block ×4, first 2 shown]
	s_waitcnt vmcnt(0) lgkmcnt(5)
	ds_store_b32 v7, v5 offset:5120
	s_waitcnt lgkmcnt(0)
	s_barrier
.LBB891_28:
	s_and_not1_b32 vcc_lo, exec_lo, s5
	s_cbranch_vccnz .LBB891_52
; %bb.29:
	s_mov_b32 s5, exec_lo
                                        ; implicit-def: $vgpr3
	v_cmpx_gt_u32_e64 s18, v0
	s_cbranch_execz .LBB891_31
; %bb.30:
	v_lshlrev_b32_e32 v3, 2, v0
	s_delay_alu instid0(VALU_DEP_1) | instskip(NEXT) | instid1(VALU_DEP_1)
	v_add_co_u32 v3, s8, s2, v3
	v_add_co_ci_u32_e64 v4, null, s4, 0, s8
	flat_load_b32 v3, v[3:4]
.LBB891_31:
	s_or_b32 exec_lo, exec_lo, s5
	v_or_b32_e32 v4, 0x80, v0
	s_delay_alu instid0(VALU_DEP_1)
	v_cmp_gt_u32_e32 vcc_lo, s18, v4
                                        ; implicit-def: $vgpr4
	s_and_saveexec_b32 s5, vcc_lo
	s_cbranch_execz .LBB891_33
; %bb.32:
	v_lshlrev_b32_e32 v4, 2, v0
	s_delay_alu instid0(VALU_DEP_1) | instskip(NEXT) | instid1(VALU_DEP_1)
	v_add_co_u32 v4, s8, s2, v4
	v_add_co_ci_u32_e64 v5, null, s4, 0, s8
	flat_load_b32 v4, v[4:5] offset:512
.LBB891_33:
	s_or_b32 exec_lo, exec_lo, s5
	v_or_b32_e32 v5, 0x100, v0
	s_delay_alu instid0(VALU_DEP_1)
	v_cmp_gt_u32_e32 vcc_lo, s18, v5
                                        ; implicit-def: $vgpr5
	s_and_saveexec_b32 s5, vcc_lo
	s_cbranch_execz .LBB891_35
; %bb.34:
	v_lshlrev_b32_e32 v5, 2, v0
	s_delay_alu instid0(VALU_DEP_1) | instskip(NEXT) | instid1(VALU_DEP_1)
	v_add_co_u32 v5, s8, s2, v5
	v_add_co_ci_u32_e64 v6, null, s4, 0, s8
	flat_load_b32 v5, v[5:6] offset:1024
.LBB891_35:
	s_or_b32 exec_lo, exec_lo, s5
	v_or_b32_e32 v6, 0x180, v0
	s_delay_alu instid0(VALU_DEP_1)
	v_cmp_gt_u32_e32 vcc_lo, s18, v6
                                        ; implicit-def: $vgpr6
	s_and_saveexec_b32 s5, vcc_lo
	s_cbranch_execz .LBB891_37
; %bb.36:
	v_lshlrev_b32_e32 v6, 2, v0
	s_delay_alu instid0(VALU_DEP_1) | instskip(NEXT) | instid1(VALU_DEP_1)
	v_add_co_u32 v6, s8, s2, v6
	v_add_co_ci_u32_e64 v7, null, s4, 0, s8
	flat_load_b32 v6, v[6:7] offset:1536
.LBB891_37:
	s_or_b32 exec_lo, exec_lo, s5
	v_or_b32_e32 v7, 0x200, v0
	s_delay_alu instid0(VALU_DEP_1)
	v_cmp_gt_u32_e32 vcc_lo, s18, v7
                                        ; implicit-def: $vgpr7
	s_and_saveexec_b32 s5, vcc_lo
	s_cbranch_execz .LBB891_39
; %bb.38:
	v_lshlrev_b32_e32 v7, 2, v0
	s_delay_alu instid0(VALU_DEP_1) | instskip(NEXT) | instid1(VALU_DEP_1)
	v_add_co_u32 v7, s8, s2, v7
	v_add_co_ci_u32_e64 v8, null, s4, 0, s8
	flat_load_b32 v7, v[7:8] offset:2048
.LBB891_39:
	s_or_b32 exec_lo, exec_lo, s5
	v_or_b32_e32 v8, 0x280, v0
	s_delay_alu instid0(VALU_DEP_1)
	v_cmp_gt_u32_e32 vcc_lo, s18, v8
                                        ; implicit-def: $vgpr8
	s_and_saveexec_b32 s5, vcc_lo
	s_cbranch_execz .LBB891_41
; %bb.40:
	v_lshlrev_b32_e32 v8, 2, v0
	s_delay_alu instid0(VALU_DEP_1) | instskip(NEXT) | instid1(VALU_DEP_1)
	v_add_co_u32 v10, s8, s2, v8
	v_add_co_ci_u32_e64 v11, null, s4, 0, s8
	flat_load_b32 v8, v[10:11] offset:2560
.LBB891_41:
	s_or_b32 exec_lo, exec_lo, s5
	v_or_b32_e32 v10, 0x300, v0
	s_delay_alu instid0(VALU_DEP_1)
	v_cmp_gt_u32_e32 vcc_lo, s18, v10
                                        ; implicit-def: $vgpr10
	s_and_saveexec_b32 s5, vcc_lo
	s_cbranch_execz .LBB891_43
; %bb.42:
	v_lshlrev_b32_e32 v10, 2, v0
	s_delay_alu instid0(VALU_DEP_1) | instskip(NEXT) | instid1(VALU_DEP_1)
	v_add_co_u32 v10, s8, s2, v10
	v_add_co_ci_u32_e64 v11, null, s4, 0, s8
	flat_load_b32 v10, v[10:11] offset:3072
.LBB891_43:
	s_or_b32 exec_lo, exec_lo, s5
	v_or_b32_e32 v11, 0x380, v0
	s_delay_alu instid0(VALU_DEP_1)
	v_cmp_gt_u32_e32 vcc_lo, s18, v11
                                        ; implicit-def: $vgpr11
	s_and_saveexec_b32 s5, vcc_lo
	s_cbranch_execz .LBB891_45
; %bb.44:
	v_lshlrev_b32_e32 v11, 2, v0
	s_delay_alu instid0(VALU_DEP_1) | instskip(NEXT) | instid1(VALU_DEP_1)
	v_add_co_u32 v16, s8, s2, v11
	v_add_co_ci_u32_e64 v17, null, s4, 0, s8
	flat_load_b32 v11, v[16:17] offset:3584
.LBB891_45:
	s_or_b32 exec_lo, exec_lo, s5
	v_or_b32_e32 v17, 0x400, v0
	s_mov_b32 s5, exec_lo
                                        ; implicit-def: $vgpr16
	s_delay_alu instid0(VALU_DEP_1)
	v_cmpx_gt_u32_e64 s18, v17
	s_cbranch_execz .LBB891_47
; %bb.46:
	v_lshlrev_b32_e32 v16, 2, v17
	s_delay_alu instid0(VALU_DEP_1) | instskip(NEXT) | instid1(VALU_DEP_1)
	v_add_co_u32 v16, s8, s2, v16
	v_add_co_ci_u32_e64 v17, null, s4, 0, s8
	flat_load_b32 v16, v[16:17]
.LBB891_47:
	s_or_b32 exec_lo, exec_lo, s5
	v_or_b32_e32 v18, 0x480, v0
	s_mov_b32 s5, exec_lo
                                        ; implicit-def: $vgpr17
	s_delay_alu instid0(VALU_DEP_1)
	v_cmpx_gt_u32_e64 s18, v18
	s_cbranch_execz .LBB891_49
; %bb.48:
	v_lshlrev_b32_e32 v17, 2, v18
	s_delay_alu instid0(VALU_DEP_1) | instskip(NEXT) | instid1(VALU_DEP_1)
	v_add_co_u32 v17, s8, s2, v17
	v_add_co_ci_u32_e64 v18, null, s4, 0, s8
	flat_load_b32 v17, v[17:18]
.LBB891_49:
	s_or_b32 exec_lo, exec_lo, s5
	v_or_b32_e32 v19, 0x500, v0
	s_mov_b32 s5, exec_lo
                                        ; implicit-def: $vgpr18
	s_delay_alu instid0(VALU_DEP_1)
	v_cmpx_gt_u32_e64 s18, v19
	s_cbranch_execz .LBB891_51
; %bb.50:
	v_lshlrev_b32_e32 v18, 2, v19
	s_delay_alu instid0(VALU_DEP_1) | instskip(NEXT) | instid1(VALU_DEP_1)
	v_add_co_u32 v18, s2, s2, v18
	v_add_co_ci_u32_e64 v19, null, s4, 0, s2
	flat_load_b32 v18, v[18:19]
.LBB891_51:
	s_or_b32 exec_lo, exec_lo, s5
	v_mad_i32_i24 v2, 0xffffffee, v0, v2
	s_waitcnt vmcnt(0) lgkmcnt(0)
	ds_store_2addr_stride64_b32 v2, v3, v4 offset1:2
	ds_store_2addr_stride64_b32 v2, v5, v6 offset0:4 offset1:6
	ds_store_2addr_stride64_b32 v2, v7, v8 offset0:8 offset1:10
	;; [unrolled: 1-line block ×4, first 2 shown]
	ds_store_b32 v2, v18 offset:5120
	s_waitcnt lgkmcnt(0)
	s_barrier
.LBB891_52:
	v_lshlrev_b32_e32 v41, 2, v1
	buffer_gl0_inv
	s_cmp_lg_u32 s15, 0
	v_lshrrev_b32_e32 v40, 16, v12
	s_cselect_b32 s20, -1, 0
	ds_load_2addr_b32 v[27:28], v41 offset1:1
	ds_load_2addr_b32 v[25:26], v41 offset0:2 offset1:3
	ds_load_2addr_b32 v[23:24], v41 offset0:4 offset1:5
	;; [unrolled: 1-line block ×4, first 2 shown]
	ds_load_b32 v36, v41 offset:40
	s_cmp_lg_u64 s[6:7], 0
	v_lshrrev_b32_e32 v39, 16, v13
	s_cselect_b32 s2, -1, 0
	v_lshrrev_b32_e32 v38, 16, v14
	v_lshrrev_b32_e32 v37, 16, v15
	v_add_nc_u32_e32 v5, 1, v1
	v_add_nc_u32_e32 v6, 2, v1
	;; [unrolled: 1-line block ×10, first 2 shown]
	s_or_b32 s2, s20, s2
	s_mov_b32 s21, 0
	s_and_b32 vcc_lo, exec_lo, s2
	s_waitcnt lgkmcnt(0)
	s_barrier
	buffer_gl0_inv
	s_cbranch_vccz .LBB891_57
; %bb.53:
	v_add_co_u32 v16, s2, -2, s11
	s_delay_alu instid0(VALU_DEP_1)
	v_add_co_ci_u32_e64 v17, null, -1, s3, s2
	s_mov_b32 s3, -1
	s_and_b32 vcc_lo, exec_lo, s10
	flat_load_u16 v16, v[16:17]
	ds_store_b16 v9, v33
	s_cbranch_vccz .LBB891_59
; %bb.54:
	s_waitcnt vmcnt(0) lgkmcnt(1)
	v_mov_b32_e32 v17, v16
	s_mov_b32 s3, 0
	s_mov_b32 s2, exec_lo
	s_waitcnt lgkmcnt(0)
	s_barrier
	buffer_gl0_inv
	v_cmpx_ne_u32_e32 0, v0
	s_cbranch_execz .LBB891_56
; %bb.55:
	v_add_nc_u32_e32 v17, -2, v9
	ds_load_u16 v17, v17
.LBB891_56:
	s_or_b32 exec_lo, exec_lo, s2
	v_cmp_ne_u16_e32 vcc_lo, v15, v37
	s_waitcnt lgkmcnt(0)
	v_cmp_ne_u16_e64 s2, v17, v12
	v_cndmask_b32_e64 v18, 0, 1, vcc_lo
	v_cmp_ne_u16_e32 vcc_lo, v38, v15
	s_delay_alu instid0(VALU_DEP_2) | instskip(SKIP_2) | instid1(VALU_DEP_2)
	v_lshlrev_b16 v18, 8, v18
	v_cndmask_b32_e64 v29, 0, 1, vcc_lo
	v_cmp_ne_u16_e32 vcc_lo, v14, v38
	v_or_b32_e32 v18, v29, v18
	v_cndmask_b32_e64 v30, 0, 1, vcc_lo
	v_cmp_ne_u16_e32 vcc_lo, v39, v14
	s_delay_alu instid0(VALU_DEP_3) | instskip(NEXT) | instid1(VALU_DEP_3)
	v_lshlrev_b32_e32 v18, 16, v18
	v_lshlrev_b16 v30, 8, v30
	v_cndmask_b32_e64 v32, 0, 1, vcc_lo
	v_cmp_ne_u16_e32 vcc_lo, v13, v39
	s_delay_alu instid0(VALU_DEP_2) | instskip(SKIP_2) | instid1(VALU_DEP_3)
	v_or_b32_e32 v30, v32, v30
	v_cndmask_b32_e64 v42, 0, 1, vcc_lo
	v_cmp_ne_u16_e32 vcc_lo, v40, v13
	v_and_b32_e32 v30, 0xffff, v30
	s_delay_alu instid0(VALU_DEP_3) | instskip(SKIP_2) | instid1(VALU_DEP_4)
	v_lshlrev_b16 v42, 8, v42
	v_cndmask_b32_e64 v44, 0, 1, vcc_lo
	v_cmp_ne_u16_e32 vcc_lo, v12, v40
	v_or_b32_e32 v30, v30, v18
	s_delay_alu instid0(VALU_DEP_3) | instskip(SKIP_2) | instid1(VALU_DEP_3)
	v_or_b32_e32 v42, v44, v42
	v_cndmask_b32_e64 v45, 0, 1, vcc_lo
	v_cmp_ne_u16_e32 vcc_lo, v34, v33
	v_lshlrev_b32_e32 v29, 16, v42
	s_delay_alu instid0(VALU_DEP_3) | instskip(SKIP_2) | instid1(VALU_DEP_3)
	v_lshlrev_b16 v44, 8, v45
	v_cndmask_b32_e64 v43, 0, 1, vcc_lo
	v_cmp_ne_u16_e32 vcc_lo, v35, v34
	v_and_b32_e32 v44, 0xffff, v44
	v_cndmask_b32_e64 v32, 0, 1, vcc_lo
	v_cmp_ne_u16_e32 vcc_lo, v37, v35
	s_delay_alu instid0(VALU_DEP_3)
	v_or_b32_e32 v29, v44, v29
	v_cndmask_b32_e64 v42, 0, 1, vcc_lo
	s_and_b32 vcc_lo, exec_lo, s3
	s_cbranch_vccnz .LBB891_60
	s_branch .LBB891_63
.LBB891_57:
                                        ; implicit-def: $sgpr2
                                        ; implicit-def: $vgpr43
                                        ; implicit-def: $vgpr32
                                        ; implicit-def: $vgpr42
                                        ; implicit-def: $vgpr30
	s_branch .LBB891_64
.LBB891_58:
                                        ; implicit-def: $vgpr16_vgpr17_vgpr18
	s_and_saveexec_b32 s3, s21
	s_cbranch_execnz .LBB891_72
	s_branch .LBB891_73
.LBB891_59:
                                        ; implicit-def: $sgpr2
                                        ; implicit-def: $vgpr43
                                        ; implicit-def: $vgpr32
                                        ; implicit-def: $vgpr42
                                        ; implicit-def: $vgpr30
	s_and_b32 vcc_lo, exec_lo, s3
	s_cbranch_vccz .LBB891_63
.LBB891_60:
	s_mov_b32 s2, exec_lo
	s_waitcnt vmcnt(0) lgkmcnt(0)
	s_barrier
	buffer_gl0_inv
	v_cmpx_ne_u32_e32 0, v0
	s_cbranch_execz .LBB891_62
; %bb.61:
	v_add_nc_u32_e32 v9, -2, v9
	ds_load_u16 v16, v9
.LBB891_62:
	s_or_b32 exec_lo, exec_lo, s2
	v_cmp_gt_u32_e32 vcc_lo, s18, v10
	v_cmp_ne_u16_e64 s2, v34, v33
	v_cmp_gt_u32_e64 s3, s18, v11
	v_cmp_ne_u16_e64 s4, v35, v34
	v_cmp_gt_u32_e64 s5, s18, v5
	v_cmp_ne_u16_e64 s6, v12, v40
	s_and_b32 s2, vcc_lo, s2
	v_cmp_gt_u32_e32 vcc_lo, s18, v2
	v_cndmask_b32_e64 v43, 0, 1, s2
	v_cmp_ne_u16_e64 s2, v15, v37
	s_and_b32 s3, s3, s4
	v_cmp_ne_u16_e64 s4, v38, v15
	v_cndmask_b32_e64 v32, 0, 1, s3
	v_cmp_gt_u32_e64 s3, s18, v4
	s_and_b32 s2, vcc_lo, s2
	v_cmp_gt_u32_e32 vcc_lo, s18, v7
	v_cndmask_b32_e64 v9, 0, 1, s2
	v_cmp_ne_u16_e64 s2, v14, v38
	s_and_b32 s3, s3, s4
	v_cmp_ne_u16_e64 s4, v13, v39
	v_cndmask_b32_e64 v17, 0, 1, s3
	v_cmp_gt_u32_e64 s3, s18, v3
	;; [unrolled: 8-line block ×3, first 2 shown]
	s_and_b32 s2, vcc_lo, s2
	v_lshlrev_b16 v18, 8, v18
	v_cndmask_b32_e64 v30, 0, 1, s2
	v_lshlrev_b16 v29, 8, v29
	s_and_b32 s2, s3, s4
	v_lshlrev_b16 v9, 8, v9
	v_cndmask_b32_e64 v42, 0, 1, s2
	s_and_b32 s2, s5, s6
	v_or_b32_e32 v18, v30, v18
	v_cndmask_b32_e64 v44, 0, 1, s2
	v_or_b32_e32 v9, v17, v9
	v_or_b32_e32 v29, v42, v29
	v_cmp_gt_u32_e32 vcc_lo, s18, v31
	v_cmp_ne_u16_e64 s2, v37, v35
	v_lshlrev_b16 v42, 8, v44
	v_and_b32_e32 v18, 0xffff, v18
	v_lshlrev_b32_e32 v17, 16, v29
	v_lshlrev_b32_e32 v9, 16, v9
	s_and_b32 s2, vcc_lo, s2
	v_and_b32_e32 v29, 0xffff, v42
	v_cndmask_b32_e64 v42, 0, 1, s2
	v_cmp_gt_u32_e32 vcc_lo, s18, v1
	s_waitcnt lgkmcnt(0)
	v_cmp_ne_u16_e64 s2, v16, v12
	v_or_b32_e32 v30, v18, v9
	v_or_b32_e32 v29, v29, v17
	s_delay_alu instid0(VALU_DEP_3)
	s_and_b32 s2, vcc_lo, s2
.LBB891_63:
	s_mov_b32 s21, -1
	s_cbranch_execnz .LBB891_58
.LBB891_64:
	v_mad_i32_i24 v9, 0xffffffd6, v0, v41
	s_and_b32 vcc_lo, exec_lo, s10
	v_cmp_ne_u16_e64 s2, v34, v33
	v_cmp_ne_u16_e64 s9, v35, v34
	;; [unrolled: 1-line block ×10, first 2 shown]
	ds_store_b16 v9, v33
	s_cbranch_vccz .LBB891_68
; %bb.65:
	s_waitcnt vmcnt(0) lgkmcnt(2)
	v_cndmask_b32_e64 v16, 0, 1, s11
	v_cndmask_b32_e64 v32, 0, 1, s9
	;; [unrolled: 1-line block ×5, first 2 shown]
	v_lshlrev_b16 v16, 8, v16
	v_cndmask_b32_e64 v44, 0, 1, s4
	v_cndmask_b32_e64 v42, 0, 1, s10
	;; [unrolled: 1-line block ×4, first 2 shown]
	v_lshlrev_b16 v17, 8, v17
	v_lshlrev_b16 v45, 8, v32
	v_or_b32_e32 v16, v29, v16
	v_lshlrev_b16 v29, 8, v30
	v_lshlrev_b16 v30, 8, v44
	v_or_b32_e32 v17, v18, v17
	v_or_b32_e32 v18, v42, v45
	v_and_b32_e32 v16, 0xffff, v16
	v_or_b32_e32 v29, v43, v29
	v_or_b32_e32 v30, 1, v30
	v_lshlrev_b32_e32 v17, 16, v17
	v_and_b32_e32 v18, 0xffff, v18
	v_cndmask_b32_e64 v43, 0, 1, s2
	v_lshlrev_b32_e32 v29, 16, v29
	v_and_b32_e32 v44, 0xffff, v30
	v_or_b32_e32 v30, v16, v17
	s_mov_b32 s3, 0
	v_lshl_or_b32 v18, v43, 16, v18
	s_mov_b32 s4, exec_lo
	v_or_b32_e32 v29, v44, v29
	s_waitcnt lgkmcnt(0)
	s_barrier
	buffer_gl0_inv
                                        ; implicit-def: $sgpr2
	v_cmpx_ne_u32_e32 0, v0
	s_xor_b32 s4, exec_lo, s4
	s_cbranch_execz .LBB891_67
; %bb.66:
	v_add_nc_u32_e32 v16, -2, v9
	s_or_b32 s21, s21, exec_lo
	ds_load_u16 v16, v16
	s_waitcnt lgkmcnt(0)
	v_cmp_ne_u16_e32 vcc_lo, v16, v12
                                        ; implicit-def: $vgpr16_vgpr17_vgpr18
	s_and_b32 s2, vcc_lo, exec_lo
.LBB891_67:
	s_or_b32 exec_lo, exec_lo, s4
	s_delay_alu instid0(SALU_CYCLE_1)
	s_and_b32 vcc_lo, exec_lo, s3
	s_cbranch_vccnz .LBB891_69
	s_branch .LBB891_71
.LBB891_68:
                                        ; implicit-def: $sgpr2
                                        ; implicit-def: $vgpr43
                                        ; implicit-def: $vgpr32
                                        ; implicit-def: $vgpr42
                                        ; implicit-def: $vgpr30
                                        ; implicit-def: $vgpr16_vgpr17_vgpr18
	s_cbranch_execz .LBB891_71
.LBB891_69:
	v_cmp_gt_u32_e32 vcc_lo, s18, v11
	v_cmp_ne_u16_e64 s2, v35, v34
	v_cmp_gt_u32_e64 s5, s18, v31
	v_cmp_ne_u16_e64 s6, v37, v35
	v_cmp_gt_u32_e64 s3, s18, v10
	v_cmp_ne_u16_e64 s4, v34, v33
	s_and_b32 s2, vcc_lo, s2
	v_cmp_gt_u32_e32 vcc_lo, s18, v2
	v_cndmask_b32_e64 v32, 0, 1, s2
	v_cmp_ne_u16_e64 s2, v15, v37
	s_and_b32 s5, s5, s6
	v_cmp_ne_u16_e64 s6, v38, v15
	v_cndmask_b32_e64 v42, 0, 1, s5
	v_cmp_gt_u32_e64 s5, s18, v4
	s_and_b32 s2, vcc_lo, s2
	v_cmp_gt_u32_e32 vcc_lo, s18, v7
	s_waitcnt vmcnt(0) lgkmcnt(2)
	v_cndmask_b32_e64 v16, 0, 1, s2
	v_cmp_ne_u16_e64 s2, v14, v38
	s_and_b32 s5, s5, s6
	v_cmp_ne_u16_e64 s6, v39, v14
	v_cndmask_b32_e64 v17, 0, 1, s5
	v_cmp_gt_u32_e64 s5, s18, v8
	s_and_b32 s2, vcc_lo, s2
	v_cmp_gt_u32_e32 vcc_lo, s18, v3
	v_cndmask_b32_e64 v18, 0, 1, s2
	v_cmp_ne_u16_e64 s2, v13, v39
	s_and_b32 s5, s5, s6
	v_cmp_ne_u16_e64 s6, v40, v13
	v_cndmask_b32_e64 v29, 0, 1, s5
	v_cmp_gt_u32_e64 s5, s18, v6
	s_and_b32 s2, vcc_lo, s2
	v_cmp_gt_u32_e32 vcc_lo, s18, v5
	v_cndmask_b32_e64 v30, 0, 1, s2
	v_cmp_ne_u16_e64 s2, v12, v40
	v_lshlrev_b16 v18, 8, v18
	v_lshlrev_b16 v16, 8, v16
	s_and_b32 s5, s5, s6
	v_lshlrev_b16 v45, 8, v32
	s_and_b32 s2, vcc_lo, s2
	v_cndmask_b32_e64 v43, 0, 1, s5
	v_cndmask_b32_e64 v44, 0, 1, s2
	v_or_b32_e32 v18, v29, v18
	v_or_b32_e32 v16, v17, v16
	v_lshlrev_b16 v17, 8, v30
	v_or_b32_e32 v30, v42, v45
	v_lshlrev_b16 v29, 8, v44
	s_and_b32 s2, s3, s4
	v_and_b32_e32 v18, 0xffff, v18
	v_or_b32_e32 v17, v43, v17
	v_lshlrev_b32_e32 v16, 16, v16
	v_or_b32_e32 v29, 1, v29
	v_and_b32_e32 v44, 0xffff, v30
	v_cndmask_b32_e64 v43, 0, 1, s2
	v_lshlrev_b32_e32 v17, 16, v17
	v_or_b32_e32 v30, v18, v16
	v_and_b32_e32 v29, 0xffff, v29
	s_mov_b32 s3, exec_lo
	v_lshl_or_b32 v18, v43, 16, v44
	s_waitcnt lgkmcnt(0)
	s_barrier
	v_or_b32_e32 v29, v29, v17
	buffer_gl0_inv
                                        ; implicit-def: $sgpr2
	v_cmpx_ne_u32_e32 0, v0
	s_cbranch_execz .LBB891_162
; %bb.70:
	v_add_nc_u32_e32 v9, -2, v9
	v_cmp_gt_u32_e32 vcc_lo, s18, v1
	s_or_b32 s21, s21, exec_lo
                                        ; implicit-def: $vgpr16_vgpr17_vgpr18
	ds_load_u16 v9, v9
	s_waitcnt lgkmcnt(0)
	v_cmp_ne_u16_e64 s2, v9, v12
	s_delay_alu instid0(VALU_DEP_1) | instskip(NEXT) | instid1(SALU_CYCLE_1)
	s_and_b32 s2, vcc_lo, s2
	s_and_b32 s2, s2, exec_lo
	s_or_b32 exec_lo, exec_lo, s3
.LBB891_71:
	s_and_saveexec_b32 s3, s21
	s_cbranch_execz .LBB891_73
.LBB891_72:
	s_waitcnt vmcnt(0) lgkmcnt(1)
	v_lshrrev_b32_e32 v16, 24, v29
	v_lshrrev_b32_e32 v17, 16, v29
	v_lshrrev_b32_e32 v18, 8, v29
	v_cndmask_b32_e64 v9, 0, 1, s2
	v_lshlrev_b16 v29, 8, v32
	v_and_b32_e32 v32, 0xff, v42
	v_lshlrev_b16 v16, 8, v16
	v_and_b32_e32 v17, 0xff, v17
	;; [unrolled: 2-line block ×3, first 2 shown]
	v_or_b32_e32 v29, v32, v29
	s_delay_alu instid0(VALU_DEP_4) | instskip(NEXT) | instid1(VALU_DEP_4)
	v_or_b32_e32 v16, v17, v16
	v_or_b32_e32 v9, v9, v18
	s_delay_alu instid0(VALU_DEP_4) | instskip(NEXT) | instid1(VALU_DEP_4)
	v_lshlrev_b32_e32 v17, 16, v42
	v_and_b32_e32 v18, 0xffff, v29
	s_delay_alu instid0(VALU_DEP_4) | instskip(NEXT) | instid1(VALU_DEP_4)
	v_lshlrev_b32_e32 v16, 16, v16
	v_and_b32_e32 v9, 0xffff, v9
	s_delay_alu instid0(VALU_DEP_3) | instskip(NEXT) | instid1(VALU_DEP_2)
	v_or_b32_e32 v18, v18, v17
	v_or_b32_e32 v29, v9, v16
.LBB891_73:
	s_or_b32 exec_lo, exec_lo, s3
	s_load_b64 s[8:9], s[0:1], 0x70
	s_and_not1_b32 vcc_lo, exec_lo, s19
	s_cbranch_vccnz .LBB891_75
; %bb.74:
	v_cmp_gt_u32_e32 vcc_lo, s18, v1
	v_cmp_gt_u32_e64 s0, s18, v5
	v_and_b32_e32 v5, 0xffffff00, v30
	v_cmp_gt_u32_e64 s2, s18, v6
	v_cmp_gt_u32_e64 s4, s18, v3
	v_cndmask_b32_e32 v1, 0, v29, vcc_lo
	v_and_b32_e32 v9, 0xff000000, v18
	v_cmp_gt_u32_e32 vcc_lo, s18, v31
	v_cmp_gt_u32_e64 s1, s18, v11
	v_cmp_gt_u32_e64 s3, s18, v10
	v_and_b32_e32 v1, 0xff, v1
	s_delay_alu instid0(VALU_DEP_1) | instskip(SKIP_1) | instid1(VALU_DEP_2)
	v_cndmask_b32_e64 v1, v1, v29, s0
	v_cmp_gt_u32_e64 s0, s18, v8
	v_and_b32_e32 v1, 0xffff, v1
	s_delay_alu instid0(VALU_DEP_2) | instskip(NEXT) | instid1(VALU_DEP_2)
	v_cndmask_b32_e64 v5, v5, v30, s0
	v_cndmask_b32_e64 v1, v1, v29, s2
	s_delay_alu instid0(VALU_DEP_2) | instskip(SKIP_1) | instid1(VALU_DEP_3)
	v_and_b32_e32 v5, 0xffff00ff, v5
	v_cmp_gt_u32_e64 s2, s18, v7
	v_and_b32_e32 v1, 0xffffff, v1
	s_delay_alu instid0(VALU_DEP_2) | instskip(NEXT) | instid1(VALU_DEP_2)
	v_cndmask_b32_e64 v5, v5, v30, s2
	v_cndmask_b32_e64 v1, v1, v29, s4
	s_delay_alu instid0(VALU_DEP_2) | instskip(NEXT) | instid1(VALU_DEP_2)
	v_and_b32_e32 v3, 0xff00ffff, v5
	v_cndmask_b32_e64 v1, v1, v29, s0
	v_cmp_gt_u32_e64 s0, s18, v4
	s_delay_alu instid0(VALU_DEP_2) | instskip(NEXT) | instid1(VALU_DEP_2)
	v_cndmask_b32_e64 v1, v1, v29, s2
	v_cndmask_b32_e64 v3, v3, v30, s0
	v_cndmask_b32_e32 v9, v9, v18, vcc_lo
	v_cmp_gt_u32_e64 s2, s18, v2
	s_delay_alu instid0(VALU_DEP_4) | instskip(NEXT) | instid1(VALU_DEP_4)
	v_cndmask_b32_e64 v1, v1, v29, s0
	v_and_b32_e32 v2, 0xffffff, v3
	s_delay_alu instid0(VALU_DEP_4) | instskip(NEXT) | instid1(VALU_DEP_1)
	v_and_b32_e32 v9, 0xff0000ff, v9
	v_cndmask_b32_e64 v8, v9, v18, s1
	s_or_b32 s1, s3, s1
	s_delay_alu instid0(SALU_CYCLE_1) | instskip(NEXT) | instid1(VALU_DEP_1)
	s_or_b32 s0, s1, vcc_lo
	v_and_b32_e32 v6, 0xff00ffff, v8
	s_or_b32 vcc_lo, s0, s2
	v_dual_cndmask_b32 v30, v2, v30 :: v_dual_cndmask_b32 v1, v1, v29
	s_delay_alu instid0(VALU_DEP_2) | instskip(NEXT) | instid1(VALU_DEP_2)
	v_cndmask_b32_e64 v6, v6, v18, s3
	v_perm_b32 v29, v1, v1, 0x3020104
	s_delay_alu instid0(VALU_DEP_2) | instskip(SKIP_1) | instid1(VALU_DEP_2)
	v_lshrrev_b32_e32 v5, 8, v6
	v_and_b32_e32 v4, 0xff, v6
	v_lshlrev_b16 v5, 8, v5
	s_delay_alu instid0(VALU_DEP_1) | instskip(NEXT) | instid1(VALU_DEP_1)
	v_or_b32_e32 v3, v4, v5
	v_and_b32_e32 v2, 0xffff, v3
	s_delay_alu instid0(VALU_DEP_1)
	v_and_or_b32 v18, 0xff0000, v6, v2
.LBB891_75:
	v_and_b32_e32 v43, 0xff, v29
	v_bfe_u32 v44, v29, 8, 8
	v_alignbit_b32 v1, v30, v29, 24
	v_bfe_u32 v45, v29, 16, 8
	v_and_b32_e32 v46, 0xff, v30
	v_bfe_u32 v48, v30, 8, 8
	v_bfe_u32 v49, v30, 16, 8
	v_and_b32_e32 v47, 0xff, v1
	v_add3_u32 v1, v44, v43, v45
	v_lshrrev_b32_e32 v42, 24, v30
	v_mbcnt_lo_u32_b32 v52, -1, 0
	v_and_b32_e32 v50, 0xff, v18
	v_bfe_u32 v51, v18, 8, 8
	v_add3_u32 v1, v1, v47, v46
	v_bfe_u32 v3, v18, 16, 8
	v_and_b32_e32 v2, 15, v52
	v_or_b32_e32 v4, 31, v0
	v_and_b32_e32 v5, 16, v52
	v_add3_u32 v1, v1, v48, v49
	v_lshrrev_b32_e32 v53, 5, v0
	v_cmp_eq_u32_e64 s5, 0, v2
	v_cmp_lt_u32_e64 s4, 1, v2
	v_cmp_lt_u32_e64 s3, 3, v2
	v_add3_u32 v1, v1, v42, v50
	v_cmp_lt_u32_e64 s2, 7, v2
	v_cmp_eq_u32_e64 s1, 0, v5
	v_cmp_eq_u32_e64 s0, v4, v0
	s_and_b32 vcc_lo, exec_lo, s20
	v_add3_u32 v54, v1, v51, v3
	s_mov_b32 s6, -1
	s_waitcnt vmcnt(0) lgkmcnt(0)
	s_barrier
	buffer_gl0_inv
	s_cbranch_vccz .LBB891_101
; %bb.76:
	v_mov_b32_dpp v1, v54 row_shr:1 row_mask:0xf bank_mask:0xf
	s_delay_alu instid0(VALU_DEP_1) | instskip(NEXT) | instid1(VALU_DEP_1)
	v_cndmask_b32_e64 v1, v1, 0, s5
	v_add_nc_u32_e32 v1, v1, v54
	s_delay_alu instid0(VALU_DEP_1) | instskip(NEXT) | instid1(VALU_DEP_1)
	v_mov_b32_dpp v2, v1 row_shr:2 row_mask:0xf bank_mask:0xf
	v_cndmask_b32_e64 v2, 0, v2, s4
	s_delay_alu instid0(VALU_DEP_1) | instskip(NEXT) | instid1(VALU_DEP_1)
	v_add_nc_u32_e32 v1, v1, v2
	v_mov_b32_dpp v2, v1 row_shr:4 row_mask:0xf bank_mask:0xf
	s_delay_alu instid0(VALU_DEP_1) | instskip(NEXT) | instid1(VALU_DEP_1)
	v_cndmask_b32_e64 v2, 0, v2, s3
	v_add_nc_u32_e32 v1, v1, v2
	s_delay_alu instid0(VALU_DEP_1) | instskip(NEXT) | instid1(VALU_DEP_1)
	v_mov_b32_dpp v2, v1 row_shr:8 row_mask:0xf bank_mask:0xf
	v_cndmask_b32_e64 v2, 0, v2, s2
	s_delay_alu instid0(VALU_DEP_1) | instskip(SKIP_3) | instid1(VALU_DEP_1)
	v_add_nc_u32_e32 v1, v1, v2
	ds_swizzle_b32 v2, v1 offset:swizzle(BROADCAST,32,15)
	s_waitcnt lgkmcnt(0)
	v_cndmask_b32_e64 v2, v2, 0, s1
	v_add_nc_u32_e32 v1, v1, v2
	s_and_saveexec_b32 s6, s0
	s_cbranch_execz .LBB891_78
; %bb.77:
	v_lshlrev_b32_e32 v2, 2, v53
	ds_store_b32 v2, v1
.LBB891_78:
	s_or_b32 exec_lo, exec_lo, s6
	s_delay_alu instid0(SALU_CYCLE_1)
	s_mov_b32 s6, exec_lo
	s_waitcnt lgkmcnt(0)
	s_barrier
	buffer_gl0_inv
	v_cmpx_gt_u32_e32 4, v0
	s_cbranch_execz .LBB891_80
; %bb.79:
	v_and_b32_e32 v4, 3, v52
	s_delay_alu instid0(VALU_DEP_1) | instskip(SKIP_4) | instid1(VALU_DEP_1)
	v_cmp_ne_u32_e32 vcc_lo, 0, v4
	v_lshlrev_b32_e32 v2, 2, v0
	ds_load_b32 v3, v2
	s_waitcnt lgkmcnt(0)
	v_mov_b32_dpp v5, v3 row_shr:1 row_mask:0xf bank_mask:0xf
	v_cndmask_b32_e32 v5, 0, v5, vcc_lo
	v_cmp_lt_u32_e32 vcc_lo, 1, v4
	s_delay_alu instid0(VALU_DEP_2) | instskip(NEXT) | instid1(VALU_DEP_1)
	v_add_nc_u32_e32 v3, v5, v3
	v_mov_b32_dpp v5, v3 row_shr:2 row_mask:0xf bank_mask:0xf
	s_delay_alu instid0(VALU_DEP_1) | instskip(NEXT) | instid1(VALU_DEP_1)
	v_cndmask_b32_e32 v4, 0, v5, vcc_lo
	v_add_nc_u32_e32 v3, v3, v4
	ds_store_b32 v2, v3
.LBB891_80:
	s_or_b32 exec_lo, exec_lo, s6
	v_cmp_gt_u32_e32 vcc_lo, 32, v0
	s_mov_b32 s7, exec_lo
	s_waitcnt lgkmcnt(0)
	s_barrier
	buffer_gl0_inv
                                        ; implicit-def: $vgpr9
	v_cmpx_lt_u32_e32 31, v0
	s_cbranch_execz .LBB891_82
; %bb.81:
	v_lshl_add_u32 v2, v53, 2, -4
	ds_load_b32 v9, v2
	s_waitcnt lgkmcnt(0)
	v_add_nc_u32_e32 v1, v9, v1
.LBB891_82:
	s_or_b32 exec_lo, exec_lo, s7
	v_add_nc_u32_e32 v2, -1, v52
	s_delay_alu instid0(VALU_DEP_1) | instskip(NEXT) | instid1(VALU_DEP_1)
	v_cmp_gt_i32_e64 s6, 0, v2
	v_cndmask_b32_e64 v2, v2, v52, s6
	v_cmp_eq_u32_e64 s6, 0, v52
	s_delay_alu instid0(VALU_DEP_2)
	v_lshlrev_b32_e32 v2, 2, v2
	ds_bpermute_b32 v10, v2, v1
	s_and_saveexec_b32 s7, vcc_lo
	s_cbranch_execz .LBB891_100
; %bb.83:
	v_mov_b32_e32 v5, 0
	ds_load_b32 v1, v5 offset:12
	s_and_saveexec_b32 s10, s6
	s_cbranch_execz .LBB891_85
; %bb.84:
	s_add_i32 s18, s15, 32
	s_mov_b32 s19, 0
	v_mov_b32_e32 v2, 1
	s_lshl_b64 s[18:19], s[18:19], 3
	s_delay_alu instid0(SALU_CYCLE_1)
	s_add_u32 s18, s8, s18
	s_addc_u32 s19, s9, s19
	s_waitcnt lgkmcnt(0)
	global_store_b64 v5, v[1:2], s[18:19]
.LBB891_85:
	s_or_b32 exec_lo, exec_lo, s10
	v_xad_u32 v3, v52, -1, s15
	s_mov_b32 s11, 0
	s_mov_b32 s10, exec_lo
	s_delay_alu instid0(VALU_DEP_1) | instskip(NEXT) | instid1(VALU_DEP_1)
	v_add_nc_u32_e32 v4, 32, v3
	v_lshlrev_b64 v[4:5], 3, v[4:5]
	s_delay_alu instid0(VALU_DEP_1) | instskip(NEXT) | instid1(VALU_DEP_2)
	v_add_co_u32 v7, vcc_lo, s8, v4
	v_add_co_ci_u32_e32 v8, vcc_lo, s9, v5, vcc_lo
	global_load_b64 v[5:6], v[7:8], off glc
	s_waitcnt vmcnt(0)
	v_and_b32_e32 v2, 0xff, v6
	s_delay_alu instid0(VALU_DEP_1)
	v_cmpx_eq_u16_e32 0, v2
	s_cbranch_execz .LBB891_88
.LBB891_86:                             ; =>This Inner Loop Header: Depth=1
	global_load_b64 v[5:6], v[7:8], off glc
	s_waitcnt vmcnt(0)
	v_and_b32_e32 v2, 0xff, v6
	s_delay_alu instid0(VALU_DEP_1) | instskip(SKIP_1) | instid1(SALU_CYCLE_1)
	v_cmp_ne_u16_e32 vcc_lo, 0, v2
	s_or_b32 s11, vcc_lo, s11
	s_and_not1_b32 exec_lo, exec_lo, s11
	s_cbranch_execnz .LBB891_86
; %bb.87:
	s_or_b32 exec_lo, exec_lo, s11
.LBB891_88:
	s_delay_alu instid0(SALU_CYCLE_1)
	s_or_b32 exec_lo, exec_lo, s10
	v_cmp_ne_u32_e32 vcc_lo, 31, v52
	v_lshlrev_b32_e64 v16, v52, -1
	v_add_nc_u32_e32 v31, 2, v52
	v_add_nc_u32_e32 v55, 4, v52
	;; [unrolled: 1-line block ×3, first 2 shown]
	v_add_co_ci_u32_e32 v2, vcc_lo, 0, v52, vcc_lo
	v_add_nc_u32_e32 v59, 16, v52
	s_delay_alu instid0(VALU_DEP_2)
	v_lshlrev_b32_e32 v11, 2, v2
	v_and_b32_e32 v2, 0xff, v6
	ds_bpermute_b32 v4, v11, v5
	v_cmp_eq_u16_e32 vcc_lo, 2, v2
	v_and_or_b32 v2, vcc_lo, v16, 0x80000000
	v_cmp_gt_u32_e32 vcc_lo, 30, v52
	s_delay_alu instid0(VALU_DEP_2) | instskip(SKIP_1) | instid1(VALU_DEP_2)
	v_ctz_i32_b32_e32 v2, v2
	v_cndmask_b32_e64 v7, 0, 1, vcc_lo
	v_cmp_lt_u32_e32 vcc_lo, v52, v2
	s_waitcnt lgkmcnt(0)
	s_delay_alu instid0(VALU_DEP_2) | instskip(NEXT) | instid1(VALU_DEP_1)
	v_dual_cndmask_b32 v4, 0, v4 :: v_dual_lshlrev_b32 v7, 1, v7
	v_add_lshl_u32 v17, v7, v52, 2
	v_cmp_gt_u32_e32 vcc_lo, 28, v52
	s_delay_alu instid0(VALU_DEP_3) | instskip(SKIP_4) | instid1(VALU_DEP_1)
	v_add_nc_u32_e32 v4, v4, v5
	v_cndmask_b32_e64 v7, 0, 1, vcc_lo
	v_cmp_le_u32_e32 vcc_lo, v31, v2
	ds_bpermute_b32 v5, v17, v4
	v_lshlrev_b32_e32 v7, 2, v7
	v_add_lshl_u32 v32, v7, v52, 2
	s_waitcnt lgkmcnt(0)
	v_cndmask_b32_e32 v5, 0, v5, vcc_lo
	v_cmp_gt_u32_e32 vcc_lo, 24, v52
	s_delay_alu instid0(VALU_DEP_2) | instskip(SKIP_4) | instid1(VALU_DEP_1)
	v_add_nc_u32_e32 v4, v4, v5
	v_cndmask_b32_e64 v7, 0, 1, vcc_lo
	v_cmp_le_u32_e32 vcc_lo, v55, v2
	ds_bpermute_b32 v5, v32, v4
	v_lshlrev_b32_e32 v7, 3, v7
	v_add_lshl_u32 v56, v7, v52, 2
	s_waitcnt lgkmcnt(0)
	v_cndmask_b32_e32 v5, 0, v5, vcc_lo
	v_cmp_gt_u32_e32 vcc_lo, 16, v52
	s_delay_alu instid0(VALU_DEP_2) | instskip(SKIP_4) | instid1(VALU_DEP_1)
	v_add_nc_u32_e32 v4, v4, v5
	v_cndmask_b32_e64 v7, 0, 1, vcc_lo
	v_cmp_le_u32_e32 vcc_lo, v57, v2
	ds_bpermute_b32 v5, v56, v4
	v_lshlrev_b32_e32 v7, 4, v7
	v_add_lshl_u32 v58, v7, v52, 2
	s_waitcnt lgkmcnt(0)
	v_cndmask_b32_e32 v5, 0, v5, vcc_lo
	v_cmp_le_u32_e32 vcc_lo, v59, v2
	s_delay_alu instid0(VALU_DEP_2) | instskip(SKIP_3) | instid1(VALU_DEP_1)
	v_add_nc_u32_e32 v4, v4, v5
	ds_bpermute_b32 v5, v58, v4
	s_waitcnt lgkmcnt(0)
	v_cndmask_b32_e32 v2, 0, v5, vcc_lo
	v_dual_mov_b32 v4, 0 :: v_dual_add_nc_u32 v5, v4, v2
	s_branch .LBB891_90
.LBB891_89:                             ;   in Loop: Header=BB891_90 Depth=1
	s_or_b32 exec_lo, exec_lo, s10
	ds_bpermute_b32 v8, v11, v5
	v_and_b32_e32 v7, 0xff, v6
	v_subrev_nc_u32_e32 v3, 32, v3
	s_delay_alu instid0(VALU_DEP_2) | instskip(SKIP_1) | instid1(VALU_DEP_1)
	v_cmp_eq_u16_e32 vcc_lo, 2, v7
	v_and_or_b32 v7, vcc_lo, v16, 0x80000000
	v_ctz_i32_b32_e32 v7, v7
	s_delay_alu instid0(VALU_DEP_1) | instskip(SKIP_3) | instid1(VALU_DEP_2)
	v_cmp_lt_u32_e32 vcc_lo, v52, v7
	s_waitcnt lgkmcnt(0)
	v_cndmask_b32_e32 v8, 0, v8, vcc_lo
	v_cmp_le_u32_e32 vcc_lo, v31, v7
	v_add_nc_u32_e32 v5, v8, v5
	ds_bpermute_b32 v8, v17, v5
	s_waitcnt lgkmcnt(0)
	v_cndmask_b32_e32 v8, 0, v8, vcc_lo
	v_cmp_le_u32_e32 vcc_lo, v55, v7
	s_delay_alu instid0(VALU_DEP_2) | instskip(SKIP_4) | instid1(VALU_DEP_2)
	v_add_nc_u32_e32 v5, v5, v8
	ds_bpermute_b32 v8, v32, v5
	s_waitcnt lgkmcnt(0)
	v_cndmask_b32_e32 v8, 0, v8, vcc_lo
	v_cmp_le_u32_e32 vcc_lo, v57, v7
	v_add_nc_u32_e32 v5, v5, v8
	ds_bpermute_b32 v8, v56, v5
	s_waitcnt lgkmcnt(0)
	v_cndmask_b32_e32 v8, 0, v8, vcc_lo
	v_cmp_le_u32_e32 vcc_lo, v59, v7
	s_delay_alu instid0(VALU_DEP_2) | instskip(SKIP_3) | instid1(VALU_DEP_1)
	v_add_nc_u32_e32 v5, v5, v8
	ds_bpermute_b32 v8, v58, v5
	s_waitcnt lgkmcnt(0)
	v_cndmask_b32_e32 v7, 0, v8, vcc_lo
	v_add3_u32 v5, v7, v2, v5
.LBB891_90:                             ; =>This Loop Header: Depth=1
                                        ;     Child Loop BB891_93 Depth 2
	v_and_b32_e32 v2, 0xff, v6
	s_delay_alu instid0(VALU_DEP_1) | instskip(SKIP_2) | instid1(VALU_DEP_1)
	v_cmp_ne_u16_e32 vcc_lo, 2, v2
	v_cndmask_b32_e64 v2, 0, 1, vcc_lo
	;;#ASMSTART
	;;#ASMEND
	v_cmp_ne_u32_e32 vcc_lo, 0, v2
	v_mov_b32_e32 v2, v5
	s_cmp_lg_u32 vcc_lo, exec_lo
	s_cbranch_scc1 .LBB891_95
; %bb.91:                               ;   in Loop: Header=BB891_90 Depth=1
	v_lshlrev_b64 v[5:6], 3, v[3:4]
	s_mov_b32 s10, exec_lo
	s_delay_alu instid0(VALU_DEP_1) | instskip(NEXT) | instid1(VALU_DEP_2)
	v_add_co_u32 v7, vcc_lo, s8, v5
	v_add_co_ci_u32_e32 v8, vcc_lo, s9, v6, vcc_lo
	global_load_b64 v[5:6], v[7:8], off glc
	s_waitcnt vmcnt(0)
	v_and_b32_e32 v60, 0xff, v6
	s_delay_alu instid0(VALU_DEP_1)
	v_cmpx_eq_u16_e32 0, v60
	s_cbranch_execz .LBB891_89
; %bb.92:                               ;   in Loop: Header=BB891_90 Depth=1
	s_mov_b32 s11, 0
.LBB891_93:                             ;   Parent Loop BB891_90 Depth=1
                                        ; =>  This Inner Loop Header: Depth=2
	global_load_b64 v[5:6], v[7:8], off glc
	s_waitcnt vmcnt(0)
	v_and_b32_e32 v60, 0xff, v6
	s_delay_alu instid0(VALU_DEP_1) | instskip(SKIP_1) | instid1(SALU_CYCLE_1)
	v_cmp_ne_u16_e32 vcc_lo, 0, v60
	s_or_b32 s11, vcc_lo, s11
	s_and_not1_b32 exec_lo, exec_lo, s11
	s_cbranch_execnz .LBB891_93
; %bb.94:                               ;   in Loop: Header=BB891_90 Depth=1
	s_or_b32 exec_lo, exec_lo, s11
	s_branch .LBB891_89
.LBB891_95:                             ;   in Loop: Header=BB891_90 Depth=1
                                        ; implicit-def: $vgpr5
                                        ; implicit-def: $vgpr6
	s_cbranch_execz .LBB891_90
; %bb.96:
	s_and_saveexec_b32 s10, s6
	s_cbranch_execz .LBB891_98
; %bb.97:
	s_add_i32 s18, s15, 32
	s_mov_b32 s19, 0
	v_dual_mov_b32 v4, 2 :: v_dual_add_nc_u32 v3, v2, v1
	s_lshl_b64 s[18:19], s[18:19], 3
	v_mov_b32_e32 v5, 0
	s_add_u32 s18, s8, s18
	s_addc_u32 s19, s9, s19
	global_store_b64 v5, v[3:4], s[18:19]
	ds_store_b64 v5, v[1:2] offset:5632
.LBB891_98:
	s_or_b32 exec_lo, exec_lo, s10
	v_cmp_eq_u32_e32 vcc_lo, 0, v0
	s_and_b32 exec_lo, exec_lo, vcc_lo
	s_cbranch_execz .LBB891_100
; %bb.99:
	v_mov_b32_e32 v1, 0
	ds_store_b32 v1, v2 offset:12
.LBB891_100:
	s_or_b32 exec_lo, exec_lo, s7
	s_waitcnt lgkmcnt(0)
	v_cndmask_b32_e64 v2, v10, v9, s6
	v_cmp_ne_u32_e32 vcc_lo, 0, v0
	v_mov_b32_e32 v11, 0
	s_waitcnt_vscnt null, 0x0
	s_barrier
	buffer_gl0_inv
	v_cndmask_b32_e32 v2, 0, v2, vcc_lo
	ds_load_b32 v1, v11 offset:12
	s_waitcnt lgkmcnt(0)
	s_barrier
	buffer_gl0_inv
	ds_load_b64 v[16:17], v11 offset:5632
	v_add_nc_u32_e32 v1, v1, v2
	s_delay_alu instid0(VALU_DEP_1) | instskip(NEXT) | instid1(VALU_DEP_1)
	v_add_nc_u32_e32 v2, v1, v43
	v_add_nc_u32_e32 v3, v2, v44
	s_delay_alu instid0(VALU_DEP_1) | instskip(NEXT) | instid1(VALU_DEP_1)
	v_add_nc_u32_e32 v4, v3, v45
	;; [unrolled: 3-line block ×5, first 2 shown]
	v_add_nc_u32_e32 v11, v10, v51
	v_lshrrev_b64 v[31:32], 24, v[29:30]
	s_branch .LBB891_111
.LBB891_101:
                                        ; implicit-def: $vgpr17
                                        ; implicit-def: $vgpr1_vgpr2_vgpr3_vgpr4_vgpr5_vgpr6_vgpr7_vgpr8_vgpr9_vgpr10_vgpr11
	v_lshrrev_b64 v[31:32], 24, v[29:30]
	s_and_b32 vcc_lo, exec_lo, s6
	s_cbranch_vccz .LBB891_111
; %bb.102:
	v_mov_b32_dpp v1, v54 row_shr:1 row_mask:0xf bank_mask:0xf
	s_delay_alu instid0(VALU_DEP_1) | instskip(NEXT) | instid1(VALU_DEP_1)
	v_cndmask_b32_e64 v1, v1, 0, s5
	v_add_nc_u32_e32 v1, v1, v54
	s_delay_alu instid0(VALU_DEP_1) | instskip(NEXT) | instid1(VALU_DEP_1)
	v_mov_b32_dpp v2, v1 row_shr:2 row_mask:0xf bank_mask:0xf
	v_cndmask_b32_e64 v2, 0, v2, s4
	s_delay_alu instid0(VALU_DEP_1) | instskip(NEXT) | instid1(VALU_DEP_1)
	v_add_nc_u32_e32 v1, v1, v2
	v_mov_b32_dpp v2, v1 row_shr:4 row_mask:0xf bank_mask:0xf
	s_delay_alu instid0(VALU_DEP_1) | instskip(NEXT) | instid1(VALU_DEP_1)
	v_cndmask_b32_e64 v2, 0, v2, s3
	v_add_nc_u32_e32 v1, v1, v2
	s_delay_alu instid0(VALU_DEP_1) | instskip(NEXT) | instid1(VALU_DEP_1)
	v_mov_b32_dpp v2, v1 row_shr:8 row_mask:0xf bank_mask:0xf
	v_cndmask_b32_e64 v2, 0, v2, s2
	s_delay_alu instid0(VALU_DEP_1) | instskip(SKIP_3) | instid1(VALU_DEP_1)
	v_add_nc_u32_e32 v1, v1, v2
	ds_swizzle_b32 v2, v1 offset:swizzle(BROADCAST,32,15)
	s_waitcnt lgkmcnt(0)
	v_cndmask_b32_e64 v2, v2, 0, s1
	v_add_nc_u32_e32 v1, v1, v2
	s_and_saveexec_b32 s1, s0
	s_cbranch_execz .LBB891_104
; %bb.103:
	v_lshlrev_b32_e32 v2, 2, v53
	ds_store_b32 v2, v1
.LBB891_104:
	s_or_b32 exec_lo, exec_lo, s1
	s_delay_alu instid0(SALU_CYCLE_1)
	s_mov_b32 s0, exec_lo
	s_waitcnt lgkmcnt(0)
	s_barrier
	buffer_gl0_inv
	v_cmpx_gt_u32_e32 4, v0
	s_cbranch_execz .LBB891_106
; %bb.105:
	v_mad_i32_i24 v2, 0xffffffd8, v0, v41
	ds_load_b32 v3, v2
	s_waitcnt lgkmcnt(0)
	v_mov_b32_dpp v5, v3 row_shr:1 row_mask:0xf bank_mask:0xf
	v_and_b32_e32 v4, 3, v52
	s_delay_alu instid0(VALU_DEP_1) | instskip(NEXT) | instid1(VALU_DEP_3)
	v_cmp_ne_u32_e32 vcc_lo, 0, v4
	v_cndmask_b32_e32 v5, 0, v5, vcc_lo
	v_cmp_lt_u32_e32 vcc_lo, 1, v4
	s_delay_alu instid0(VALU_DEP_2) | instskip(NEXT) | instid1(VALU_DEP_1)
	v_add_nc_u32_e32 v3, v5, v3
	v_mov_b32_dpp v5, v3 row_shr:2 row_mask:0xf bank_mask:0xf
	s_delay_alu instid0(VALU_DEP_1) | instskip(NEXT) | instid1(VALU_DEP_1)
	v_cndmask_b32_e32 v4, 0, v5, vcc_lo
	v_add_nc_u32_e32 v3, v3, v4
	ds_store_b32 v2, v3
.LBB891_106:
	s_or_b32 exec_lo, exec_lo, s0
	v_dual_mov_b32 v3, 0 :: v_dual_mov_b32 v2, 0
	s_mov_b32 s0, exec_lo
	s_waitcnt lgkmcnt(0)
	s_barrier
	buffer_gl0_inv
	v_cmpx_lt_u32_e32 31, v0
	s_cbranch_execz .LBB891_108
; %bb.107:
	v_lshl_add_u32 v2, v53, 2, -4
	ds_load_b32 v2, v2
.LBB891_108:
	s_or_b32 exec_lo, exec_lo, s0
	v_add_nc_u32_e32 v4, -1, v52
	ds_load_b32 v16, v3 offset:12
	s_waitcnt lgkmcnt(1)
	v_add_nc_u32_e32 v1, v2, v1
	v_cmp_gt_i32_e32 vcc_lo, 0, v4
	v_cndmask_b32_e32 v4, v4, v52, vcc_lo
	v_cmp_eq_u32_e32 vcc_lo, 0, v0
	s_delay_alu instid0(VALU_DEP_2)
	v_lshlrev_b32_e32 v4, 2, v4
	ds_bpermute_b32 v1, v4, v1
	s_and_saveexec_b32 s0, vcc_lo
	s_cbranch_execz .LBB891_110
; %bb.109:
	v_mov_b32_e32 v3, 0
	v_mov_b32_e32 v17, 2
	s_waitcnt lgkmcnt(1)
	global_store_b64 v3, v[16:17], s[8:9] offset:256
.LBB891_110:
	s_or_b32 exec_lo, exec_lo, s0
	v_cmp_eq_u32_e64 s0, 0, v52
	s_waitcnt lgkmcnt(0)
	s_waitcnt_vscnt null, 0x0
	s_barrier
	buffer_gl0_inv
	v_mov_b32_e32 v17, 0
	v_cndmask_b32_e64 v1, v1, v2, s0
	s_delay_alu instid0(VALU_DEP_1) | instskip(NEXT) | instid1(VALU_DEP_1)
	v_cndmask_b32_e64 v1, v1, 0, vcc_lo
	v_add_nc_u32_e32 v2, v1, v43
	s_delay_alu instid0(VALU_DEP_1) | instskip(NEXT) | instid1(VALU_DEP_1)
	v_add_nc_u32_e32 v3, v2, v44
	v_add_nc_u32_e32 v4, v3, v45
	s_delay_alu instid0(VALU_DEP_1) | instskip(NEXT) | instid1(VALU_DEP_1)
	v_add_nc_u32_e32 v5, v4, v47
	;; [unrolled: 3-line block ×4, first 2 shown]
	v_add_nc_u32_e32 v10, v9, v50
	s_delay_alu instid0(VALU_DEP_1)
	v_add_nc_u32_e32 v11, v10, v51
.LBB891_111:
	v_lshrrev_b32_e32 v45, 16, v29
	v_lshrrev_b32_e32 v46, 8, v29
	v_and_b32_e32 v29, 1, v29
	s_waitcnt lgkmcnt(0)
	v_cmp_gt_u32_e32 vcc_lo, 0x81, v16
	v_lshrrev_b32_e32 v32, 16, v18
	v_lshrrev_b32_e32 v44, 8, v30
	;; [unrolled: 1-line block ×4, first 2 shown]
	v_cmp_lt_u32_e64 s0, 0x80, v16
	v_cmp_eq_u32_e64 s1, 1, v29
	s_cbranch_vccnz .LBB891_135
; %bb.112:
	s_delay_alu instid0(VALU_DEP_1)
	s_and_saveexec_b32 s2, s1
	s_cbranch_execz .LBB891_114
; %bb.113:
	v_sub_nc_u32_e32 v47, v1, v17
	s_delay_alu instid0(VALU_DEP_1)
	v_lshlrev_b32_e32 v47, 1, v47
	ds_store_b16 v47, v12
.LBB891_114:
	s_or_b32 exec_lo, exec_lo, s2
	v_and_b32_e32 v12, 1, v46
	s_mov_b32 s1, exec_lo
	s_delay_alu instid0(VALU_DEP_1)
	v_cmpx_eq_u32_e32 1, v12
	s_cbranch_execz .LBB891_116
; %bb.115:
	v_sub_nc_u32_e32 v12, v2, v17
	s_delay_alu instid0(VALU_DEP_1)
	v_lshlrev_b32_e32 v12, 1, v12
	ds_store_b16 v12, v40
.LBB891_116:
	s_or_b32 exec_lo, exec_lo, s1
	v_and_b32_e32 v12, 1, v45
	s_mov_b32 s1, exec_lo
	s_delay_alu instid0(VALU_DEP_1)
	v_cmpx_eq_u32_e32 1, v12
	s_cbranch_execz .LBB891_118
; %bb.117:
	v_sub_nc_u32_e32 v12, v3, v17
	s_delay_alu instid0(VALU_DEP_1)
	v_lshlrev_b32_e32 v12, 1, v12
	ds_store_b16 v12, v13
.LBB891_118:
	s_or_b32 exec_lo, exec_lo, s1
	v_and_b32_e32 v12, 1, v31
	s_mov_b32 s1, exec_lo
	s_delay_alu instid0(VALU_DEP_1)
	v_cmpx_eq_u32_e32 1, v12
	s_cbranch_execz .LBB891_120
; %bb.119:
	v_sub_nc_u32_e32 v12, v4, v17
	s_delay_alu instid0(VALU_DEP_1)
	v_lshlrev_b32_e32 v12, 1, v12
	ds_store_b16 v12, v39
.LBB891_120:
	s_or_b32 exec_lo, exec_lo, s1
	v_and_b32_e32 v12, 1, v30
	s_mov_b32 s1, exec_lo
	s_delay_alu instid0(VALU_DEP_1)
	v_cmpx_eq_u32_e32 1, v12
	s_cbranch_execz .LBB891_122
; %bb.121:
	v_sub_nc_u32_e32 v12, v5, v17
	s_delay_alu instid0(VALU_DEP_1)
	v_lshlrev_b32_e32 v12, 1, v12
	ds_store_b16 v12, v14
.LBB891_122:
	s_or_b32 exec_lo, exec_lo, s1
	v_and_b32_e32 v12, 1, v44
	s_mov_b32 s1, exec_lo
	s_delay_alu instid0(VALU_DEP_1)
	v_cmpx_eq_u32_e32 1, v12
	s_cbranch_execz .LBB891_124
; %bb.123:
	v_sub_nc_u32_e32 v12, v6, v17
	s_delay_alu instid0(VALU_DEP_1)
	v_lshlrev_b32_e32 v12, 1, v12
	ds_store_b16 v12, v38
.LBB891_124:
	s_or_b32 exec_lo, exec_lo, s1
	v_and_b32_e32 v12, 1, v43
	s_mov_b32 s1, exec_lo
	s_delay_alu instid0(VALU_DEP_1)
	v_cmpx_eq_u32_e32 1, v12
	s_cbranch_execz .LBB891_126
; %bb.125:
	v_sub_nc_u32_e32 v12, v7, v17
	s_delay_alu instid0(VALU_DEP_1)
	v_lshlrev_b32_e32 v12, 1, v12
	ds_store_b16 v12, v15
.LBB891_126:
	s_or_b32 exec_lo, exec_lo, s1
	v_and_b32_e32 v12, 1, v42
	s_mov_b32 s1, exec_lo
	s_delay_alu instid0(VALU_DEP_1)
	v_cmpx_eq_u32_e32 1, v12
	s_cbranch_execz .LBB891_128
; %bb.127:
	v_sub_nc_u32_e32 v12, v8, v17
	s_delay_alu instid0(VALU_DEP_1)
	v_lshlrev_b32_e32 v12, 1, v12
	ds_store_b16 v12, v37
.LBB891_128:
	s_or_b32 exec_lo, exec_lo, s1
	v_and_b32_e32 v12, 1, v18
	s_mov_b32 s1, exec_lo
	s_delay_alu instid0(VALU_DEP_1)
	v_cmpx_eq_u32_e32 1, v12
	s_cbranch_execz .LBB891_130
; %bb.129:
	v_sub_nc_u32_e32 v12, v9, v17
	s_delay_alu instid0(VALU_DEP_1)
	v_lshlrev_b32_e32 v12, 1, v12
	ds_store_b16 v12, v35
.LBB891_130:
	s_or_b32 exec_lo, exec_lo, s1
	v_and_b32_e32 v12, 1, v41
	s_mov_b32 s1, exec_lo
	s_delay_alu instid0(VALU_DEP_1)
	v_cmpx_eq_u32_e32 1, v12
	s_cbranch_execz .LBB891_132
; %bb.131:
	v_sub_nc_u32_e32 v12, v10, v17
	s_delay_alu instid0(VALU_DEP_1)
	v_lshlrev_b32_e32 v12, 1, v12
	ds_store_b16 v12, v34
.LBB891_132:
	s_or_b32 exec_lo, exec_lo, s1
	v_and_b32_e32 v12, 1, v32
	s_mov_b32 s1, exec_lo
	s_delay_alu instid0(VALU_DEP_1)
	v_cmpx_eq_u32_e32 1, v12
	s_cbranch_execz .LBB891_134
; %bb.133:
	v_sub_nc_u32_e32 v12, v11, v17
	s_delay_alu instid0(VALU_DEP_1)
	v_lshlrev_b32_e32 v12, 1, v12
	ds_store_b16 v12, v33
.LBB891_134:
	s_or_b32 exec_lo, exec_lo, s1
	s_waitcnt lgkmcnt(0)
	s_barrier
	buffer_gl0_inv
.LBB891_135:
	s_delay_alu instid0(VALU_DEP_2)
	s_and_not1_b32 vcc_lo, exec_lo, s0
	s_barrier
	buffer_gl0_inv
	s_cbranch_vccz .LBB891_138
; %bb.136:
	v_cmp_eq_u32_e32 vcc_lo, 0, v0
	s_and_b32 s0, vcc_lo, s14
	s_delay_alu instid0(SALU_CYCLE_1)
	s_and_saveexec_b32 s1, s0
	s_cbranch_execnz .LBB891_161
.LBB891_137:
	s_endpgm
.LBB891_138:
	s_mov_b32 s0, exec_lo
	v_cmpx_eq_u32_e32 1, v29
	s_cbranch_execz .LBB891_140
; %bb.139:
	v_sub_nc_u32_e32 v1, v1, v17
	s_delay_alu instid0(VALU_DEP_1)
	v_lshlrev_b32_e32 v1, 2, v1
	ds_store_b32 v1, v27
.LBB891_140:
	s_or_b32 exec_lo, exec_lo, s0
	v_and_b32_e32 v1, 1, v46
	s_mov_b32 s0, exec_lo
	s_delay_alu instid0(VALU_DEP_1)
	v_cmpx_eq_u32_e32 1, v1
	s_cbranch_execz .LBB891_142
; %bb.141:
	v_sub_nc_u32_e32 v1, v2, v17
	s_delay_alu instid0(VALU_DEP_1)
	v_lshlrev_b32_e32 v1, 2, v1
	ds_store_b32 v1, v28
.LBB891_142:
	s_or_b32 exec_lo, exec_lo, s0
	v_and_b32_e32 v1, 1, v45
	s_mov_b32 s0, exec_lo
	s_delay_alu instid0(VALU_DEP_1)
	;; [unrolled: 12-line block ×10, first 2 shown]
	v_cmpx_eq_u32_e32 1, v1
	s_cbranch_execz .LBB891_160
; %bb.159:
	v_sub_nc_u32_e32 v1, v11, v17
	s_delay_alu instid0(VALU_DEP_1)
	v_lshlrev_b32_e32 v1, 2, v1
	ds_store_b32 v1, v36
.LBB891_160:
	s_or_b32 exec_lo, exec_lo, s0
	s_waitcnt lgkmcnt(0)
	s_barrier
	buffer_gl0_inv
	v_cmp_eq_u32_e32 vcc_lo, 0, v0
	s_and_b32 s0, vcc_lo, s14
	s_delay_alu instid0(SALU_CYCLE_1)
	s_and_saveexec_b32 s1, s0
	s_cbranch_execz .LBB891_137
.LBB891_161:
	v_add_co_u32 v0, s0, s12, v16
	s_delay_alu instid0(VALU_DEP_1) | instskip(SKIP_1) | instid1(VALU_DEP_3)
	v_add_co_ci_u32_e64 v1, null, s13, 0, s0
	v_mov_b32_e32 v2, 0
	v_add_co_u32 v0, vcc_lo, v0, v17
	s_delay_alu instid0(VALU_DEP_3)
	v_add_co_ci_u32_e32 v1, vcc_lo, 0, v1, vcc_lo
	global_store_b64 v2, v[0:1], s[16:17]
	s_nop 0
	s_sendmsg sendmsg(MSG_DEALLOC_VGPRS)
	s_endpgm
.LBB891_162:
	s_or_b32 exec_lo, exec_lo, s3
	s_and_saveexec_b32 s3, s21
	s_cbranch_execnz .LBB891_72
	s_branch .LBB891_73
	.section	.rodata,"a",@progbits
	.p2align	6, 0x0
	.amdhsa_kernel _ZN7rocprim17ROCPRIM_400000_NS6detail17trampoline_kernelINS0_14default_configENS1_25partition_config_selectorILNS1_17partition_subalgoE9EtjbEEZZNS1_14partition_implILS5_9ELb0ES3_jN6thrust23THRUST_200600_302600_NS6detail15normal_iteratorINS9_10device_ptrItEEEENSB_INSC_IjEEEEPNS0_10empty_typeENS0_5tupleIJNS9_16discard_iteratorINS9_11use_defaultEEESH_EEENSJ_IJSM_SI_EEENS0_18inequality_wrapperINS9_8equal_toItEEEEPmJSH_EEE10hipError_tPvRmT3_T4_T5_T6_T7_T9_mT8_P12ihipStream_tbDpT10_ENKUlT_T0_E_clISt17integral_constantIbLb0EES1D_EEDaS18_S19_EUlS18_E_NS1_11comp_targetILNS1_3genE9ELNS1_11target_archE1100ELNS1_3gpuE3ELNS1_3repE0EEENS1_30default_config_static_selectorELNS0_4arch9wavefront6targetE0EEEvT1_
		.amdhsa_group_segment_fixed_size 5640
		.amdhsa_private_segment_fixed_size 0
		.amdhsa_kernarg_size 128
		.amdhsa_user_sgpr_count 15
		.amdhsa_user_sgpr_dispatch_ptr 0
		.amdhsa_user_sgpr_queue_ptr 0
		.amdhsa_user_sgpr_kernarg_segment_ptr 1
		.amdhsa_user_sgpr_dispatch_id 0
		.amdhsa_user_sgpr_private_segment_size 0
		.amdhsa_wavefront_size32 1
		.amdhsa_uses_dynamic_stack 0
		.amdhsa_enable_private_segment 0
		.amdhsa_system_sgpr_workgroup_id_x 1
		.amdhsa_system_sgpr_workgroup_id_y 0
		.amdhsa_system_sgpr_workgroup_id_z 0
		.amdhsa_system_sgpr_workgroup_info 0
		.amdhsa_system_vgpr_workitem_id 0
		.amdhsa_next_free_vgpr 61
		.amdhsa_next_free_sgpr 23
		.amdhsa_reserve_vcc 1
		.amdhsa_float_round_mode_32 0
		.amdhsa_float_round_mode_16_64 0
		.amdhsa_float_denorm_mode_32 3
		.amdhsa_float_denorm_mode_16_64 3
		.amdhsa_dx10_clamp 1
		.amdhsa_ieee_mode 1
		.amdhsa_fp16_overflow 0
		.amdhsa_workgroup_processor_mode 1
		.amdhsa_memory_ordered 1
		.amdhsa_forward_progress 0
		.amdhsa_shared_vgpr_count 0
		.amdhsa_exception_fp_ieee_invalid_op 0
		.amdhsa_exception_fp_denorm_src 0
		.amdhsa_exception_fp_ieee_div_zero 0
		.amdhsa_exception_fp_ieee_overflow 0
		.amdhsa_exception_fp_ieee_underflow 0
		.amdhsa_exception_fp_ieee_inexact 0
		.amdhsa_exception_int_div_zero 0
	.end_amdhsa_kernel
	.section	.text._ZN7rocprim17ROCPRIM_400000_NS6detail17trampoline_kernelINS0_14default_configENS1_25partition_config_selectorILNS1_17partition_subalgoE9EtjbEEZZNS1_14partition_implILS5_9ELb0ES3_jN6thrust23THRUST_200600_302600_NS6detail15normal_iteratorINS9_10device_ptrItEEEENSB_INSC_IjEEEEPNS0_10empty_typeENS0_5tupleIJNS9_16discard_iteratorINS9_11use_defaultEEESH_EEENSJ_IJSM_SI_EEENS0_18inequality_wrapperINS9_8equal_toItEEEEPmJSH_EEE10hipError_tPvRmT3_T4_T5_T6_T7_T9_mT8_P12ihipStream_tbDpT10_ENKUlT_T0_E_clISt17integral_constantIbLb0EES1D_EEDaS18_S19_EUlS18_E_NS1_11comp_targetILNS1_3genE9ELNS1_11target_archE1100ELNS1_3gpuE3ELNS1_3repE0EEENS1_30default_config_static_selectorELNS0_4arch9wavefront6targetE0EEEvT1_,"axG",@progbits,_ZN7rocprim17ROCPRIM_400000_NS6detail17trampoline_kernelINS0_14default_configENS1_25partition_config_selectorILNS1_17partition_subalgoE9EtjbEEZZNS1_14partition_implILS5_9ELb0ES3_jN6thrust23THRUST_200600_302600_NS6detail15normal_iteratorINS9_10device_ptrItEEEENSB_INSC_IjEEEEPNS0_10empty_typeENS0_5tupleIJNS9_16discard_iteratorINS9_11use_defaultEEESH_EEENSJ_IJSM_SI_EEENS0_18inequality_wrapperINS9_8equal_toItEEEEPmJSH_EEE10hipError_tPvRmT3_T4_T5_T6_T7_T9_mT8_P12ihipStream_tbDpT10_ENKUlT_T0_E_clISt17integral_constantIbLb0EES1D_EEDaS18_S19_EUlS18_E_NS1_11comp_targetILNS1_3genE9ELNS1_11target_archE1100ELNS1_3gpuE3ELNS1_3repE0EEENS1_30default_config_static_selectorELNS0_4arch9wavefront6targetE0EEEvT1_,comdat
.Lfunc_end891:
	.size	_ZN7rocprim17ROCPRIM_400000_NS6detail17trampoline_kernelINS0_14default_configENS1_25partition_config_selectorILNS1_17partition_subalgoE9EtjbEEZZNS1_14partition_implILS5_9ELb0ES3_jN6thrust23THRUST_200600_302600_NS6detail15normal_iteratorINS9_10device_ptrItEEEENSB_INSC_IjEEEEPNS0_10empty_typeENS0_5tupleIJNS9_16discard_iteratorINS9_11use_defaultEEESH_EEENSJ_IJSM_SI_EEENS0_18inequality_wrapperINS9_8equal_toItEEEEPmJSH_EEE10hipError_tPvRmT3_T4_T5_T6_T7_T9_mT8_P12ihipStream_tbDpT10_ENKUlT_T0_E_clISt17integral_constantIbLb0EES1D_EEDaS18_S19_EUlS18_E_NS1_11comp_targetILNS1_3genE9ELNS1_11target_archE1100ELNS1_3gpuE3ELNS1_3repE0EEENS1_30default_config_static_selectorELNS0_4arch9wavefront6targetE0EEEvT1_, .Lfunc_end891-_ZN7rocprim17ROCPRIM_400000_NS6detail17trampoline_kernelINS0_14default_configENS1_25partition_config_selectorILNS1_17partition_subalgoE9EtjbEEZZNS1_14partition_implILS5_9ELb0ES3_jN6thrust23THRUST_200600_302600_NS6detail15normal_iteratorINS9_10device_ptrItEEEENSB_INSC_IjEEEEPNS0_10empty_typeENS0_5tupleIJNS9_16discard_iteratorINS9_11use_defaultEEESH_EEENSJ_IJSM_SI_EEENS0_18inequality_wrapperINS9_8equal_toItEEEEPmJSH_EEE10hipError_tPvRmT3_T4_T5_T6_T7_T9_mT8_P12ihipStream_tbDpT10_ENKUlT_T0_E_clISt17integral_constantIbLb0EES1D_EEDaS18_S19_EUlS18_E_NS1_11comp_targetILNS1_3genE9ELNS1_11target_archE1100ELNS1_3gpuE3ELNS1_3repE0EEENS1_30default_config_static_selectorELNS0_4arch9wavefront6targetE0EEEvT1_
                                        ; -- End function
	.section	.AMDGPU.csdata,"",@progbits
; Kernel info:
; codeLenInByte = 8036
; NumSgprs: 25
; NumVgprs: 61
; ScratchSize: 0
; MemoryBound: 0
; FloatMode: 240
; IeeeMode: 1
; LDSByteSize: 5640 bytes/workgroup (compile time only)
; SGPRBlocks: 3
; VGPRBlocks: 7
; NumSGPRsForWavesPerEU: 25
; NumVGPRsForWavesPerEU: 61
; Occupancy: 16
; WaveLimiterHint : 1
; COMPUTE_PGM_RSRC2:SCRATCH_EN: 0
; COMPUTE_PGM_RSRC2:USER_SGPR: 15
; COMPUTE_PGM_RSRC2:TRAP_HANDLER: 0
; COMPUTE_PGM_RSRC2:TGID_X_EN: 1
; COMPUTE_PGM_RSRC2:TGID_Y_EN: 0
; COMPUTE_PGM_RSRC2:TGID_Z_EN: 0
; COMPUTE_PGM_RSRC2:TIDIG_COMP_CNT: 0
	.section	.text._ZN7rocprim17ROCPRIM_400000_NS6detail17trampoline_kernelINS0_14default_configENS1_25partition_config_selectorILNS1_17partition_subalgoE9EtjbEEZZNS1_14partition_implILS5_9ELb0ES3_jN6thrust23THRUST_200600_302600_NS6detail15normal_iteratorINS9_10device_ptrItEEEENSB_INSC_IjEEEEPNS0_10empty_typeENS0_5tupleIJNS9_16discard_iteratorINS9_11use_defaultEEESH_EEENSJ_IJSM_SI_EEENS0_18inequality_wrapperINS9_8equal_toItEEEEPmJSH_EEE10hipError_tPvRmT3_T4_T5_T6_T7_T9_mT8_P12ihipStream_tbDpT10_ENKUlT_T0_E_clISt17integral_constantIbLb0EES1D_EEDaS18_S19_EUlS18_E_NS1_11comp_targetILNS1_3genE8ELNS1_11target_archE1030ELNS1_3gpuE2ELNS1_3repE0EEENS1_30default_config_static_selectorELNS0_4arch9wavefront6targetE0EEEvT1_,"axG",@progbits,_ZN7rocprim17ROCPRIM_400000_NS6detail17trampoline_kernelINS0_14default_configENS1_25partition_config_selectorILNS1_17partition_subalgoE9EtjbEEZZNS1_14partition_implILS5_9ELb0ES3_jN6thrust23THRUST_200600_302600_NS6detail15normal_iteratorINS9_10device_ptrItEEEENSB_INSC_IjEEEEPNS0_10empty_typeENS0_5tupleIJNS9_16discard_iteratorINS9_11use_defaultEEESH_EEENSJ_IJSM_SI_EEENS0_18inequality_wrapperINS9_8equal_toItEEEEPmJSH_EEE10hipError_tPvRmT3_T4_T5_T6_T7_T9_mT8_P12ihipStream_tbDpT10_ENKUlT_T0_E_clISt17integral_constantIbLb0EES1D_EEDaS18_S19_EUlS18_E_NS1_11comp_targetILNS1_3genE8ELNS1_11target_archE1030ELNS1_3gpuE2ELNS1_3repE0EEENS1_30default_config_static_selectorELNS0_4arch9wavefront6targetE0EEEvT1_,comdat
	.protected	_ZN7rocprim17ROCPRIM_400000_NS6detail17trampoline_kernelINS0_14default_configENS1_25partition_config_selectorILNS1_17partition_subalgoE9EtjbEEZZNS1_14partition_implILS5_9ELb0ES3_jN6thrust23THRUST_200600_302600_NS6detail15normal_iteratorINS9_10device_ptrItEEEENSB_INSC_IjEEEEPNS0_10empty_typeENS0_5tupleIJNS9_16discard_iteratorINS9_11use_defaultEEESH_EEENSJ_IJSM_SI_EEENS0_18inequality_wrapperINS9_8equal_toItEEEEPmJSH_EEE10hipError_tPvRmT3_T4_T5_T6_T7_T9_mT8_P12ihipStream_tbDpT10_ENKUlT_T0_E_clISt17integral_constantIbLb0EES1D_EEDaS18_S19_EUlS18_E_NS1_11comp_targetILNS1_3genE8ELNS1_11target_archE1030ELNS1_3gpuE2ELNS1_3repE0EEENS1_30default_config_static_selectorELNS0_4arch9wavefront6targetE0EEEvT1_ ; -- Begin function _ZN7rocprim17ROCPRIM_400000_NS6detail17trampoline_kernelINS0_14default_configENS1_25partition_config_selectorILNS1_17partition_subalgoE9EtjbEEZZNS1_14partition_implILS5_9ELb0ES3_jN6thrust23THRUST_200600_302600_NS6detail15normal_iteratorINS9_10device_ptrItEEEENSB_INSC_IjEEEEPNS0_10empty_typeENS0_5tupleIJNS9_16discard_iteratorINS9_11use_defaultEEESH_EEENSJ_IJSM_SI_EEENS0_18inequality_wrapperINS9_8equal_toItEEEEPmJSH_EEE10hipError_tPvRmT3_T4_T5_T6_T7_T9_mT8_P12ihipStream_tbDpT10_ENKUlT_T0_E_clISt17integral_constantIbLb0EES1D_EEDaS18_S19_EUlS18_E_NS1_11comp_targetILNS1_3genE8ELNS1_11target_archE1030ELNS1_3gpuE2ELNS1_3repE0EEENS1_30default_config_static_selectorELNS0_4arch9wavefront6targetE0EEEvT1_
	.globl	_ZN7rocprim17ROCPRIM_400000_NS6detail17trampoline_kernelINS0_14default_configENS1_25partition_config_selectorILNS1_17partition_subalgoE9EtjbEEZZNS1_14partition_implILS5_9ELb0ES3_jN6thrust23THRUST_200600_302600_NS6detail15normal_iteratorINS9_10device_ptrItEEEENSB_INSC_IjEEEEPNS0_10empty_typeENS0_5tupleIJNS9_16discard_iteratorINS9_11use_defaultEEESH_EEENSJ_IJSM_SI_EEENS0_18inequality_wrapperINS9_8equal_toItEEEEPmJSH_EEE10hipError_tPvRmT3_T4_T5_T6_T7_T9_mT8_P12ihipStream_tbDpT10_ENKUlT_T0_E_clISt17integral_constantIbLb0EES1D_EEDaS18_S19_EUlS18_E_NS1_11comp_targetILNS1_3genE8ELNS1_11target_archE1030ELNS1_3gpuE2ELNS1_3repE0EEENS1_30default_config_static_selectorELNS0_4arch9wavefront6targetE0EEEvT1_
	.p2align	8
	.type	_ZN7rocprim17ROCPRIM_400000_NS6detail17trampoline_kernelINS0_14default_configENS1_25partition_config_selectorILNS1_17partition_subalgoE9EtjbEEZZNS1_14partition_implILS5_9ELb0ES3_jN6thrust23THRUST_200600_302600_NS6detail15normal_iteratorINS9_10device_ptrItEEEENSB_INSC_IjEEEEPNS0_10empty_typeENS0_5tupleIJNS9_16discard_iteratorINS9_11use_defaultEEESH_EEENSJ_IJSM_SI_EEENS0_18inequality_wrapperINS9_8equal_toItEEEEPmJSH_EEE10hipError_tPvRmT3_T4_T5_T6_T7_T9_mT8_P12ihipStream_tbDpT10_ENKUlT_T0_E_clISt17integral_constantIbLb0EES1D_EEDaS18_S19_EUlS18_E_NS1_11comp_targetILNS1_3genE8ELNS1_11target_archE1030ELNS1_3gpuE2ELNS1_3repE0EEENS1_30default_config_static_selectorELNS0_4arch9wavefront6targetE0EEEvT1_,@function
_ZN7rocprim17ROCPRIM_400000_NS6detail17trampoline_kernelINS0_14default_configENS1_25partition_config_selectorILNS1_17partition_subalgoE9EtjbEEZZNS1_14partition_implILS5_9ELb0ES3_jN6thrust23THRUST_200600_302600_NS6detail15normal_iteratorINS9_10device_ptrItEEEENSB_INSC_IjEEEEPNS0_10empty_typeENS0_5tupleIJNS9_16discard_iteratorINS9_11use_defaultEEESH_EEENSJ_IJSM_SI_EEENS0_18inequality_wrapperINS9_8equal_toItEEEEPmJSH_EEE10hipError_tPvRmT3_T4_T5_T6_T7_T9_mT8_P12ihipStream_tbDpT10_ENKUlT_T0_E_clISt17integral_constantIbLb0EES1D_EEDaS18_S19_EUlS18_E_NS1_11comp_targetILNS1_3genE8ELNS1_11target_archE1030ELNS1_3gpuE2ELNS1_3repE0EEENS1_30default_config_static_selectorELNS0_4arch9wavefront6targetE0EEEvT1_: ; @_ZN7rocprim17ROCPRIM_400000_NS6detail17trampoline_kernelINS0_14default_configENS1_25partition_config_selectorILNS1_17partition_subalgoE9EtjbEEZZNS1_14partition_implILS5_9ELb0ES3_jN6thrust23THRUST_200600_302600_NS6detail15normal_iteratorINS9_10device_ptrItEEEENSB_INSC_IjEEEEPNS0_10empty_typeENS0_5tupleIJNS9_16discard_iteratorINS9_11use_defaultEEESH_EEENSJ_IJSM_SI_EEENS0_18inequality_wrapperINS9_8equal_toItEEEEPmJSH_EEE10hipError_tPvRmT3_T4_T5_T6_T7_T9_mT8_P12ihipStream_tbDpT10_ENKUlT_T0_E_clISt17integral_constantIbLb0EES1D_EEDaS18_S19_EUlS18_E_NS1_11comp_targetILNS1_3genE8ELNS1_11target_archE1030ELNS1_3gpuE2ELNS1_3repE0EEENS1_30default_config_static_selectorELNS0_4arch9wavefront6targetE0EEEvT1_
; %bb.0:
	.section	.rodata,"a",@progbits
	.p2align	6, 0x0
	.amdhsa_kernel _ZN7rocprim17ROCPRIM_400000_NS6detail17trampoline_kernelINS0_14default_configENS1_25partition_config_selectorILNS1_17partition_subalgoE9EtjbEEZZNS1_14partition_implILS5_9ELb0ES3_jN6thrust23THRUST_200600_302600_NS6detail15normal_iteratorINS9_10device_ptrItEEEENSB_INSC_IjEEEEPNS0_10empty_typeENS0_5tupleIJNS9_16discard_iteratorINS9_11use_defaultEEESH_EEENSJ_IJSM_SI_EEENS0_18inequality_wrapperINS9_8equal_toItEEEEPmJSH_EEE10hipError_tPvRmT3_T4_T5_T6_T7_T9_mT8_P12ihipStream_tbDpT10_ENKUlT_T0_E_clISt17integral_constantIbLb0EES1D_EEDaS18_S19_EUlS18_E_NS1_11comp_targetILNS1_3genE8ELNS1_11target_archE1030ELNS1_3gpuE2ELNS1_3repE0EEENS1_30default_config_static_selectorELNS0_4arch9wavefront6targetE0EEEvT1_
		.amdhsa_group_segment_fixed_size 0
		.amdhsa_private_segment_fixed_size 0
		.amdhsa_kernarg_size 128
		.amdhsa_user_sgpr_count 15
		.amdhsa_user_sgpr_dispatch_ptr 0
		.amdhsa_user_sgpr_queue_ptr 0
		.amdhsa_user_sgpr_kernarg_segment_ptr 1
		.amdhsa_user_sgpr_dispatch_id 0
		.amdhsa_user_sgpr_private_segment_size 0
		.amdhsa_wavefront_size32 1
		.amdhsa_uses_dynamic_stack 0
		.amdhsa_enable_private_segment 0
		.amdhsa_system_sgpr_workgroup_id_x 1
		.amdhsa_system_sgpr_workgroup_id_y 0
		.amdhsa_system_sgpr_workgroup_id_z 0
		.amdhsa_system_sgpr_workgroup_info 0
		.amdhsa_system_vgpr_workitem_id 0
		.amdhsa_next_free_vgpr 1
		.amdhsa_next_free_sgpr 1
		.amdhsa_reserve_vcc 0
		.amdhsa_float_round_mode_32 0
		.amdhsa_float_round_mode_16_64 0
		.amdhsa_float_denorm_mode_32 3
		.amdhsa_float_denorm_mode_16_64 3
		.amdhsa_dx10_clamp 1
		.amdhsa_ieee_mode 1
		.amdhsa_fp16_overflow 0
		.amdhsa_workgroup_processor_mode 1
		.amdhsa_memory_ordered 1
		.amdhsa_forward_progress 0
		.amdhsa_shared_vgpr_count 0
		.amdhsa_exception_fp_ieee_invalid_op 0
		.amdhsa_exception_fp_denorm_src 0
		.amdhsa_exception_fp_ieee_div_zero 0
		.amdhsa_exception_fp_ieee_overflow 0
		.amdhsa_exception_fp_ieee_underflow 0
		.amdhsa_exception_fp_ieee_inexact 0
		.amdhsa_exception_int_div_zero 0
	.end_amdhsa_kernel
	.section	.text._ZN7rocprim17ROCPRIM_400000_NS6detail17trampoline_kernelINS0_14default_configENS1_25partition_config_selectorILNS1_17partition_subalgoE9EtjbEEZZNS1_14partition_implILS5_9ELb0ES3_jN6thrust23THRUST_200600_302600_NS6detail15normal_iteratorINS9_10device_ptrItEEEENSB_INSC_IjEEEEPNS0_10empty_typeENS0_5tupleIJNS9_16discard_iteratorINS9_11use_defaultEEESH_EEENSJ_IJSM_SI_EEENS0_18inequality_wrapperINS9_8equal_toItEEEEPmJSH_EEE10hipError_tPvRmT3_T4_T5_T6_T7_T9_mT8_P12ihipStream_tbDpT10_ENKUlT_T0_E_clISt17integral_constantIbLb0EES1D_EEDaS18_S19_EUlS18_E_NS1_11comp_targetILNS1_3genE8ELNS1_11target_archE1030ELNS1_3gpuE2ELNS1_3repE0EEENS1_30default_config_static_selectorELNS0_4arch9wavefront6targetE0EEEvT1_,"axG",@progbits,_ZN7rocprim17ROCPRIM_400000_NS6detail17trampoline_kernelINS0_14default_configENS1_25partition_config_selectorILNS1_17partition_subalgoE9EtjbEEZZNS1_14partition_implILS5_9ELb0ES3_jN6thrust23THRUST_200600_302600_NS6detail15normal_iteratorINS9_10device_ptrItEEEENSB_INSC_IjEEEEPNS0_10empty_typeENS0_5tupleIJNS9_16discard_iteratorINS9_11use_defaultEEESH_EEENSJ_IJSM_SI_EEENS0_18inequality_wrapperINS9_8equal_toItEEEEPmJSH_EEE10hipError_tPvRmT3_T4_T5_T6_T7_T9_mT8_P12ihipStream_tbDpT10_ENKUlT_T0_E_clISt17integral_constantIbLb0EES1D_EEDaS18_S19_EUlS18_E_NS1_11comp_targetILNS1_3genE8ELNS1_11target_archE1030ELNS1_3gpuE2ELNS1_3repE0EEENS1_30default_config_static_selectorELNS0_4arch9wavefront6targetE0EEEvT1_,comdat
.Lfunc_end892:
	.size	_ZN7rocprim17ROCPRIM_400000_NS6detail17trampoline_kernelINS0_14default_configENS1_25partition_config_selectorILNS1_17partition_subalgoE9EtjbEEZZNS1_14partition_implILS5_9ELb0ES3_jN6thrust23THRUST_200600_302600_NS6detail15normal_iteratorINS9_10device_ptrItEEEENSB_INSC_IjEEEEPNS0_10empty_typeENS0_5tupleIJNS9_16discard_iteratorINS9_11use_defaultEEESH_EEENSJ_IJSM_SI_EEENS0_18inequality_wrapperINS9_8equal_toItEEEEPmJSH_EEE10hipError_tPvRmT3_T4_T5_T6_T7_T9_mT8_P12ihipStream_tbDpT10_ENKUlT_T0_E_clISt17integral_constantIbLb0EES1D_EEDaS18_S19_EUlS18_E_NS1_11comp_targetILNS1_3genE8ELNS1_11target_archE1030ELNS1_3gpuE2ELNS1_3repE0EEENS1_30default_config_static_selectorELNS0_4arch9wavefront6targetE0EEEvT1_, .Lfunc_end892-_ZN7rocprim17ROCPRIM_400000_NS6detail17trampoline_kernelINS0_14default_configENS1_25partition_config_selectorILNS1_17partition_subalgoE9EtjbEEZZNS1_14partition_implILS5_9ELb0ES3_jN6thrust23THRUST_200600_302600_NS6detail15normal_iteratorINS9_10device_ptrItEEEENSB_INSC_IjEEEEPNS0_10empty_typeENS0_5tupleIJNS9_16discard_iteratorINS9_11use_defaultEEESH_EEENSJ_IJSM_SI_EEENS0_18inequality_wrapperINS9_8equal_toItEEEEPmJSH_EEE10hipError_tPvRmT3_T4_T5_T6_T7_T9_mT8_P12ihipStream_tbDpT10_ENKUlT_T0_E_clISt17integral_constantIbLb0EES1D_EEDaS18_S19_EUlS18_E_NS1_11comp_targetILNS1_3genE8ELNS1_11target_archE1030ELNS1_3gpuE2ELNS1_3repE0EEENS1_30default_config_static_selectorELNS0_4arch9wavefront6targetE0EEEvT1_
                                        ; -- End function
	.section	.AMDGPU.csdata,"",@progbits
; Kernel info:
; codeLenInByte = 0
; NumSgprs: 0
; NumVgprs: 0
; ScratchSize: 0
; MemoryBound: 0
; FloatMode: 240
; IeeeMode: 1
; LDSByteSize: 0 bytes/workgroup (compile time only)
; SGPRBlocks: 0
; VGPRBlocks: 0
; NumSGPRsForWavesPerEU: 1
; NumVGPRsForWavesPerEU: 1
; Occupancy: 16
; WaveLimiterHint : 0
; COMPUTE_PGM_RSRC2:SCRATCH_EN: 0
; COMPUTE_PGM_RSRC2:USER_SGPR: 15
; COMPUTE_PGM_RSRC2:TRAP_HANDLER: 0
; COMPUTE_PGM_RSRC2:TGID_X_EN: 1
; COMPUTE_PGM_RSRC2:TGID_Y_EN: 0
; COMPUTE_PGM_RSRC2:TGID_Z_EN: 0
; COMPUTE_PGM_RSRC2:TIDIG_COMP_CNT: 0
	.section	.text._ZN7rocprim17ROCPRIM_400000_NS6detail17trampoline_kernelINS0_14default_configENS1_25partition_config_selectorILNS1_17partition_subalgoE9EtjbEEZZNS1_14partition_implILS5_9ELb0ES3_jN6thrust23THRUST_200600_302600_NS6detail15normal_iteratorINS9_10device_ptrItEEEENSB_INSC_IjEEEEPNS0_10empty_typeENS0_5tupleIJNS9_16discard_iteratorINS9_11use_defaultEEESH_EEENSJ_IJSM_SI_EEENS0_18inequality_wrapperINS9_8equal_toItEEEEPmJSH_EEE10hipError_tPvRmT3_T4_T5_T6_T7_T9_mT8_P12ihipStream_tbDpT10_ENKUlT_T0_E_clISt17integral_constantIbLb1EES1D_EEDaS18_S19_EUlS18_E_NS1_11comp_targetILNS1_3genE0ELNS1_11target_archE4294967295ELNS1_3gpuE0ELNS1_3repE0EEENS1_30default_config_static_selectorELNS0_4arch9wavefront6targetE0EEEvT1_,"axG",@progbits,_ZN7rocprim17ROCPRIM_400000_NS6detail17trampoline_kernelINS0_14default_configENS1_25partition_config_selectorILNS1_17partition_subalgoE9EtjbEEZZNS1_14partition_implILS5_9ELb0ES3_jN6thrust23THRUST_200600_302600_NS6detail15normal_iteratorINS9_10device_ptrItEEEENSB_INSC_IjEEEEPNS0_10empty_typeENS0_5tupleIJNS9_16discard_iteratorINS9_11use_defaultEEESH_EEENSJ_IJSM_SI_EEENS0_18inequality_wrapperINS9_8equal_toItEEEEPmJSH_EEE10hipError_tPvRmT3_T4_T5_T6_T7_T9_mT8_P12ihipStream_tbDpT10_ENKUlT_T0_E_clISt17integral_constantIbLb1EES1D_EEDaS18_S19_EUlS18_E_NS1_11comp_targetILNS1_3genE0ELNS1_11target_archE4294967295ELNS1_3gpuE0ELNS1_3repE0EEENS1_30default_config_static_selectorELNS0_4arch9wavefront6targetE0EEEvT1_,comdat
	.protected	_ZN7rocprim17ROCPRIM_400000_NS6detail17trampoline_kernelINS0_14default_configENS1_25partition_config_selectorILNS1_17partition_subalgoE9EtjbEEZZNS1_14partition_implILS5_9ELb0ES3_jN6thrust23THRUST_200600_302600_NS6detail15normal_iteratorINS9_10device_ptrItEEEENSB_INSC_IjEEEEPNS0_10empty_typeENS0_5tupleIJNS9_16discard_iteratorINS9_11use_defaultEEESH_EEENSJ_IJSM_SI_EEENS0_18inequality_wrapperINS9_8equal_toItEEEEPmJSH_EEE10hipError_tPvRmT3_T4_T5_T6_T7_T9_mT8_P12ihipStream_tbDpT10_ENKUlT_T0_E_clISt17integral_constantIbLb1EES1D_EEDaS18_S19_EUlS18_E_NS1_11comp_targetILNS1_3genE0ELNS1_11target_archE4294967295ELNS1_3gpuE0ELNS1_3repE0EEENS1_30default_config_static_selectorELNS0_4arch9wavefront6targetE0EEEvT1_ ; -- Begin function _ZN7rocprim17ROCPRIM_400000_NS6detail17trampoline_kernelINS0_14default_configENS1_25partition_config_selectorILNS1_17partition_subalgoE9EtjbEEZZNS1_14partition_implILS5_9ELb0ES3_jN6thrust23THRUST_200600_302600_NS6detail15normal_iteratorINS9_10device_ptrItEEEENSB_INSC_IjEEEEPNS0_10empty_typeENS0_5tupleIJNS9_16discard_iteratorINS9_11use_defaultEEESH_EEENSJ_IJSM_SI_EEENS0_18inequality_wrapperINS9_8equal_toItEEEEPmJSH_EEE10hipError_tPvRmT3_T4_T5_T6_T7_T9_mT8_P12ihipStream_tbDpT10_ENKUlT_T0_E_clISt17integral_constantIbLb1EES1D_EEDaS18_S19_EUlS18_E_NS1_11comp_targetILNS1_3genE0ELNS1_11target_archE4294967295ELNS1_3gpuE0ELNS1_3repE0EEENS1_30default_config_static_selectorELNS0_4arch9wavefront6targetE0EEEvT1_
	.globl	_ZN7rocprim17ROCPRIM_400000_NS6detail17trampoline_kernelINS0_14default_configENS1_25partition_config_selectorILNS1_17partition_subalgoE9EtjbEEZZNS1_14partition_implILS5_9ELb0ES3_jN6thrust23THRUST_200600_302600_NS6detail15normal_iteratorINS9_10device_ptrItEEEENSB_INSC_IjEEEEPNS0_10empty_typeENS0_5tupleIJNS9_16discard_iteratorINS9_11use_defaultEEESH_EEENSJ_IJSM_SI_EEENS0_18inequality_wrapperINS9_8equal_toItEEEEPmJSH_EEE10hipError_tPvRmT3_T4_T5_T6_T7_T9_mT8_P12ihipStream_tbDpT10_ENKUlT_T0_E_clISt17integral_constantIbLb1EES1D_EEDaS18_S19_EUlS18_E_NS1_11comp_targetILNS1_3genE0ELNS1_11target_archE4294967295ELNS1_3gpuE0ELNS1_3repE0EEENS1_30default_config_static_selectorELNS0_4arch9wavefront6targetE0EEEvT1_
	.p2align	8
	.type	_ZN7rocprim17ROCPRIM_400000_NS6detail17trampoline_kernelINS0_14default_configENS1_25partition_config_selectorILNS1_17partition_subalgoE9EtjbEEZZNS1_14partition_implILS5_9ELb0ES3_jN6thrust23THRUST_200600_302600_NS6detail15normal_iteratorINS9_10device_ptrItEEEENSB_INSC_IjEEEEPNS0_10empty_typeENS0_5tupleIJNS9_16discard_iteratorINS9_11use_defaultEEESH_EEENSJ_IJSM_SI_EEENS0_18inequality_wrapperINS9_8equal_toItEEEEPmJSH_EEE10hipError_tPvRmT3_T4_T5_T6_T7_T9_mT8_P12ihipStream_tbDpT10_ENKUlT_T0_E_clISt17integral_constantIbLb1EES1D_EEDaS18_S19_EUlS18_E_NS1_11comp_targetILNS1_3genE0ELNS1_11target_archE4294967295ELNS1_3gpuE0ELNS1_3repE0EEENS1_30default_config_static_selectorELNS0_4arch9wavefront6targetE0EEEvT1_,@function
_ZN7rocprim17ROCPRIM_400000_NS6detail17trampoline_kernelINS0_14default_configENS1_25partition_config_selectorILNS1_17partition_subalgoE9EtjbEEZZNS1_14partition_implILS5_9ELb0ES3_jN6thrust23THRUST_200600_302600_NS6detail15normal_iteratorINS9_10device_ptrItEEEENSB_INSC_IjEEEEPNS0_10empty_typeENS0_5tupleIJNS9_16discard_iteratorINS9_11use_defaultEEESH_EEENSJ_IJSM_SI_EEENS0_18inequality_wrapperINS9_8equal_toItEEEEPmJSH_EEE10hipError_tPvRmT3_T4_T5_T6_T7_T9_mT8_P12ihipStream_tbDpT10_ENKUlT_T0_E_clISt17integral_constantIbLb1EES1D_EEDaS18_S19_EUlS18_E_NS1_11comp_targetILNS1_3genE0ELNS1_11target_archE4294967295ELNS1_3gpuE0ELNS1_3repE0EEENS1_30default_config_static_selectorELNS0_4arch9wavefront6targetE0EEEvT1_: ; @_ZN7rocprim17ROCPRIM_400000_NS6detail17trampoline_kernelINS0_14default_configENS1_25partition_config_selectorILNS1_17partition_subalgoE9EtjbEEZZNS1_14partition_implILS5_9ELb0ES3_jN6thrust23THRUST_200600_302600_NS6detail15normal_iteratorINS9_10device_ptrItEEEENSB_INSC_IjEEEEPNS0_10empty_typeENS0_5tupleIJNS9_16discard_iteratorINS9_11use_defaultEEESH_EEENSJ_IJSM_SI_EEENS0_18inequality_wrapperINS9_8equal_toItEEEEPmJSH_EEE10hipError_tPvRmT3_T4_T5_T6_T7_T9_mT8_P12ihipStream_tbDpT10_ENKUlT_T0_E_clISt17integral_constantIbLb1EES1D_EEDaS18_S19_EUlS18_E_NS1_11comp_targetILNS1_3genE0ELNS1_11target_archE4294967295ELNS1_3gpuE0ELNS1_3repE0EEENS1_30default_config_static_selectorELNS0_4arch9wavefront6targetE0EEEvT1_
; %bb.0:
	.section	.rodata,"a",@progbits
	.p2align	6, 0x0
	.amdhsa_kernel _ZN7rocprim17ROCPRIM_400000_NS6detail17trampoline_kernelINS0_14default_configENS1_25partition_config_selectorILNS1_17partition_subalgoE9EtjbEEZZNS1_14partition_implILS5_9ELb0ES3_jN6thrust23THRUST_200600_302600_NS6detail15normal_iteratorINS9_10device_ptrItEEEENSB_INSC_IjEEEEPNS0_10empty_typeENS0_5tupleIJNS9_16discard_iteratorINS9_11use_defaultEEESH_EEENSJ_IJSM_SI_EEENS0_18inequality_wrapperINS9_8equal_toItEEEEPmJSH_EEE10hipError_tPvRmT3_T4_T5_T6_T7_T9_mT8_P12ihipStream_tbDpT10_ENKUlT_T0_E_clISt17integral_constantIbLb1EES1D_EEDaS18_S19_EUlS18_E_NS1_11comp_targetILNS1_3genE0ELNS1_11target_archE4294967295ELNS1_3gpuE0ELNS1_3repE0EEENS1_30default_config_static_selectorELNS0_4arch9wavefront6targetE0EEEvT1_
		.amdhsa_group_segment_fixed_size 0
		.amdhsa_private_segment_fixed_size 0
		.amdhsa_kernarg_size 144
		.amdhsa_user_sgpr_count 15
		.amdhsa_user_sgpr_dispatch_ptr 0
		.amdhsa_user_sgpr_queue_ptr 0
		.amdhsa_user_sgpr_kernarg_segment_ptr 1
		.amdhsa_user_sgpr_dispatch_id 0
		.amdhsa_user_sgpr_private_segment_size 0
		.amdhsa_wavefront_size32 1
		.amdhsa_uses_dynamic_stack 0
		.amdhsa_enable_private_segment 0
		.amdhsa_system_sgpr_workgroup_id_x 1
		.amdhsa_system_sgpr_workgroup_id_y 0
		.amdhsa_system_sgpr_workgroup_id_z 0
		.amdhsa_system_sgpr_workgroup_info 0
		.amdhsa_system_vgpr_workitem_id 0
		.amdhsa_next_free_vgpr 1
		.amdhsa_next_free_sgpr 1
		.amdhsa_reserve_vcc 0
		.amdhsa_float_round_mode_32 0
		.amdhsa_float_round_mode_16_64 0
		.amdhsa_float_denorm_mode_32 3
		.amdhsa_float_denorm_mode_16_64 3
		.amdhsa_dx10_clamp 1
		.amdhsa_ieee_mode 1
		.amdhsa_fp16_overflow 0
		.amdhsa_workgroup_processor_mode 1
		.amdhsa_memory_ordered 1
		.amdhsa_forward_progress 0
		.amdhsa_shared_vgpr_count 0
		.amdhsa_exception_fp_ieee_invalid_op 0
		.amdhsa_exception_fp_denorm_src 0
		.amdhsa_exception_fp_ieee_div_zero 0
		.amdhsa_exception_fp_ieee_overflow 0
		.amdhsa_exception_fp_ieee_underflow 0
		.amdhsa_exception_fp_ieee_inexact 0
		.amdhsa_exception_int_div_zero 0
	.end_amdhsa_kernel
	.section	.text._ZN7rocprim17ROCPRIM_400000_NS6detail17trampoline_kernelINS0_14default_configENS1_25partition_config_selectorILNS1_17partition_subalgoE9EtjbEEZZNS1_14partition_implILS5_9ELb0ES3_jN6thrust23THRUST_200600_302600_NS6detail15normal_iteratorINS9_10device_ptrItEEEENSB_INSC_IjEEEEPNS0_10empty_typeENS0_5tupleIJNS9_16discard_iteratorINS9_11use_defaultEEESH_EEENSJ_IJSM_SI_EEENS0_18inequality_wrapperINS9_8equal_toItEEEEPmJSH_EEE10hipError_tPvRmT3_T4_T5_T6_T7_T9_mT8_P12ihipStream_tbDpT10_ENKUlT_T0_E_clISt17integral_constantIbLb1EES1D_EEDaS18_S19_EUlS18_E_NS1_11comp_targetILNS1_3genE0ELNS1_11target_archE4294967295ELNS1_3gpuE0ELNS1_3repE0EEENS1_30default_config_static_selectorELNS0_4arch9wavefront6targetE0EEEvT1_,"axG",@progbits,_ZN7rocprim17ROCPRIM_400000_NS6detail17trampoline_kernelINS0_14default_configENS1_25partition_config_selectorILNS1_17partition_subalgoE9EtjbEEZZNS1_14partition_implILS5_9ELb0ES3_jN6thrust23THRUST_200600_302600_NS6detail15normal_iteratorINS9_10device_ptrItEEEENSB_INSC_IjEEEEPNS0_10empty_typeENS0_5tupleIJNS9_16discard_iteratorINS9_11use_defaultEEESH_EEENSJ_IJSM_SI_EEENS0_18inequality_wrapperINS9_8equal_toItEEEEPmJSH_EEE10hipError_tPvRmT3_T4_T5_T6_T7_T9_mT8_P12ihipStream_tbDpT10_ENKUlT_T0_E_clISt17integral_constantIbLb1EES1D_EEDaS18_S19_EUlS18_E_NS1_11comp_targetILNS1_3genE0ELNS1_11target_archE4294967295ELNS1_3gpuE0ELNS1_3repE0EEENS1_30default_config_static_selectorELNS0_4arch9wavefront6targetE0EEEvT1_,comdat
.Lfunc_end893:
	.size	_ZN7rocprim17ROCPRIM_400000_NS6detail17trampoline_kernelINS0_14default_configENS1_25partition_config_selectorILNS1_17partition_subalgoE9EtjbEEZZNS1_14partition_implILS5_9ELb0ES3_jN6thrust23THRUST_200600_302600_NS6detail15normal_iteratorINS9_10device_ptrItEEEENSB_INSC_IjEEEEPNS0_10empty_typeENS0_5tupleIJNS9_16discard_iteratorINS9_11use_defaultEEESH_EEENSJ_IJSM_SI_EEENS0_18inequality_wrapperINS9_8equal_toItEEEEPmJSH_EEE10hipError_tPvRmT3_T4_T5_T6_T7_T9_mT8_P12ihipStream_tbDpT10_ENKUlT_T0_E_clISt17integral_constantIbLb1EES1D_EEDaS18_S19_EUlS18_E_NS1_11comp_targetILNS1_3genE0ELNS1_11target_archE4294967295ELNS1_3gpuE0ELNS1_3repE0EEENS1_30default_config_static_selectorELNS0_4arch9wavefront6targetE0EEEvT1_, .Lfunc_end893-_ZN7rocprim17ROCPRIM_400000_NS6detail17trampoline_kernelINS0_14default_configENS1_25partition_config_selectorILNS1_17partition_subalgoE9EtjbEEZZNS1_14partition_implILS5_9ELb0ES3_jN6thrust23THRUST_200600_302600_NS6detail15normal_iteratorINS9_10device_ptrItEEEENSB_INSC_IjEEEEPNS0_10empty_typeENS0_5tupleIJNS9_16discard_iteratorINS9_11use_defaultEEESH_EEENSJ_IJSM_SI_EEENS0_18inequality_wrapperINS9_8equal_toItEEEEPmJSH_EEE10hipError_tPvRmT3_T4_T5_T6_T7_T9_mT8_P12ihipStream_tbDpT10_ENKUlT_T0_E_clISt17integral_constantIbLb1EES1D_EEDaS18_S19_EUlS18_E_NS1_11comp_targetILNS1_3genE0ELNS1_11target_archE4294967295ELNS1_3gpuE0ELNS1_3repE0EEENS1_30default_config_static_selectorELNS0_4arch9wavefront6targetE0EEEvT1_
                                        ; -- End function
	.section	.AMDGPU.csdata,"",@progbits
; Kernel info:
; codeLenInByte = 0
; NumSgprs: 0
; NumVgprs: 0
; ScratchSize: 0
; MemoryBound: 0
; FloatMode: 240
; IeeeMode: 1
; LDSByteSize: 0 bytes/workgroup (compile time only)
; SGPRBlocks: 0
; VGPRBlocks: 0
; NumSGPRsForWavesPerEU: 1
; NumVGPRsForWavesPerEU: 1
; Occupancy: 16
; WaveLimiterHint : 0
; COMPUTE_PGM_RSRC2:SCRATCH_EN: 0
; COMPUTE_PGM_RSRC2:USER_SGPR: 15
; COMPUTE_PGM_RSRC2:TRAP_HANDLER: 0
; COMPUTE_PGM_RSRC2:TGID_X_EN: 1
; COMPUTE_PGM_RSRC2:TGID_Y_EN: 0
; COMPUTE_PGM_RSRC2:TGID_Z_EN: 0
; COMPUTE_PGM_RSRC2:TIDIG_COMP_CNT: 0
	.section	.text._ZN7rocprim17ROCPRIM_400000_NS6detail17trampoline_kernelINS0_14default_configENS1_25partition_config_selectorILNS1_17partition_subalgoE9EtjbEEZZNS1_14partition_implILS5_9ELb0ES3_jN6thrust23THRUST_200600_302600_NS6detail15normal_iteratorINS9_10device_ptrItEEEENSB_INSC_IjEEEEPNS0_10empty_typeENS0_5tupleIJNS9_16discard_iteratorINS9_11use_defaultEEESH_EEENSJ_IJSM_SI_EEENS0_18inequality_wrapperINS9_8equal_toItEEEEPmJSH_EEE10hipError_tPvRmT3_T4_T5_T6_T7_T9_mT8_P12ihipStream_tbDpT10_ENKUlT_T0_E_clISt17integral_constantIbLb1EES1D_EEDaS18_S19_EUlS18_E_NS1_11comp_targetILNS1_3genE5ELNS1_11target_archE942ELNS1_3gpuE9ELNS1_3repE0EEENS1_30default_config_static_selectorELNS0_4arch9wavefront6targetE0EEEvT1_,"axG",@progbits,_ZN7rocprim17ROCPRIM_400000_NS6detail17trampoline_kernelINS0_14default_configENS1_25partition_config_selectorILNS1_17partition_subalgoE9EtjbEEZZNS1_14partition_implILS5_9ELb0ES3_jN6thrust23THRUST_200600_302600_NS6detail15normal_iteratorINS9_10device_ptrItEEEENSB_INSC_IjEEEEPNS0_10empty_typeENS0_5tupleIJNS9_16discard_iteratorINS9_11use_defaultEEESH_EEENSJ_IJSM_SI_EEENS0_18inequality_wrapperINS9_8equal_toItEEEEPmJSH_EEE10hipError_tPvRmT3_T4_T5_T6_T7_T9_mT8_P12ihipStream_tbDpT10_ENKUlT_T0_E_clISt17integral_constantIbLb1EES1D_EEDaS18_S19_EUlS18_E_NS1_11comp_targetILNS1_3genE5ELNS1_11target_archE942ELNS1_3gpuE9ELNS1_3repE0EEENS1_30default_config_static_selectorELNS0_4arch9wavefront6targetE0EEEvT1_,comdat
	.protected	_ZN7rocprim17ROCPRIM_400000_NS6detail17trampoline_kernelINS0_14default_configENS1_25partition_config_selectorILNS1_17partition_subalgoE9EtjbEEZZNS1_14partition_implILS5_9ELb0ES3_jN6thrust23THRUST_200600_302600_NS6detail15normal_iteratorINS9_10device_ptrItEEEENSB_INSC_IjEEEEPNS0_10empty_typeENS0_5tupleIJNS9_16discard_iteratorINS9_11use_defaultEEESH_EEENSJ_IJSM_SI_EEENS0_18inequality_wrapperINS9_8equal_toItEEEEPmJSH_EEE10hipError_tPvRmT3_T4_T5_T6_T7_T9_mT8_P12ihipStream_tbDpT10_ENKUlT_T0_E_clISt17integral_constantIbLb1EES1D_EEDaS18_S19_EUlS18_E_NS1_11comp_targetILNS1_3genE5ELNS1_11target_archE942ELNS1_3gpuE9ELNS1_3repE0EEENS1_30default_config_static_selectorELNS0_4arch9wavefront6targetE0EEEvT1_ ; -- Begin function _ZN7rocprim17ROCPRIM_400000_NS6detail17trampoline_kernelINS0_14default_configENS1_25partition_config_selectorILNS1_17partition_subalgoE9EtjbEEZZNS1_14partition_implILS5_9ELb0ES3_jN6thrust23THRUST_200600_302600_NS6detail15normal_iteratorINS9_10device_ptrItEEEENSB_INSC_IjEEEEPNS0_10empty_typeENS0_5tupleIJNS9_16discard_iteratorINS9_11use_defaultEEESH_EEENSJ_IJSM_SI_EEENS0_18inequality_wrapperINS9_8equal_toItEEEEPmJSH_EEE10hipError_tPvRmT3_T4_T5_T6_T7_T9_mT8_P12ihipStream_tbDpT10_ENKUlT_T0_E_clISt17integral_constantIbLb1EES1D_EEDaS18_S19_EUlS18_E_NS1_11comp_targetILNS1_3genE5ELNS1_11target_archE942ELNS1_3gpuE9ELNS1_3repE0EEENS1_30default_config_static_selectorELNS0_4arch9wavefront6targetE0EEEvT1_
	.globl	_ZN7rocprim17ROCPRIM_400000_NS6detail17trampoline_kernelINS0_14default_configENS1_25partition_config_selectorILNS1_17partition_subalgoE9EtjbEEZZNS1_14partition_implILS5_9ELb0ES3_jN6thrust23THRUST_200600_302600_NS6detail15normal_iteratorINS9_10device_ptrItEEEENSB_INSC_IjEEEEPNS0_10empty_typeENS0_5tupleIJNS9_16discard_iteratorINS9_11use_defaultEEESH_EEENSJ_IJSM_SI_EEENS0_18inequality_wrapperINS9_8equal_toItEEEEPmJSH_EEE10hipError_tPvRmT3_T4_T5_T6_T7_T9_mT8_P12ihipStream_tbDpT10_ENKUlT_T0_E_clISt17integral_constantIbLb1EES1D_EEDaS18_S19_EUlS18_E_NS1_11comp_targetILNS1_3genE5ELNS1_11target_archE942ELNS1_3gpuE9ELNS1_3repE0EEENS1_30default_config_static_selectorELNS0_4arch9wavefront6targetE0EEEvT1_
	.p2align	8
	.type	_ZN7rocprim17ROCPRIM_400000_NS6detail17trampoline_kernelINS0_14default_configENS1_25partition_config_selectorILNS1_17partition_subalgoE9EtjbEEZZNS1_14partition_implILS5_9ELb0ES3_jN6thrust23THRUST_200600_302600_NS6detail15normal_iteratorINS9_10device_ptrItEEEENSB_INSC_IjEEEEPNS0_10empty_typeENS0_5tupleIJNS9_16discard_iteratorINS9_11use_defaultEEESH_EEENSJ_IJSM_SI_EEENS0_18inequality_wrapperINS9_8equal_toItEEEEPmJSH_EEE10hipError_tPvRmT3_T4_T5_T6_T7_T9_mT8_P12ihipStream_tbDpT10_ENKUlT_T0_E_clISt17integral_constantIbLb1EES1D_EEDaS18_S19_EUlS18_E_NS1_11comp_targetILNS1_3genE5ELNS1_11target_archE942ELNS1_3gpuE9ELNS1_3repE0EEENS1_30default_config_static_selectorELNS0_4arch9wavefront6targetE0EEEvT1_,@function
_ZN7rocprim17ROCPRIM_400000_NS6detail17trampoline_kernelINS0_14default_configENS1_25partition_config_selectorILNS1_17partition_subalgoE9EtjbEEZZNS1_14partition_implILS5_9ELb0ES3_jN6thrust23THRUST_200600_302600_NS6detail15normal_iteratorINS9_10device_ptrItEEEENSB_INSC_IjEEEEPNS0_10empty_typeENS0_5tupleIJNS9_16discard_iteratorINS9_11use_defaultEEESH_EEENSJ_IJSM_SI_EEENS0_18inequality_wrapperINS9_8equal_toItEEEEPmJSH_EEE10hipError_tPvRmT3_T4_T5_T6_T7_T9_mT8_P12ihipStream_tbDpT10_ENKUlT_T0_E_clISt17integral_constantIbLb1EES1D_EEDaS18_S19_EUlS18_E_NS1_11comp_targetILNS1_3genE5ELNS1_11target_archE942ELNS1_3gpuE9ELNS1_3repE0EEENS1_30default_config_static_selectorELNS0_4arch9wavefront6targetE0EEEvT1_: ; @_ZN7rocprim17ROCPRIM_400000_NS6detail17trampoline_kernelINS0_14default_configENS1_25partition_config_selectorILNS1_17partition_subalgoE9EtjbEEZZNS1_14partition_implILS5_9ELb0ES3_jN6thrust23THRUST_200600_302600_NS6detail15normal_iteratorINS9_10device_ptrItEEEENSB_INSC_IjEEEEPNS0_10empty_typeENS0_5tupleIJNS9_16discard_iteratorINS9_11use_defaultEEESH_EEENSJ_IJSM_SI_EEENS0_18inequality_wrapperINS9_8equal_toItEEEEPmJSH_EEE10hipError_tPvRmT3_T4_T5_T6_T7_T9_mT8_P12ihipStream_tbDpT10_ENKUlT_T0_E_clISt17integral_constantIbLb1EES1D_EEDaS18_S19_EUlS18_E_NS1_11comp_targetILNS1_3genE5ELNS1_11target_archE942ELNS1_3gpuE9ELNS1_3repE0EEENS1_30default_config_static_selectorELNS0_4arch9wavefront6targetE0EEEvT1_
; %bb.0:
	.section	.rodata,"a",@progbits
	.p2align	6, 0x0
	.amdhsa_kernel _ZN7rocprim17ROCPRIM_400000_NS6detail17trampoline_kernelINS0_14default_configENS1_25partition_config_selectorILNS1_17partition_subalgoE9EtjbEEZZNS1_14partition_implILS5_9ELb0ES3_jN6thrust23THRUST_200600_302600_NS6detail15normal_iteratorINS9_10device_ptrItEEEENSB_INSC_IjEEEEPNS0_10empty_typeENS0_5tupleIJNS9_16discard_iteratorINS9_11use_defaultEEESH_EEENSJ_IJSM_SI_EEENS0_18inequality_wrapperINS9_8equal_toItEEEEPmJSH_EEE10hipError_tPvRmT3_T4_T5_T6_T7_T9_mT8_P12ihipStream_tbDpT10_ENKUlT_T0_E_clISt17integral_constantIbLb1EES1D_EEDaS18_S19_EUlS18_E_NS1_11comp_targetILNS1_3genE5ELNS1_11target_archE942ELNS1_3gpuE9ELNS1_3repE0EEENS1_30default_config_static_selectorELNS0_4arch9wavefront6targetE0EEEvT1_
		.amdhsa_group_segment_fixed_size 0
		.amdhsa_private_segment_fixed_size 0
		.amdhsa_kernarg_size 144
		.amdhsa_user_sgpr_count 15
		.amdhsa_user_sgpr_dispatch_ptr 0
		.amdhsa_user_sgpr_queue_ptr 0
		.amdhsa_user_sgpr_kernarg_segment_ptr 1
		.amdhsa_user_sgpr_dispatch_id 0
		.amdhsa_user_sgpr_private_segment_size 0
		.amdhsa_wavefront_size32 1
		.amdhsa_uses_dynamic_stack 0
		.amdhsa_enable_private_segment 0
		.amdhsa_system_sgpr_workgroup_id_x 1
		.amdhsa_system_sgpr_workgroup_id_y 0
		.amdhsa_system_sgpr_workgroup_id_z 0
		.amdhsa_system_sgpr_workgroup_info 0
		.amdhsa_system_vgpr_workitem_id 0
		.amdhsa_next_free_vgpr 1
		.amdhsa_next_free_sgpr 1
		.amdhsa_reserve_vcc 0
		.amdhsa_float_round_mode_32 0
		.amdhsa_float_round_mode_16_64 0
		.amdhsa_float_denorm_mode_32 3
		.amdhsa_float_denorm_mode_16_64 3
		.amdhsa_dx10_clamp 1
		.amdhsa_ieee_mode 1
		.amdhsa_fp16_overflow 0
		.amdhsa_workgroup_processor_mode 1
		.amdhsa_memory_ordered 1
		.amdhsa_forward_progress 0
		.amdhsa_shared_vgpr_count 0
		.amdhsa_exception_fp_ieee_invalid_op 0
		.amdhsa_exception_fp_denorm_src 0
		.amdhsa_exception_fp_ieee_div_zero 0
		.amdhsa_exception_fp_ieee_overflow 0
		.amdhsa_exception_fp_ieee_underflow 0
		.amdhsa_exception_fp_ieee_inexact 0
		.amdhsa_exception_int_div_zero 0
	.end_amdhsa_kernel
	.section	.text._ZN7rocprim17ROCPRIM_400000_NS6detail17trampoline_kernelINS0_14default_configENS1_25partition_config_selectorILNS1_17partition_subalgoE9EtjbEEZZNS1_14partition_implILS5_9ELb0ES3_jN6thrust23THRUST_200600_302600_NS6detail15normal_iteratorINS9_10device_ptrItEEEENSB_INSC_IjEEEEPNS0_10empty_typeENS0_5tupleIJNS9_16discard_iteratorINS9_11use_defaultEEESH_EEENSJ_IJSM_SI_EEENS0_18inequality_wrapperINS9_8equal_toItEEEEPmJSH_EEE10hipError_tPvRmT3_T4_T5_T6_T7_T9_mT8_P12ihipStream_tbDpT10_ENKUlT_T0_E_clISt17integral_constantIbLb1EES1D_EEDaS18_S19_EUlS18_E_NS1_11comp_targetILNS1_3genE5ELNS1_11target_archE942ELNS1_3gpuE9ELNS1_3repE0EEENS1_30default_config_static_selectorELNS0_4arch9wavefront6targetE0EEEvT1_,"axG",@progbits,_ZN7rocprim17ROCPRIM_400000_NS6detail17trampoline_kernelINS0_14default_configENS1_25partition_config_selectorILNS1_17partition_subalgoE9EtjbEEZZNS1_14partition_implILS5_9ELb0ES3_jN6thrust23THRUST_200600_302600_NS6detail15normal_iteratorINS9_10device_ptrItEEEENSB_INSC_IjEEEEPNS0_10empty_typeENS0_5tupleIJNS9_16discard_iteratorINS9_11use_defaultEEESH_EEENSJ_IJSM_SI_EEENS0_18inequality_wrapperINS9_8equal_toItEEEEPmJSH_EEE10hipError_tPvRmT3_T4_T5_T6_T7_T9_mT8_P12ihipStream_tbDpT10_ENKUlT_T0_E_clISt17integral_constantIbLb1EES1D_EEDaS18_S19_EUlS18_E_NS1_11comp_targetILNS1_3genE5ELNS1_11target_archE942ELNS1_3gpuE9ELNS1_3repE0EEENS1_30default_config_static_selectorELNS0_4arch9wavefront6targetE0EEEvT1_,comdat
.Lfunc_end894:
	.size	_ZN7rocprim17ROCPRIM_400000_NS6detail17trampoline_kernelINS0_14default_configENS1_25partition_config_selectorILNS1_17partition_subalgoE9EtjbEEZZNS1_14partition_implILS5_9ELb0ES3_jN6thrust23THRUST_200600_302600_NS6detail15normal_iteratorINS9_10device_ptrItEEEENSB_INSC_IjEEEEPNS0_10empty_typeENS0_5tupleIJNS9_16discard_iteratorINS9_11use_defaultEEESH_EEENSJ_IJSM_SI_EEENS0_18inequality_wrapperINS9_8equal_toItEEEEPmJSH_EEE10hipError_tPvRmT3_T4_T5_T6_T7_T9_mT8_P12ihipStream_tbDpT10_ENKUlT_T0_E_clISt17integral_constantIbLb1EES1D_EEDaS18_S19_EUlS18_E_NS1_11comp_targetILNS1_3genE5ELNS1_11target_archE942ELNS1_3gpuE9ELNS1_3repE0EEENS1_30default_config_static_selectorELNS0_4arch9wavefront6targetE0EEEvT1_, .Lfunc_end894-_ZN7rocprim17ROCPRIM_400000_NS6detail17trampoline_kernelINS0_14default_configENS1_25partition_config_selectorILNS1_17partition_subalgoE9EtjbEEZZNS1_14partition_implILS5_9ELb0ES3_jN6thrust23THRUST_200600_302600_NS6detail15normal_iteratorINS9_10device_ptrItEEEENSB_INSC_IjEEEEPNS0_10empty_typeENS0_5tupleIJNS9_16discard_iteratorINS9_11use_defaultEEESH_EEENSJ_IJSM_SI_EEENS0_18inequality_wrapperINS9_8equal_toItEEEEPmJSH_EEE10hipError_tPvRmT3_T4_T5_T6_T7_T9_mT8_P12ihipStream_tbDpT10_ENKUlT_T0_E_clISt17integral_constantIbLb1EES1D_EEDaS18_S19_EUlS18_E_NS1_11comp_targetILNS1_3genE5ELNS1_11target_archE942ELNS1_3gpuE9ELNS1_3repE0EEENS1_30default_config_static_selectorELNS0_4arch9wavefront6targetE0EEEvT1_
                                        ; -- End function
	.section	.AMDGPU.csdata,"",@progbits
; Kernel info:
; codeLenInByte = 0
; NumSgprs: 0
; NumVgprs: 0
; ScratchSize: 0
; MemoryBound: 0
; FloatMode: 240
; IeeeMode: 1
; LDSByteSize: 0 bytes/workgroup (compile time only)
; SGPRBlocks: 0
; VGPRBlocks: 0
; NumSGPRsForWavesPerEU: 1
; NumVGPRsForWavesPerEU: 1
; Occupancy: 16
; WaveLimiterHint : 0
; COMPUTE_PGM_RSRC2:SCRATCH_EN: 0
; COMPUTE_PGM_RSRC2:USER_SGPR: 15
; COMPUTE_PGM_RSRC2:TRAP_HANDLER: 0
; COMPUTE_PGM_RSRC2:TGID_X_EN: 1
; COMPUTE_PGM_RSRC2:TGID_Y_EN: 0
; COMPUTE_PGM_RSRC2:TGID_Z_EN: 0
; COMPUTE_PGM_RSRC2:TIDIG_COMP_CNT: 0
	.section	.text._ZN7rocprim17ROCPRIM_400000_NS6detail17trampoline_kernelINS0_14default_configENS1_25partition_config_selectorILNS1_17partition_subalgoE9EtjbEEZZNS1_14partition_implILS5_9ELb0ES3_jN6thrust23THRUST_200600_302600_NS6detail15normal_iteratorINS9_10device_ptrItEEEENSB_INSC_IjEEEEPNS0_10empty_typeENS0_5tupleIJNS9_16discard_iteratorINS9_11use_defaultEEESH_EEENSJ_IJSM_SI_EEENS0_18inequality_wrapperINS9_8equal_toItEEEEPmJSH_EEE10hipError_tPvRmT3_T4_T5_T6_T7_T9_mT8_P12ihipStream_tbDpT10_ENKUlT_T0_E_clISt17integral_constantIbLb1EES1D_EEDaS18_S19_EUlS18_E_NS1_11comp_targetILNS1_3genE4ELNS1_11target_archE910ELNS1_3gpuE8ELNS1_3repE0EEENS1_30default_config_static_selectorELNS0_4arch9wavefront6targetE0EEEvT1_,"axG",@progbits,_ZN7rocprim17ROCPRIM_400000_NS6detail17trampoline_kernelINS0_14default_configENS1_25partition_config_selectorILNS1_17partition_subalgoE9EtjbEEZZNS1_14partition_implILS5_9ELb0ES3_jN6thrust23THRUST_200600_302600_NS6detail15normal_iteratorINS9_10device_ptrItEEEENSB_INSC_IjEEEEPNS0_10empty_typeENS0_5tupleIJNS9_16discard_iteratorINS9_11use_defaultEEESH_EEENSJ_IJSM_SI_EEENS0_18inequality_wrapperINS9_8equal_toItEEEEPmJSH_EEE10hipError_tPvRmT3_T4_T5_T6_T7_T9_mT8_P12ihipStream_tbDpT10_ENKUlT_T0_E_clISt17integral_constantIbLb1EES1D_EEDaS18_S19_EUlS18_E_NS1_11comp_targetILNS1_3genE4ELNS1_11target_archE910ELNS1_3gpuE8ELNS1_3repE0EEENS1_30default_config_static_selectorELNS0_4arch9wavefront6targetE0EEEvT1_,comdat
	.protected	_ZN7rocprim17ROCPRIM_400000_NS6detail17trampoline_kernelINS0_14default_configENS1_25partition_config_selectorILNS1_17partition_subalgoE9EtjbEEZZNS1_14partition_implILS5_9ELb0ES3_jN6thrust23THRUST_200600_302600_NS6detail15normal_iteratorINS9_10device_ptrItEEEENSB_INSC_IjEEEEPNS0_10empty_typeENS0_5tupleIJNS9_16discard_iteratorINS9_11use_defaultEEESH_EEENSJ_IJSM_SI_EEENS0_18inequality_wrapperINS9_8equal_toItEEEEPmJSH_EEE10hipError_tPvRmT3_T4_T5_T6_T7_T9_mT8_P12ihipStream_tbDpT10_ENKUlT_T0_E_clISt17integral_constantIbLb1EES1D_EEDaS18_S19_EUlS18_E_NS1_11comp_targetILNS1_3genE4ELNS1_11target_archE910ELNS1_3gpuE8ELNS1_3repE0EEENS1_30default_config_static_selectorELNS0_4arch9wavefront6targetE0EEEvT1_ ; -- Begin function _ZN7rocprim17ROCPRIM_400000_NS6detail17trampoline_kernelINS0_14default_configENS1_25partition_config_selectorILNS1_17partition_subalgoE9EtjbEEZZNS1_14partition_implILS5_9ELb0ES3_jN6thrust23THRUST_200600_302600_NS6detail15normal_iteratorINS9_10device_ptrItEEEENSB_INSC_IjEEEEPNS0_10empty_typeENS0_5tupleIJNS9_16discard_iteratorINS9_11use_defaultEEESH_EEENSJ_IJSM_SI_EEENS0_18inequality_wrapperINS9_8equal_toItEEEEPmJSH_EEE10hipError_tPvRmT3_T4_T5_T6_T7_T9_mT8_P12ihipStream_tbDpT10_ENKUlT_T0_E_clISt17integral_constantIbLb1EES1D_EEDaS18_S19_EUlS18_E_NS1_11comp_targetILNS1_3genE4ELNS1_11target_archE910ELNS1_3gpuE8ELNS1_3repE0EEENS1_30default_config_static_selectorELNS0_4arch9wavefront6targetE0EEEvT1_
	.globl	_ZN7rocprim17ROCPRIM_400000_NS6detail17trampoline_kernelINS0_14default_configENS1_25partition_config_selectorILNS1_17partition_subalgoE9EtjbEEZZNS1_14partition_implILS5_9ELb0ES3_jN6thrust23THRUST_200600_302600_NS6detail15normal_iteratorINS9_10device_ptrItEEEENSB_INSC_IjEEEEPNS0_10empty_typeENS0_5tupleIJNS9_16discard_iteratorINS9_11use_defaultEEESH_EEENSJ_IJSM_SI_EEENS0_18inequality_wrapperINS9_8equal_toItEEEEPmJSH_EEE10hipError_tPvRmT3_T4_T5_T6_T7_T9_mT8_P12ihipStream_tbDpT10_ENKUlT_T0_E_clISt17integral_constantIbLb1EES1D_EEDaS18_S19_EUlS18_E_NS1_11comp_targetILNS1_3genE4ELNS1_11target_archE910ELNS1_3gpuE8ELNS1_3repE0EEENS1_30default_config_static_selectorELNS0_4arch9wavefront6targetE0EEEvT1_
	.p2align	8
	.type	_ZN7rocprim17ROCPRIM_400000_NS6detail17trampoline_kernelINS0_14default_configENS1_25partition_config_selectorILNS1_17partition_subalgoE9EtjbEEZZNS1_14partition_implILS5_9ELb0ES3_jN6thrust23THRUST_200600_302600_NS6detail15normal_iteratorINS9_10device_ptrItEEEENSB_INSC_IjEEEEPNS0_10empty_typeENS0_5tupleIJNS9_16discard_iteratorINS9_11use_defaultEEESH_EEENSJ_IJSM_SI_EEENS0_18inequality_wrapperINS9_8equal_toItEEEEPmJSH_EEE10hipError_tPvRmT3_T4_T5_T6_T7_T9_mT8_P12ihipStream_tbDpT10_ENKUlT_T0_E_clISt17integral_constantIbLb1EES1D_EEDaS18_S19_EUlS18_E_NS1_11comp_targetILNS1_3genE4ELNS1_11target_archE910ELNS1_3gpuE8ELNS1_3repE0EEENS1_30default_config_static_selectorELNS0_4arch9wavefront6targetE0EEEvT1_,@function
_ZN7rocprim17ROCPRIM_400000_NS6detail17trampoline_kernelINS0_14default_configENS1_25partition_config_selectorILNS1_17partition_subalgoE9EtjbEEZZNS1_14partition_implILS5_9ELb0ES3_jN6thrust23THRUST_200600_302600_NS6detail15normal_iteratorINS9_10device_ptrItEEEENSB_INSC_IjEEEEPNS0_10empty_typeENS0_5tupleIJNS9_16discard_iteratorINS9_11use_defaultEEESH_EEENSJ_IJSM_SI_EEENS0_18inequality_wrapperINS9_8equal_toItEEEEPmJSH_EEE10hipError_tPvRmT3_T4_T5_T6_T7_T9_mT8_P12ihipStream_tbDpT10_ENKUlT_T0_E_clISt17integral_constantIbLb1EES1D_EEDaS18_S19_EUlS18_E_NS1_11comp_targetILNS1_3genE4ELNS1_11target_archE910ELNS1_3gpuE8ELNS1_3repE0EEENS1_30default_config_static_selectorELNS0_4arch9wavefront6targetE0EEEvT1_: ; @_ZN7rocprim17ROCPRIM_400000_NS6detail17trampoline_kernelINS0_14default_configENS1_25partition_config_selectorILNS1_17partition_subalgoE9EtjbEEZZNS1_14partition_implILS5_9ELb0ES3_jN6thrust23THRUST_200600_302600_NS6detail15normal_iteratorINS9_10device_ptrItEEEENSB_INSC_IjEEEEPNS0_10empty_typeENS0_5tupleIJNS9_16discard_iteratorINS9_11use_defaultEEESH_EEENSJ_IJSM_SI_EEENS0_18inequality_wrapperINS9_8equal_toItEEEEPmJSH_EEE10hipError_tPvRmT3_T4_T5_T6_T7_T9_mT8_P12ihipStream_tbDpT10_ENKUlT_T0_E_clISt17integral_constantIbLb1EES1D_EEDaS18_S19_EUlS18_E_NS1_11comp_targetILNS1_3genE4ELNS1_11target_archE910ELNS1_3gpuE8ELNS1_3repE0EEENS1_30default_config_static_selectorELNS0_4arch9wavefront6targetE0EEEvT1_
; %bb.0:
	.section	.rodata,"a",@progbits
	.p2align	6, 0x0
	.amdhsa_kernel _ZN7rocprim17ROCPRIM_400000_NS6detail17trampoline_kernelINS0_14default_configENS1_25partition_config_selectorILNS1_17partition_subalgoE9EtjbEEZZNS1_14partition_implILS5_9ELb0ES3_jN6thrust23THRUST_200600_302600_NS6detail15normal_iteratorINS9_10device_ptrItEEEENSB_INSC_IjEEEEPNS0_10empty_typeENS0_5tupleIJNS9_16discard_iteratorINS9_11use_defaultEEESH_EEENSJ_IJSM_SI_EEENS0_18inequality_wrapperINS9_8equal_toItEEEEPmJSH_EEE10hipError_tPvRmT3_T4_T5_T6_T7_T9_mT8_P12ihipStream_tbDpT10_ENKUlT_T0_E_clISt17integral_constantIbLb1EES1D_EEDaS18_S19_EUlS18_E_NS1_11comp_targetILNS1_3genE4ELNS1_11target_archE910ELNS1_3gpuE8ELNS1_3repE0EEENS1_30default_config_static_selectorELNS0_4arch9wavefront6targetE0EEEvT1_
		.amdhsa_group_segment_fixed_size 0
		.amdhsa_private_segment_fixed_size 0
		.amdhsa_kernarg_size 144
		.amdhsa_user_sgpr_count 15
		.amdhsa_user_sgpr_dispatch_ptr 0
		.amdhsa_user_sgpr_queue_ptr 0
		.amdhsa_user_sgpr_kernarg_segment_ptr 1
		.amdhsa_user_sgpr_dispatch_id 0
		.amdhsa_user_sgpr_private_segment_size 0
		.amdhsa_wavefront_size32 1
		.amdhsa_uses_dynamic_stack 0
		.amdhsa_enable_private_segment 0
		.amdhsa_system_sgpr_workgroup_id_x 1
		.amdhsa_system_sgpr_workgroup_id_y 0
		.amdhsa_system_sgpr_workgroup_id_z 0
		.amdhsa_system_sgpr_workgroup_info 0
		.amdhsa_system_vgpr_workitem_id 0
		.amdhsa_next_free_vgpr 1
		.amdhsa_next_free_sgpr 1
		.amdhsa_reserve_vcc 0
		.amdhsa_float_round_mode_32 0
		.amdhsa_float_round_mode_16_64 0
		.amdhsa_float_denorm_mode_32 3
		.amdhsa_float_denorm_mode_16_64 3
		.amdhsa_dx10_clamp 1
		.amdhsa_ieee_mode 1
		.amdhsa_fp16_overflow 0
		.amdhsa_workgroup_processor_mode 1
		.amdhsa_memory_ordered 1
		.amdhsa_forward_progress 0
		.amdhsa_shared_vgpr_count 0
		.amdhsa_exception_fp_ieee_invalid_op 0
		.amdhsa_exception_fp_denorm_src 0
		.amdhsa_exception_fp_ieee_div_zero 0
		.amdhsa_exception_fp_ieee_overflow 0
		.amdhsa_exception_fp_ieee_underflow 0
		.amdhsa_exception_fp_ieee_inexact 0
		.amdhsa_exception_int_div_zero 0
	.end_amdhsa_kernel
	.section	.text._ZN7rocprim17ROCPRIM_400000_NS6detail17trampoline_kernelINS0_14default_configENS1_25partition_config_selectorILNS1_17partition_subalgoE9EtjbEEZZNS1_14partition_implILS5_9ELb0ES3_jN6thrust23THRUST_200600_302600_NS6detail15normal_iteratorINS9_10device_ptrItEEEENSB_INSC_IjEEEEPNS0_10empty_typeENS0_5tupleIJNS9_16discard_iteratorINS9_11use_defaultEEESH_EEENSJ_IJSM_SI_EEENS0_18inequality_wrapperINS9_8equal_toItEEEEPmJSH_EEE10hipError_tPvRmT3_T4_T5_T6_T7_T9_mT8_P12ihipStream_tbDpT10_ENKUlT_T0_E_clISt17integral_constantIbLb1EES1D_EEDaS18_S19_EUlS18_E_NS1_11comp_targetILNS1_3genE4ELNS1_11target_archE910ELNS1_3gpuE8ELNS1_3repE0EEENS1_30default_config_static_selectorELNS0_4arch9wavefront6targetE0EEEvT1_,"axG",@progbits,_ZN7rocprim17ROCPRIM_400000_NS6detail17trampoline_kernelINS0_14default_configENS1_25partition_config_selectorILNS1_17partition_subalgoE9EtjbEEZZNS1_14partition_implILS5_9ELb0ES3_jN6thrust23THRUST_200600_302600_NS6detail15normal_iteratorINS9_10device_ptrItEEEENSB_INSC_IjEEEEPNS0_10empty_typeENS0_5tupleIJNS9_16discard_iteratorINS9_11use_defaultEEESH_EEENSJ_IJSM_SI_EEENS0_18inequality_wrapperINS9_8equal_toItEEEEPmJSH_EEE10hipError_tPvRmT3_T4_T5_T6_T7_T9_mT8_P12ihipStream_tbDpT10_ENKUlT_T0_E_clISt17integral_constantIbLb1EES1D_EEDaS18_S19_EUlS18_E_NS1_11comp_targetILNS1_3genE4ELNS1_11target_archE910ELNS1_3gpuE8ELNS1_3repE0EEENS1_30default_config_static_selectorELNS0_4arch9wavefront6targetE0EEEvT1_,comdat
.Lfunc_end895:
	.size	_ZN7rocprim17ROCPRIM_400000_NS6detail17trampoline_kernelINS0_14default_configENS1_25partition_config_selectorILNS1_17partition_subalgoE9EtjbEEZZNS1_14partition_implILS5_9ELb0ES3_jN6thrust23THRUST_200600_302600_NS6detail15normal_iteratorINS9_10device_ptrItEEEENSB_INSC_IjEEEEPNS0_10empty_typeENS0_5tupleIJNS9_16discard_iteratorINS9_11use_defaultEEESH_EEENSJ_IJSM_SI_EEENS0_18inequality_wrapperINS9_8equal_toItEEEEPmJSH_EEE10hipError_tPvRmT3_T4_T5_T6_T7_T9_mT8_P12ihipStream_tbDpT10_ENKUlT_T0_E_clISt17integral_constantIbLb1EES1D_EEDaS18_S19_EUlS18_E_NS1_11comp_targetILNS1_3genE4ELNS1_11target_archE910ELNS1_3gpuE8ELNS1_3repE0EEENS1_30default_config_static_selectorELNS0_4arch9wavefront6targetE0EEEvT1_, .Lfunc_end895-_ZN7rocprim17ROCPRIM_400000_NS6detail17trampoline_kernelINS0_14default_configENS1_25partition_config_selectorILNS1_17partition_subalgoE9EtjbEEZZNS1_14partition_implILS5_9ELb0ES3_jN6thrust23THRUST_200600_302600_NS6detail15normal_iteratorINS9_10device_ptrItEEEENSB_INSC_IjEEEEPNS0_10empty_typeENS0_5tupleIJNS9_16discard_iteratorINS9_11use_defaultEEESH_EEENSJ_IJSM_SI_EEENS0_18inequality_wrapperINS9_8equal_toItEEEEPmJSH_EEE10hipError_tPvRmT3_T4_T5_T6_T7_T9_mT8_P12ihipStream_tbDpT10_ENKUlT_T0_E_clISt17integral_constantIbLb1EES1D_EEDaS18_S19_EUlS18_E_NS1_11comp_targetILNS1_3genE4ELNS1_11target_archE910ELNS1_3gpuE8ELNS1_3repE0EEENS1_30default_config_static_selectorELNS0_4arch9wavefront6targetE0EEEvT1_
                                        ; -- End function
	.section	.AMDGPU.csdata,"",@progbits
; Kernel info:
; codeLenInByte = 0
; NumSgprs: 0
; NumVgprs: 0
; ScratchSize: 0
; MemoryBound: 0
; FloatMode: 240
; IeeeMode: 1
; LDSByteSize: 0 bytes/workgroup (compile time only)
; SGPRBlocks: 0
; VGPRBlocks: 0
; NumSGPRsForWavesPerEU: 1
; NumVGPRsForWavesPerEU: 1
; Occupancy: 15
; WaveLimiterHint : 0
; COMPUTE_PGM_RSRC2:SCRATCH_EN: 0
; COMPUTE_PGM_RSRC2:USER_SGPR: 15
; COMPUTE_PGM_RSRC2:TRAP_HANDLER: 0
; COMPUTE_PGM_RSRC2:TGID_X_EN: 1
; COMPUTE_PGM_RSRC2:TGID_Y_EN: 0
; COMPUTE_PGM_RSRC2:TGID_Z_EN: 0
; COMPUTE_PGM_RSRC2:TIDIG_COMP_CNT: 0
	.section	.text._ZN7rocprim17ROCPRIM_400000_NS6detail17trampoline_kernelINS0_14default_configENS1_25partition_config_selectorILNS1_17partition_subalgoE9EtjbEEZZNS1_14partition_implILS5_9ELb0ES3_jN6thrust23THRUST_200600_302600_NS6detail15normal_iteratorINS9_10device_ptrItEEEENSB_INSC_IjEEEEPNS0_10empty_typeENS0_5tupleIJNS9_16discard_iteratorINS9_11use_defaultEEESH_EEENSJ_IJSM_SI_EEENS0_18inequality_wrapperINS9_8equal_toItEEEEPmJSH_EEE10hipError_tPvRmT3_T4_T5_T6_T7_T9_mT8_P12ihipStream_tbDpT10_ENKUlT_T0_E_clISt17integral_constantIbLb1EES1D_EEDaS18_S19_EUlS18_E_NS1_11comp_targetILNS1_3genE3ELNS1_11target_archE908ELNS1_3gpuE7ELNS1_3repE0EEENS1_30default_config_static_selectorELNS0_4arch9wavefront6targetE0EEEvT1_,"axG",@progbits,_ZN7rocprim17ROCPRIM_400000_NS6detail17trampoline_kernelINS0_14default_configENS1_25partition_config_selectorILNS1_17partition_subalgoE9EtjbEEZZNS1_14partition_implILS5_9ELb0ES3_jN6thrust23THRUST_200600_302600_NS6detail15normal_iteratorINS9_10device_ptrItEEEENSB_INSC_IjEEEEPNS0_10empty_typeENS0_5tupleIJNS9_16discard_iteratorINS9_11use_defaultEEESH_EEENSJ_IJSM_SI_EEENS0_18inequality_wrapperINS9_8equal_toItEEEEPmJSH_EEE10hipError_tPvRmT3_T4_T5_T6_T7_T9_mT8_P12ihipStream_tbDpT10_ENKUlT_T0_E_clISt17integral_constantIbLb1EES1D_EEDaS18_S19_EUlS18_E_NS1_11comp_targetILNS1_3genE3ELNS1_11target_archE908ELNS1_3gpuE7ELNS1_3repE0EEENS1_30default_config_static_selectorELNS0_4arch9wavefront6targetE0EEEvT1_,comdat
	.protected	_ZN7rocprim17ROCPRIM_400000_NS6detail17trampoline_kernelINS0_14default_configENS1_25partition_config_selectorILNS1_17partition_subalgoE9EtjbEEZZNS1_14partition_implILS5_9ELb0ES3_jN6thrust23THRUST_200600_302600_NS6detail15normal_iteratorINS9_10device_ptrItEEEENSB_INSC_IjEEEEPNS0_10empty_typeENS0_5tupleIJNS9_16discard_iteratorINS9_11use_defaultEEESH_EEENSJ_IJSM_SI_EEENS0_18inequality_wrapperINS9_8equal_toItEEEEPmJSH_EEE10hipError_tPvRmT3_T4_T5_T6_T7_T9_mT8_P12ihipStream_tbDpT10_ENKUlT_T0_E_clISt17integral_constantIbLb1EES1D_EEDaS18_S19_EUlS18_E_NS1_11comp_targetILNS1_3genE3ELNS1_11target_archE908ELNS1_3gpuE7ELNS1_3repE0EEENS1_30default_config_static_selectorELNS0_4arch9wavefront6targetE0EEEvT1_ ; -- Begin function _ZN7rocprim17ROCPRIM_400000_NS6detail17trampoline_kernelINS0_14default_configENS1_25partition_config_selectorILNS1_17partition_subalgoE9EtjbEEZZNS1_14partition_implILS5_9ELb0ES3_jN6thrust23THRUST_200600_302600_NS6detail15normal_iteratorINS9_10device_ptrItEEEENSB_INSC_IjEEEEPNS0_10empty_typeENS0_5tupleIJNS9_16discard_iteratorINS9_11use_defaultEEESH_EEENSJ_IJSM_SI_EEENS0_18inequality_wrapperINS9_8equal_toItEEEEPmJSH_EEE10hipError_tPvRmT3_T4_T5_T6_T7_T9_mT8_P12ihipStream_tbDpT10_ENKUlT_T0_E_clISt17integral_constantIbLb1EES1D_EEDaS18_S19_EUlS18_E_NS1_11comp_targetILNS1_3genE3ELNS1_11target_archE908ELNS1_3gpuE7ELNS1_3repE0EEENS1_30default_config_static_selectorELNS0_4arch9wavefront6targetE0EEEvT1_
	.globl	_ZN7rocprim17ROCPRIM_400000_NS6detail17trampoline_kernelINS0_14default_configENS1_25partition_config_selectorILNS1_17partition_subalgoE9EtjbEEZZNS1_14partition_implILS5_9ELb0ES3_jN6thrust23THRUST_200600_302600_NS6detail15normal_iteratorINS9_10device_ptrItEEEENSB_INSC_IjEEEEPNS0_10empty_typeENS0_5tupleIJNS9_16discard_iteratorINS9_11use_defaultEEESH_EEENSJ_IJSM_SI_EEENS0_18inequality_wrapperINS9_8equal_toItEEEEPmJSH_EEE10hipError_tPvRmT3_T4_T5_T6_T7_T9_mT8_P12ihipStream_tbDpT10_ENKUlT_T0_E_clISt17integral_constantIbLb1EES1D_EEDaS18_S19_EUlS18_E_NS1_11comp_targetILNS1_3genE3ELNS1_11target_archE908ELNS1_3gpuE7ELNS1_3repE0EEENS1_30default_config_static_selectorELNS0_4arch9wavefront6targetE0EEEvT1_
	.p2align	8
	.type	_ZN7rocprim17ROCPRIM_400000_NS6detail17trampoline_kernelINS0_14default_configENS1_25partition_config_selectorILNS1_17partition_subalgoE9EtjbEEZZNS1_14partition_implILS5_9ELb0ES3_jN6thrust23THRUST_200600_302600_NS6detail15normal_iteratorINS9_10device_ptrItEEEENSB_INSC_IjEEEEPNS0_10empty_typeENS0_5tupleIJNS9_16discard_iteratorINS9_11use_defaultEEESH_EEENSJ_IJSM_SI_EEENS0_18inequality_wrapperINS9_8equal_toItEEEEPmJSH_EEE10hipError_tPvRmT3_T4_T5_T6_T7_T9_mT8_P12ihipStream_tbDpT10_ENKUlT_T0_E_clISt17integral_constantIbLb1EES1D_EEDaS18_S19_EUlS18_E_NS1_11comp_targetILNS1_3genE3ELNS1_11target_archE908ELNS1_3gpuE7ELNS1_3repE0EEENS1_30default_config_static_selectorELNS0_4arch9wavefront6targetE0EEEvT1_,@function
_ZN7rocprim17ROCPRIM_400000_NS6detail17trampoline_kernelINS0_14default_configENS1_25partition_config_selectorILNS1_17partition_subalgoE9EtjbEEZZNS1_14partition_implILS5_9ELb0ES3_jN6thrust23THRUST_200600_302600_NS6detail15normal_iteratorINS9_10device_ptrItEEEENSB_INSC_IjEEEEPNS0_10empty_typeENS0_5tupleIJNS9_16discard_iteratorINS9_11use_defaultEEESH_EEENSJ_IJSM_SI_EEENS0_18inequality_wrapperINS9_8equal_toItEEEEPmJSH_EEE10hipError_tPvRmT3_T4_T5_T6_T7_T9_mT8_P12ihipStream_tbDpT10_ENKUlT_T0_E_clISt17integral_constantIbLb1EES1D_EEDaS18_S19_EUlS18_E_NS1_11comp_targetILNS1_3genE3ELNS1_11target_archE908ELNS1_3gpuE7ELNS1_3repE0EEENS1_30default_config_static_selectorELNS0_4arch9wavefront6targetE0EEEvT1_: ; @_ZN7rocprim17ROCPRIM_400000_NS6detail17trampoline_kernelINS0_14default_configENS1_25partition_config_selectorILNS1_17partition_subalgoE9EtjbEEZZNS1_14partition_implILS5_9ELb0ES3_jN6thrust23THRUST_200600_302600_NS6detail15normal_iteratorINS9_10device_ptrItEEEENSB_INSC_IjEEEEPNS0_10empty_typeENS0_5tupleIJNS9_16discard_iteratorINS9_11use_defaultEEESH_EEENSJ_IJSM_SI_EEENS0_18inequality_wrapperINS9_8equal_toItEEEEPmJSH_EEE10hipError_tPvRmT3_T4_T5_T6_T7_T9_mT8_P12ihipStream_tbDpT10_ENKUlT_T0_E_clISt17integral_constantIbLb1EES1D_EEDaS18_S19_EUlS18_E_NS1_11comp_targetILNS1_3genE3ELNS1_11target_archE908ELNS1_3gpuE7ELNS1_3repE0EEENS1_30default_config_static_selectorELNS0_4arch9wavefront6targetE0EEEvT1_
; %bb.0:
	.section	.rodata,"a",@progbits
	.p2align	6, 0x0
	.amdhsa_kernel _ZN7rocprim17ROCPRIM_400000_NS6detail17trampoline_kernelINS0_14default_configENS1_25partition_config_selectorILNS1_17partition_subalgoE9EtjbEEZZNS1_14partition_implILS5_9ELb0ES3_jN6thrust23THRUST_200600_302600_NS6detail15normal_iteratorINS9_10device_ptrItEEEENSB_INSC_IjEEEEPNS0_10empty_typeENS0_5tupleIJNS9_16discard_iteratorINS9_11use_defaultEEESH_EEENSJ_IJSM_SI_EEENS0_18inequality_wrapperINS9_8equal_toItEEEEPmJSH_EEE10hipError_tPvRmT3_T4_T5_T6_T7_T9_mT8_P12ihipStream_tbDpT10_ENKUlT_T0_E_clISt17integral_constantIbLb1EES1D_EEDaS18_S19_EUlS18_E_NS1_11comp_targetILNS1_3genE3ELNS1_11target_archE908ELNS1_3gpuE7ELNS1_3repE0EEENS1_30default_config_static_selectorELNS0_4arch9wavefront6targetE0EEEvT1_
		.amdhsa_group_segment_fixed_size 0
		.amdhsa_private_segment_fixed_size 0
		.amdhsa_kernarg_size 144
		.amdhsa_user_sgpr_count 15
		.amdhsa_user_sgpr_dispatch_ptr 0
		.amdhsa_user_sgpr_queue_ptr 0
		.amdhsa_user_sgpr_kernarg_segment_ptr 1
		.amdhsa_user_sgpr_dispatch_id 0
		.amdhsa_user_sgpr_private_segment_size 0
		.amdhsa_wavefront_size32 1
		.amdhsa_uses_dynamic_stack 0
		.amdhsa_enable_private_segment 0
		.amdhsa_system_sgpr_workgroup_id_x 1
		.amdhsa_system_sgpr_workgroup_id_y 0
		.amdhsa_system_sgpr_workgroup_id_z 0
		.amdhsa_system_sgpr_workgroup_info 0
		.amdhsa_system_vgpr_workitem_id 0
		.amdhsa_next_free_vgpr 1
		.amdhsa_next_free_sgpr 1
		.amdhsa_reserve_vcc 0
		.amdhsa_float_round_mode_32 0
		.amdhsa_float_round_mode_16_64 0
		.amdhsa_float_denorm_mode_32 3
		.amdhsa_float_denorm_mode_16_64 3
		.amdhsa_dx10_clamp 1
		.amdhsa_ieee_mode 1
		.amdhsa_fp16_overflow 0
		.amdhsa_workgroup_processor_mode 1
		.amdhsa_memory_ordered 1
		.amdhsa_forward_progress 0
		.amdhsa_shared_vgpr_count 0
		.amdhsa_exception_fp_ieee_invalid_op 0
		.amdhsa_exception_fp_denorm_src 0
		.amdhsa_exception_fp_ieee_div_zero 0
		.amdhsa_exception_fp_ieee_overflow 0
		.amdhsa_exception_fp_ieee_underflow 0
		.amdhsa_exception_fp_ieee_inexact 0
		.amdhsa_exception_int_div_zero 0
	.end_amdhsa_kernel
	.section	.text._ZN7rocprim17ROCPRIM_400000_NS6detail17trampoline_kernelINS0_14default_configENS1_25partition_config_selectorILNS1_17partition_subalgoE9EtjbEEZZNS1_14partition_implILS5_9ELb0ES3_jN6thrust23THRUST_200600_302600_NS6detail15normal_iteratorINS9_10device_ptrItEEEENSB_INSC_IjEEEEPNS0_10empty_typeENS0_5tupleIJNS9_16discard_iteratorINS9_11use_defaultEEESH_EEENSJ_IJSM_SI_EEENS0_18inequality_wrapperINS9_8equal_toItEEEEPmJSH_EEE10hipError_tPvRmT3_T4_T5_T6_T7_T9_mT8_P12ihipStream_tbDpT10_ENKUlT_T0_E_clISt17integral_constantIbLb1EES1D_EEDaS18_S19_EUlS18_E_NS1_11comp_targetILNS1_3genE3ELNS1_11target_archE908ELNS1_3gpuE7ELNS1_3repE0EEENS1_30default_config_static_selectorELNS0_4arch9wavefront6targetE0EEEvT1_,"axG",@progbits,_ZN7rocprim17ROCPRIM_400000_NS6detail17trampoline_kernelINS0_14default_configENS1_25partition_config_selectorILNS1_17partition_subalgoE9EtjbEEZZNS1_14partition_implILS5_9ELb0ES3_jN6thrust23THRUST_200600_302600_NS6detail15normal_iteratorINS9_10device_ptrItEEEENSB_INSC_IjEEEEPNS0_10empty_typeENS0_5tupleIJNS9_16discard_iteratorINS9_11use_defaultEEESH_EEENSJ_IJSM_SI_EEENS0_18inequality_wrapperINS9_8equal_toItEEEEPmJSH_EEE10hipError_tPvRmT3_T4_T5_T6_T7_T9_mT8_P12ihipStream_tbDpT10_ENKUlT_T0_E_clISt17integral_constantIbLb1EES1D_EEDaS18_S19_EUlS18_E_NS1_11comp_targetILNS1_3genE3ELNS1_11target_archE908ELNS1_3gpuE7ELNS1_3repE0EEENS1_30default_config_static_selectorELNS0_4arch9wavefront6targetE0EEEvT1_,comdat
.Lfunc_end896:
	.size	_ZN7rocprim17ROCPRIM_400000_NS6detail17trampoline_kernelINS0_14default_configENS1_25partition_config_selectorILNS1_17partition_subalgoE9EtjbEEZZNS1_14partition_implILS5_9ELb0ES3_jN6thrust23THRUST_200600_302600_NS6detail15normal_iteratorINS9_10device_ptrItEEEENSB_INSC_IjEEEEPNS0_10empty_typeENS0_5tupleIJNS9_16discard_iteratorINS9_11use_defaultEEESH_EEENSJ_IJSM_SI_EEENS0_18inequality_wrapperINS9_8equal_toItEEEEPmJSH_EEE10hipError_tPvRmT3_T4_T5_T6_T7_T9_mT8_P12ihipStream_tbDpT10_ENKUlT_T0_E_clISt17integral_constantIbLb1EES1D_EEDaS18_S19_EUlS18_E_NS1_11comp_targetILNS1_3genE3ELNS1_11target_archE908ELNS1_3gpuE7ELNS1_3repE0EEENS1_30default_config_static_selectorELNS0_4arch9wavefront6targetE0EEEvT1_, .Lfunc_end896-_ZN7rocprim17ROCPRIM_400000_NS6detail17trampoline_kernelINS0_14default_configENS1_25partition_config_selectorILNS1_17partition_subalgoE9EtjbEEZZNS1_14partition_implILS5_9ELb0ES3_jN6thrust23THRUST_200600_302600_NS6detail15normal_iteratorINS9_10device_ptrItEEEENSB_INSC_IjEEEEPNS0_10empty_typeENS0_5tupleIJNS9_16discard_iteratorINS9_11use_defaultEEESH_EEENSJ_IJSM_SI_EEENS0_18inequality_wrapperINS9_8equal_toItEEEEPmJSH_EEE10hipError_tPvRmT3_T4_T5_T6_T7_T9_mT8_P12ihipStream_tbDpT10_ENKUlT_T0_E_clISt17integral_constantIbLb1EES1D_EEDaS18_S19_EUlS18_E_NS1_11comp_targetILNS1_3genE3ELNS1_11target_archE908ELNS1_3gpuE7ELNS1_3repE0EEENS1_30default_config_static_selectorELNS0_4arch9wavefront6targetE0EEEvT1_
                                        ; -- End function
	.section	.AMDGPU.csdata,"",@progbits
; Kernel info:
; codeLenInByte = 0
; NumSgprs: 0
; NumVgprs: 0
; ScratchSize: 0
; MemoryBound: 0
; FloatMode: 240
; IeeeMode: 1
; LDSByteSize: 0 bytes/workgroup (compile time only)
; SGPRBlocks: 0
; VGPRBlocks: 0
; NumSGPRsForWavesPerEU: 1
; NumVGPRsForWavesPerEU: 1
; Occupancy: 16
; WaveLimiterHint : 0
; COMPUTE_PGM_RSRC2:SCRATCH_EN: 0
; COMPUTE_PGM_RSRC2:USER_SGPR: 15
; COMPUTE_PGM_RSRC2:TRAP_HANDLER: 0
; COMPUTE_PGM_RSRC2:TGID_X_EN: 1
; COMPUTE_PGM_RSRC2:TGID_Y_EN: 0
; COMPUTE_PGM_RSRC2:TGID_Z_EN: 0
; COMPUTE_PGM_RSRC2:TIDIG_COMP_CNT: 0
	.section	.text._ZN7rocprim17ROCPRIM_400000_NS6detail17trampoline_kernelINS0_14default_configENS1_25partition_config_selectorILNS1_17partition_subalgoE9EtjbEEZZNS1_14partition_implILS5_9ELb0ES3_jN6thrust23THRUST_200600_302600_NS6detail15normal_iteratorINS9_10device_ptrItEEEENSB_INSC_IjEEEEPNS0_10empty_typeENS0_5tupleIJNS9_16discard_iteratorINS9_11use_defaultEEESH_EEENSJ_IJSM_SI_EEENS0_18inequality_wrapperINS9_8equal_toItEEEEPmJSH_EEE10hipError_tPvRmT3_T4_T5_T6_T7_T9_mT8_P12ihipStream_tbDpT10_ENKUlT_T0_E_clISt17integral_constantIbLb1EES1D_EEDaS18_S19_EUlS18_E_NS1_11comp_targetILNS1_3genE2ELNS1_11target_archE906ELNS1_3gpuE6ELNS1_3repE0EEENS1_30default_config_static_selectorELNS0_4arch9wavefront6targetE0EEEvT1_,"axG",@progbits,_ZN7rocprim17ROCPRIM_400000_NS6detail17trampoline_kernelINS0_14default_configENS1_25partition_config_selectorILNS1_17partition_subalgoE9EtjbEEZZNS1_14partition_implILS5_9ELb0ES3_jN6thrust23THRUST_200600_302600_NS6detail15normal_iteratorINS9_10device_ptrItEEEENSB_INSC_IjEEEEPNS0_10empty_typeENS0_5tupleIJNS9_16discard_iteratorINS9_11use_defaultEEESH_EEENSJ_IJSM_SI_EEENS0_18inequality_wrapperINS9_8equal_toItEEEEPmJSH_EEE10hipError_tPvRmT3_T4_T5_T6_T7_T9_mT8_P12ihipStream_tbDpT10_ENKUlT_T0_E_clISt17integral_constantIbLb1EES1D_EEDaS18_S19_EUlS18_E_NS1_11comp_targetILNS1_3genE2ELNS1_11target_archE906ELNS1_3gpuE6ELNS1_3repE0EEENS1_30default_config_static_selectorELNS0_4arch9wavefront6targetE0EEEvT1_,comdat
	.protected	_ZN7rocprim17ROCPRIM_400000_NS6detail17trampoline_kernelINS0_14default_configENS1_25partition_config_selectorILNS1_17partition_subalgoE9EtjbEEZZNS1_14partition_implILS5_9ELb0ES3_jN6thrust23THRUST_200600_302600_NS6detail15normal_iteratorINS9_10device_ptrItEEEENSB_INSC_IjEEEEPNS0_10empty_typeENS0_5tupleIJNS9_16discard_iteratorINS9_11use_defaultEEESH_EEENSJ_IJSM_SI_EEENS0_18inequality_wrapperINS9_8equal_toItEEEEPmJSH_EEE10hipError_tPvRmT3_T4_T5_T6_T7_T9_mT8_P12ihipStream_tbDpT10_ENKUlT_T0_E_clISt17integral_constantIbLb1EES1D_EEDaS18_S19_EUlS18_E_NS1_11comp_targetILNS1_3genE2ELNS1_11target_archE906ELNS1_3gpuE6ELNS1_3repE0EEENS1_30default_config_static_selectorELNS0_4arch9wavefront6targetE0EEEvT1_ ; -- Begin function _ZN7rocprim17ROCPRIM_400000_NS6detail17trampoline_kernelINS0_14default_configENS1_25partition_config_selectorILNS1_17partition_subalgoE9EtjbEEZZNS1_14partition_implILS5_9ELb0ES3_jN6thrust23THRUST_200600_302600_NS6detail15normal_iteratorINS9_10device_ptrItEEEENSB_INSC_IjEEEEPNS0_10empty_typeENS0_5tupleIJNS9_16discard_iteratorINS9_11use_defaultEEESH_EEENSJ_IJSM_SI_EEENS0_18inequality_wrapperINS9_8equal_toItEEEEPmJSH_EEE10hipError_tPvRmT3_T4_T5_T6_T7_T9_mT8_P12ihipStream_tbDpT10_ENKUlT_T0_E_clISt17integral_constantIbLb1EES1D_EEDaS18_S19_EUlS18_E_NS1_11comp_targetILNS1_3genE2ELNS1_11target_archE906ELNS1_3gpuE6ELNS1_3repE0EEENS1_30default_config_static_selectorELNS0_4arch9wavefront6targetE0EEEvT1_
	.globl	_ZN7rocprim17ROCPRIM_400000_NS6detail17trampoline_kernelINS0_14default_configENS1_25partition_config_selectorILNS1_17partition_subalgoE9EtjbEEZZNS1_14partition_implILS5_9ELb0ES3_jN6thrust23THRUST_200600_302600_NS6detail15normal_iteratorINS9_10device_ptrItEEEENSB_INSC_IjEEEEPNS0_10empty_typeENS0_5tupleIJNS9_16discard_iteratorINS9_11use_defaultEEESH_EEENSJ_IJSM_SI_EEENS0_18inequality_wrapperINS9_8equal_toItEEEEPmJSH_EEE10hipError_tPvRmT3_T4_T5_T6_T7_T9_mT8_P12ihipStream_tbDpT10_ENKUlT_T0_E_clISt17integral_constantIbLb1EES1D_EEDaS18_S19_EUlS18_E_NS1_11comp_targetILNS1_3genE2ELNS1_11target_archE906ELNS1_3gpuE6ELNS1_3repE0EEENS1_30default_config_static_selectorELNS0_4arch9wavefront6targetE0EEEvT1_
	.p2align	8
	.type	_ZN7rocprim17ROCPRIM_400000_NS6detail17trampoline_kernelINS0_14default_configENS1_25partition_config_selectorILNS1_17partition_subalgoE9EtjbEEZZNS1_14partition_implILS5_9ELb0ES3_jN6thrust23THRUST_200600_302600_NS6detail15normal_iteratorINS9_10device_ptrItEEEENSB_INSC_IjEEEEPNS0_10empty_typeENS0_5tupleIJNS9_16discard_iteratorINS9_11use_defaultEEESH_EEENSJ_IJSM_SI_EEENS0_18inequality_wrapperINS9_8equal_toItEEEEPmJSH_EEE10hipError_tPvRmT3_T4_T5_T6_T7_T9_mT8_P12ihipStream_tbDpT10_ENKUlT_T0_E_clISt17integral_constantIbLb1EES1D_EEDaS18_S19_EUlS18_E_NS1_11comp_targetILNS1_3genE2ELNS1_11target_archE906ELNS1_3gpuE6ELNS1_3repE0EEENS1_30default_config_static_selectorELNS0_4arch9wavefront6targetE0EEEvT1_,@function
_ZN7rocprim17ROCPRIM_400000_NS6detail17trampoline_kernelINS0_14default_configENS1_25partition_config_selectorILNS1_17partition_subalgoE9EtjbEEZZNS1_14partition_implILS5_9ELb0ES3_jN6thrust23THRUST_200600_302600_NS6detail15normal_iteratorINS9_10device_ptrItEEEENSB_INSC_IjEEEEPNS0_10empty_typeENS0_5tupleIJNS9_16discard_iteratorINS9_11use_defaultEEESH_EEENSJ_IJSM_SI_EEENS0_18inequality_wrapperINS9_8equal_toItEEEEPmJSH_EEE10hipError_tPvRmT3_T4_T5_T6_T7_T9_mT8_P12ihipStream_tbDpT10_ENKUlT_T0_E_clISt17integral_constantIbLb1EES1D_EEDaS18_S19_EUlS18_E_NS1_11comp_targetILNS1_3genE2ELNS1_11target_archE906ELNS1_3gpuE6ELNS1_3repE0EEENS1_30default_config_static_selectorELNS0_4arch9wavefront6targetE0EEEvT1_: ; @_ZN7rocprim17ROCPRIM_400000_NS6detail17trampoline_kernelINS0_14default_configENS1_25partition_config_selectorILNS1_17partition_subalgoE9EtjbEEZZNS1_14partition_implILS5_9ELb0ES3_jN6thrust23THRUST_200600_302600_NS6detail15normal_iteratorINS9_10device_ptrItEEEENSB_INSC_IjEEEEPNS0_10empty_typeENS0_5tupleIJNS9_16discard_iteratorINS9_11use_defaultEEESH_EEENSJ_IJSM_SI_EEENS0_18inequality_wrapperINS9_8equal_toItEEEEPmJSH_EEE10hipError_tPvRmT3_T4_T5_T6_T7_T9_mT8_P12ihipStream_tbDpT10_ENKUlT_T0_E_clISt17integral_constantIbLb1EES1D_EEDaS18_S19_EUlS18_E_NS1_11comp_targetILNS1_3genE2ELNS1_11target_archE906ELNS1_3gpuE6ELNS1_3repE0EEENS1_30default_config_static_selectorELNS0_4arch9wavefront6targetE0EEEvT1_
; %bb.0:
	.section	.rodata,"a",@progbits
	.p2align	6, 0x0
	.amdhsa_kernel _ZN7rocprim17ROCPRIM_400000_NS6detail17trampoline_kernelINS0_14default_configENS1_25partition_config_selectorILNS1_17partition_subalgoE9EtjbEEZZNS1_14partition_implILS5_9ELb0ES3_jN6thrust23THRUST_200600_302600_NS6detail15normal_iteratorINS9_10device_ptrItEEEENSB_INSC_IjEEEEPNS0_10empty_typeENS0_5tupleIJNS9_16discard_iteratorINS9_11use_defaultEEESH_EEENSJ_IJSM_SI_EEENS0_18inequality_wrapperINS9_8equal_toItEEEEPmJSH_EEE10hipError_tPvRmT3_T4_T5_T6_T7_T9_mT8_P12ihipStream_tbDpT10_ENKUlT_T0_E_clISt17integral_constantIbLb1EES1D_EEDaS18_S19_EUlS18_E_NS1_11comp_targetILNS1_3genE2ELNS1_11target_archE906ELNS1_3gpuE6ELNS1_3repE0EEENS1_30default_config_static_selectorELNS0_4arch9wavefront6targetE0EEEvT1_
		.amdhsa_group_segment_fixed_size 0
		.amdhsa_private_segment_fixed_size 0
		.amdhsa_kernarg_size 144
		.amdhsa_user_sgpr_count 15
		.amdhsa_user_sgpr_dispatch_ptr 0
		.amdhsa_user_sgpr_queue_ptr 0
		.amdhsa_user_sgpr_kernarg_segment_ptr 1
		.amdhsa_user_sgpr_dispatch_id 0
		.amdhsa_user_sgpr_private_segment_size 0
		.amdhsa_wavefront_size32 1
		.amdhsa_uses_dynamic_stack 0
		.amdhsa_enable_private_segment 0
		.amdhsa_system_sgpr_workgroup_id_x 1
		.amdhsa_system_sgpr_workgroup_id_y 0
		.amdhsa_system_sgpr_workgroup_id_z 0
		.amdhsa_system_sgpr_workgroup_info 0
		.amdhsa_system_vgpr_workitem_id 0
		.amdhsa_next_free_vgpr 1
		.amdhsa_next_free_sgpr 1
		.amdhsa_reserve_vcc 0
		.amdhsa_float_round_mode_32 0
		.amdhsa_float_round_mode_16_64 0
		.amdhsa_float_denorm_mode_32 3
		.amdhsa_float_denorm_mode_16_64 3
		.amdhsa_dx10_clamp 1
		.amdhsa_ieee_mode 1
		.amdhsa_fp16_overflow 0
		.amdhsa_workgroup_processor_mode 1
		.amdhsa_memory_ordered 1
		.amdhsa_forward_progress 0
		.amdhsa_shared_vgpr_count 0
		.amdhsa_exception_fp_ieee_invalid_op 0
		.amdhsa_exception_fp_denorm_src 0
		.amdhsa_exception_fp_ieee_div_zero 0
		.amdhsa_exception_fp_ieee_overflow 0
		.amdhsa_exception_fp_ieee_underflow 0
		.amdhsa_exception_fp_ieee_inexact 0
		.amdhsa_exception_int_div_zero 0
	.end_amdhsa_kernel
	.section	.text._ZN7rocprim17ROCPRIM_400000_NS6detail17trampoline_kernelINS0_14default_configENS1_25partition_config_selectorILNS1_17partition_subalgoE9EtjbEEZZNS1_14partition_implILS5_9ELb0ES3_jN6thrust23THRUST_200600_302600_NS6detail15normal_iteratorINS9_10device_ptrItEEEENSB_INSC_IjEEEEPNS0_10empty_typeENS0_5tupleIJNS9_16discard_iteratorINS9_11use_defaultEEESH_EEENSJ_IJSM_SI_EEENS0_18inequality_wrapperINS9_8equal_toItEEEEPmJSH_EEE10hipError_tPvRmT3_T4_T5_T6_T7_T9_mT8_P12ihipStream_tbDpT10_ENKUlT_T0_E_clISt17integral_constantIbLb1EES1D_EEDaS18_S19_EUlS18_E_NS1_11comp_targetILNS1_3genE2ELNS1_11target_archE906ELNS1_3gpuE6ELNS1_3repE0EEENS1_30default_config_static_selectorELNS0_4arch9wavefront6targetE0EEEvT1_,"axG",@progbits,_ZN7rocprim17ROCPRIM_400000_NS6detail17trampoline_kernelINS0_14default_configENS1_25partition_config_selectorILNS1_17partition_subalgoE9EtjbEEZZNS1_14partition_implILS5_9ELb0ES3_jN6thrust23THRUST_200600_302600_NS6detail15normal_iteratorINS9_10device_ptrItEEEENSB_INSC_IjEEEEPNS0_10empty_typeENS0_5tupleIJNS9_16discard_iteratorINS9_11use_defaultEEESH_EEENSJ_IJSM_SI_EEENS0_18inequality_wrapperINS9_8equal_toItEEEEPmJSH_EEE10hipError_tPvRmT3_T4_T5_T6_T7_T9_mT8_P12ihipStream_tbDpT10_ENKUlT_T0_E_clISt17integral_constantIbLb1EES1D_EEDaS18_S19_EUlS18_E_NS1_11comp_targetILNS1_3genE2ELNS1_11target_archE906ELNS1_3gpuE6ELNS1_3repE0EEENS1_30default_config_static_selectorELNS0_4arch9wavefront6targetE0EEEvT1_,comdat
.Lfunc_end897:
	.size	_ZN7rocprim17ROCPRIM_400000_NS6detail17trampoline_kernelINS0_14default_configENS1_25partition_config_selectorILNS1_17partition_subalgoE9EtjbEEZZNS1_14partition_implILS5_9ELb0ES3_jN6thrust23THRUST_200600_302600_NS6detail15normal_iteratorINS9_10device_ptrItEEEENSB_INSC_IjEEEEPNS0_10empty_typeENS0_5tupleIJNS9_16discard_iteratorINS9_11use_defaultEEESH_EEENSJ_IJSM_SI_EEENS0_18inequality_wrapperINS9_8equal_toItEEEEPmJSH_EEE10hipError_tPvRmT3_T4_T5_T6_T7_T9_mT8_P12ihipStream_tbDpT10_ENKUlT_T0_E_clISt17integral_constantIbLb1EES1D_EEDaS18_S19_EUlS18_E_NS1_11comp_targetILNS1_3genE2ELNS1_11target_archE906ELNS1_3gpuE6ELNS1_3repE0EEENS1_30default_config_static_selectorELNS0_4arch9wavefront6targetE0EEEvT1_, .Lfunc_end897-_ZN7rocprim17ROCPRIM_400000_NS6detail17trampoline_kernelINS0_14default_configENS1_25partition_config_selectorILNS1_17partition_subalgoE9EtjbEEZZNS1_14partition_implILS5_9ELb0ES3_jN6thrust23THRUST_200600_302600_NS6detail15normal_iteratorINS9_10device_ptrItEEEENSB_INSC_IjEEEEPNS0_10empty_typeENS0_5tupleIJNS9_16discard_iteratorINS9_11use_defaultEEESH_EEENSJ_IJSM_SI_EEENS0_18inequality_wrapperINS9_8equal_toItEEEEPmJSH_EEE10hipError_tPvRmT3_T4_T5_T6_T7_T9_mT8_P12ihipStream_tbDpT10_ENKUlT_T0_E_clISt17integral_constantIbLb1EES1D_EEDaS18_S19_EUlS18_E_NS1_11comp_targetILNS1_3genE2ELNS1_11target_archE906ELNS1_3gpuE6ELNS1_3repE0EEENS1_30default_config_static_selectorELNS0_4arch9wavefront6targetE0EEEvT1_
                                        ; -- End function
	.section	.AMDGPU.csdata,"",@progbits
; Kernel info:
; codeLenInByte = 0
; NumSgprs: 0
; NumVgprs: 0
; ScratchSize: 0
; MemoryBound: 0
; FloatMode: 240
; IeeeMode: 1
; LDSByteSize: 0 bytes/workgroup (compile time only)
; SGPRBlocks: 0
; VGPRBlocks: 0
; NumSGPRsForWavesPerEU: 1
; NumVGPRsForWavesPerEU: 1
; Occupancy: 16
; WaveLimiterHint : 0
; COMPUTE_PGM_RSRC2:SCRATCH_EN: 0
; COMPUTE_PGM_RSRC2:USER_SGPR: 15
; COMPUTE_PGM_RSRC2:TRAP_HANDLER: 0
; COMPUTE_PGM_RSRC2:TGID_X_EN: 1
; COMPUTE_PGM_RSRC2:TGID_Y_EN: 0
; COMPUTE_PGM_RSRC2:TGID_Z_EN: 0
; COMPUTE_PGM_RSRC2:TIDIG_COMP_CNT: 0
	.section	.text._ZN7rocprim17ROCPRIM_400000_NS6detail17trampoline_kernelINS0_14default_configENS1_25partition_config_selectorILNS1_17partition_subalgoE9EtjbEEZZNS1_14partition_implILS5_9ELb0ES3_jN6thrust23THRUST_200600_302600_NS6detail15normal_iteratorINS9_10device_ptrItEEEENSB_INSC_IjEEEEPNS0_10empty_typeENS0_5tupleIJNS9_16discard_iteratorINS9_11use_defaultEEESH_EEENSJ_IJSM_SI_EEENS0_18inequality_wrapperINS9_8equal_toItEEEEPmJSH_EEE10hipError_tPvRmT3_T4_T5_T6_T7_T9_mT8_P12ihipStream_tbDpT10_ENKUlT_T0_E_clISt17integral_constantIbLb1EES1D_EEDaS18_S19_EUlS18_E_NS1_11comp_targetILNS1_3genE10ELNS1_11target_archE1200ELNS1_3gpuE4ELNS1_3repE0EEENS1_30default_config_static_selectorELNS0_4arch9wavefront6targetE0EEEvT1_,"axG",@progbits,_ZN7rocprim17ROCPRIM_400000_NS6detail17trampoline_kernelINS0_14default_configENS1_25partition_config_selectorILNS1_17partition_subalgoE9EtjbEEZZNS1_14partition_implILS5_9ELb0ES3_jN6thrust23THRUST_200600_302600_NS6detail15normal_iteratorINS9_10device_ptrItEEEENSB_INSC_IjEEEEPNS0_10empty_typeENS0_5tupleIJNS9_16discard_iteratorINS9_11use_defaultEEESH_EEENSJ_IJSM_SI_EEENS0_18inequality_wrapperINS9_8equal_toItEEEEPmJSH_EEE10hipError_tPvRmT3_T4_T5_T6_T7_T9_mT8_P12ihipStream_tbDpT10_ENKUlT_T0_E_clISt17integral_constantIbLb1EES1D_EEDaS18_S19_EUlS18_E_NS1_11comp_targetILNS1_3genE10ELNS1_11target_archE1200ELNS1_3gpuE4ELNS1_3repE0EEENS1_30default_config_static_selectorELNS0_4arch9wavefront6targetE0EEEvT1_,comdat
	.protected	_ZN7rocprim17ROCPRIM_400000_NS6detail17trampoline_kernelINS0_14default_configENS1_25partition_config_selectorILNS1_17partition_subalgoE9EtjbEEZZNS1_14partition_implILS5_9ELb0ES3_jN6thrust23THRUST_200600_302600_NS6detail15normal_iteratorINS9_10device_ptrItEEEENSB_INSC_IjEEEEPNS0_10empty_typeENS0_5tupleIJNS9_16discard_iteratorINS9_11use_defaultEEESH_EEENSJ_IJSM_SI_EEENS0_18inequality_wrapperINS9_8equal_toItEEEEPmJSH_EEE10hipError_tPvRmT3_T4_T5_T6_T7_T9_mT8_P12ihipStream_tbDpT10_ENKUlT_T0_E_clISt17integral_constantIbLb1EES1D_EEDaS18_S19_EUlS18_E_NS1_11comp_targetILNS1_3genE10ELNS1_11target_archE1200ELNS1_3gpuE4ELNS1_3repE0EEENS1_30default_config_static_selectorELNS0_4arch9wavefront6targetE0EEEvT1_ ; -- Begin function _ZN7rocprim17ROCPRIM_400000_NS6detail17trampoline_kernelINS0_14default_configENS1_25partition_config_selectorILNS1_17partition_subalgoE9EtjbEEZZNS1_14partition_implILS5_9ELb0ES3_jN6thrust23THRUST_200600_302600_NS6detail15normal_iteratorINS9_10device_ptrItEEEENSB_INSC_IjEEEEPNS0_10empty_typeENS0_5tupleIJNS9_16discard_iteratorINS9_11use_defaultEEESH_EEENSJ_IJSM_SI_EEENS0_18inequality_wrapperINS9_8equal_toItEEEEPmJSH_EEE10hipError_tPvRmT3_T4_T5_T6_T7_T9_mT8_P12ihipStream_tbDpT10_ENKUlT_T0_E_clISt17integral_constantIbLb1EES1D_EEDaS18_S19_EUlS18_E_NS1_11comp_targetILNS1_3genE10ELNS1_11target_archE1200ELNS1_3gpuE4ELNS1_3repE0EEENS1_30default_config_static_selectorELNS0_4arch9wavefront6targetE0EEEvT1_
	.globl	_ZN7rocprim17ROCPRIM_400000_NS6detail17trampoline_kernelINS0_14default_configENS1_25partition_config_selectorILNS1_17partition_subalgoE9EtjbEEZZNS1_14partition_implILS5_9ELb0ES3_jN6thrust23THRUST_200600_302600_NS6detail15normal_iteratorINS9_10device_ptrItEEEENSB_INSC_IjEEEEPNS0_10empty_typeENS0_5tupleIJNS9_16discard_iteratorINS9_11use_defaultEEESH_EEENSJ_IJSM_SI_EEENS0_18inequality_wrapperINS9_8equal_toItEEEEPmJSH_EEE10hipError_tPvRmT3_T4_T5_T6_T7_T9_mT8_P12ihipStream_tbDpT10_ENKUlT_T0_E_clISt17integral_constantIbLb1EES1D_EEDaS18_S19_EUlS18_E_NS1_11comp_targetILNS1_3genE10ELNS1_11target_archE1200ELNS1_3gpuE4ELNS1_3repE0EEENS1_30default_config_static_selectorELNS0_4arch9wavefront6targetE0EEEvT1_
	.p2align	8
	.type	_ZN7rocprim17ROCPRIM_400000_NS6detail17trampoline_kernelINS0_14default_configENS1_25partition_config_selectorILNS1_17partition_subalgoE9EtjbEEZZNS1_14partition_implILS5_9ELb0ES3_jN6thrust23THRUST_200600_302600_NS6detail15normal_iteratorINS9_10device_ptrItEEEENSB_INSC_IjEEEEPNS0_10empty_typeENS0_5tupleIJNS9_16discard_iteratorINS9_11use_defaultEEESH_EEENSJ_IJSM_SI_EEENS0_18inequality_wrapperINS9_8equal_toItEEEEPmJSH_EEE10hipError_tPvRmT3_T4_T5_T6_T7_T9_mT8_P12ihipStream_tbDpT10_ENKUlT_T0_E_clISt17integral_constantIbLb1EES1D_EEDaS18_S19_EUlS18_E_NS1_11comp_targetILNS1_3genE10ELNS1_11target_archE1200ELNS1_3gpuE4ELNS1_3repE0EEENS1_30default_config_static_selectorELNS0_4arch9wavefront6targetE0EEEvT1_,@function
_ZN7rocprim17ROCPRIM_400000_NS6detail17trampoline_kernelINS0_14default_configENS1_25partition_config_selectorILNS1_17partition_subalgoE9EtjbEEZZNS1_14partition_implILS5_9ELb0ES3_jN6thrust23THRUST_200600_302600_NS6detail15normal_iteratorINS9_10device_ptrItEEEENSB_INSC_IjEEEEPNS0_10empty_typeENS0_5tupleIJNS9_16discard_iteratorINS9_11use_defaultEEESH_EEENSJ_IJSM_SI_EEENS0_18inequality_wrapperINS9_8equal_toItEEEEPmJSH_EEE10hipError_tPvRmT3_T4_T5_T6_T7_T9_mT8_P12ihipStream_tbDpT10_ENKUlT_T0_E_clISt17integral_constantIbLb1EES1D_EEDaS18_S19_EUlS18_E_NS1_11comp_targetILNS1_3genE10ELNS1_11target_archE1200ELNS1_3gpuE4ELNS1_3repE0EEENS1_30default_config_static_selectorELNS0_4arch9wavefront6targetE0EEEvT1_: ; @_ZN7rocprim17ROCPRIM_400000_NS6detail17trampoline_kernelINS0_14default_configENS1_25partition_config_selectorILNS1_17partition_subalgoE9EtjbEEZZNS1_14partition_implILS5_9ELb0ES3_jN6thrust23THRUST_200600_302600_NS6detail15normal_iteratorINS9_10device_ptrItEEEENSB_INSC_IjEEEEPNS0_10empty_typeENS0_5tupleIJNS9_16discard_iteratorINS9_11use_defaultEEESH_EEENSJ_IJSM_SI_EEENS0_18inequality_wrapperINS9_8equal_toItEEEEPmJSH_EEE10hipError_tPvRmT3_T4_T5_T6_T7_T9_mT8_P12ihipStream_tbDpT10_ENKUlT_T0_E_clISt17integral_constantIbLb1EES1D_EEDaS18_S19_EUlS18_E_NS1_11comp_targetILNS1_3genE10ELNS1_11target_archE1200ELNS1_3gpuE4ELNS1_3repE0EEENS1_30default_config_static_selectorELNS0_4arch9wavefront6targetE0EEEvT1_
; %bb.0:
	.section	.rodata,"a",@progbits
	.p2align	6, 0x0
	.amdhsa_kernel _ZN7rocprim17ROCPRIM_400000_NS6detail17trampoline_kernelINS0_14default_configENS1_25partition_config_selectorILNS1_17partition_subalgoE9EtjbEEZZNS1_14partition_implILS5_9ELb0ES3_jN6thrust23THRUST_200600_302600_NS6detail15normal_iteratorINS9_10device_ptrItEEEENSB_INSC_IjEEEEPNS0_10empty_typeENS0_5tupleIJNS9_16discard_iteratorINS9_11use_defaultEEESH_EEENSJ_IJSM_SI_EEENS0_18inequality_wrapperINS9_8equal_toItEEEEPmJSH_EEE10hipError_tPvRmT3_T4_T5_T6_T7_T9_mT8_P12ihipStream_tbDpT10_ENKUlT_T0_E_clISt17integral_constantIbLb1EES1D_EEDaS18_S19_EUlS18_E_NS1_11comp_targetILNS1_3genE10ELNS1_11target_archE1200ELNS1_3gpuE4ELNS1_3repE0EEENS1_30default_config_static_selectorELNS0_4arch9wavefront6targetE0EEEvT1_
		.amdhsa_group_segment_fixed_size 0
		.amdhsa_private_segment_fixed_size 0
		.amdhsa_kernarg_size 144
		.amdhsa_user_sgpr_count 15
		.amdhsa_user_sgpr_dispatch_ptr 0
		.amdhsa_user_sgpr_queue_ptr 0
		.amdhsa_user_sgpr_kernarg_segment_ptr 1
		.amdhsa_user_sgpr_dispatch_id 0
		.amdhsa_user_sgpr_private_segment_size 0
		.amdhsa_wavefront_size32 1
		.amdhsa_uses_dynamic_stack 0
		.amdhsa_enable_private_segment 0
		.amdhsa_system_sgpr_workgroup_id_x 1
		.amdhsa_system_sgpr_workgroup_id_y 0
		.amdhsa_system_sgpr_workgroup_id_z 0
		.amdhsa_system_sgpr_workgroup_info 0
		.amdhsa_system_vgpr_workitem_id 0
		.amdhsa_next_free_vgpr 1
		.amdhsa_next_free_sgpr 1
		.amdhsa_reserve_vcc 0
		.amdhsa_float_round_mode_32 0
		.amdhsa_float_round_mode_16_64 0
		.amdhsa_float_denorm_mode_32 3
		.amdhsa_float_denorm_mode_16_64 3
		.amdhsa_dx10_clamp 1
		.amdhsa_ieee_mode 1
		.amdhsa_fp16_overflow 0
		.amdhsa_workgroup_processor_mode 1
		.amdhsa_memory_ordered 1
		.amdhsa_forward_progress 0
		.amdhsa_shared_vgpr_count 0
		.amdhsa_exception_fp_ieee_invalid_op 0
		.amdhsa_exception_fp_denorm_src 0
		.amdhsa_exception_fp_ieee_div_zero 0
		.amdhsa_exception_fp_ieee_overflow 0
		.amdhsa_exception_fp_ieee_underflow 0
		.amdhsa_exception_fp_ieee_inexact 0
		.amdhsa_exception_int_div_zero 0
	.end_amdhsa_kernel
	.section	.text._ZN7rocprim17ROCPRIM_400000_NS6detail17trampoline_kernelINS0_14default_configENS1_25partition_config_selectorILNS1_17partition_subalgoE9EtjbEEZZNS1_14partition_implILS5_9ELb0ES3_jN6thrust23THRUST_200600_302600_NS6detail15normal_iteratorINS9_10device_ptrItEEEENSB_INSC_IjEEEEPNS0_10empty_typeENS0_5tupleIJNS9_16discard_iteratorINS9_11use_defaultEEESH_EEENSJ_IJSM_SI_EEENS0_18inequality_wrapperINS9_8equal_toItEEEEPmJSH_EEE10hipError_tPvRmT3_T4_T5_T6_T7_T9_mT8_P12ihipStream_tbDpT10_ENKUlT_T0_E_clISt17integral_constantIbLb1EES1D_EEDaS18_S19_EUlS18_E_NS1_11comp_targetILNS1_3genE10ELNS1_11target_archE1200ELNS1_3gpuE4ELNS1_3repE0EEENS1_30default_config_static_selectorELNS0_4arch9wavefront6targetE0EEEvT1_,"axG",@progbits,_ZN7rocprim17ROCPRIM_400000_NS6detail17trampoline_kernelINS0_14default_configENS1_25partition_config_selectorILNS1_17partition_subalgoE9EtjbEEZZNS1_14partition_implILS5_9ELb0ES3_jN6thrust23THRUST_200600_302600_NS6detail15normal_iteratorINS9_10device_ptrItEEEENSB_INSC_IjEEEEPNS0_10empty_typeENS0_5tupleIJNS9_16discard_iteratorINS9_11use_defaultEEESH_EEENSJ_IJSM_SI_EEENS0_18inequality_wrapperINS9_8equal_toItEEEEPmJSH_EEE10hipError_tPvRmT3_T4_T5_T6_T7_T9_mT8_P12ihipStream_tbDpT10_ENKUlT_T0_E_clISt17integral_constantIbLb1EES1D_EEDaS18_S19_EUlS18_E_NS1_11comp_targetILNS1_3genE10ELNS1_11target_archE1200ELNS1_3gpuE4ELNS1_3repE0EEENS1_30default_config_static_selectorELNS0_4arch9wavefront6targetE0EEEvT1_,comdat
.Lfunc_end898:
	.size	_ZN7rocprim17ROCPRIM_400000_NS6detail17trampoline_kernelINS0_14default_configENS1_25partition_config_selectorILNS1_17partition_subalgoE9EtjbEEZZNS1_14partition_implILS5_9ELb0ES3_jN6thrust23THRUST_200600_302600_NS6detail15normal_iteratorINS9_10device_ptrItEEEENSB_INSC_IjEEEEPNS0_10empty_typeENS0_5tupleIJNS9_16discard_iteratorINS9_11use_defaultEEESH_EEENSJ_IJSM_SI_EEENS0_18inequality_wrapperINS9_8equal_toItEEEEPmJSH_EEE10hipError_tPvRmT3_T4_T5_T6_T7_T9_mT8_P12ihipStream_tbDpT10_ENKUlT_T0_E_clISt17integral_constantIbLb1EES1D_EEDaS18_S19_EUlS18_E_NS1_11comp_targetILNS1_3genE10ELNS1_11target_archE1200ELNS1_3gpuE4ELNS1_3repE0EEENS1_30default_config_static_selectorELNS0_4arch9wavefront6targetE0EEEvT1_, .Lfunc_end898-_ZN7rocprim17ROCPRIM_400000_NS6detail17trampoline_kernelINS0_14default_configENS1_25partition_config_selectorILNS1_17partition_subalgoE9EtjbEEZZNS1_14partition_implILS5_9ELb0ES3_jN6thrust23THRUST_200600_302600_NS6detail15normal_iteratorINS9_10device_ptrItEEEENSB_INSC_IjEEEEPNS0_10empty_typeENS0_5tupleIJNS9_16discard_iteratorINS9_11use_defaultEEESH_EEENSJ_IJSM_SI_EEENS0_18inequality_wrapperINS9_8equal_toItEEEEPmJSH_EEE10hipError_tPvRmT3_T4_T5_T6_T7_T9_mT8_P12ihipStream_tbDpT10_ENKUlT_T0_E_clISt17integral_constantIbLb1EES1D_EEDaS18_S19_EUlS18_E_NS1_11comp_targetILNS1_3genE10ELNS1_11target_archE1200ELNS1_3gpuE4ELNS1_3repE0EEENS1_30default_config_static_selectorELNS0_4arch9wavefront6targetE0EEEvT1_
                                        ; -- End function
	.section	.AMDGPU.csdata,"",@progbits
; Kernel info:
; codeLenInByte = 0
; NumSgprs: 0
; NumVgprs: 0
; ScratchSize: 0
; MemoryBound: 0
; FloatMode: 240
; IeeeMode: 1
; LDSByteSize: 0 bytes/workgroup (compile time only)
; SGPRBlocks: 0
; VGPRBlocks: 0
; NumSGPRsForWavesPerEU: 1
; NumVGPRsForWavesPerEU: 1
; Occupancy: 16
; WaveLimiterHint : 0
; COMPUTE_PGM_RSRC2:SCRATCH_EN: 0
; COMPUTE_PGM_RSRC2:USER_SGPR: 15
; COMPUTE_PGM_RSRC2:TRAP_HANDLER: 0
; COMPUTE_PGM_RSRC2:TGID_X_EN: 1
; COMPUTE_PGM_RSRC2:TGID_Y_EN: 0
; COMPUTE_PGM_RSRC2:TGID_Z_EN: 0
; COMPUTE_PGM_RSRC2:TIDIG_COMP_CNT: 0
	.section	.text._ZN7rocprim17ROCPRIM_400000_NS6detail17trampoline_kernelINS0_14default_configENS1_25partition_config_selectorILNS1_17partition_subalgoE9EtjbEEZZNS1_14partition_implILS5_9ELb0ES3_jN6thrust23THRUST_200600_302600_NS6detail15normal_iteratorINS9_10device_ptrItEEEENSB_INSC_IjEEEEPNS0_10empty_typeENS0_5tupleIJNS9_16discard_iteratorINS9_11use_defaultEEESH_EEENSJ_IJSM_SI_EEENS0_18inequality_wrapperINS9_8equal_toItEEEEPmJSH_EEE10hipError_tPvRmT3_T4_T5_T6_T7_T9_mT8_P12ihipStream_tbDpT10_ENKUlT_T0_E_clISt17integral_constantIbLb1EES1D_EEDaS18_S19_EUlS18_E_NS1_11comp_targetILNS1_3genE9ELNS1_11target_archE1100ELNS1_3gpuE3ELNS1_3repE0EEENS1_30default_config_static_selectorELNS0_4arch9wavefront6targetE0EEEvT1_,"axG",@progbits,_ZN7rocprim17ROCPRIM_400000_NS6detail17trampoline_kernelINS0_14default_configENS1_25partition_config_selectorILNS1_17partition_subalgoE9EtjbEEZZNS1_14partition_implILS5_9ELb0ES3_jN6thrust23THRUST_200600_302600_NS6detail15normal_iteratorINS9_10device_ptrItEEEENSB_INSC_IjEEEEPNS0_10empty_typeENS0_5tupleIJNS9_16discard_iteratorINS9_11use_defaultEEESH_EEENSJ_IJSM_SI_EEENS0_18inequality_wrapperINS9_8equal_toItEEEEPmJSH_EEE10hipError_tPvRmT3_T4_T5_T6_T7_T9_mT8_P12ihipStream_tbDpT10_ENKUlT_T0_E_clISt17integral_constantIbLb1EES1D_EEDaS18_S19_EUlS18_E_NS1_11comp_targetILNS1_3genE9ELNS1_11target_archE1100ELNS1_3gpuE3ELNS1_3repE0EEENS1_30default_config_static_selectorELNS0_4arch9wavefront6targetE0EEEvT1_,comdat
	.protected	_ZN7rocprim17ROCPRIM_400000_NS6detail17trampoline_kernelINS0_14default_configENS1_25partition_config_selectorILNS1_17partition_subalgoE9EtjbEEZZNS1_14partition_implILS5_9ELb0ES3_jN6thrust23THRUST_200600_302600_NS6detail15normal_iteratorINS9_10device_ptrItEEEENSB_INSC_IjEEEEPNS0_10empty_typeENS0_5tupleIJNS9_16discard_iteratorINS9_11use_defaultEEESH_EEENSJ_IJSM_SI_EEENS0_18inequality_wrapperINS9_8equal_toItEEEEPmJSH_EEE10hipError_tPvRmT3_T4_T5_T6_T7_T9_mT8_P12ihipStream_tbDpT10_ENKUlT_T0_E_clISt17integral_constantIbLb1EES1D_EEDaS18_S19_EUlS18_E_NS1_11comp_targetILNS1_3genE9ELNS1_11target_archE1100ELNS1_3gpuE3ELNS1_3repE0EEENS1_30default_config_static_selectorELNS0_4arch9wavefront6targetE0EEEvT1_ ; -- Begin function _ZN7rocprim17ROCPRIM_400000_NS6detail17trampoline_kernelINS0_14default_configENS1_25partition_config_selectorILNS1_17partition_subalgoE9EtjbEEZZNS1_14partition_implILS5_9ELb0ES3_jN6thrust23THRUST_200600_302600_NS6detail15normal_iteratorINS9_10device_ptrItEEEENSB_INSC_IjEEEEPNS0_10empty_typeENS0_5tupleIJNS9_16discard_iteratorINS9_11use_defaultEEESH_EEENSJ_IJSM_SI_EEENS0_18inequality_wrapperINS9_8equal_toItEEEEPmJSH_EEE10hipError_tPvRmT3_T4_T5_T6_T7_T9_mT8_P12ihipStream_tbDpT10_ENKUlT_T0_E_clISt17integral_constantIbLb1EES1D_EEDaS18_S19_EUlS18_E_NS1_11comp_targetILNS1_3genE9ELNS1_11target_archE1100ELNS1_3gpuE3ELNS1_3repE0EEENS1_30default_config_static_selectorELNS0_4arch9wavefront6targetE0EEEvT1_
	.globl	_ZN7rocprim17ROCPRIM_400000_NS6detail17trampoline_kernelINS0_14default_configENS1_25partition_config_selectorILNS1_17partition_subalgoE9EtjbEEZZNS1_14partition_implILS5_9ELb0ES3_jN6thrust23THRUST_200600_302600_NS6detail15normal_iteratorINS9_10device_ptrItEEEENSB_INSC_IjEEEEPNS0_10empty_typeENS0_5tupleIJNS9_16discard_iteratorINS9_11use_defaultEEESH_EEENSJ_IJSM_SI_EEENS0_18inequality_wrapperINS9_8equal_toItEEEEPmJSH_EEE10hipError_tPvRmT3_T4_T5_T6_T7_T9_mT8_P12ihipStream_tbDpT10_ENKUlT_T0_E_clISt17integral_constantIbLb1EES1D_EEDaS18_S19_EUlS18_E_NS1_11comp_targetILNS1_3genE9ELNS1_11target_archE1100ELNS1_3gpuE3ELNS1_3repE0EEENS1_30default_config_static_selectorELNS0_4arch9wavefront6targetE0EEEvT1_
	.p2align	8
	.type	_ZN7rocprim17ROCPRIM_400000_NS6detail17trampoline_kernelINS0_14default_configENS1_25partition_config_selectorILNS1_17partition_subalgoE9EtjbEEZZNS1_14partition_implILS5_9ELb0ES3_jN6thrust23THRUST_200600_302600_NS6detail15normal_iteratorINS9_10device_ptrItEEEENSB_INSC_IjEEEEPNS0_10empty_typeENS0_5tupleIJNS9_16discard_iteratorINS9_11use_defaultEEESH_EEENSJ_IJSM_SI_EEENS0_18inequality_wrapperINS9_8equal_toItEEEEPmJSH_EEE10hipError_tPvRmT3_T4_T5_T6_T7_T9_mT8_P12ihipStream_tbDpT10_ENKUlT_T0_E_clISt17integral_constantIbLb1EES1D_EEDaS18_S19_EUlS18_E_NS1_11comp_targetILNS1_3genE9ELNS1_11target_archE1100ELNS1_3gpuE3ELNS1_3repE0EEENS1_30default_config_static_selectorELNS0_4arch9wavefront6targetE0EEEvT1_,@function
_ZN7rocprim17ROCPRIM_400000_NS6detail17trampoline_kernelINS0_14default_configENS1_25partition_config_selectorILNS1_17partition_subalgoE9EtjbEEZZNS1_14partition_implILS5_9ELb0ES3_jN6thrust23THRUST_200600_302600_NS6detail15normal_iteratorINS9_10device_ptrItEEEENSB_INSC_IjEEEEPNS0_10empty_typeENS0_5tupleIJNS9_16discard_iteratorINS9_11use_defaultEEESH_EEENSJ_IJSM_SI_EEENS0_18inequality_wrapperINS9_8equal_toItEEEEPmJSH_EEE10hipError_tPvRmT3_T4_T5_T6_T7_T9_mT8_P12ihipStream_tbDpT10_ENKUlT_T0_E_clISt17integral_constantIbLb1EES1D_EEDaS18_S19_EUlS18_E_NS1_11comp_targetILNS1_3genE9ELNS1_11target_archE1100ELNS1_3gpuE3ELNS1_3repE0EEENS1_30default_config_static_selectorELNS0_4arch9wavefront6targetE0EEEvT1_: ; @_ZN7rocprim17ROCPRIM_400000_NS6detail17trampoline_kernelINS0_14default_configENS1_25partition_config_selectorILNS1_17partition_subalgoE9EtjbEEZZNS1_14partition_implILS5_9ELb0ES3_jN6thrust23THRUST_200600_302600_NS6detail15normal_iteratorINS9_10device_ptrItEEEENSB_INSC_IjEEEEPNS0_10empty_typeENS0_5tupleIJNS9_16discard_iteratorINS9_11use_defaultEEESH_EEENSJ_IJSM_SI_EEENS0_18inequality_wrapperINS9_8equal_toItEEEEPmJSH_EEE10hipError_tPvRmT3_T4_T5_T6_T7_T9_mT8_P12ihipStream_tbDpT10_ENKUlT_T0_E_clISt17integral_constantIbLb1EES1D_EEDaS18_S19_EUlS18_E_NS1_11comp_targetILNS1_3genE9ELNS1_11target_archE1100ELNS1_3gpuE3ELNS1_3repE0EEENS1_30default_config_static_selectorELNS0_4arch9wavefront6targetE0EEEvT1_
; %bb.0:
	s_clause 0x4
	s_load_b128 s[4:7], s[0:1], 0x8
	s_load_b64 s[8:9], s[0:1], 0x18
	s_load_b64 s[10:11], s[0:1], 0x60
	s_load_b128 s[12:15], s[0:1], 0x50
	s_load_b64 s[16:17], s[0:1], 0x70
	v_cmp_ne_u32_e64 s3, 0, v0
	v_cmp_eq_u32_e64 s2, 0, v0
	s_delay_alu instid0(VALU_DEP_1)
	s_and_saveexec_b32 s18, s2
	s_cbranch_execz .LBB899_4
; %bb.1:
	s_mov_b32 s20, exec_lo
	s_mov_b32 s19, exec_lo
	v_mbcnt_lo_u32_b32 v1, s20, 0
                                        ; implicit-def: $vgpr2
	s_delay_alu instid0(VALU_DEP_1)
	v_cmpx_eq_u32_e32 0, v1
	s_cbranch_execz .LBB899_3
; %bb.2:
	s_load_b64 s[22:23], s[0:1], 0x80
	s_bcnt1_i32_b32 s20, s20
	s_delay_alu instid0(SALU_CYCLE_1)
	v_dual_mov_b32 v2, 0 :: v_dual_mov_b32 v3, s20
	s_waitcnt lgkmcnt(0)
	global_atomic_add_u32 v2, v2, v3, s[22:23] glc
.LBB899_3:
	s_or_b32 exec_lo, exec_lo, s19
	s_waitcnt vmcnt(0)
	v_readfirstlane_b32 s19, v2
	s_delay_alu instid0(VALU_DEP_1)
	v_dual_mov_b32 v2, 0 :: v_dual_add_nc_u32 v1, s19, v1
	ds_store_b32 v2, v1
.LBB899_4:
	s_or_b32 exec_lo, exec_lo, s18
	v_mov_b32_e32 v1, 0
	s_waitcnt lgkmcnt(0)
	s_barrier
	buffer_gl0_inv
	s_load_b32 s0, s[0:1], 0x78
	ds_load_b32 v2, v1
	s_waitcnt lgkmcnt(0)
	s_barrier
	buffer_gl0_inv
	global_load_b64 v[19:20], v1, s[14:15]
	s_lshl_b64 s[14:15], s[6:7], 1
	v_lshlrev_b32_e32 v9, 1, v0
	s_add_u32 s20, s4, s14
	s_addc_u32 s21, s5, s15
	s_mov_b32 s5, 0
	s_mul_i32 s1, s0, 0x580
	v_readfirstlane_b32 s15, v2
	s_add_i32 s4, s1, s6
	s_delay_alu instid0(SALU_CYCLE_1)
	s_sub_i32 s18, s10, s4
	s_add_i32 s4, s0, -1
	s_addk_i32 s18, 0x580
	s_add_u32 s0, s6, s1
	s_addc_u32 s1, s7, 0
	s_cmp_eq_u32 s15, s4
	v_cmp_ge_u64_e64 s0, s[0:1], s[10:11]
	s_cselect_b32 s14, -1, 0
	s_mul_i32 s4, s15, 0x580
	s_delay_alu instid0(VALU_DEP_1)
	s_and_b32 s19, s0, s14
	s_lshl_b64 s[0:1], s[4:5], 1
	s_xor_b32 s10, s19, -1
	s_add_u32 s11, s20, s0
	s_addc_u32 s1, s21, s1
	s_and_b32 vcc_lo, exec_lo, s10
	s_mov_b32 s20, -1
	s_cbranch_vccz .LBB899_6
; %bb.5:
	v_add_co_u32 v1, s0, s11, v9
	s_delay_alu instid0(VALU_DEP_1)
	v_add_co_ci_u32_e64 v2, null, s1, 0, s0
	s_mov_b32 s20, s5
	s_clause 0xa
	flat_load_u16 v3, v[1:2]
	flat_load_u16 v4, v[1:2] offset:256
	flat_load_u16 v5, v[1:2] offset:512
	;; [unrolled: 1-line block ×10, first 2 shown]
	s_waitcnt vmcnt(10) lgkmcnt(10)
	ds_store_b16 v9, v3
	s_waitcnt vmcnt(9) lgkmcnt(10)
	ds_store_b16 v9, v4 offset:256
	s_waitcnt vmcnt(8) lgkmcnt(10)
	ds_store_b16 v9, v5 offset:512
	;; [unrolled: 2-line block ×10, first 2 shown]
	s_waitcnt lgkmcnt(0)
	s_barrier
.LBB899_6:
	v_cmp_gt_u32_e64 s0, s18, v0
	s_and_not1_b32 vcc_lo, exec_lo, s20
	s_cbranch_vccnz .LBB899_30
; %bb.7:
                                        ; implicit-def: $vgpr1_vgpr2_vgpr3_vgpr4_vgpr5_vgpr6_vgpr7_vgpr8
	s_delay_alu instid0(VALU_DEP_1)
	s_and_saveexec_b32 s20, s0
	s_cbranch_execz .LBB899_9
; %bb.8:
	v_add_co_u32 v1, s0, s11, v9
	s_delay_alu instid0(VALU_DEP_1)
	v_add_co_ci_u32_e64 v2, null, s1, 0, s0
	flat_load_d16_b16 v1, v[1:2]
.LBB899_9:
	s_or_b32 exec_lo, exec_lo, s20
	v_or_b32_e32 v7, 0x80, v0
	s_mov_b32 s0, exec_lo
	s_delay_alu instid0(VALU_DEP_1)
	v_cmpx_gt_u32_e64 s18, v7
	s_cbranch_execz .LBB899_11
; %bb.10:
	v_add_co_u32 v7, s20, s11, v9
	s_delay_alu instid0(VALU_DEP_1)
	v_add_co_ci_u32_e64 v8, null, s1, 0, s20
	s_waitcnt vmcnt(0) lgkmcnt(0)
	flat_load_d16_hi_b16 v1, v[7:8] offset:256
.LBB899_11:
	s_or_b32 exec_lo, exec_lo, s0
	v_or_b32_e32 v7, 0x100, v0
	s_mov_b32 s0, exec_lo
	s_delay_alu instid0(VALU_DEP_1)
	v_cmpx_gt_u32_e64 s18, v7
	s_cbranch_execz .LBB899_13
; %bb.12:
	v_add_co_u32 v7, s20, s11, v9
	s_delay_alu instid0(VALU_DEP_1)
	v_add_co_ci_u32_e64 v8, null, s1, 0, s20
	flat_load_d16_b16 v2, v[7:8] offset:512
.LBB899_13:
	s_or_b32 exec_lo, exec_lo, s0
	v_or_b32_e32 v7, 0x180, v0
	s_mov_b32 s0, exec_lo
	s_delay_alu instid0(VALU_DEP_1)
	v_cmpx_gt_u32_e64 s18, v7
	s_cbranch_execz .LBB899_15
; %bb.14:
	v_add_co_u32 v7, s20, s11, v9
	s_delay_alu instid0(VALU_DEP_1)
	v_add_co_ci_u32_e64 v8, null, s1, 0, s20
	s_waitcnt vmcnt(0) lgkmcnt(0)
	flat_load_d16_hi_b16 v2, v[7:8] offset:768
.LBB899_15:
	s_or_b32 exec_lo, exec_lo, s0
	v_or_b32_e32 v7, 0x200, v0
	s_mov_b32 s0, exec_lo
	s_delay_alu instid0(VALU_DEP_1)
	v_cmpx_gt_u32_e64 s18, v7
	s_cbranch_execz .LBB899_17
; %bb.16:
	v_add_co_u32 v7, s20, s11, v9
	s_delay_alu instid0(VALU_DEP_1)
	v_add_co_ci_u32_e64 v8, null, s1, 0, s20
	flat_load_d16_b16 v3, v[7:8] offset:1024
.LBB899_17:
	;; [unrolled: 25-line block ×5, first 2 shown]
	s_or_b32 exec_lo, exec_lo, s0
	s_waitcnt vmcnt(0) lgkmcnt(0)
	ds_store_b16 v9, v1
	ds_store_b16_d16_hi v9, v1 offset:256
	ds_store_b16 v9, v2 offset:512
	ds_store_b16_d16_hi v9, v2 offset:768
	ds_store_b16 v9, v3 offset:1024
	;; [unrolled: 2-line block ×5, first 2 shown]
	s_waitcnt lgkmcnt(0)
	s_barrier
.LBB899_30:
	v_mul_u32_u24_e32 v1, 11, v0
	s_waitcnt vmcnt(0)
	buffer_gl0_inv
	s_lshl_b64 s[20:21], s[6:7], 2
	s_delay_alu instid0(SALU_CYCLE_1)
	s_add_u32 s0, s8, s20
	v_lshlrev_b32_e32 v2, 1, v1
	s_addc_u32 s8, s9, s21
	s_lshl_b64 s[4:5], s[4:5], 2
	ds_load_b128 v[12:15], v2
	ds_load_u16 v37, v2 offset:16
	ds_load_u16 v36, v2 offset:18
	;; [unrolled: 1-line block ×3, first 2 shown]
	s_add_u32 s0, s0, s4
	s_addc_u32 s4, s8, s5
	s_and_b32 vcc_lo, exec_lo, s10
	s_mov_b32 s5, -1
	s_waitcnt lgkmcnt(0)
	s_barrier
	buffer_gl0_inv
	s_cbranch_vccz .LBB899_32
; %bb.31:
	v_lshlrev_b32_e32 v7, 2, v0
	s_delay_alu instid0(VALU_DEP_1) | instskip(NEXT) | instid1(VALU_DEP_1)
	v_add_co_u32 v3, s5, s0, v7
	v_add_co_ci_u32_e64 v4, null, s4, 0, s5
	s_mov_b32 s5, 0
	s_delay_alu instid0(VALU_DEP_2) | instskip(NEXT) | instid1(VALU_DEP_2)
	v_add_co_u32 v5, vcc_lo, 0x1000, v3
	v_add_co_ci_u32_e32 v6, vcc_lo, 0, v4, vcc_lo
	s_clause 0xa
	flat_load_b32 v8, v[3:4]
	flat_load_b32 v10, v[3:4] offset:512
	flat_load_b32 v11, v[3:4] offset:1024
	;; [unrolled: 1-line block ×7, first 2 shown]
	flat_load_b32 v4, v[5:6]
	flat_load_b32 v22, v[5:6] offset:512
	flat_load_b32 v5, v[5:6] offset:1024
	s_waitcnt vmcnt(9) lgkmcnt(9)
	ds_store_2addr_stride64_b32 v7, v8, v10 offset1:2
	s_waitcnt vmcnt(7) lgkmcnt(8)
	ds_store_2addr_stride64_b32 v7, v11, v16 offset0:4 offset1:6
	s_waitcnt vmcnt(5) lgkmcnt(7)
	ds_store_2addr_stride64_b32 v7, v17, v18 offset0:8 offset1:10
	;; [unrolled: 2-line block ×4, first 2 shown]
	s_waitcnt vmcnt(0) lgkmcnt(5)
	ds_store_b32 v7, v5 offset:5120
	s_waitcnt lgkmcnt(0)
	s_barrier
.LBB899_32:
	s_and_not1_b32 vcc_lo, exec_lo, s5
	s_cbranch_vccnz .LBB899_56
; %bb.33:
	s_mov_b32 s5, exec_lo
                                        ; implicit-def: $vgpr3
	v_cmpx_gt_u32_e64 s18, v0
	s_cbranch_execz .LBB899_35
; %bb.34:
	v_lshlrev_b32_e32 v3, 2, v0
	s_delay_alu instid0(VALU_DEP_1) | instskip(NEXT) | instid1(VALU_DEP_1)
	v_add_co_u32 v3, s8, s0, v3
	v_add_co_ci_u32_e64 v4, null, s4, 0, s8
	flat_load_b32 v3, v[3:4]
.LBB899_35:
	s_or_b32 exec_lo, exec_lo, s5
	v_or_b32_e32 v4, 0x80, v0
	s_delay_alu instid0(VALU_DEP_1)
	v_cmp_gt_u32_e32 vcc_lo, s18, v4
                                        ; implicit-def: $vgpr4
	s_and_saveexec_b32 s5, vcc_lo
	s_cbranch_execz .LBB899_37
; %bb.36:
	v_lshlrev_b32_e32 v4, 2, v0
	s_delay_alu instid0(VALU_DEP_1) | instskip(NEXT) | instid1(VALU_DEP_1)
	v_add_co_u32 v4, s8, s0, v4
	v_add_co_ci_u32_e64 v5, null, s4, 0, s8
	flat_load_b32 v4, v[4:5] offset:512
.LBB899_37:
	s_or_b32 exec_lo, exec_lo, s5
	v_or_b32_e32 v5, 0x100, v0
	s_delay_alu instid0(VALU_DEP_1)
	v_cmp_gt_u32_e32 vcc_lo, s18, v5
                                        ; implicit-def: $vgpr5
	s_and_saveexec_b32 s5, vcc_lo
	s_cbranch_execz .LBB899_39
; %bb.38:
	v_lshlrev_b32_e32 v5, 2, v0
	s_delay_alu instid0(VALU_DEP_1) | instskip(NEXT) | instid1(VALU_DEP_1)
	v_add_co_u32 v5, s8, s0, v5
	v_add_co_ci_u32_e64 v6, null, s4, 0, s8
	flat_load_b32 v5, v[5:6] offset:1024
.LBB899_39:
	s_or_b32 exec_lo, exec_lo, s5
	v_or_b32_e32 v6, 0x180, v0
	s_delay_alu instid0(VALU_DEP_1)
	v_cmp_gt_u32_e32 vcc_lo, s18, v6
                                        ; implicit-def: $vgpr6
	s_and_saveexec_b32 s5, vcc_lo
	s_cbranch_execz .LBB899_41
; %bb.40:
	v_lshlrev_b32_e32 v6, 2, v0
	s_delay_alu instid0(VALU_DEP_1) | instskip(NEXT) | instid1(VALU_DEP_1)
	v_add_co_u32 v6, s8, s0, v6
	v_add_co_ci_u32_e64 v7, null, s4, 0, s8
	flat_load_b32 v6, v[6:7] offset:1536
.LBB899_41:
	s_or_b32 exec_lo, exec_lo, s5
	v_or_b32_e32 v7, 0x200, v0
	s_delay_alu instid0(VALU_DEP_1)
	v_cmp_gt_u32_e32 vcc_lo, s18, v7
                                        ; implicit-def: $vgpr7
	s_and_saveexec_b32 s5, vcc_lo
	s_cbranch_execz .LBB899_43
; %bb.42:
	v_lshlrev_b32_e32 v7, 2, v0
	s_delay_alu instid0(VALU_DEP_1) | instskip(NEXT) | instid1(VALU_DEP_1)
	v_add_co_u32 v7, s8, s0, v7
	v_add_co_ci_u32_e64 v8, null, s4, 0, s8
	flat_load_b32 v7, v[7:8] offset:2048
.LBB899_43:
	s_or_b32 exec_lo, exec_lo, s5
	v_or_b32_e32 v8, 0x280, v0
	s_delay_alu instid0(VALU_DEP_1)
	v_cmp_gt_u32_e32 vcc_lo, s18, v8
                                        ; implicit-def: $vgpr8
	s_and_saveexec_b32 s5, vcc_lo
	s_cbranch_execz .LBB899_45
; %bb.44:
	v_lshlrev_b32_e32 v8, 2, v0
	s_delay_alu instid0(VALU_DEP_1) | instskip(NEXT) | instid1(VALU_DEP_1)
	v_add_co_u32 v10, s8, s0, v8
	v_add_co_ci_u32_e64 v11, null, s4, 0, s8
	flat_load_b32 v8, v[10:11] offset:2560
.LBB899_45:
	s_or_b32 exec_lo, exec_lo, s5
	v_or_b32_e32 v10, 0x300, v0
	s_delay_alu instid0(VALU_DEP_1)
	v_cmp_gt_u32_e32 vcc_lo, s18, v10
                                        ; implicit-def: $vgpr10
	s_and_saveexec_b32 s5, vcc_lo
	s_cbranch_execz .LBB899_47
; %bb.46:
	v_lshlrev_b32_e32 v10, 2, v0
	s_delay_alu instid0(VALU_DEP_1) | instskip(NEXT) | instid1(VALU_DEP_1)
	v_add_co_u32 v10, s8, s0, v10
	v_add_co_ci_u32_e64 v11, null, s4, 0, s8
	flat_load_b32 v10, v[10:11] offset:3072
.LBB899_47:
	s_or_b32 exec_lo, exec_lo, s5
	v_or_b32_e32 v11, 0x380, v0
	s_delay_alu instid0(VALU_DEP_1)
	v_cmp_gt_u32_e32 vcc_lo, s18, v11
                                        ; implicit-def: $vgpr11
	s_and_saveexec_b32 s5, vcc_lo
	s_cbranch_execz .LBB899_49
; %bb.48:
	v_lshlrev_b32_e32 v11, 2, v0
	s_delay_alu instid0(VALU_DEP_1) | instskip(NEXT) | instid1(VALU_DEP_1)
	v_add_co_u32 v16, s8, s0, v11
	v_add_co_ci_u32_e64 v17, null, s4, 0, s8
	flat_load_b32 v11, v[16:17] offset:3584
.LBB899_49:
	s_or_b32 exec_lo, exec_lo, s5
	v_or_b32_e32 v17, 0x400, v0
	s_mov_b32 s5, exec_lo
                                        ; implicit-def: $vgpr16
	s_delay_alu instid0(VALU_DEP_1)
	v_cmpx_gt_u32_e64 s18, v17
	s_cbranch_execz .LBB899_51
; %bb.50:
	v_lshlrev_b32_e32 v16, 2, v17
	s_delay_alu instid0(VALU_DEP_1) | instskip(NEXT) | instid1(VALU_DEP_1)
	v_add_co_u32 v16, s8, s0, v16
	v_add_co_ci_u32_e64 v17, null, s4, 0, s8
	flat_load_b32 v16, v[16:17]
.LBB899_51:
	s_or_b32 exec_lo, exec_lo, s5
	v_or_b32_e32 v18, 0x480, v0
	s_mov_b32 s5, exec_lo
                                        ; implicit-def: $vgpr17
	s_delay_alu instid0(VALU_DEP_1)
	v_cmpx_gt_u32_e64 s18, v18
	s_cbranch_execz .LBB899_53
; %bb.52:
	v_lshlrev_b32_e32 v17, 2, v18
	s_delay_alu instid0(VALU_DEP_1) | instskip(NEXT) | instid1(VALU_DEP_1)
	v_add_co_u32 v17, s8, s0, v17
	v_add_co_ci_u32_e64 v18, null, s4, 0, s8
	flat_load_b32 v17, v[17:18]
.LBB899_53:
	s_or_b32 exec_lo, exec_lo, s5
	v_or_b32_e32 v21, 0x500, v0
	s_mov_b32 s5, exec_lo
                                        ; implicit-def: $vgpr18
	s_delay_alu instid0(VALU_DEP_1)
	v_cmpx_gt_u32_e64 s18, v21
	s_cbranch_execz .LBB899_55
; %bb.54:
	v_lshlrev_b32_e32 v18, 2, v21
	s_delay_alu instid0(VALU_DEP_1) | instskip(NEXT) | instid1(VALU_DEP_1)
	v_add_co_u32 v21, s0, s0, v18
	v_add_co_ci_u32_e64 v22, null, s4, 0, s0
	flat_load_b32 v18, v[21:22]
.LBB899_55:
	s_or_b32 exec_lo, exec_lo, s5
	v_mad_i32_i24 v2, 0xffffffee, v0, v2
	s_waitcnt vmcnt(0) lgkmcnt(0)
	ds_store_2addr_stride64_b32 v2, v3, v4 offset1:2
	ds_store_2addr_stride64_b32 v2, v5, v6 offset0:4 offset1:6
	ds_store_2addr_stride64_b32 v2, v7, v8 offset0:8 offset1:10
	;; [unrolled: 1-line block ×4, first 2 shown]
	ds_store_b32 v2, v18 offset:5120
	s_waitcnt lgkmcnt(0)
	s_barrier
.LBB899_56:
	v_lshlrev_b32_e32 v43, 2, v1
	buffer_gl0_inv
	s_cmp_lg_u32 s15, 0
	v_lshrrev_b32_e32 v42, 16, v12
	s_cselect_b32 s20, -1, 0
	ds_load_2addr_b32 v[29:30], v43 offset1:1
	ds_load_2addr_b32 v[27:28], v43 offset0:2 offset1:3
	ds_load_2addr_b32 v[25:26], v43 offset0:4 offset1:5
	;; [unrolled: 1-line block ×4, first 2 shown]
	ds_load_b32 v38, v43 offset:40
	s_cmp_lg_u64 s[6:7], 0
	v_lshrrev_b32_e32 v41, 16, v13
	s_cselect_b32 s0, -1, 0
	v_lshrrev_b32_e32 v40, 16, v14
	v_lshrrev_b32_e32 v39, 16, v15
	v_add_nc_u32_e32 v5, 1, v1
	v_add_nc_u32_e32 v6, 2, v1
	;; [unrolled: 1-line block ×10, first 2 shown]
	s_or_b32 s0, s0, s20
	s_mov_b32 s21, 0
	s_and_b32 vcc_lo, exec_lo, s0
	s_waitcnt lgkmcnt(0)
	s_barrier
	buffer_gl0_inv
	s_cbranch_vccz .LBB899_61
; %bb.57:
	v_add_co_u32 v16, s0, -2, s11
	s_delay_alu instid0(VALU_DEP_1)
	v_add_co_ci_u32_e64 v17, null, -1, s1, s0
	s_mov_b32 s1, -1
	s_and_b32 vcc_lo, exec_lo, s10
	flat_load_u16 v16, v[16:17]
	ds_store_b16 v9, v35
	s_cbranch_vccz .LBB899_63
; %bb.58:
	s_waitcnt vmcnt(0) lgkmcnt(1)
	v_mov_b32_e32 v17, v16
	s_waitcnt lgkmcnt(0)
	s_barrier
	buffer_gl0_inv
	s_and_saveexec_b32 s0, s3
	s_cbranch_execz .LBB899_60
; %bb.59:
	v_add_nc_u32_e32 v17, -2, v9
	ds_load_u16 v17, v17
.LBB899_60:
	s_or_b32 exec_lo, exec_lo, s0
	v_cmp_ne_u16_e32 vcc_lo, v15, v39
	s_waitcnt lgkmcnt(0)
	v_cmp_ne_u16_e64 s0, v17, v12
	v_cndmask_b32_e64 v18, 0, 1, vcc_lo
	v_cmp_ne_u16_e32 vcc_lo, v40, v15
	s_delay_alu instid0(VALU_DEP_2) | instskip(SKIP_2) | instid1(VALU_DEP_2)
	v_lshlrev_b16 v18, 8, v18
	v_cndmask_b32_e64 v31, 0, 1, vcc_lo
	v_cmp_ne_u16_e32 vcc_lo, v14, v40
	v_or_b32_e32 v18, v31, v18
	v_cndmask_b32_e64 v32, 0, 1, vcc_lo
	v_cmp_ne_u16_e32 vcc_lo, v41, v14
	s_delay_alu instid0(VALU_DEP_3) | instskip(NEXT) | instid1(VALU_DEP_3)
	v_lshlrev_b32_e32 v18, 16, v18
	v_lshlrev_b16 v32, 8, v32
	v_cndmask_b32_e64 v34, 0, 1, vcc_lo
	v_cmp_ne_u16_e32 vcc_lo, v13, v41
	s_delay_alu instid0(VALU_DEP_2) | instskip(SKIP_2) | instid1(VALU_DEP_3)
	v_or_b32_e32 v32, v34, v32
	v_cndmask_b32_e64 v44, 0, 1, vcc_lo
	v_cmp_ne_u16_e32 vcc_lo, v42, v13
	v_and_b32_e32 v32, 0xffff, v32
	s_delay_alu instid0(VALU_DEP_3) | instskip(SKIP_2) | instid1(VALU_DEP_4)
	v_lshlrev_b16 v44, 8, v44
	v_cndmask_b32_e64 v46, 0, 1, vcc_lo
	v_cmp_ne_u16_e32 vcc_lo, v12, v42
	v_or_b32_e32 v32, v32, v18
	s_delay_alu instid0(VALU_DEP_3) | instskip(SKIP_2) | instid1(VALU_DEP_3)
	v_or_b32_e32 v44, v46, v44
	v_cndmask_b32_e64 v47, 0, 1, vcc_lo
	v_cmp_ne_u16_e32 vcc_lo, v36, v35
	v_lshlrev_b32_e32 v31, 16, v44
	s_delay_alu instid0(VALU_DEP_3) | instskip(SKIP_2) | instid1(VALU_DEP_3)
	v_lshlrev_b16 v46, 8, v47
	v_cndmask_b32_e64 v45, 0, 1, vcc_lo
	v_cmp_ne_u16_e32 vcc_lo, v37, v36
	v_and_b32_e32 v46, 0xffff, v46
	v_cndmask_b32_e64 v34, 0, 1, vcc_lo
	v_cmp_ne_u16_e32 vcc_lo, v39, v37
	s_delay_alu instid0(VALU_DEP_3)
	v_or_b32_e32 v31, v46, v31
	v_cndmask_b32_e64 v44, 0, 1, vcc_lo
	s_branch .LBB899_67
.LBB899_61:
                                        ; implicit-def: $sgpr0
                                        ; implicit-def: $vgpr45
                                        ; implicit-def: $vgpr34
                                        ; implicit-def: $vgpr44
                                        ; implicit-def: $vgpr32
	s_branch .LBB899_68
.LBB899_62:
                                        ; implicit-def: $vgpr16_vgpr17_vgpr18
	s_and_saveexec_b32 s1, s21
	s_cbranch_execnz .LBB899_76
	s_branch .LBB899_77
.LBB899_63:
                                        ; implicit-def: $sgpr0
                                        ; implicit-def: $vgpr45
                                        ; implicit-def: $vgpr34
                                        ; implicit-def: $vgpr44
                                        ; implicit-def: $vgpr32
	s_and_b32 vcc_lo, exec_lo, s1
	s_cbranch_vccz .LBB899_67
; %bb.64:
	s_waitcnt vmcnt(0) lgkmcnt(0)
	s_barrier
	buffer_gl0_inv
	s_and_saveexec_b32 s0, s3
	s_cbranch_execz .LBB899_66
; %bb.65:
	v_add_nc_u32_e32 v9, -2, v9
	ds_load_u16 v16, v9
.LBB899_66:
	s_or_b32 exec_lo, exec_lo, s0
	v_cmp_gt_u32_e32 vcc_lo, s18, v10
	v_cmp_ne_u16_e64 s0, v36, v35
	v_cmp_gt_u32_e64 s1, s18, v11
	v_cmp_ne_u16_e64 s4, v37, v36
	v_cmp_gt_u32_e64 s5, s18, v5
	v_cmp_ne_u16_e64 s6, v12, v42
	s_and_b32 s0, vcc_lo, s0
	v_cmp_gt_u32_e32 vcc_lo, s18, v2
	v_cndmask_b32_e64 v45, 0, 1, s0
	v_cmp_ne_u16_e64 s0, v15, v39
	s_and_b32 s1, s1, s4
	v_cmp_ne_u16_e64 s4, v40, v15
	v_cndmask_b32_e64 v34, 0, 1, s1
	v_cmp_gt_u32_e64 s1, s18, v4
	s_and_b32 s0, vcc_lo, s0
	v_cmp_gt_u32_e32 vcc_lo, s18, v7
	v_cndmask_b32_e64 v9, 0, 1, s0
	v_cmp_ne_u16_e64 s0, v14, v40
	s_and_b32 s1, s1, s4
	v_cmp_ne_u16_e64 s4, v13, v41
	v_cndmask_b32_e64 v17, 0, 1, s1
	v_cmp_gt_u32_e64 s1, s18, v3
	;; [unrolled: 8-line block ×3, first 2 shown]
	s_and_b32 s0, vcc_lo, s0
	v_lshlrev_b16 v18, 8, v18
	v_cndmask_b32_e64 v32, 0, 1, s0
	v_lshlrev_b16 v31, 8, v31
	s_and_b32 s0, s1, s4
	v_lshlrev_b16 v9, 8, v9
	v_cndmask_b32_e64 v44, 0, 1, s0
	s_and_b32 s0, s5, s6
	v_or_b32_e32 v18, v32, v18
	v_cndmask_b32_e64 v46, 0, 1, s0
	v_or_b32_e32 v9, v17, v9
	v_or_b32_e32 v31, v44, v31
	v_cmp_gt_u32_e32 vcc_lo, s18, v33
	v_cmp_ne_u16_e64 s0, v39, v37
	v_lshlrev_b16 v44, 8, v46
	v_and_b32_e32 v18, 0xffff, v18
	v_lshlrev_b32_e32 v17, 16, v31
	v_lshlrev_b32_e32 v9, 16, v9
	s_and_b32 s0, vcc_lo, s0
	v_and_b32_e32 v31, 0xffff, v44
	v_cndmask_b32_e64 v44, 0, 1, s0
	v_cmp_gt_u32_e32 vcc_lo, s18, v1
	s_waitcnt lgkmcnt(0)
	v_cmp_ne_u16_e64 s0, v16, v12
	v_or_b32_e32 v32, v18, v9
	v_or_b32_e32 v31, v31, v17
	s_delay_alu instid0(VALU_DEP_3)
	s_and_b32 s0, vcc_lo, s0
.LBB899_67:
	s_mov_b32 s21, -1
	s_cbranch_execnz .LBB899_62
.LBB899_68:
	v_mad_i32_i24 v9, 0xffffffd6, v0, v43
	s_and_b32 vcc_lo, exec_lo, s10
	v_cmp_ne_u16_e64 s0, v36, v35
	v_cmp_ne_u16_e64 s9, v37, v36
	;; [unrolled: 1-line block ×10, first 2 shown]
	ds_store_b16 v9, v35
	s_cbranch_vccz .LBB899_72
; %bb.69:
	s_waitcnt vmcnt(0) lgkmcnt(2)
	v_cndmask_b32_e64 v16, 0, 1, s11
	v_cndmask_b32_e64 v34, 0, 1, s9
	;; [unrolled: 1-line block ×5, first 2 shown]
	v_lshlrev_b16 v16, 8, v16
	v_cndmask_b32_e64 v46, 0, 1, s4
	v_cndmask_b32_e64 v44, 0, 1, s10
	;; [unrolled: 1-line block ×4, first 2 shown]
	v_lshlrev_b16 v17, 8, v17
	v_lshlrev_b16 v47, 8, v34
	v_or_b32_e32 v16, v31, v16
	v_lshlrev_b16 v31, 8, v32
	v_lshlrev_b16 v32, 8, v46
	v_or_b32_e32 v17, v18, v17
	v_or_b32_e32 v18, v44, v47
	v_and_b32_e32 v16, 0xffff, v16
	v_or_b32_e32 v31, v45, v31
	v_or_b32_e32 v32, 1, v32
	v_lshlrev_b32_e32 v17, 16, v17
	v_and_b32_e32 v18, 0xffff, v18
	v_cndmask_b32_e64 v45, 0, 1, s0
	v_lshlrev_b32_e32 v31, 16, v31
	v_and_b32_e32 v46, 0xffff, v32
	v_or_b32_e32 v32, v16, v17
	s_waitcnt lgkmcnt(0)
	v_lshl_or_b32 v18, v45, 16, v18
	s_barrier
	v_or_b32_e32 v31, v46, v31
	buffer_gl0_inv
                                        ; implicit-def: $sgpr0
	s_and_saveexec_b32 s1, s3
	s_delay_alu instid0(SALU_CYCLE_1)
	s_xor_b32 s1, exec_lo, s1
	s_cbranch_execz .LBB899_71
; %bb.70:
	v_add_nc_u32_e32 v16, -2, v9
	s_or_b32 s21, s21, exec_lo
	ds_load_u16 v16, v16
	s_waitcnt lgkmcnt(0)
	v_cmp_ne_u16_e32 vcc_lo, v16, v12
                                        ; implicit-def: $vgpr16_vgpr17_vgpr18
	s_and_b32 s0, vcc_lo, exec_lo
.LBB899_71:
	s_or_b32 exec_lo, exec_lo, s1
	s_branch .LBB899_75
.LBB899_72:
                                        ; implicit-def: $sgpr0
                                        ; implicit-def: $vgpr45
                                        ; implicit-def: $vgpr34
                                        ; implicit-def: $vgpr44
                                        ; implicit-def: $vgpr32
                                        ; implicit-def: $vgpr16_vgpr17_vgpr18
	s_cbranch_execz .LBB899_75
; %bb.73:
	v_cmp_gt_u32_e32 vcc_lo, s18, v11
	v_cmp_ne_u16_e64 s0, v37, v36
	v_cmp_gt_u32_e64 s5, s18, v33
	v_cmp_ne_u16_e64 s6, v39, v37
	v_cmp_gt_u32_e64 s1, s18, v10
	v_cmp_ne_u16_e64 s4, v36, v35
	s_and_b32 s0, vcc_lo, s0
	v_cmp_gt_u32_e32 vcc_lo, s18, v2
	v_cndmask_b32_e64 v34, 0, 1, s0
	v_cmp_ne_u16_e64 s0, v15, v39
	s_and_b32 s5, s5, s6
	v_cmp_ne_u16_e64 s6, v40, v15
	v_cndmask_b32_e64 v44, 0, 1, s5
	v_cmp_gt_u32_e64 s5, s18, v4
	s_and_b32 s0, vcc_lo, s0
	v_cmp_gt_u32_e32 vcc_lo, s18, v7
	s_waitcnt vmcnt(0) lgkmcnt(2)
	v_cndmask_b32_e64 v16, 0, 1, s0
	v_cmp_ne_u16_e64 s0, v14, v40
	s_and_b32 s5, s5, s6
	v_cmp_ne_u16_e64 s6, v41, v14
	v_cndmask_b32_e64 v17, 0, 1, s5
	v_cmp_gt_u32_e64 s5, s18, v8
	s_and_b32 s0, vcc_lo, s0
	v_cmp_gt_u32_e32 vcc_lo, s18, v3
	v_cndmask_b32_e64 v18, 0, 1, s0
	v_cmp_ne_u16_e64 s0, v13, v41
	s_and_b32 s5, s5, s6
	v_cmp_ne_u16_e64 s6, v42, v13
	v_cndmask_b32_e64 v31, 0, 1, s5
	v_cmp_gt_u32_e64 s5, s18, v6
	s_and_b32 s0, vcc_lo, s0
	v_cmp_gt_u32_e32 vcc_lo, s18, v5
	v_cndmask_b32_e64 v32, 0, 1, s0
	v_cmp_ne_u16_e64 s0, v12, v42
	v_lshlrev_b16 v18, 8, v18
	v_lshlrev_b16 v16, 8, v16
	s_and_b32 s5, s5, s6
	v_lshlrev_b16 v47, 8, v34
	s_and_b32 s0, vcc_lo, s0
	v_cndmask_b32_e64 v45, 0, 1, s5
	v_cndmask_b32_e64 v46, 0, 1, s0
	v_or_b32_e32 v18, v31, v18
	v_or_b32_e32 v16, v17, v16
	v_lshlrev_b16 v17, 8, v32
	v_or_b32_e32 v32, v44, v47
	v_lshlrev_b16 v31, 8, v46
	s_and_b32 s0, s1, s4
	v_and_b32_e32 v18, 0xffff, v18
	v_or_b32_e32 v17, v45, v17
	v_lshlrev_b32_e32 v16, 16, v16
	v_or_b32_e32 v31, 1, v31
	v_and_b32_e32 v46, 0xffff, v32
	v_cndmask_b32_e64 v45, 0, 1, s0
	v_lshlrev_b32_e32 v17, 16, v17
	v_or_b32_e32 v32, v18, v16
	v_and_b32_e32 v31, 0xffff, v31
	s_waitcnt lgkmcnt(0)
	v_lshl_or_b32 v18, v45, 16, v46
	s_barrier
	buffer_gl0_inv
	v_or_b32_e32 v31, v31, v17
                                        ; implicit-def: $sgpr0
	s_and_saveexec_b32 s1, s3
	s_cbranch_execz .LBB899_171
; %bb.74:
	v_add_nc_u32_e32 v9, -2, v9
	v_cmp_gt_u32_e32 vcc_lo, s18, v1
	s_or_b32 s21, s21, exec_lo
                                        ; implicit-def: $vgpr16_vgpr17_vgpr18
	ds_load_u16 v9, v9
	s_waitcnt lgkmcnt(0)
	v_cmp_ne_u16_e64 s0, v9, v12
	s_delay_alu instid0(VALU_DEP_1) | instskip(NEXT) | instid1(SALU_CYCLE_1)
	s_and_b32 s0, vcc_lo, s0
	s_and_b32 s0, s0, exec_lo
	s_or_b32 exec_lo, exec_lo, s1
.LBB899_75:
	s_and_saveexec_b32 s1, s21
	s_cbranch_execz .LBB899_77
.LBB899_76:
	s_waitcnt vmcnt(0) lgkmcnt(1)
	v_lshrrev_b32_e32 v16, 24, v31
	v_lshrrev_b32_e32 v17, 16, v31
	;; [unrolled: 1-line block ×3, first 2 shown]
	v_cndmask_b32_e64 v9, 0, 1, s0
	v_lshlrev_b16 v31, 8, v34
	v_and_b32_e32 v34, 0xff, v44
	v_lshlrev_b16 v16, 8, v16
	v_and_b32_e32 v17, 0xff, v17
	;; [unrolled: 2-line block ×3, first 2 shown]
	v_or_b32_e32 v31, v34, v31
	s_delay_alu instid0(VALU_DEP_4) | instskip(NEXT) | instid1(VALU_DEP_4)
	v_or_b32_e32 v16, v17, v16
	v_or_b32_e32 v9, v9, v18
	s_delay_alu instid0(VALU_DEP_4) | instskip(NEXT) | instid1(VALU_DEP_4)
	v_lshlrev_b32_e32 v17, 16, v44
	v_and_b32_e32 v18, 0xffff, v31
	s_delay_alu instid0(VALU_DEP_4) | instskip(NEXT) | instid1(VALU_DEP_4)
	v_lshlrev_b32_e32 v16, 16, v16
	v_and_b32_e32 v9, 0xffff, v9
	s_delay_alu instid0(VALU_DEP_3) | instskip(NEXT) | instid1(VALU_DEP_2)
	v_or_b32_e32 v18, v18, v17
	v_or_b32_e32 v31, v9, v16
.LBB899_77:
	s_or_b32 exec_lo, exec_lo, s1
	s_delay_alu instid0(SALU_CYCLE_1)
	s_and_not1_b32 vcc_lo, exec_lo, s19
	s_cbranch_vccnz .LBB899_79
; %bb.78:
	v_cmp_gt_u32_e32 vcc_lo, s18, v1
	v_cmp_gt_u32_e64 s0, s18, v5
	v_and_b32_e32 v5, 0xffffff00, v32
	v_cmp_gt_u32_e64 s3, s18, v6
	v_cmp_gt_u32_e64 s5, s18, v3
	v_cndmask_b32_e32 v1, 0, v31, vcc_lo
	v_cmp_gt_u32_e32 vcc_lo, s18, v33
	v_cmp_gt_u32_e64 s1, s18, v11
	v_cmp_gt_u32_e64 s4, s18, v10
	s_delay_alu instid0(VALU_DEP_4) | instskip(NEXT) | instid1(VALU_DEP_1)
	v_and_b32_e32 v1, 0xff, v1
	v_cndmask_b32_e64 v1, v1, v31, s0
	v_cmp_gt_u32_e64 s0, s18, v8
	s_delay_alu instid0(VALU_DEP_2) | instskip(NEXT) | instid1(VALU_DEP_2)
	v_and_b32_e32 v1, 0xffff, v1
	v_cndmask_b32_e64 v5, v5, v32, s0
	s_delay_alu instid0(VALU_DEP_2) | instskip(NEXT) | instid1(VALU_DEP_2)
	v_cndmask_b32_e64 v1, v1, v31, s3
	v_and_b32_e32 v5, 0xffff00ff, v5
	v_cmp_gt_u32_e64 s3, s18, v7
	s_delay_alu instid0(VALU_DEP_3) | instskip(NEXT) | instid1(VALU_DEP_2)
	v_and_b32_e32 v1, 0xffffff, v1
	v_cndmask_b32_e64 v5, v5, v32, s3
	s_delay_alu instid0(VALU_DEP_2) | instskip(NEXT) | instid1(VALU_DEP_2)
	v_cndmask_b32_e64 v1, v1, v31, s5
	v_and_b32_e32 v3, 0xff00ffff, v5
	s_delay_alu instid0(VALU_DEP_2) | instskip(SKIP_1) | instid1(VALU_DEP_2)
	v_cndmask_b32_e64 v1, v1, v31, s0
	v_cmp_gt_u32_e64 s0, s18, v4
	v_cndmask_b32_e64 v1, v1, v31, s3
	s_delay_alu instid0(VALU_DEP_2) | instskip(SKIP_1) | instid1(VALU_DEP_3)
	v_cndmask_b32_e64 v3, v3, v32, s0
	v_cmp_gt_u32_e64 s3, s18, v2
	v_cndmask_b32_e64 v1, v1, v31, s0
	s_delay_alu instid0(VALU_DEP_3) | instskip(SKIP_1) | instid1(VALU_DEP_1)
	v_and_b32_e32 v2, 0xffffff, v3
	v_and_b32_e32 v9, 0xff000000, v18
	v_cndmask_b32_e32 v9, v9, v18, vcc_lo
	s_delay_alu instid0(VALU_DEP_1) | instskip(NEXT) | instid1(VALU_DEP_1)
	v_and_b32_e32 v9, 0xff0000ff, v9
	v_cndmask_b32_e64 v8, v9, v18, s1
	s_or_b32 s1, s4, s1
	s_delay_alu instid0(SALU_CYCLE_1) | instskip(NEXT) | instid1(VALU_DEP_1)
	s_or_b32 s0, s1, vcc_lo
	v_and_b32_e32 v6, 0xff00ffff, v8
	s_or_b32 vcc_lo, s0, s3
	v_dual_cndmask_b32 v32, v2, v32 :: v_dual_cndmask_b32 v1, v1, v31
	s_delay_alu instid0(VALU_DEP_2) | instskip(NEXT) | instid1(VALU_DEP_2)
	v_cndmask_b32_e64 v6, v6, v18, s4
	v_perm_b32 v31, v1, v1, 0x3020104
	s_delay_alu instid0(VALU_DEP_2) | instskip(SKIP_1) | instid1(VALU_DEP_2)
	v_lshrrev_b32_e32 v5, 8, v6
	v_and_b32_e32 v4, 0xff, v6
	v_lshlrev_b16 v5, 8, v5
	s_delay_alu instid0(VALU_DEP_1) | instskip(NEXT) | instid1(VALU_DEP_1)
	v_or_b32_e32 v3, v4, v5
	v_and_b32_e32 v2, 0xffff, v3
	s_delay_alu instid0(VALU_DEP_1)
	v_and_or_b32 v18, 0xff0000, v6, v2
.LBB899_79:
	s_delay_alu instid0(VALU_DEP_1)
	v_and_b32_e32 v45, 0xff, v31
	v_bfe_u32 v46, v31, 8, 8
	v_alignbit_b32 v1, v32, v31, 24
	v_bfe_u32 v47, v31, 16, 8
	v_and_b32_e32 v48, 0xff, v32
	v_bfe_u32 v50, v32, 8, 8
	v_bfe_u32 v51, v32, 16, 8
	v_and_b32_e32 v49, 0xff, v1
	v_add3_u32 v1, v46, v45, v47
	v_lshrrev_b32_e32 v44, 24, v32
	v_mbcnt_lo_u32_b32 v54, -1, 0
	v_and_b32_e32 v52, 0xff, v18
	v_bfe_u32 v53, v18, 8, 8
	v_add3_u32 v1, v1, v49, v48
	v_bfe_u32 v3, v18, 16, 8
	v_and_b32_e32 v2, 15, v54
	v_or_b32_e32 v4, 31, v0
	v_and_b32_e32 v5, 16, v54
	v_add3_u32 v1, v1, v50, v51
	v_lshrrev_b32_e32 v55, 5, v0
	v_cmp_eq_u32_e64 s6, 0, v2
	v_cmp_lt_u32_e64 s5, 1, v2
	v_cmp_lt_u32_e64 s4, 3, v2
	v_add3_u32 v1, v1, v44, v52
	v_cmp_lt_u32_e64 s3, 7, v2
	v_cmp_eq_u32_e64 s1, 0, v5
	v_cmp_eq_u32_e64 s0, v4, v0
	s_and_b32 vcc_lo, exec_lo, s20
	v_add3_u32 v56, v1, v53, v3
	s_mov_b32 s7, -1
	s_waitcnt vmcnt(0) lgkmcnt(0)
	s_barrier
	buffer_gl0_inv
	s_cbranch_vccz .LBB899_110
; %bb.80:
	v_mov_b32_dpp v1, v56 row_shr:1 row_mask:0xf bank_mask:0xf
	s_delay_alu instid0(VALU_DEP_1) | instskip(NEXT) | instid1(VALU_DEP_1)
	v_cndmask_b32_e64 v1, v1, 0, s6
	v_add_nc_u32_e32 v1, v1, v56
	s_delay_alu instid0(VALU_DEP_1) | instskip(NEXT) | instid1(VALU_DEP_1)
	v_mov_b32_dpp v2, v1 row_shr:2 row_mask:0xf bank_mask:0xf
	v_cndmask_b32_e64 v2, 0, v2, s5
	s_delay_alu instid0(VALU_DEP_1) | instskip(NEXT) | instid1(VALU_DEP_1)
	v_add_nc_u32_e32 v1, v1, v2
	v_mov_b32_dpp v2, v1 row_shr:4 row_mask:0xf bank_mask:0xf
	s_delay_alu instid0(VALU_DEP_1) | instskip(NEXT) | instid1(VALU_DEP_1)
	v_cndmask_b32_e64 v2, 0, v2, s4
	v_add_nc_u32_e32 v1, v1, v2
	s_delay_alu instid0(VALU_DEP_1) | instskip(NEXT) | instid1(VALU_DEP_1)
	v_mov_b32_dpp v2, v1 row_shr:8 row_mask:0xf bank_mask:0xf
	v_cndmask_b32_e64 v2, 0, v2, s3
	s_delay_alu instid0(VALU_DEP_1) | instskip(SKIP_3) | instid1(VALU_DEP_1)
	v_add_nc_u32_e32 v1, v1, v2
	ds_swizzle_b32 v2, v1 offset:swizzle(BROADCAST,32,15)
	s_waitcnt lgkmcnt(0)
	v_cndmask_b32_e64 v2, v2, 0, s1
	v_add_nc_u32_e32 v1, v1, v2
	s_and_saveexec_b32 s7, s0
	s_cbranch_execz .LBB899_82
; %bb.81:
	v_lshlrev_b32_e32 v2, 2, v55
	ds_store_b32 v2, v1
.LBB899_82:
	s_or_b32 exec_lo, exec_lo, s7
	s_delay_alu instid0(SALU_CYCLE_1)
	s_mov_b32 s7, exec_lo
	s_waitcnt lgkmcnt(0)
	s_barrier
	buffer_gl0_inv
	v_cmpx_gt_u32_e32 4, v0
	s_cbranch_execz .LBB899_84
; %bb.83:
	v_and_b32_e32 v4, 3, v54
	s_delay_alu instid0(VALU_DEP_1) | instskip(SKIP_4) | instid1(VALU_DEP_1)
	v_cmp_ne_u32_e32 vcc_lo, 0, v4
	v_lshlrev_b32_e32 v2, 2, v0
	ds_load_b32 v3, v2
	s_waitcnt lgkmcnt(0)
	v_mov_b32_dpp v5, v3 row_shr:1 row_mask:0xf bank_mask:0xf
	v_cndmask_b32_e32 v5, 0, v5, vcc_lo
	v_cmp_lt_u32_e32 vcc_lo, 1, v4
	s_delay_alu instid0(VALU_DEP_2) | instskip(NEXT) | instid1(VALU_DEP_1)
	v_add_nc_u32_e32 v3, v5, v3
	v_mov_b32_dpp v5, v3 row_shr:2 row_mask:0xf bank_mask:0xf
	s_delay_alu instid0(VALU_DEP_1) | instskip(NEXT) | instid1(VALU_DEP_1)
	v_cndmask_b32_e32 v4, 0, v5, vcc_lo
	v_add_nc_u32_e32 v3, v3, v4
	ds_store_b32 v2, v3
.LBB899_84:
	s_or_b32 exec_lo, exec_lo, s7
	v_cmp_gt_u32_e32 vcc_lo, 32, v0
	s_mov_b32 s8, exec_lo
	s_waitcnt lgkmcnt(0)
	s_barrier
	buffer_gl0_inv
                                        ; implicit-def: $vgpr9
	v_cmpx_lt_u32_e32 31, v0
	s_cbranch_execz .LBB899_86
; %bb.85:
	v_lshl_add_u32 v2, v55, 2, -4
	ds_load_b32 v9, v2
	s_waitcnt lgkmcnt(0)
	v_add_nc_u32_e32 v1, v9, v1
.LBB899_86:
	s_or_b32 exec_lo, exec_lo, s8
	v_add_nc_u32_e32 v2, -1, v54
	s_delay_alu instid0(VALU_DEP_1) | instskip(NEXT) | instid1(VALU_DEP_1)
	v_cmp_gt_i32_e64 s7, 0, v2
	v_cndmask_b32_e64 v2, v2, v54, s7
	v_cmp_eq_u32_e64 s7, 0, v54
	s_delay_alu instid0(VALU_DEP_2)
	v_lshlrev_b32_e32 v2, 2, v2
	ds_bpermute_b32 v10, v2, v1
	s_and_saveexec_b32 s8, vcc_lo
	s_cbranch_execz .LBB899_109
; %bb.87:
	v_mov_b32_e32 v5, 0
	ds_load_b32 v1, v5 offset:12
	s_and_saveexec_b32 s9, s7
	s_cbranch_execz .LBB899_89
; %bb.88:
	s_add_i32 s10, s15, 32
	s_mov_b32 s11, 0
	v_mov_b32_e32 v2, 1
	s_lshl_b64 s[10:11], s[10:11], 3
	s_delay_alu instid0(SALU_CYCLE_1)
	s_add_u32 s10, s16, s10
	s_addc_u32 s11, s17, s11
	s_waitcnt lgkmcnt(0)
	global_store_b64 v5, v[1:2], s[10:11]
.LBB899_89:
	s_or_b32 exec_lo, exec_lo, s9
	v_xad_u32 v3, v54, -1, s15
	s_mov_b32 s10, 0
	s_mov_b32 s9, exec_lo
	s_delay_alu instid0(VALU_DEP_1) | instskip(NEXT) | instid1(VALU_DEP_1)
	v_add_nc_u32_e32 v4, 32, v3
	v_lshlrev_b64 v[4:5], 3, v[4:5]
	s_delay_alu instid0(VALU_DEP_1) | instskip(NEXT) | instid1(VALU_DEP_2)
	v_add_co_u32 v7, vcc_lo, s16, v4
	v_add_co_ci_u32_e32 v8, vcc_lo, s17, v5, vcc_lo
	global_load_b64 v[5:6], v[7:8], off glc
	s_waitcnt vmcnt(0)
	v_and_b32_e32 v2, 0xff, v6
	s_delay_alu instid0(VALU_DEP_1)
	v_cmpx_eq_u16_e32 0, v2
	s_cbranch_execz .LBB899_95
; %bb.90:
	s_mov_b32 s11, 1
	.p2align	6
.LBB899_91:                             ; =>This Loop Header: Depth=1
                                        ;     Child Loop BB899_92 Depth 2
	s_delay_alu instid0(SALU_CYCLE_1)
	s_max_u32 s18, s11, 1
.LBB899_92:                             ;   Parent Loop BB899_91 Depth=1
                                        ; =>  This Inner Loop Header: Depth=2
	s_delay_alu instid0(SALU_CYCLE_1)
	s_add_i32 s18, s18, -1
	s_sleep 1
	s_cmp_eq_u32 s18, 0
	s_cbranch_scc0 .LBB899_92
; %bb.93:                               ;   in Loop: Header=BB899_91 Depth=1
	global_load_b64 v[5:6], v[7:8], off glc
	s_cmp_lt_u32 s11, 32
	s_cselect_b32 s18, -1, 0
	s_delay_alu instid0(SALU_CYCLE_1) | instskip(SKIP_3) | instid1(VALU_DEP_1)
	s_cmp_lg_u32 s18, 0
	s_addc_u32 s11, s11, 0
	s_waitcnt vmcnt(0)
	v_and_b32_e32 v2, 0xff, v6
	v_cmp_ne_u16_e32 vcc_lo, 0, v2
	s_or_b32 s10, vcc_lo, s10
	s_delay_alu instid0(SALU_CYCLE_1)
	s_and_not1_b32 exec_lo, exec_lo, s10
	s_cbranch_execnz .LBB899_91
; %bb.94:
	s_or_b32 exec_lo, exec_lo, s10
.LBB899_95:
	s_delay_alu instid0(SALU_CYCLE_1)
	s_or_b32 exec_lo, exec_lo, s9
	v_cmp_ne_u32_e32 vcc_lo, 31, v54
	v_lshlrev_b32_e64 v16, v54, -1
	v_add_nc_u32_e32 v33, 2, v54
	v_add_nc_u32_e32 v57, 4, v54
	;; [unrolled: 1-line block ×3, first 2 shown]
	v_add_co_ci_u32_e32 v2, vcc_lo, 0, v54, vcc_lo
	v_add_nc_u32_e32 v61, 16, v54
	s_delay_alu instid0(VALU_DEP_2)
	v_lshlrev_b32_e32 v11, 2, v2
	v_and_b32_e32 v2, 0xff, v6
	ds_bpermute_b32 v4, v11, v5
	v_cmp_eq_u16_e32 vcc_lo, 2, v2
	v_and_or_b32 v2, vcc_lo, v16, 0x80000000
	v_cmp_gt_u32_e32 vcc_lo, 30, v54
	s_delay_alu instid0(VALU_DEP_2) | instskip(SKIP_1) | instid1(VALU_DEP_2)
	v_ctz_i32_b32_e32 v2, v2
	v_cndmask_b32_e64 v7, 0, 1, vcc_lo
	v_cmp_lt_u32_e32 vcc_lo, v54, v2
	s_waitcnt lgkmcnt(0)
	s_delay_alu instid0(VALU_DEP_2) | instskip(NEXT) | instid1(VALU_DEP_1)
	v_dual_cndmask_b32 v4, 0, v4 :: v_dual_lshlrev_b32 v7, 1, v7
	v_add_lshl_u32 v17, v7, v54, 2
	v_cmp_gt_u32_e32 vcc_lo, 28, v54
	s_delay_alu instid0(VALU_DEP_3) | instskip(SKIP_4) | instid1(VALU_DEP_1)
	v_add_nc_u32_e32 v4, v4, v5
	v_cndmask_b32_e64 v7, 0, 1, vcc_lo
	v_cmp_le_u32_e32 vcc_lo, v33, v2
	ds_bpermute_b32 v5, v17, v4
	v_lshlrev_b32_e32 v7, 2, v7
	v_add_lshl_u32 v34, v7, v54, 2
	s_waitcnt lgkmcnt(0)
	v_cndmask_b32_e32 v5, 0, v5, vcc_lo
	v_cmp_gt_u32_e32 vcc_lo, 24, v54
	s_delay_alu instid0(VALU_DEP_2) | instskip(SKIP_4) | instid1(VALU_DEP_1)
	v_add_nc_u32_e32 v4, v4, v5
	v_cndmask_b32_e64 v7, 0, 1, vcc_lo
	v_cmp_le_u32_e32 vcc_lo, v57, v2
	ds_bpermute_b32 v5, v34, v4
	v_lshlrev_b32_e32 v7, 3, v7
	v_add_lshl_u32 v58, v7, v54, 2
	s_waitcnt lgkmcnt(0)
	v_cndmask_b32_e32 v5, 0, v5, vcc_lo
	v_cmp_gt_u32_e32 vcc_lo, 16, v54
	s_delay_alu instid0(VALU_DEP_2) | instskip(SKIP_4) | instid1(VALU_DEP_1)
	v_add_nc_u32_e32 v4, v4, v5
	v_cndmask_b32_e64 v7, 0, 1, vcc_lo
	v_cmp_le_u32_e32 vcc_lo, v59, v2
	ds_bpermute_b32 v5, v58, v4
	v_lshlrev_b32_e32 v7, 4, v7
	v_add_lshl_u32 v60, v7, v54, 2
	s_waitcnt lgkmcnt(0)
	v_cndmask_b32_e32 v5, 0, v5, vcc_lo
	v_cmp_le_u32_e32 vcc_lo, v61, v2
	s_delay_alu instid0(VALU_DEP_2) | instskip(SKIP_3) | instid1(VALU_DEP_1)
	v_add_nc_u32_e32 v4, v4, v5
	ds_bpermute_b32 v5, v60, v4
	s_waitcnt lgkmcnt(0)
	v_cndmask_b32_e32 v2, 0, v5, vcc_lo
	v_dual_mov_b32 v4, 0 :: v_dual_add_nc_u32 v5, v4, v2
	s_branch .LBB899_97
.LBB899_96:                             ;   in Loop: Header=BB899_97 Depth=1
	s_or_b32 exec_lo, exec_lo, s9
	ds_bpermute_b32 v8, v11, v5
	v_and_b32_e32 v7, 0xff, v6
	v_subrev_nc_u32_e32 v3, 32, v3
	s_delay_alu instid0(VALU_DEP_2) | instskip(SKIP_1) | instid1(VALU_DEP_1)
	v_cmp_eq_u16_e32 vcc_lo, 2, v7
	v_and_or_b32 v7, vcc_lo, v16, 0x80000000
	v_ctz_i32_b32_e32 v7, v7
	s_delay_alu instid0(VALU_DEP_1) | instskip(SKIP_3) | instid1(VALU_DEP_2)
	v_cmp_lt_u32_e32 vcc_lo, v54, v7
	s_waitcnt lgkmcnt(0)
	v_cndmask_b32_e32 v8, 0, v8, vcc_lo
	v_cmp_le_u32_e32 vcc_lo, v33, v7
	v_add_nc_u32_e32 v5, v8, v5
	ds_bpermute_b32 v8, v17, v5
	s_waitcnt lgkmcnt(0)
	v_cndmask_b32_e32 v8, 0, v8, vcc_lo
	v_cmp_le_u32_e32 vcc_lo, v57, v7
	s_delay_alu instid0(VALU_DEP_2) | instskip(SKIP_4) | instid1(VALU_DEP_2)
	v_add_nc_u32_e32 v5, v5, v8
	ds_bpermute_b32 v8, v34, v5
	s_waitcnt lgkmcnt(0)
	v_cndmask_b32_e32 v8, 0, v8, vcc_lo
	v_cmp_le_u32_e32 vcc_lo, v59, v7
	v_add_nc_u32_e32 v5, v5, v8
	ds_bpermute_b32 v8, v58, v5
	s_waitcnt lgkmcnt(0)
	v_cndmask_b32_e32 v8, 0, v8, vcc_lo
	v_cmp_le_u32_e32 vcc_lo, v61, v7
	s_delay_alu instid0(VALU_DEP_2) | instskip(SKIP_3) | instid1(VALU_DEP_1)
	v_add_nc_u32_e32 v5, v5, v8
	ds_bpermute_b32 v8, v60, v5
	s_waitcnt lgkmcnt(0)
	v_cndmask_b32_e32 v7, 0, v8, vcc_lo
	v_add3_u32 v5, v7, v2, v5
.LBB899_97:                             ; =>This Loop Header: Depth=1
                                        ;     Child Loop BB899_100 Depth 2
                                        ;       Child Loop BB899_101 Depth 3
	v_and_b32_e32 v2, 0xff, v6
	s_delay_alu instid0(VALU_DEP_1) | instskip(SKIP_2) | instid1(VALU_DEP_1)
	v_cmp_ne_u16_e32 vcc_lo, 2, v2
	v_cndmask_b32_e64 v2, 0, 1, vcc_lo
	;;#ASMSTART
	;;#ASMEND
	v_cmp_ne_u32_e32 vcc_lo, 0, v2
	v_mov_b32_e32 v2, v5
	s_cmp_lg_u32 vcc_lo, exec_lo
	s_cbranch_scc1 .LBB899_104
; %bb.98:                               ;   in Loop: Header=BB899_97 Depth=1
	v_lshlrev_b64 v[5:6], 3, v[3:4]
	s_mov_b32 s9, exec_lo
	s_delay_alu instid0(VALU_DEP_1) | instskip(NEXT) | instid1(VALU_DEP_2)
	v_add_co_u32 v7, vcc_lo, s16, v5
	v_add_co_ci_u32_e32 v8, vcc_lo, s17, v6, vcc_lo
	global_load_b64 v[5:6], v[7:8], off glc
	s_waitcnt vmcnt(0)
	v_and_b32_e32 v62, 0xff, v6
	s_delay_alu instid0(VALU_DEP_1)
	v_cmpx_eq_u16_e32 0, v62
	s_cbranch_execz .LBB899_96
; %bb.99:                               ;   in Loop: Header=BB899_97 Depth=1
	s_mov_b32 s11, 1
	s_mov_b32 s10, 0
	.p2align	6
.LBB899_100:                            ;   Parent Loop BB899_97 Depth=1
                                        ; =>  This Loop Header: Depth=2
                                        ;       Child Loop BB899_101 Depth 3
	s_max_u32 s18, s11, 1
.LBB899_101:                            ;   Parent Loop BB899_97 Depth=1
                                        ;     Parent Loop BB899_100 Depth=2
                                        ; =>    This Inner Loop Header: Depth=3
	s_delay_alu instid0(SALU_CYCLE_1)
	s_add_i32 s18, s18, -1
	s_sleep 1
	s_cmp_eq_u32 s18, 0
	s_cbranch_scc0 .LBB899_101
; %bb.102:                              ;   in Loop: Header=BB899_100 Depth=2
	global_load_b64 v[5:6], v[7:8], off glc
	s_cmp_lt_u32 s11, 32
	s_cselect_b32 s18, -1, 0
	s_delay_alu instid0(SALU_CYCLE_1) | instskip(SKIP_3) | instid1(VALU_DEP_1)
	s_cmp_lg_u32 s18, 0
	s_addc_u32 s11, s11, 0
	s_waitcnt vmcnt(0)
	v_and_b32_e32 v62, 0xff, v6
	v_cmp_ne_u16_e32 vcc_lo, 0, v62
	s_or_b32 s10, vcc_lo, s10
	s_delay_alu instid0(SALU_CYCLE_1)
	s_and_not1_b32 exec_lo, exec_lo, s10
	s_cbranch_execnz .LBB899_100
; %bb.103:                              ;   in Loop: Header=BB899_97 Depth=1
	s_or_b32 exec_lo, exec_lo, s10
	s_branch .LBB899_96
.LBB899_104:                            ;   in Loop: Header=BB899_97 Depth=1
                                        ; implicit-def: $vgpr5
                                        ; implicit-def: $vgpr6
	s_cbranch_execz .LBB899_97
; %bb.105:
	s_and_saveexec_b32 s9, s7
	s_cbranch_execz .LBB899_107
; %bb.106:
	s_add_i32 s10, s15, 32
	s_mov_b32 s11, 0
	v_dual_mov_b32 v4, 2 :: v_dual_add_nc_u32 v3, v2, v1
	s_lshl_b64 s[10:11], s[10:11], 3
	v_mov_b32_e32 v5, 0
	s_add_u32 s10, s16, s10
	s_addc_u32 s11, s17, s11
	global_store_b64 v5, v[3:4], s[10:11]
	ds_store_b64 v5, v[1:2] offset:5632
.LBB899_107:
	s_or_b32 exec_lo, exec_lo, s9
	s_delay_alu instid0(SALU_CYCLE_1)
	s_and_b32 exec_lo, exec_lo, s2
	s_cbranch_execz .LBB899_109
; %bb.108:
	v_mov_b32_e32 v1, 0
	ds_store_b32 v1, v2 offset:12
.LBB899_109:
	s_or_b32 exec_lo, exec_lo, s8
	v_mov_b32_e32 v11, 0
	s_waitcnt lgkmcnt(0)
	s_waitcnt_vscnt null, 0x0
	s_barrier
	buffer_gl0_inv
	v_cndmask_b32_e64 v2, v10, v9, s7
	ds_load_b32 v1, v11 offset:12
	s_waitcnt lgkmcnt(0)
	s_barrier
	buffer_gl0_inv
	v_cndmask_b32_e64 v2, v2, 0, s2
	s_delay_alu instid0(VALU_DEP_1) | instskip(NEXT) | instid1(VALU_DEP_1)
	v_add_nc_u32_e32 v1, v1, v2
	v_add_nc_u32_e32 v2, v1, v45
	ds_load_b64 v[16:17], v11 offset:5632
	v_add_nc_u32_e32 v3, v2, v46
	s_delay_alu instid0(VALU_DEP_1) | instskip(NEXT) | instid1(VALU_DEP_1)
	v_add_nc_u32_e32 v4, v3, v47
	v_add_nc_u32_e32 v5, v4, v49
	s_delay_alu instid0(VALU_DEP_1) | instskip(NEXT) | instid1(VALU_DEP_1)
	v_add_nc_u32_e32 v6, v5, v48
	;; [unrolled: 3-line block ×4, first 2 shown]
	v_add_nc_u32_e32 v11, v10, v53
	v_lshrrev_b64 v[33:34], 24, v[31:32]
	s_branch .LBB899_120
.LBB899_110:
                                        ; implicit-def: $vgpr17
                                        ; implicit-def: $vgpr1_vgpr2_vgpr3_vgpr4_vgpr5_vgpr6_vgpr7_vgpr8_vgpr9_vgpr10_vgpr11
	v_lshrrev_b64 v[33:34], 24, v[31:32]
	s_and_b32 vcc_lo, exec_lo, s7
	s_cbranch_vccz .LBB899_120
; %bb.111:
	v_mov_b32_dpp v1, v56 row_shr:1 row_mask:0xf bank_mask:0xf
	s_delay_alu instid0(VALU_DEP_1) | instskip(NEXT) | instid1(VALU_DEP_1)
	v_cndmask_b32_e64 v1, v1, 0, s6
	v_add_nc_u32_e32 v1, v1, v56
	s_delay_alu instid0(VALU_DEP_1) | instskip(NEXT) | instid1(VALU_DEP_1)
	v_mov_b32_dpp v2, v1 row_shr:2 row_mask:0xf bank_mask:0xf
	v_cndmask_b32_e64 v2, 0, v2, s5
	s_delay_alu instid0(VALU_DEP_1) | instskip(NEXT) | instid1(VALU_DEP_1)
	v_add_nc_u32_e32 v1, v1, v2
	v_mov_b32_dpp v2, v1 row_shr:4 row_mask:0xf bank_mask:0xf
	s_delay_alu instid0(VALU_DEP_1) | instskip(NEXT) | instid1(VALU_DEP_1)
	v_cndmask_b32_e64 v2, 0, v2, s4
	v_add_nc_u32_e32 v1, v1, v2
	s_delay_alu instid0(VALU_DEP_1) | instskip(NEXT) | instid1(VALU_DEP_1)
	v_mov_b32_dpp v2, v1 row_shr:8 row_mask:0xf bank_mask:0xf
	v_cndmask_b32_e64 v2, 0, v2, s3
	s_delay_alu instid0(VALU_DEP_1) | instskip(SKIP_3) | instid1(VALU_DEP_1)
	v_add_nc_u32_e32 v1, v1, v2
	ds_swizzle_b32 v2, v1 offset:swizzle(BROADCAST,32,15)
	s_waitcnt lgkmcnt(0)
	v_cndmask_b32_e64 v2, v2, 0, s1
	v_add_nc_u32_e32 v1, v1, v2
	s_and_saveexec_b32 s1, s0
	s_cbranch_execz .LBB899_113
; %bb.112:
	v_lshlrev_b32_e32 v2, 2, v55
	ds_store_b32 v2, v1
.LBB899_113:
	s_or_b32 exec_lo, exec_lo, s1
	s_delay_alu instid0(SALU_CYCLE_1)
	s_mov_b32 s0, exec_lo
	s_waitcnt lgkmcnt(0)
	s_barrier
	buffer_gl0_inv
	v_cmpx_gt_u32_e32 4, v0
	s_cbranch_execz .LBB899_115
; %bb.114:
	v_mad_i32_i24 v2, 0xffffffd8, v0, v43
	ds_load_b32 v3, v2
	s_waitcnt lgkmcnt(0)
	v_mov_b32_dpp v5, v3 row_shr:1 row_mask:0xf bank_mask:0xf
	v_and_b32_e32 v4, 3, v54
	s_delay_alu instid0(VALU_DEP_1) | instskip(NEXT) | instid1(VALU_DEP_3)
	v_cmp_ne_u32_e32 vcc_lo, 0, v4
	v_cndmask_b32_e32 v5, 0, v5, vcc_lo
	v_cmp_lt_u32_e32 vcc_lo, 1, v4
	s_delay_alu instid0(VALU_DEP_2) | instskip(NEXT) | instid1(VALU_DEP_1)
	v_add_nc_u32_e32 v3, v5, v3
	v_mov_b32_dpp v5, v3 row_shr:2 row_mask:0xf bank_mask:0xf
	s_delay_alu instid0(VALU_DEP_1) | instskip(NEXT) | instid1(VALU_DEP_1)
	v_cndmask_b32_e32 v4, 0, v5, vcc_lo
	v_add_nc_u32_e32 v3, v3, v4
	ds_store_b32 v2, v3
.LBB899_115:
	s_or_b32 exec_lo, exec_lo, s0
	v_cmp_lt_u32_e32 vcc_lo, 31, v0
	v_mov_b32_e32 v2, 0
	v_mov_b32_e32 v0, 0
	s_waitcnt lgkmcnt(0)
	s_barrier
	buffer_gl0_inv
	s_and_saveexec_b32 s0, vcc_lo
	s_cbranch_execz .LBB899_117
; %bb.116:
	v_lshl_add_u32 v0, v55, 2, -4
	ds_load_b32 v0, v0
.LBB899_117:
	s_or_b32 exec_lo, exec_lo, s0
	v_add_nc_u32_e32 v3, -1, v54
	s_waitcnt lgkmcnt(0)
	v_add_nc_u32_e32 v1, v0, v1
	ds_load_b32 v16, v2 offset:12
	v_cmp_gt_i32_e32 vcc_lo, 0, v3
	v_cndmask_b32_e32 v3, v3, v54, vcc_lo
	s_delay_alu instid0(VALU_DEP_1)
	v_lshlrev_b32_e32 v3, 2, v3
	ds_bpermute_b32 v1, v3, v1
	s_and_saveexec_b32 s0, s2
	s_cbranch_execz .LBB899_119
; %bb.118:
	v_dual_mov_b32 v2, 0 :: v_dual_mov_b32 v17, 2
	s_waitcnt lgkmcnt(1)
	global_store_b64 v2, v[16:17], s[16:17] offset:256
.LBB899_119:
	s_or_b32 exec_lo, exec_lo, s0
	v_cmp_eq_u32_e32 vcc_lo, 0, v54
	s_waitcnt lgkmcnt(0)
	s_waitcnt_vscnt null, 0x0
	s_barrier
	buffer_gl0_inv
	v_dual_mov_b32 v17, 0 :: v_dual_cndmask_b32 v0, v1, v0
	s_delay_alu instid0(VALU_DEP_1) | instskip(NEXT) | instid1(VALU_DEP_1)
	v_cndmask_b32_e64 v1, v0, 0, s2
	v_add_nc_u32_e32 v2, v1, v45
	s_delay_alu instid0(VALU_DEP_1) | instskip(NEXT) | instid1(VALU_DEP_1)
	v_add_nc_u32_e32 v3, v2, v46
	v_add_nc_u32_e32 v4, v3, v47
	s_delay_alu instid0(VALU_DEP_1) | instskip(NEXT) | instid1(VALU_DEP_1)
	v_add_nc_u32_e32 v5, v4, v49
	;; [unrolled: 3-line block ×4, first 2 shown]
	v_add_nc_u32_e32 v10, v9, v52
	s_delay_alu instid0(VALU_DEP_1)
	v_add_nc_u32_e32 v11, v10, v53
.LBB899_120:
	v_lshrrev_b32_e32 v46, 16, v31
	v_lshrrev_b32_e32 v47, 8, v31
	v_and_b32_e32 v31, 1, v31
	s_waitcnt lgkmcnt(0)
	v_cmp_gt_u32_e32 vcc_lo, 0x81, v16
	v_lshrrev_b32_e32 v0, 16, v18
	v_lshrrev_b32_e32 v45, 8, v32
	;; [unrolled: 1-line block ×4, first 2 shown]
	v_cmp_lt_u32_e64 s0, 0x80, v16
	v_cmp_eq_u32_e64 s1, 1, v31
	s_cbranch_vccnz .LBB899_144
; %bb.121:
	s_delay_alu instid0(VALU_DEP_1)
	s_and_saveexec_b32 s3, s1
	s_cbranch_execz .LBB899_123
; %bb.122:
	v_sub_nc_u32_e32 v48, v1, v17
	s_delay_alu instid0(VALU_DEP_1)
	v_lshlrev_b32_e32 v48, 1, v48
	ds_store_b16 v48, v12
.LBB899_123:
	s_or_b32 exec_lo, exec_lo, s3
	v_and_b32_e32 v12, 1, v47
	s_mov_b32 s1, exec_lo
	s_delay_alu instid0(VALU_DEP_1)
	v_cmpx_eq_u32_e32 1, v12
	s_cbranch_execz .LBB899_125
; %bb.124:
	v_sub_nc_u32_e32 v12, v2, v17
	s_delay_alu instid0(VALU_DEP_1)
	v_lshlrev_b32_e32 v12, 1, v12
	ds_store_b16 v12, v42
.LBB899_125:
	s_or_b32 exec_lo, exec_lo, s1
	v_and_b32_e32 v12, 1, v46
	s_mov_b32 s1, exec_lo
	s_delay_alu instid0(VALU_DEP_1)
	v_cmpx_eq_u32_e32 1, v12
	;; [unrolled: 12-line block ×10, first 2 shown]
	s_cbranch_execz .LBB899_143
; %bb.142:
	v_sub_nc_u32_e32 v12, v11, v17
	s_delay_alu instid0(VALU_DEP_1)
	v_lshlrev_b32_e32 v12, 1, v12
	ds_store_b16 v12, v35
.LBB899_143:
	s_or_b32 exec_lo, exec_lo, s1
	s_waitcnt lgkmcnt(0)
	s_barrier
	buffer_gl0_inv
.LBB899_144:
	s_delay_alu instid0(VALU_DEP_2)
	s_and_not1_b32 vcc_lo, exec_lo, s0
	s_barrier
	buffer_gl0_inv
	s_cbranch_vccz .LBB899_147
; %bb.145:
	s_and_b32 s0, s2, s14
	s_delay_alu instid0(SALU_CYCLE_1)
	s_and_saveexec_b32 s1, s0
	s_cbranch_execnz .LBB899_170
.LBB899_146:
	s_endpgm
.LBB899_147:
	s_mov_b32 s0, exec_lo
	v_cmpx_eq_u32_e32 1, v31
	s_cbranch_execz .LBB899_149
; %bb.148:
	v_sub_nc_u32_e32 v1, v1, v17
	s_delay_alu instid0(VALU_DEP_1)
	v_lshlrev_b32_e32 v1, 2, v1
	ds_store_b32 v1, v29
.LBB899_149:
	s_or_b32 exec_lo, exec_lo, s0
	v_and_b32_e32 v1, 1, v47
	s_mov_b32 s0, exec_lo
	s_delay_alu instid0(VALU_DEP_1)
	v_cmpx_eq_u32_e32 1, v1
	s_cbranch_execz .LBB899_151
; %bb.150:
	v_sub_nc_u32_e32 v1, v2, v17
	s_delay_alu instid0(VALU_DEP_1)
	v_lshlrev_b32_e32 v1, 2, v1
	ds_store_b32 v1, v30
.LBB899_151:
	s_or_b32 exec_lo, exec_lo, s0
	v_and_b32_e32 v1, 1, v46
	s_mov_b32 s0, exec_lo
	s_delay_alu instid0(VALU_DEP_1)
	;; [unrolled: 12-line block ×10, first 2 shown]
	v_cmpx_eq_u32_e32 1, v0
	s_cbranch_execz .LBB899_169
; %bb.168:
	v_sub_nc_u32_e32 v0, v11, v17
	s_delay_alu instid0(VALU_DEP_1)
	v_lshlrev_b32_e32 v0, 2, v0
	ds_store_b32 v0, v38
.LBB899_169:
	s_or_b32 exec_lo, exec_lo, s0
	s_waitcnt lgkmcnt(0)
	s_barrier
	buffer_gl0_inv
	s_and_b32 s0, s2, s14
	s_delay_alu instid0(SALU_CYCLE_1)
	s_and_saveexec_b32 s1, s0
	s_cbranch_execz .LBB899_146
.LBB899_170:
	v_add_co_u32 v0, vcc_lo, v19, v16
	v_add_co_ci_u32_e32 v1, vcc_lo, 0, v20, vcc_lo
	v_mov_b32_e32 v2, 0
	s_delay_alu instid0(VALU_DEP_3) | instskip(NEXT) | instid1(VALU_DEP_3)
	v_add_co_u32 v0, vcc_lo, v0, v17
	v_add_co_ci_u32_e32 v1, vcc_lo, 0, v1, vcc_lo
	global_store_b64 v2, v[0:1], s[12:13]
	s_nop 0
	s_sendmsg sendmsg(MSG_DEALLOC_VGPRS)
	s_endpgm
.LBB899_171:
	s_or_b32 exec_lo, exec_lo, s1
	s_and_saveexec_b32 s1, s21
	s_cbranch_execnz .LBB899_76
	s_branch .LBB899_77
	.section	.rodata,"a",@progbits
	.p2align	6, 0x0
	.amdhsa_kernel _ZN7rocprim17ROCPRIM_400000_NS6detail17trampoline_kernelINS0_14default_configENS1_25partition_config_selectorILNS1_17partition_subalgoE9EtjbEEZZNS1_14partition_implILS5_9ELb0ES3_jN6thrust23THRUST_200600_302600_NS6detail15normal_iteratorINS9_10device_ptrItEEEENSB_INSC_IjEEEEPNS0_10empty_typeENS0_5tupleIJNS9_16discard_iteratorINS9_11use_defaultEEESH_EEENSJ_IJSM_SI_EEENS0_18inequality_wrapperINS9_8equal_toItEEEEPmJSH_EEE10hipError_tPvRmT3_T4_T5_T6_T7_T9_mT8_P12ihipStream_tbDpT10_ENKUlT_T0_E_clISt17integral_constantIbLb1EES1D_EEDaS18_S19_EUlS18_E_NS1_11comp_targetILNS1_3genE9ELNS1_11target_archE1100ELNS1_3gpuE3ELNS1_3repE0EEENS1_30default_config_static_selectorELNS0_4arch9wavefront6targetE0EEEvT1_
		.amdhsa_group_segment_fixed_size 5640
		.amdhsa_private_segment_fixed_size 0
		.amdhsa_kernarg_size 144
		.amdhsa_user_sgpr_count 15
		.amdhsa_user_sgpr_dispatch_ptr 0
		.amdhsa_user_sgpr_queue_ptr 0
		.amdhsa_user_sgpr_kernarg_segment_ptr 1
		.amdhsa_user_sgpr_dispatch_id 0
		.amdhsa_user_sgpr_private_segment_size 0
		.amdhsa_wavefront_size32 1
		.amdhsa_uses_dynamic_stack 0
		.amdhsa_enable_private_segment 0
		.amdhsa_system_sgpr_workgroup_id_x 1
		.amdhsa_system_sgpr_workgroup_id_y 0
		.amdhsa_system_sgpr_workgroup_id_z 0
		.amdhsa_system_sgpr_workgroup_info 0
		.amdhsa_system_vgpr_workitem_id 0
		.amdhsa_next_free_vgpr 63
		.amdhsa_next_free_sgpr 24
		.amdhsa_reserve_vcc 1
		.amdhsa_float_round_mode_32 0
		.amdhsa_float_round_mode_16_64 0
		.amdhsa_float_denorm_mode_32 3
		.amdhsa_float_denorm_mode_16_64 3
		.amdhsa_dx10_clamp 1
		.amdhsa_ieee_mode 1
		.amdhsa_fp16_overflow 0
		.amdhsa_workgroup_processor_mode 1
		.amdhsa_memory_ordered 1
		.amdhsa_forward_progress 0
		.amdhsa_shared_vgpr_count 0
		.amdhsa_exception_fp_ieee_invalid_op 0
		.amdhsa_exception_fp_denorm_src 0
		.amdhsa_exception_fp_ieee_div_zero 0
		.amdhsa_exception_fp_ieee_overflow 0
		.amdhsa_exception_fp_ieee_underflow 0
		.amdhsa_exception_fp_ieee_inexact 0
		.amdhsa_exception_int_div_zero 0
	.end_amdhsa_kernel
	.section	.text._ZN7rocprim17ROCPRIM_400000_NS6detail17trampoline_kernelINS0_14default_configENS1_25partition_config_selectorILNS1_17partition_subalgoE9EtjbEEZZNS1_14partition_implILS5_9ELb0ES3_jN6thrust23THRUST_200600_302600_NS6detail15normal_iteratorINS9_10device_ptrItEEEENSB_INSC_IjEEEEPNS0_10empty_typeENS0_5tupleIJNS9_16discard_iteratorINS9_11use_defaultEEESH_EEENSJ_IJSM_SI_EEENS0_18inequality_wrapperINS9_8equal_toItEEEEPmJSH_EEE10hipError_tPvRmT3_T4_T5_T6_T7_T9_mT8_P12ihipStream_tbDpT10_ENKUlT_T0_E_clISt17integral_constantIbLb1EES1D_EEDaS18_S19_EUlS18_E_NS1_11comp_targetILNS1_3genE9ELNS1_11target_archE1100ELNS1_3gpuE3ELNS1_3repE0EEENS1_30default_config_static_selectorELNS0_4arch9wavefront6targetE0EEEvT1_,"axG",@progbits,_ZN7rocprim17ROCPRIM_400000_NS6detail17trampoline_kernelINS0_14default_configENS1_25partition_config_selectorILNS1_17partition_subalgoE9EtjbEEZZNS1_14partition_implILS5_9ELb0ES3_jN6thrust23THRUST_200600_302600_NS6detail15normal_iteratorINS9_10device_ptrItEEEENSB_INSC_IjEEEEPNS0_10empty_typeENS0_5tupleIJNS9_16discard_iteratorINS9_11use_defaultEEESH_EEENSJ_IJSM_SI_EEENS0_18inequality_wrapperINS9_8equal_toItEEEEPmJSH_EEE10hipError_tPvRmT3_T4_T5_T6_T7_T9_mT8_P12ihipStream_tbDpT10_ENKUlT_T0_E_clISt17integral_constantIbLb1EES1D_EEDaS18_S19_EUlS18_E_NS1_11comp_targetILNS1_3genE9ELNS1_11target_archE1100ELNS1_3gpuE3ELNS1_3repE0EEENS1_30default_config_static_selectorELNS0_4arch9wavefront6targetE0EEEvT1_,comdat
.Lfunc_end899:
	.size	_ZN7rocprim17ROCPRIM_400000_NS6detail17trampoline_kernelINS0_14default_configENS1_25partition_config_selectorILNS1_17partition_subalgoE9EtjbEEZZNS1_14partition_implILS5_9ELb0ES3_jN6thrust23THRUST_200600_302600_NS6detail15normal_iteratorINS9_10device_ptrItEEEENSB_INSC_IjEEEEPNS0_10empty_typeENS0_5tupleIJNS9_16discard_iteratorINS9_11use_defaultEEESH_EEENSJ_IJSM_SI_EEENS0_18inequality_wrapperINS9_8equal_toItEEEEPmJSH_EEE10hipError_tPvRmT3_T4_T5_T6_T7_T9_mT8_P12ihipStream_tbDpT10_ENKUlT_T0_E_clISt17integral_constantIbLb1EES1D_EEDaS18_S19_EUlS18_E_NS1_11comp_targetILNS1_3genE9ELNS1_11target_archE1100ELNS1_3gpuE3ELNS1_3repE0EEENS1_30default_config_static_selectorELNS0_4arch9wavefront6targetE0EEEvT1_, .Lfunc_end899-_ZN7rocprim17ROCPRIM_400000_NS6detail17trampoline_kernelINS0_14default_configENS1_25partition_config_selectorILNS1_17partition_subalgoE9EtjbEEZZNS1_14partition_implILS5_9ELb0ES3_jN6thrust23THRUST_200600_302600_NS6detail15normal_iteratorINS9_10device_ptrItEEEENSB_INSC_IjEEEEPNS0_10empty_typeENS0_5tupleIJNS9_16discard_iteratorINS9_11use_defaultEEESH_EEENSJ_IJSM_SI_EEENS0_18inequality_wrapperINS9_8equal_toItEEEEPmJSH_EEE10hipError_tPvRmT3_T4_T5_T6_T7_T9_mT8_P12ihipStream_tbDpT10_ENKUlT_T0_E_clISt17integral_constantIbLb1EES1D_EEDaS18_S19_EUlS18_E_NS1_11comp_targetILNS1_3genE9ELNS1_11target_archE1100ELNS1_3gpuE3ELNS1_3repE0EEENS1_30default_config_static_selectorELNS0_4arch9wavefront6targetE0EEEvT1_
                                        ; -- End function
	.section	.AMDGPU.csdata,"",@progbits
; Kernel info:
; codeLenInByte = 8256
; NumSgprs: 26
; NumVgprs: 63
; ScratchSize: 0
; MemoryBound: 0
; FloatMode: 240
; IeeeMode: 1
; LDSByteSize: 5640 bytes/workgroup (compile time only)
; SGPRBlocks: 3
; VGPRBlocks: 7
; NumSGPRsForWavesPerEU: 26
; NumVGPRsForWavesPerEU: 63
; Occupancy: 16
; WaveLimiterHint : 1
; COMPUTE_PGM_RSRC2:SCRATCH_EN: 0
; COMPUTE_PGM_RSRC2:USER_SGPR: 15
; COMPUTE_PGM_RSRC2:TRAP_HANDLER: 0
; COMPUTE_PGM_RSRC2:TGID_X_EN: 1
; COMPUTE_PGM_RSRC2:TGID_Y_EN: 0
; COMPUTE_PGM_RSRC2:TGID_Z_EN: 0
; COMPUTE_PGM_RSRC2:TIDIG_COMP_CNT: 0
	.section	.text._ZN7rocprim17ROCPRIM_400000_NS6detail17trampoline_kernelINS0_14default_configENS1_25partition_config_selectorILNS1_17partition_subalgoE9EtjbEEZZNS1_14partition_implILS5_9ELb0ES3_jN6thrust23THRUST_200600_302600_NS6detail15normal_iteratorINS9_10device_ptrItEEEENSB_INSC_IjEEEEPNS0_10empty_typeENS0_5tupleIJNS9_16discard_iteratorINS9_11use_defaultEEESH_EEENSJ_IJSM_SI_EEENS0_18inequality_wrapperINS9_8equal_toItEEEEPmJSH_EEE10hipError_tPvRmT3_T4_T5_T6_T7_T9_mT8_P12ihipStream_tbDpT10_ENKUlT_T0_E_clISt17integral_constantIbLb1EES1D_EEDaS18_S19_EUlS18_E_NS1_11comp_targetILNS1_3genE8ELNS1_11target_archE1030ELNS1_3gpuE2ELNS1_3repE0EEENS1_30default_config_static_selectorELNS0_4arch9wavefront6targetE0EEEvT1_,"axG",@progbits,_ZN7rocprim17ROCPRIM_400000_NS6detail17trampoline_kernelINS0_14default_configENS1_25partition_config_selectorILNS1_17partition_subalgoE9EtjbEEZZNS1_14partition_implILS5_9ELb0ES3_jN6thrust23THRUST_200600_302600_NS6detail15normal_iteratorINS9_10device_ptrItEEEENSB_INSC_IjEEEEPNS0_10empty_typeENS0_5tupleIJNS9_16discard_iteratorINS9_11use_defaultEEESH_EEENSJ_IJSM_SI_EEENS0_18inequality_wrapperINS9_8equal_toItEEEEPmJSH_EEE10hipError_tPvRmT3_T4_T5_T6_T7_T9_mT8_P12ihipStream_tbDpT10_ENKUlT_T0_E_clISt17integral_constantIbLb1EES1D_EEDaS18_S19_EUlS18_E_NS1_11comp_targetILNS1_3genE8ELNS1_11target_archE1030ELNS1_3gpuE2ELNS1_3repE0EEENS1_30default_config_static_selectorELNS0_4arch9wavefront6targetE0EEEvT1_,comdat
	.protected	_ZN7rocprim17ROCPRIM_400000_NS6detail17trampoline_kernelINS0_14default_configENS1_25partition_config_selectorILNS1_17partition_subalgoE9EtjbEEZZNS1_14partition_implILS5_9ELb0ES3_jN6thrust23THRUST_200600_302600_NS6detail15normal_iteratorINS9_10device_ptrItEEEENSB_INSC_IjEEEEPNS0_10empty_typeENS0_5tupleIJNS9_16discard_iteratorINS9_11use_defaultEEESH_EEENSJ_IJSM_SI_EEENS0_18inequality_wrapperINS9_8equal_toItEEEEPmJSH_EEE10hipError_tPvRmT3_T4_T5_T6_T7_T9_mT8_P12ihipStream_tbDpT10_ENKUlT_T0_E_clISt17integral_constantIbLb1EES1D_EEDaS18_S19_EUlS18_E_NS1_11comp_targetILNS1_3genE8ELNS1_11target_archE1030ELNS1_3gpuE2ELNS1_3repE0EEENS1_30default_config_static_selectorELNS0_4arch9wavefront6targetE0EEEvT1_ ; -- Begin function _ZN7rocprim17ROCPRIM_400000_NS6detail17trampoline_kernelINS0_14default_configENS1_25partition_config_selectorILNS1_17partition_subalgoE9EtjbEEZZNS1_14partition_implILS5_9ELb0ES3_jN6thrust23THRUST_200600_302600_NS6detail15normal_iteratorINS9_10device_ptrItEEEENSB_INSC_IjEEEEPNS0_10empty_typeENS0_5tupleIJNS9_16discard_iteratorINS9_11use_defaultEEESH_EEENSJ_IJSM_SI_EEENS0_18inequality_wrapperINS9_8equal_toItEEEEPmJSH_EEE10hipError_tPvRmT3_T4_T5_T6_T7_T9_mT8_P12ihipStream_tbDpT10_ENKUlT_T0_E_clISt17integral_constantIbLb1EES1D_EEDaS18_S19_EUlS18_E_NS1_11comp_targetILNS1_3genE8ELNS1_11target_archE1030ELNS1_3gpuE2ELNS1_3repE0EEENS1_30default_config_static_selectorELNS0_4arch9wavefront6targetE0EEEvT1_
	.globl	_ZN7rocprim17ROCPRIM_400000_NS6detail17trampoline_kernelINS0_14default_configENS1_25partition_config_selectorILNS1_17partition_subalgoE9EtjbEEZZNS1_14partition_implILS5_9ELb0ES3_jN6thrust23THRUST_200600_302600_NS6detail15normal_iteratorINS9_10device_ptrItEEEENSB_INSC_IjEEEEPNS0_10empty_typeENS0_5tupleIJNS9_16discard_iteratorINS9_11use_defaultEEESH_EEENSJ_IJSM_SI_EEENS0_18inequality_wrapperINS9_8equal_toItEEEEPmJSH_EEE10hipError_tPvRmT3_T4_T5_T6_T7_T9_mT8_P12ihipStream_tbDpT10_ENKUlT_T0_E_clISt17integral_constantIbLb1EES1D_EEDaS18_S19_EUlS18_E_NS1_11comp_targetILNS1_3genE8ELNS1_11target_archE1030ELNS1_3gpuE2ELNS1_3repE0EEENS1_30default_config_static_selectorELNS0_4arch9wavefront6targetE0EEEvT1_
	.p2align	8
	.type	_ZN7rocprim17ROCPRIM_400000_NS6detail17trampoline_kernelINS0_14default_configENS1_25partition_config_selectorILNS1_17partition_subalgoE9EtjbEEZZNS1_14partition_implILS5_9ELb0ES3_jN6thrust23THRUST_200600_302600_NS6detail15normal_iteratorINS9_10device_ptrItEEEENSB_INSC_IjEEEEPNS0_10empty_typeENS0_5tupleIJNS9_16discard_iteratorINS9_11use_defaultEEESH_EEENSJ_IJSM_SI_EEENS0_18inequality_wrapperINS9_8equal_toItEEEEPmJSH_EEE10hipError_tPvRmT3_T4_T5_T6_T7_T9_mT8_P12ihipStream_tbDpT10_ENKUlT_T0_E_clISt17integral_constantIbLb1EES1D_EEDaS18_S19_EUlS18_E_NS1_11comp_targetILNS1_3genE8ELNS1_11target_archE1030ELNS1_3gpuE2ELNS1_3repE0EEENS1_30default_config_static_selectorELNS0_4arch9wavefront6targetE0EEEvT1_,@function
_ZN7rocprim17ROCPRIM_400000_NS6detail17trampoline_kernelINS0_14default_configENS1_25partition_config_selectorILNS1_17partition_subalgoE9EtjbEEZZNS1_14partition_implILS5_9ELb0ES3_jN6thrust23THRUST_200600_302600_NS6detail15normal_iteratorINS9_10device_ptrItEEEENSB_INSC_IjEEEEPNS0_10empty_typeENS0_5tupleIJNS9_16discard_iteratorINS9_11use_defaultEEESH_EEENSJ_IJSM_SI_EEENS0_18inequality_wrapperINS9_8equal_toItEEEEPmJSH_EEE10hipError_tPvRmT3_T4_T5_T6_T7_T9_mT8_P12ihipStream_tbDpT10_ENKUlT_T0_E_clISt17integral_constantIbLb1EES1D_EEDaS18_S19_EUlS18_E_NS1_11comp_targetILNS1_3genE8ELNS1_11target_archE1030ELNS1_3gpuE2ELNS1_3repE0EEENS1_30default_config_static_selectorELNS0_4arch9wavefront6targetE0EEEvT1_: ; @_ZN7rocprim17ROCPRIM_400000_NS6detail17trampoline_kernelINS0_14default_configENS1_25partition_config_selectorILNS1_17partition_subalgoE9EtjbEEZZNS1_14partition_implILS5_9ELb0ES3_jN6thrust23THRUST_200600_302600_NS6detail15normal_iteratorINS9_10device_ptrItEEEENSB_INSC_IjEEEEPNS0_10empty_typeENS0_5tupleIJNS9_16discard_iteratorINS9_11use_defaultEEESH_EEENSJ_IJSM_SI_EEENS0_18inequality_wrapperINS9_8equal_toItEEEEPmJSH_EEE10hipError_tPvRmT3_T4_T5_T6_T7_T9_mT8_P12ihipStream_tbDpT10_ENKUlT_T0_E_clISt17integral_constantIbLb1EES1D_EEDaS18_S19_EUlS18_E_NS1_11comp_targetILNS1_3genE8ELNS1_11target_archE1030ELNS1_3gpuE2ELNS1_3repE0EEENS1_30default_config_static_selectorELNS0_4arch9wavefront6targetE0EEEvT1_
; %bb.0:
	.section	.rodata,"a",@progbits
	.p2align	6, 0x0
	.amdhsa_kernel _ZN7rocprim17ROCPRIM_400000_NS6detail17trampoline_kernelINS0_14default_configENS1_25partition_config_selectorILNS1_17partition_subalgoE9EtjbEEZZNS1_14partition_implILS5_9ELb0ES3_jN6thrust23THRUST_200600_302600_NS6detail15normal_iteratorINS9_10device_ptrItEEEENSB_INSC_IjEEEEPNS0_10empty_typeENS0_5tupleIJNS9_16discard_iteratorINS9_11use_defaultEEESH_EEENSJ_IJSM_SI_EEENS0_18inequality_wrapperINS9_8equal_toItEEEEPmJSH_EEE10hipError_tPvRmT3_T4_T5_T6_T7_T9_mT8_P12ihipStream_tbDpT10_ENKUlT_T0_E_clISt17integral_constantIbLb1EES1D_EEDaS18_S19_EUlS18_E_NS1_11comp_targetILNS1_3genE8ELNS1_11target_archE1030ELNS1_3gpuE2ELNS1_3repE0EEENS1_30default_config_static_selectorELNS0_4arch9wavefront6targetE0EEEvT1_
		.amdhsa_group_segment_fixed_size 0
		.amdhsa_private_segment_fixed_size 0
		.amdhsa_kernarg_size 144
		.amdhsa_user_sgpr_count 15
		.amdhsa_user_sgpr_dispatch_ptr 0
		.amdhsa_user_sgpr_queue_ptr 0
		.amdhsa_user_sgpr_kernarg_segment_ptr 1
		.amdhsa_user_sgpr_dispatch_id 0
		.amdhsa_user_sgpr_private_segment_size 0
		.amdhsa_wavefront_size32 1
		.amdhsa_uses_dynamic_stack 0
		.amdhsa_enable_private_segment 0
		.amdhsa_system_sgpr_workgroup_id_x 1
		.amdhsa_system_sgpr_workgroup_id_y 0
		.amdhsa_system_sgpr_workgroup_id_z 0
		.amdhsa_system_sgpr_workgroup_info 0
		.amdhsa_system_vgpr_workitem_id 0
		.amdhsa_next_free_vgpr 1
		.amdhsa_next_free_sgpr 1
		.amdhsa_reserve_vcc 0
		.amdhsa_float_round_mode_32 0
		.amdhsa_float_round_mode_16_64 0
		.amdhsa_float_denorm_mode_32 3
		.amdhsa_float_denorm_mode_16_64 3
		.amdhsa_dx10_clamp 1
		.amdhsa_ieee_mode 1
		.amdhsa_fp16_overflow 0
		.amdhsa_workgroup_processor_mode 1
		.amdhsa_memory_ordered 1
		.amdhsa_forward_progress 0
		.amdhsa_shared_vgpr_count 0
		.amdhsa_exception_fp_ieee_invalid_op 0
		.amdhsa_exception_fp_denorm_src 0
		.amdhsa_exception_fp_ieee_div_zero 0
		.amdhsa_exception_fp_ieee_overflow 0
		.amdhsa_exception_fp_ieee_underflow 0
		.amdhsa_exception_fp_ieee_inexact 0
		.amdhsa_exception_int_div_zero 0
	.end_amdhsa_kernel
	.section	.text._ZN7rocprim17ROCPRIM_400000_NS6detail17trampoline_kernelINS0_14default_configENS1_25partition_config_selectorILNS1_17partition_subalgoE9EtjbEEZZNS1_14partition_implILS5_9ELb0ES3_jN6thrust23THRUST_200600_302600_NS6detail15normal_iteratorINS9_10device_ptrItEEEENSB_INSC_IjEEEEPNS0_10empty_typeENS0_5tupleIJNS9_16discard_iteratorINS9_11use_defaultEEESH_EEENSJ_IJSM_SI_EEENS0_18inequality_wrapperINS9_8equal_toItEEEEPmJSH_EEE10hipError_tPvRmT3_T4_T5_T6_T7_T9_mT8_P12ihipStream_tbDpT10_ENKUlT_T0_E_clISt17integral_constantIbLb1EES1D_EEDaS18_S19_EUlS18_E_NS1_11comp_targetILNS1_3genE8ELNS1_11target_archE1030ELNS1_3gpuE2ELNS1_3repE0EEENS1_30default_config_static_selectorELNS0_4arch9wavefront6targetE0EEEvT1_,"axG",@progbits,_ZN7rocprim17ROCPRIM_400000_NS6detail17trampoline_kernelINS0_14default_configENS1_25partition_config_selectorILNS1_17partition_subalgoE9EtjbEEZZNS1_14partition_implILS5_9ELb0ES3_jN6thrust23THRUST_200600_302600_NS6detail15normal_iteratorINS9_10device_ptrItEEEENSB_INSC_IjEEEEPNS0_10empty_typeENS0_5tupleIJNS9_16discard_iteratorINS9_11use_defaultEEESH_EEENSJ_IJSM_SI_EEENS0_18inequality_wrapperINS9_8equal_toItEEEEPmJSH_EEE10hipError_tPvRmT3_T4_T5_T6_T7_T9_mT8_P12ihipStream_tbDpT10_ENKUlT_T0_E_clISt17integral_constantIbLb1EES1D_EEDaS18_S19_EUlS18_E_NS1_11comp_targetILNS1_3genE8ELNS1_11target_archE1030ELNS1_3gpuE2ELNS1_3repE0EEENS1_30default_config_static_selectorELNS0_4arch9wavefront6targetE0EEEvT1_,comdat
.Lfunc_end900:
	.size	_ZN7rocprim17ROCPRIM_400000_NS6detail17trampoline_kernelINS0_14default_configENS1_25partition_config_selectorILNS1_17partition_subalgoE9EtjbEEZZNS1_14partition_implILS5_9ELb0ES3_jN6thrust23THRUST_200600_302600_NS6detail15normal_iteratorINS9_10device_ptrItEEEENSB_INSC_IjEEEEPNS0_10empty_typeENS0_5tupleIJNS9_16discard_iteratorINS9_11use_defaultEEESH_EEENSJ_IJSM_SI_EEENS0_18inequality_wrapperINS9_8equal_toItEEEEPmJSH_EEE10hipError_tPvRmT3_T4_T5_T6_T7_T9_mT8_P12ihipStream_tbDpT10_ENKUlT_T0_E_clISt17integral_constantIbLb1EES1D_EEDaS18_S19_EUlS18_E_NS1_11comp_targetILNS1_3genE8ELNS1_11target_archE1030ELNS1_3gpuE2ELNS1_3repE0EEENS1_30default_config_static_selectorELNS0_4arch9wavefront6targetE0EEEvT1_, .Lfunc_end900-_ZN7rocprim17ROCPRIM_400000_NS6detail17trampoline_kernelINS0_14default_configENS1_25partition_config_selectorILNS1_17partition_subalgoE9EtjbEEZZNS1_14partition_implILS5_9ELb0ES3_jN6thrust23THRUST_200600_302600_NS6detail15normal_iteratorINS9_10device_ptrItEEEENSB_INSC_IjEEEEPNS0_10empty_typeENS0_5tupleIJNS9_16discard_iteratorINS9_11use_defaultEEESH_EEENSJ_IJSM_SI_EEENS0_18inequality_wrapperINS9_8equal_toItEEEEPmJSH_EEE10hipError_tPvRmT3_T4_T5_T6_T7_T9_mT8_P12ihipStream_tbDpT10_ENKUlT_T0_E_clISt17integral_constantIbLb1EES1D_EEDaS18_S19_EUlS18_E_NS1_11comp_targetILNS1_3genE8ELNS1_11target_archE1030ELNS1_3gpuE2ELNS1_3repE0EEENS1_30default_config_static_selectorELNS0_4arch9wavefront6targetE0EEEvT1_
                                        ; -- End function
	.section	.AMDGPU.csdata,"",@progbits
; Kernel info:
; codeLenInByte = 0
; NumSgprs: 0
; NumVgprs: 0
; ScratchSize: 0
; MemoryBound: 0
; FloatMode: 240
; IeeeMode: 1
; LDSByteSize: 0 bytes/workgroup (compile time only)
; SGPRBlocks: 0
; VGPRBlocks: 0
; NumSGPRsForWavesPerEU: 1
; NumVGPRsForWavesPerEU: 1
; Occupancy: 16
; WaveLimiterHint : 0
; COMPUTE_PGM_RSRC2:SCRATCH_EN: 0
; COMPUTE_PGM_RSRC2:USER_SGPR: 15
; COMPUTE_PGM_RSRC2:TRAP_HANDLER: 0
; COMPUTE_PGM_RSRC2:TGID_X_EN: 1
; COMPUTE_PGM_RSRC2:TGID_Y_EN: 0
; COMPUTE_PGM_RSRC2:TGID_Z_EN: 0
; COMPUTE_PGM_RSRC2:TIDIG_COMP_CNT: 0
	.section	.text._ZN7rocprim17ROCPRIM_400000_NS6detail17trampoline_kernelINS0_14default_configENS1_25partition_config_selectorILNS1_17partition_subalgoE9EtjbEEZZNS1_14partition_implILS5_9ELb0ES3_jN6thrust23THRUST_200600_302600_NS6detail15normal_iteratorINS9_10device_ptrItEEEENSB_INSC_IjEEEEPNS0_10empty_typeENS0_5tupleIJNS9_16discard_iteratorINS9_11use_defaultEEESH_EEENSJ_IJSM_SI_EEENS0_18inequality_wrapperINS9_8equal_toItEEEEPmJSH_EEE10hipError_tPvRmT3_T4_T5_T6_T7_T9_mT8_P12ihipStream_tbDpT10_ENKUlT_T0_E_clISt17integral_constantIbLb1EES1C_IbLb0EEEEDaS18_S19_EUlS18_E_NS1_11comp_targetILNS1_3genE0ELNS1_11target_archE4294967295ELNS1_3gpuE0ELNS1_3repE0EEENS1_30default_config_static_selectorELNS0_4arch9wavefront6targetE0EEEvT1_,"axG",@progbits,_ZN7rocprim17ROCPRIM_400000_NS6detail17trampoline_kernelINS0_14default_configENS1_25partition_config_selectorILNS1_17partition_subalgoE9EtjbEEZZNS1_14partition_implILS5_9ELb0ES3_jN6thrust23THRUST_200600_302600_NS6detail15normal_iteratorINS9_10device_ptrItEEEENSB_INSC_IjEEEEPNS0_10empty_typeENS0_5tupleIJNS9_16discard_iteratorINS9_11use_defaultEEESH_EEENSJ_IJSM_SI_EEENS0_18inequality_wrapperINS9_8equal_toItEEEEPmJSH_EEE10hipError_tPvRmT3_T4_T5_T6_T7_T9_mT8_P12ihipStream_tbDpT10_ENKUlT_T0_E_clISt17integral_constantIbLb1EES1C_IbLb0EEEEDaS18_S19_EUlS18_E_NS1_11comp_targetILNS1_3genE0ELNS1_11target_archE4294967295ELNS1_3gpuE0ELNS1_3repE0EEENS1_30default_config_static_selectorELNS0_4arch9wavefront6targetE0EEEvT1_,comdat
	.protected	_ZN7rocprim17ROCPRIM_400000_NS6detail17trampoline_kernelINS0_14default_configENS1_25partition_config_selectorILNS1_17partition_subalgoE9EtjbEEZZNS1_14partition_implILS5_9ELb0ES3_jN6thrust23THRUST_200600_302600_NS6detail15normal_iteratorINS9_10device_ptrItEEEENSB_INSC_IjEEEEPNS0_10empty_typeENS0_5tupleIJNS9_16discard_iteratorINS9_11use_defaultEEESH_EEENSJ_IJSM_SI_EEENS0_18inequality_wrapperINS9_8equal_toItEEEEPmJSH_EEE10hipError_tPvRmT3_T4_T5_T6_T7_T9_mT8_P12ihipStream_tbDpT10_ENKUlT_T0_E_clISt17integral_constantIbLb1EES1C_IbLb0EEEEDaS18_S19_EUlS18_E_NS1_11comp_targetILNS1_3genE0ELNS1_11target_archE4294967295ELNS1_3gpuE0ELNS1_3repE0EEENS1_30default_config_static_selectorELNS0_4arch9wavefront6targetE0EEEvT1_ ; -- Begin function _ZN7rocprim17ROCPRIM_400000_NS6detail17trampoline_kernelINS0_14default_configENS1_25partition_config_selectorILNS1_17partition_subalgoE9EtjbEEZZNS1_14partition_implILS5_9ELb0ES3_jN6thrust23THRUST_200600_302600_NS6detail15normal_iteratorINS9_10device_ptrItEEEENSB_INSC_IjEEEEPNS0_10empty_typeENS0_5tupleIJNS9_16discard_iteratorINS9_11use_defaultEEESH_EEENSJ_IJSM_SI_EEENS0_18inequality_wrapperINS9_8equal_toItEEEEPmJSH_EEE10hipError_tPvRmT3_T4_T5_T6_T7_T9_mT8_P12ihipStream_tbDpT10_ENKUlT_T0_E_clISt17integral_constantIbLb1EES1C_IbLb0EEEEDaS18_S19_EUlS18_E_NS1_11comp_targetILNS1_3genE0ELNS1_11target_archE4294967295ELNS1_3gpuE0ELNS1_3repE0EEENS1_30default_config_static_selectorELNS0_4arch9wavefront6targetE0EEEvT1_
	.globl	_ZN7rocprim17ROCPRIM_400000_NS6detail17trampoline_kernelINS0_14default_configENS1_25partition_config_selectorILNS1_17partition_subalgoE9EtjbEEZZNS1_14partition_implILS5_9ELb0ES3_jN6thrust23THRUST_200600_302600_NS6detail15normal_iteratorINS9_10device_ptrItEEEENSB_INSC_IjEEEEPNS0_10empty_typeENS0_5tupleIJNS9_16discard_iteratorINS9_11use_defaultEEESH_EEENSJ_IJSM_SI_EEENS0_18inequality_wrapperINS9_8equal_toItEEEEPmJSH_EEE10hipError_tPvRmT3_T4_T5_T6_T7_T9_mT8_P12ihipStream_tbDpT10_ENKUlT_T0_E_clISt17integral_constantIbLb1EES1C_IbLb0EEEEDaS18_S19_EUlS18_E_NS1_11comp_targetILNS1_3genE0ELNS1_11target_archE4294967295ELNS1_3gpuE0ELNS1_3repE0EEENS1_30default_config_static_selectorELNS0_4arch9wavefront6targetE0EEEvT1_
	.p2align	8
	.type	_ZN7rocprim17ROCPRIM_400000_NS6detail17trampoline_kernelINS0_14default_configENS1_25partition_config_selectorILNS1_17partition_subalgoE9EtjbEEZZNS1_14partition_implILS5_9ELb0ES3_jN6thrust23THRUST_200600_302600_NS6detail15normal_iteratorINS9_10device_ptrItEEEENSB_INSC_IjEEEEPNS0_10empty_typeENS0_5tupleIJNS9_16discard_iteratorINS9_11use_defaultEEESH_EEENSJ_IJSM_SI_EEENS0_18inequality_wrapperINS9_8equal_toItEEEEPmJSH_EEE10hipError_tPvRmT3_T4_T5_T6_T7_T9_mT8_P12ihipStream_tbDpT10_ENKUlT_T0_E_clISt17integral_constantIbLb1EES1C_IbLb0EEEEDaS18_S19_EUlS18_E_NS1_11comp_targetILNS1_3genE0ELNS1_11target_archE4294967295ELNS1_3gpuE0ELNS1_3repE0EEENS1_30default_config_static_selectorELNS0_4arch9wavefront6targetE0EEEvT1_,@function
_ZN7rocprim17ROCPRIM_400000_NS6detail17trampoline_kernelINS0_14default_configENS1_25partition_config_selectorILNS1_17partition_subalgoE9EtjbEEZZNS1_14partition_implILS5_9ELb0ES3_jN6thrust23THRUST_200600_302600_NS6detail15normal_iteratorINS9_10device_ptrItEEEENSB_INSC_IjEEEEPNS0_10empty_typeENS0_5tupleIJNS9_16discard_iteratorINS9_11use_defaultEEESH_EEENSJ_IJSM_SI_EEENS0_18inequality_wrapperINS9_8equal_toItEEEEPmJSH_EEE10hipError_tPvRmT3_T4_T5_T6_T7_T9_mT8_P12ihipStream_tbDpT10_ENKUlT_T0_E_clISt17integral_constantIbLb1EES1C_IbLb0EEEEDaS18_S19_EUlS18_E_NS1_11comp_targetILNS1_3genE0ELNS1_11target_archE4294967295ELNS1_3gpuE0ELNS1_3repE0EEENS1_30default_config_static_selectorELNS0_4arch9wavefront6targetE0EEEvT1_: ; @_ZN7rocprim17ROCPRIM_400000_NS6detail17trampoline_kernelINS0_14default_configENS1_25partition_config_selectorILNS1_17partition_subalgoE9EtjbEEZZNS1_14partition_implILS5_9ELb0ES3_jN6thrust23THRUST_200600_302600_NS6detail15normal_iteratorINS9_10device_ptrItEEEENSB_INSC_IjEEEEPNS0_10empty_typeENS0_5tupleIJNS9_16discard_iteratorINS9_11use_defaultEEESH_EEENSJ_IJSM_SI_EEENS0_18inequality_wrapperINS9_8equal_toItEEEEPmJSH_EEE10hipError_tPvRmT3_T4_T5_T6_T7_T9_mT8_P12ihipStream_tbDpT10_ENKUlT_T0_E_clISt17integral_constantIbLb1EES1C_IbLb0EEEEDaS18_S19_EUlS18_E_NS1_11comp_targetILNS1_3genE0ELNS1_11target_archE4294967295ELNS1_3gpuE0ELNS1_3repE0EEENS1_30default_config_static_selectorELNS0_4arch9wavefront6targetE0EEEvT1_
; %bb.0:
	.section	.rodata,"a",@progbits
	.p2align	6, 0x0
	.amdhsa_kernel _ZN7rocprim17ROCPRIM_400000_NS6detail17trampoline_kernelINS0_14default_configENS1_25partition_config_selectorILNS1_17partition_subalgoE9EtjbEEZZNS1_14partition_implILS5_9ELb0ES3_jN6thrust23THRUST_200600_302600_NS6detail15normal_iteratorINS9_10device_ptrItEEEENSB_INSC_IjEEEEPNS0_10empty_typeENS0_5tupleIJNS9_16discard_iteratorINS9_11use_defaultEEESH_EEENSJ_IJSM_SI_EEENS0_18inequality_wrapperINS9_8equal_toItEEEEPmJSH_EEE10hipError_tPvRmT3_T4_T5_T6_T7_T9_mT8_P12ihipStream_tbDpT10_ENKUlT_T0_E_clISt17integral_constantIbLb1EES1C_IbLb0EEEEDaS18_S19_EUlS18_E_NS1_11comp_targetILNS1_3genE0ELNS1_11target_archE4294967295ELNS1_3gpuE0ELNS1_3repE0EEENS1_30default_config_static_selectorELNS0_4arch9wavefront6targetE0EEEvT1_
		.amdhsa_group_segment_fixed_size 0
		.amdhsa_private_segment_fixed_size 0
		.amdhsa_kernarg_size 128
		.amdhsa_user_sgpr_count 15
		.amdhsa_user_sgpr_dispatch_ptr 0
		.amdhsa_user_sgpr_queue_ptr 0
		.amdhsa_user_sgpr_kernarg_segment_ptr 1
		.amdhsa_user_sgpr_dispatch_id 0
		.amdhsa_user_sgpr_private_segment_size 0
		.amdhsa_wavefront_size32 1
		.amdhsa_uses_dynamic_stack 0
		.amdhsa_enable_private_segment 0
		.amdhsa_system_sgpr_workgroup_id_x 1
		.amdhsa_system_sgpr_workgroup_id_y 0
		.amdhsa_system_sgpr_workgroup_id_z 0
		.amdhsa_system_sgpr_workgroup_info 0
		.amdhsa_system_vgpr_workitem_id 0
		.amdhsa_next_free_vgpr 1
		.amdhsa_next_free_sgpr 1
		.amdhsa_reserve_vcc 0
		.amdhsa_float_round_mode_32 0
		.amdhsa_float_round_mode_16_64 0
		.amdhsa_float_denorm_mode_32 3
		.amdhsa_float_denorm_mode_16_64 3
		.amdhsa_dx10_clamp 1
		.amdhsa_ieee_mode 1
		.amdhsa_fp16_overflow 0
		.amdhsa_workgroup_processor_mode 1
		.amdhsa_memory_ordered 1
		.amdhsa_forward_progress 0
		.amdhsa_shared_vgpr_count 0
		.amdhsa_exception_fp_ieee_invalid_op 0
		.amdhsa_exception_fp_denorm_src 0
		.amdhsa_exception_fp_ieee_div_zero 0
		.amdhsa_exception_fp_ieee_overflow 0
		.amdhsa_exception_fp_ieee_underflow 0
		.amdhsa_exception_fp_ieee_inexact 0
		.amdhsa_exception_int_div_zero 0
	.end_amdhsa_kernel
	.section	.text._ZN7rocprim17ROCPRIM_400000_NS6detail17trampoline_kernelINS0_14default_configENS1_25partition_config_selectorILNS1_17partition_subalgoE9EtjbEEZZNS1_14partition_implILS5_9ELb0ES3_jN6thrust23THRUST_200600_302600_NS6detail15normal_iteratorINS9_10device_ptrItEEEENSB_INSC_IjEEEEPNS0_10empty_typeENS0_5tupleIJNS9_16discard_iteratorINS9_11use_defaultEEESH_EEENSJ_IJSM_SI_EEENS0_18inequality_wrapperINS9_8equal_toItEEEEPmJSH_EEE10hipError_tPvRmT3_T4_T5_T6_T7_T9_mT8_P12ihipStream_tbDpT10_ENKUlT_T0_E_clISt17integral_constantIbLb1EES1C_IbLb0EEEEDaS18_S19_EUlS18_E_NS1_11comp_targetILNS1_3genE0ELNS1_11target_archE4294967295ELNS1_3gpuE0ELNS1_3repE0EEENS1_30default_config_static_selectorELNS0_4arch9wavefront6targetE0EEEvT1_,"axG",@progbits,_ZN7rocprim17ROCPRIM_400000_NS6detail17trampoline_kernelINS0_14default_configENS1_25partition_config_selectorILNS1_17partition_subalgoE9EtjbEEZZNS1_14partition_implILS5_9ELb0ES3_jN6thrust23THRUST_200600_302600_NS6detail15normal_iteratorINS9_10device_ptrItEEEENSB_INSC_IjEEEEPNS0_10empty_typeENS0_5tupleIJNS9_16discard_iteratorINS9_11use_defaultEEESH_EEENSJ_IJSM_SI_EEENS0_18inequality_wrapperINS9_8equal_toItEEEEPmJSH_EEE10hipError_tPvRmT3_T4_T5_T6_T7_T9_mT8_P12ihipStream_tbDpT10_ENKUlT_T0_E_clISt17integral_constantIbLb1EES1C_IbLb0EEEEDaS18_S19_EUlS18_E_NS1_11comp_targetILNS1_3genE0ELNS1_11target_archE4294967295ELNS1_3gpuE0ELNS1_3repE0EEENS1_30default_config_static_selectorELNS0_4arch9wavefront6targetE0EEEvT1_,comdat
.Lfunc_end901:
	.size	_ZN7rocprim17ROCPRIM_400000_NS6detail17trampoline_kernelINS0_14default_configENS1_25partition_config_selectorILNS1_17partition_subalgoE9EtjbEEZZNS1_14partition_implILS5_9ELb0ES3_jN6thrust23THRUST_200600_302600_NS6detail15normal_iteratorINS9_10device_ptrItEEEENSB_INSC_IjEEEEPNS0_10empty_typeENS0_5tupleIJNS9_16discard_iteratorINS9_11use_defaultEEESH_EEENSJ_IJSM_SI_EEENS0_18inequality_wrapperINS9_8equal_toItEEEEPmJSH_EEE10hipError_tPvRmT3_T4_T5_T6_T7_T9_mT8_P12ihipStream_tbDpT10_ENKUlT_T0_E_clISt17integral_constantIbLb1EES1C_IbLb0EEEEDaS18_S19_EUlS18_E_NS1_11comp_targetILNS1_3genE0ELNS1_11target_archE4294967295ELNS1_3gpuE0ELNS1_3repE0EEENS1_30default_config_static_selectorELNS0_4arch9wavefront6targetE0EEEvT1_, .Lfunc_end901-_ZN7rocprim17ROCPRIM_400000_NS6detail17trampoline_kernelINS0_14default_configENS1_25partition_config_selectorILNS1_17partition_subalgoE9EtjbEEZZNS1_14partition_implILS5_9ELb0ES3_jN6thrust23THRUST_200600_302600_NS6detail15normal_iteratorINS9_10device_ptrItEEEENSB_INSC_IjEEEEPNS0_10empty_typeENS0_5tupleIJNS9_16discard_iteratorINS9_11use_defaultEEESH_EEENSJ_IJSM_SI_EEENS0_18inequality_wrapperINS9_8equal_toItEEEEPmJSH_EEE10hipError_tPvRmT3_T4_T5_T6_T7_T9_mT8_P12ihipStream_tbDpT10_ENKUlT_T0_E_clISt17integral_constantIbLb1EES1C_IbLb0EEEEDaS18_S19_EUlS18_E_NS1_11comp_targetILNS1_3genE0ELNS1_11target_archE4294967295ELNS1_3gpuE0ELNS1_3repE0EEENS1_30default_config_static_selectorELNS0_4arch9wavefront6targetE0EEEvT1_
                                        ; -- End function
	.section	.AMDGPU.csdata,"",@progbits
; Kernel info:
; codeLenInByte = 0
; NumSgprs: 0
; NumVgprs: 0
; ScratchSize: 0
; MemoryBound: 0
; FloatMode: 240
; IeeeMode: 1
; LDSByteSize: 0 bytes/workgroup (compile time only)
; SGPRBlocks: 0
; VGPRBlocks: 0
; NumSGPRsForWavesPerEU: 1
; NumVGPRsForWavesPerEU: 1
; Occupancy: 16
; WaveLimiterHint : 0
; COMPUTE_PGM_RSRC2:SCRATCH_EN: 0
; COMPUTE_PGM_RSRC2:USER_SGPR: 15
; COMPUTE_PGM_RSRC2:TRAP_HANDLER: 0
; COMPUTE_PGM_RSRC2:TGID_X_EN: 1
; COMPUTE_PGM_RSRC2:TGID_Y_EN: 0
; COMPUTE_PGM_RSRC2:TGID_Z_EN: 0
; COMPUTE_PGM_RSRC2:TIDIG_COMP_CNT: 0
	.section	.text._ZN7rocprim17ROCPRIM_400000_NS6detail17trampoline_kernelINS0_14default_configENS1_25partition_config_selectorILNS1_17partition_subalgoE9EtjbEEZZNS1_14partition_implILS5_9ELb0ES3_jN6thrust23THRUST_200600_302600_NS6detail15normal_iteratorINS9_10device_ptrItEEEENSB_INSC_IjEEEEPNS0_10empty_typeENS0_5tupleIJNS9_16discard_iteratorINS9_11use_defaultEEESH_EEENSJ_IJSM_SI_EEENS0_18inequality_wrapperINS9_8equal_toItEEEEPmJSH_EEE10hipError_tPvRmT3_T4_T5_T6_T7_T9_mT8_P12ihipStream_tbDpT10_ENKUlT_T0_E_clISt17integral_constantIbLb1EES1C_IbLb0EEEEDaS18_S19_EUlS18_E_NS1_11comp_targetILNS1_3genE5ELNS1_11target_archE942ELNS1_3gpuE9ELNS1_3repE0EEENS1_30default_config_static_selectorELNS0_4arch9wavefront6targetE0EEEvT1_,"axG",@progbits,_ZN7rocprim17ROCPRIM_400000_NS6detail17trampoline_kernelINS0_14default_configENS1_25partition_config_selectorILNS1_17partition_subalgoE9EtjbEEZZNS1_14partition_implILS5_9ELb0ES3_jN6thrust23THRUST_200600_302600_NS6detail15normal_iteratorINS9_10device_ptrItEEEENSB_INSC_IjEEEEPNS0_10empty_typeENS0_5tupleIJNS9_16discard_iteratorINS9_11use_defaultEEESH_EEENSJ_IJSM_SI_EEENS0_18inequality_wrapperINS9_8equal_toItEEEEPmJSH_EEE10hipError_tPvRmT3_T4_T5_T6_T7_T9_mT8_P12ihipStream_tbDpT10_ENKUlT_T0_E_clISt17integral_constantIbLb1EES1C_IbLb0EEEEDaS18_S19_EUlS18_E_NS1_11comp_targetILNS1_3genE5ELNS1_11target_archE942ELNS1_3gpuE9ELNS1_3repE0EEENS1_30default_config_static_selectorELNS0_4arch9wavefront6targetE0EEEvT1_,comdat
	.protected	_ZN7rocprim17ROCPRIM_400000_NS6detail17trampoline_kernelINS0_14default_configENS1_25partition_config_selectorILNS1_17partition_subalgoE9EtjbEEZZNS1_14partition_implILS5_9ELb0ES3_jN6thrust23THRUST_200600_302600_NS6detail15normal_iteratorINS9_10device_ptrItEEEENSB_INSC_IjEEEEPNS0_10empty_typeENS0_5tupleIJNS9_16discard_iteratorINS9_11use_defaultEEESH_EEENSJ_IJSM_SI_EEENS0_18inequality_wrapperINS9_8equal_toItEEEEPmJSH_EEE10hipError_tPvRmT3_T4_T5_T6_T7_T9_mT8_P12ihipStream_tbDpT10_ENKUlT_T0_E_clISt17integral_constantIbLb1EES1C_IbLb0EEEEDaS18_S19_EUlS18_E_NS1_11comp_targetILNS1_3genE5ELNS1_11target_archE942ELNS1_3gpuE9ELNS1_3repE0EEENS1_30default_config_static_selectorELNS0_4arch9wavefront6targetE0EEEvT1_ ; -- Begin function _ZN7rocprim17ROCPRIM_400000_NS6detail17trampoline_kernelINS0_14default_configENS1_25partition_config_selectorILNS1_17partition_subalgoE9EtjbEEZZNS1_14partition_implILS5_9ELb0ES3_jN6thrust23THRUST_200600_302600_NS6detail15normal_iteratorINS9_10device_ptrItEEEENSB_INSC_IjEEEEPNS0_10empty_typeENS0_5tupleIJNS9_16discard_iteratorINS9_11use_defaultEEESH_EEENSJ_IJSM_SI_EEENS0_18inequality_wrapperINS9_8equal_toItEEEEPmJSH_EEE10hipError_tPvRmT3_T4_T5_T6_T7_T9_mT8_P12ihipStream_tbDpT10_ENKUlT_T0_E_clISt17integral_constantIbLb1EES1C_IbLb0EEEEDaS18_S19_EUlS18_E_NS1_11comp_targetILNS1_3genE5ELNS1_11target_archE942ELNS1_3gpuE9ELNS1_3repE0EEENS1_30default_config_static_selectorELNS0_4arch9wavefront6targetE0EEEvT1_
	.globl	_ZN7rocprim17ROCPRIM_400000_NS6detail17trampoline_kernelINS0_14default_configENS1_25partition_config_selectorILNS1_17partition_subalgoE9EtjbEEZZNS1_14partition_implILS5_9ELb0ES3_jN6thrust23THRUST_200600_302600_NS6detail15normal_iteratorINS9_10device_ptrItEEEENSB_INSC_IjEEEEPNS0_10empty_typeENS0_5tupleIJNS9_16discard_iteratorINS9_11use_defaultEEESH_EEENSJ_IJSM_SI_EEENS0_18inequality_wrapperINS9_8equal_toItEEEEPmJSH_EEE10hipError_tPvRmT3_T4_T5_T6_T7_T9_mT8_P12ihipStream_tbDpT10_ENKUlT_T0_E_clISt17integral_constantIbLb1EES1C_IbLb0EEEEDaS18_S19_EUlS18_E_NS1_11comp_targetILNS1_3genE5ELNS1_11target_archE942ELNS1_3gpuE9ELNS1_3repE0EEENS1_30default_config_static_selectorELNS0_4arch9wavefront6targetE0EEEvT1_
	.p2align	8
	.type	_ZN7rocprim17ROCPRIM_400000_NS6detail17trampoline_kernelINS0_14default_configENS1_25partition_config_selectorILNS1_17partition_subalgoE9EtjbEEZZNS1_14partition_implILS5_9ELb0ES3_jN6thrust23THRUST_200600_302600_NS6detail15normal_iteratorINS9_10device_ptrItEEEENSB_INSC_IjEEEEPNS0_10empty_typeENS0_5tupleIJNS9_16discard_iteratorINS9_11use_defaultEEESH_EEENSJ_IJSM_SI_EEENS0_18inequality_wrapperINS9_8equal_toItEEEEPmJSH_EEE10hipError_tPvRmT3_T4_T5_T6_T7_T9_mT8_P12ihipStream_tbDpT10_ENKUlT_T0_E_clISt17integral_constantIbLb1EES1C_IbLb0EEEEDaS18_S19_EUlS18_E_NS1_11comp_targetILNS1_3genE5ELNS1_11target_archE942ELNS1_3gpuE9ELNS1_3repE0EEENS1_30default_config_static_selectorELNS0_4arch9wavefront6targetE0EEEvT1_,@function
_ZN7rocprim17ROCPRIM_400000_NS6detail17trampoline_kernelINS0_14default_configENS1_25partition_config_selectorILNS1_17partition_subalgoE9EtjbEEZZNS1_14partition_implILS5_9ELb0ES3_jN6thrust23THRUST_200600_302600_NS6detail15normal_iteratorINS9_10device_ptrItEEEENSB_INSC_IjEEEEPNS0_10empty_typeENS0_5tupleIJNS9_16discard_iteratorINS9_11use_defaultEEESH_EEENSJ_IJSM_SI_EEENS0_18inequality_wrapperINS9_8equal_toItEEEEPmJSH_EEE10hipError_tPvRmT3_T4_T5_T6_T7_T9_mT8_P12ihipStream_tbDpT10_ENKUlT_T0_E_clISt17integral_constantIbLb1EES1C_IbLb0EEEEDaS18_S19_EUlS18_E_NS1_11comp_targetILNS1_3genE5ELNS1_11target_archE942ELNS1_3gpuE9ELNS1_3repE0EEENS1_30default_config_static_selectorELNS0_4arch9wavefront6targetE0EEEvT1_: ; @_ZN7rocprim17ROCPRIM_400000_NS6detail17trampoline_kernelINS0_14default_configENS1_25partition_config_selectorILNS1_17partition_subalgoE9EtjbEEZZNS1_14partition_implILS5_9ELb0ES3_jN6thrust23THRUST_200600_302600_NS6detail15normal_iteratorINS9_10device_ptrItEEEENSB_INSC_IjEEEEPNS0_10empty_typeENS0_5tupleIJNS9_16discard_iteratorINS9_11use_defaultEEESH_EEENSJ_IJSM_SI_EEENS0_18inequality_wrapperINS9_8equal_toItEEEEPmJSH_EEE10hipError_tPvRmT3_T4_T5_T6_T7_T9_mT8_P12ihipStream_tbDpT10_ENKUlT_T0_E_clISt17integral_constantIbLb1EES1C_IbLb0EEEEDaS18_S19_EUlS18_E_NS1_11comp_targetILNS1_3genE5ELNS1_11target_archE942ELNS1_3gpuE9ELNS1_3repE0EEENS1_30default_config_static_selectorELNS0_4arch9wavefront6targetE0EEEvT1_
; %bb.0:
	.section	.rodata,"a",@progbits
	.p2align	6, 0x0
	.amdhsa_kernel _ZN7rocprim17ROCPRIM_400000_NS6detail17trampoline_kernelINS0_14default_configENS1_25partition_config_selectorILNS1_17partition_subalgoE9EtjbEEZZNS1_14partition_implILS5_9ELb0ES3_jN6thrust23THRUST_200600_302600_NS6detail15normal_iteratorINS9_10device_ptrItEEEENSB_INSC_IjEEEEPNS0_10empty_typeENS0_5tupleIJNS9_16discard_iteratorINS9_11use_defaultEEESH_EEENSJ_IJSM_SI_EEENS0_18inequality_wrapperINS9_8equal_toItEEEEPmJSH_EEE10hipError_tPvRmT3_T4_T5_T6_T7_T9_mT8_P12ihipStream_tbDpT10_ENKUlT_T0_E_clISt17integral_constantIbLb1EES1C_IbLb0EEEEDaS18_S19_EUlS18_E_NS1_11comp_targetILNS1_3genE5ELNS1_11target_archE942ELNS1_3gpuE9ELNS1_3repE0EEENS1_30default_config_static_selectorELNS0_4arch9wavefront6targetE0EEEvT1_
		.amdhsa_group_segment_fixed_size 0
		.amdhsa_private_segment_fixed_size 0
		.amdhsa_kernarg_size 128
		.amdhsa_user_sgpr_count 15
		.amdhsa_user_sgpr_dispatch_ptr 0
		.amdhsa_user_sgpr_queue_ptr 0
		.amdhsa_user_sgpr_kernarg_segment_ptr 1
		.amdhsa_user_sgpr_dispatch_id 0
		.amdhsa_user_sgpr_private_segment_size 0
		.amdhsa_wavefront_size32 1
		.amdhsa_uses_dynamic_stack 0
		.amdhsa_enable_private_segment 0
		.amdhsa_system_sgpr_workgroup_id_x 1
		.amdhsa_system_sgpr_workgroup_id_y 0
		.amdhsa_system_sgpr_workgroup_id_z 0
		.amdhsa_system_sgpr_workgroup_info 0
		.amdhsa_system_vgpr_workitem_id 0
		.amdhsa_next_free_vgpr 1
		.amdhsa_next_free_sgpr 1
		.amdhsa_reserve_vcc 0
		.amdhsa_float_round_mode_32 0
		.amdhsa_float_round_mode_16_64 0
		.amdhsa_float_denorm_mode_32 3
		.amdhsa_float_denorm_mode_16_64 3
		.amdhsa_dx10_clamp 1
		.amdhsa_ieee_mode 1
		.amdhsa_fp16_overflow 0
		.amdhsa_workgroup_processor_mode 1
		.amdhsa_memory_ordered 1
		.amdhsa_forward_progress 0
		.amdhsa_shared_vgpr_count 0
		.amdhsa_exception_fp_ieee_invalid_op 0
		.amdhsa_exception_fp_denorm_src 0
		.amdhsa_exception_fp_ieee_div_zero 0
		.amdhsa_exception_fp_ieee_overflow 0
		.amdhsa_exception_fp_ieee_underflow 0
		.amdhsa_exception_fp_ieee_inexact 0
		.amdhsa_exception_int_div_zero 0
	.end_amdhsa_kernel
	.section	.text._ZN7rocprim17ROCPRIM_400000_NS6detail17trampoline_kernelINS0_14default_configENS1_25partition_config_selectorILNS1_17partition_subalgoE9EtjbEEZZNS1_14partition_implILS5_9ELb0ES3_jN6thrust23THRUST_200600_302600_NS6detail15normal_iteratorINS9_10device_ptrItEEEENSB_INSC_IjEEEEPNS0_10empty_typeENS0_5tupleIJNS9_16discard_iteratorINS9_11use_defaultEEESH_EEENSJ_IJSM_SI_EEENS0_18inequality_wrapperINS9_8equal_toItEEEEPmJSH_EEE10hipError_tPvRmT3_T4_T5_T6_T7_T9_mT8_P12ihipStream_tbDpT10_ENKUlT_T0_E_clISt17integral_constantIbLb1EES1C_IbLb0EEEEDaS18_S19_EUlS18_E_NS1_11comp_targetILNS1_3genE5ELNS1_11target_archE942ELNS1_3gpuE9ELNS1_3repE0EEENS1_30default_config_static_selectorELNS0_4arch9wavefront6targetE0EEEvT1_,"axG",@progbits,_ZN7rocprim17ROCPRIM_400000_NS6detail17trampoline_kernelINS0_14default_configENS1_25partition_config_selectorILNS1_17partition_subalgoE9EtjbEEZZNS1_14partition_implILS5_9ELb0ES3_jN6thrust23THRUST_200600_302600_NS6detail15normal_iteratorINS9_10device_ptrItEEEENSB_INSC_IjEEEEPNS0_10empty_typeENS0_5tupleIJNS9_16discard_iteratorINS9_11use_defaultEEESH_EEENSJ_IJSM_SI_EEENS0_18inequality_wrapperINS9_8equal_toItEEEEPmJSH_EEE10hipError_tPvRmT3_T4_T5_T6_T7_T9_mT8_P12ihipStream_tbDpT10_ENKUlT_T0_E_clISt17integral_constantIbLb1EES1C_IbLb0EEEEDaS18_S19_EUlS18_E_NS1_11comp_targetILNS1_3genE5ELNS1_11target_archE942ELNS1_3gpuE9ELNS1_3repE0EEENS1_30default_config_static_selectorELNS0_4arch9wavefront6targetE0EEEvT1_,comdat
.Lfunc_end902:
	.size	_ZN7rocprim17ROCPRIM_400000_NS6detail17trampoline_kernelINS0_14default_configENS1_25partition_config_selectorILNS1_17partition_subalgoE9EtjbEEZZNS1_14partition_implILS5_9ELb0ES3_jN6thrust23THRUST_200600_302600_NS6detail15normal_iteratorINS9_10device_ptrItEEEENSB_INSC_IjEEEEPNS0_10empty_typeENS0_5tupleIJNS9_16discard_iteratorINS9_11use_defaultEEESH_EEENSJ_IJSM_SI_EEENS0_18inequality_wrapperINS9_8equal_toItEEEEPmJSH_EEE10hipError_tPvRmT3_T4_T5_T6_T7_T9_mT8_P12ihipStream_tbDpT10_ENKUlT_T0_E_clISt17integral_constantIbLb1EES1C_IbLb0EEEEDaS18_S19_EUlS18_E_NS1_11comp_targetILNS1_3genE5ELNS1_11target_archE942ELNS1_3gpuE9ELNS1_3repE0EEENS1_30default_config_static_selectorELNS0_4arch9wavefront6targetE0EEEvT1_, .Lfunc_end902-_ZN7rocprim17ROCPRIM_400000_NS6detail17trampoline_kernelINS0_14default_configENS1_25partition_config_selectorILNS1_17partition_subalgoE9EtjbEEZZNS1_14partition_implILS5_9ELb0ES3_jN6thrust23THRUST_200600_302600_NS6detail15normal_iteratorINS9_10device_ptrItEEEENSB_INSC_IjEEEEPNS0_10empty_typeENS0_5tupleIJNS9_16discard_iteratorINS9_11use_defaultEEESH_EEENSJ_IJSM_SI_EEENS0_18inequality_wrapperINS9_8equal_toItEEEEPmJSH_EEE10hipError_tPvRmT3_T4_T5_T6_T7_T9_mT8_P12ihipStream_tbDpT10_ENKUlT_T0_E_clISt17integral_constantIbLb1EES1C_IbLb0EEEEDaS18_S19_EUlS18_E_NS1_11comp_targetILNS1_3genE5ELNS1_11target_archE942ELNS1_3gpuE9ELNS1_3repE0EEENS1_30default_config_static_selectorELNS0_4arch9wavefront6targetE0EEEvT1_
                                        ; -- End function
	.section	.AMDGPU.csdata,"",@progbits
; Kernel info:
; codeLenInByte = 0
; NumSgprs: 0
; NumVgprs: 0
; ScratchSize: 0
; MemoryBound: 0
; FloatMode: 240
; IeeeMode: 1
; LDSByteSize: 0 bytes/workgroup (compile time only)
; SGPRBlocks: 0
; VGPRBlocks: 0
; NumSGPRsForWavesPerEU: 1
; NumVGPRsForWavesPerEU: 1
; Occupancy: 16
; WaveLimiterHint : 0
; COMPUTE_PGM_RSRC2:SCRATCH_EN: 0
; COMPUTE_PGM_RSRC2:USER_SGPR: 15
; COMPUTE_PGM_RSRC2:TRAP_HANDLER: 0
; COMPUTE_PGM_RSRC2:TGID_X_EN: 1
; COMPUTE_PGM_RSRC2:TGID_Y_EN: 0
; COMPUTE_PGM_RSRC2:TGID_Z_EN: 0
; COMPUTE_PGM_RSRC2:TIDIG_COMP_CNT: 0
	.section	.text._ZN7rocprim17ROCPRIM_400000_NS6detail17trampoline_kernelINS0_14default_configENS1_25partition_config_selectorILNS1_17partition_subalgoE9EtjbEEZZNS1_14partition_implILS5_9ELb0ES3_jN6thrust23THRUST_200600_302600_NS6detail15normal_iteratorINS9_10device_ptrItEEEENSB_INSC_IjEEEEPNS0_10empty_typeENS0_5tupleIJNS9_16discard_iteratorINS9_11use_defaultEEESH_EEENSJ_IJSM_SI_EEENS0_18inequality_wrapperINS9_8equal_toItEEEEPmJSH_EEE10hipError_tPvRmT3_T4_T5_T6_T7_T9_mT8_P12ihipStream_tbDpT10_ENKUlT_T0_E_clISt17integral_constantIbLb1EES1C_IbLb0EEEEDaS18_S19_EUlS18_E_NS1_11comp_targetILNS1_3genE4ELNS1_11target_archE910ELNS1_3gpuE8ELNS1_3repE0EEENS1_30default_config_static_selectorELNS0_4arch9wavefront6targetE0EEEvT1_,"axG",@progbits,_ZN7rocprim17ROCPRIM_400000_NS6detail17trampoline_kernelINS0_14default_configENS1_25partition_config_selectorILNS1_17partition_subalgoE9EtjbEEZZNS1_14partition_implILS5_9ELb0ES3_jN6thrust23THRUST_200600_302600_NS6detail15normal_iteratorINS9_10device_ptrItEEEENSB_INSC_IjEEEEPNS0_10empty_typeENS0_5tupleIJNS9_16discard_iteratorINS9_11use_defaultEEESH_EEENSJ_IJSM_SI_EEENS0_18inequality_wrapperINS9_8equal_toItEEEEPmJSH_EEE10hipError_tPvRmT3_T4_T5_T6_T7_T9_mT8_P12ihipStream_tbDpT10_ENKUlT_T0_E_clISt17integral_constantIbLb1EES1C_IbLb0EEEEDaS18_S19_EUlS18_E_NS1_11comp_targetILNS1_3genE4ELNS1_11target_archE910ELNS1_3gpuE8ELNS1_3repE0EEENS1_30default_config_static_selectorELNS0_4arch9wavefront6targetE0EEEvT1_,comdat
	.protected	_ZN7rocprim17ROCPRIM_400000_NS6detail17trampoline_kernelINS0_14default_configENS1_25partition_config_selectorILNS1_17partition_subalgoE9EtjbEEZZNS1_14partition_implILS5_9ELb0ES3_jN6thrust23THRUST_200600_302600_NS6detail15normal_iteratorINS9_10device_ptrItEEEENSB_INSC_IjEEEEPNS0_10empty_typeENS0_5tupleIJNS9_16discard_iteratorINS9_11use_defaultEEESH_EEENSJ_IJSM_SI_EEENS0_18inequality_wrapperINS9_8equal_toItEEEEPmJSH_EEE10hipError_tPvRmT3_T4_T5_T6_T7_T9_mT8_P12ihipStream_tbDpT10_ENKUlT_T0_E_clISt17integral_constantIbLb1EES1C_IbLb0EEEEDaS18_S19_EUlS18_E_NS1_11comp_targetILNS1_3genE4ELNS1_11target_archE910ELNS1_3gpuE8ELNS1_3repE0EEENS1_30default_config_static_selectorELNS0_4arch9wavefront6targetE0EEEvT1_ ; -- Begin function _ZN7rocprim17ROCPRIM_400000_NS6detail17trampoline_kernelINS0_14default_configENS1_25partition_config_selectorILNS1_17partition_subalgoE9EtjbEEZZNS1_14partition_implILS5_9ELb0ES3_jN6thrust23THRUST_200600_302600_NS6detail15normal_iteratorINS9_10device_ptrItEEEENSB_INSC_IjEEEEPNS0_10empty_typeENS0_5tupleIJNS9_16discard_iteratorINS9_11use_defaultEEESH_EEENSJ_IJSM_SI_EEENS0_18inequality_wrapperINS9_8equal_toItEEEEPmJSH_EEE10hipError_tPvRmT3_T4_T5_T6_T7_T9_mT8_P12ihipStream_tbDpT10_ENKUlT_T0_E_clISt17integral_constantIbLb1EES1C_IbLb0EEEEDaS18_S19_EUlS18_E_NS1_11comp_targetILNS1_3genE4ELNS1_11target_archE910ELNS1_3gpuE8ELNS1_3repE0EEENS1_30default_config_static_selectorELNS0_4arch9wavefront6targetE0EEEvT1_
	.globl	_ZN7rocprim17ROCPRIM_400000_NS6detail17trampoline_kernelINS0_14default_configENS1_25partition_config_selectorILNS1_17partition_subalgoE9EtjbEEZZNS1_14partition_implILS5_9ELb0ES3_jN6thrust23THRUST_200600_302600_NS6detail15normal_iteratorINS9_10device_ptrItEEEENSB_INSC_IjEEEEPNS0_10empty_typeENS0_5tupleIJNS9_16discard_iteratorINS9_11use_defaultEEESH_EEENSJ_IJSM_SI_EEENS0_18inequality_wrapperINS9_8equal_toItEEEEPmJSH_EEE10hipError_tPvRmT3_T4_T5_T6_T7_T9_mT8_P12ihipStream_tbDpT10_ENKUlT_T0_E_clISt17integral_constantIbLb1EES1C_IbLb0EEEEDaS18_S19_EUlS18_E_NS1_11comp_targetILNS1_3genE4ELNS1_11target_archE910ELNS1_3gpuE8ELNS1_3repE0EEENS1_30default_config_static_selectorELNS0_4arch9wavefront6targetE0EEEvT1_
	.p2align	8
	.type	_ZN7rocprim17ROCPRIM_400000_NS6detail17trampoline_kernelINS0_14default_configENS1_25partition_config_selectorILNS1_17partition_subalgoE9EtjbEEZZNS1_14partition_implILS5_9ELb0ES3_jN6thrust23THRUST_200600_302600_NS6detail15normal_iteratorINS9_10device_ptrItEEEENSB_INSC_IjEEEEPNS0_10empty_typeENS0_5tupleIJNS9_16discard_iteratorINS9_11use_defaultEEESH_EEENSJ_IJSM_SI_EEENS0_18inequality_wrapperINS9_8equal_toItEEEEPmJSH_EEE10hipError_tPvRmT3_T4_T5_T6_T7_T9_mT8_P12ihipStream_tbDpT10_ENKUlT_T0_E_clISt17integral_constantIbLb1EES1C_IbLb0EEEEDaS18_S19_EUlS18_E_NS1_11comp_targetILNS1_3genE4ELNS1_11target_archE910ELNS1_3gpuE8ELNS1_3repE0EEENS1_30default_config_static_selectorELNS0_4arch9wavefront6targetE0EEEvT1_,@function
_ZN7rocprim17ROCPRIM_400000_NS6detail17trampoline_kernelINS0_14default_configENS1_25partition_config_selectorILNS1_17partition_subalgoE9EtjbEEZZNS1_14partition_implILS5_9ELb0ES3_jN6thrust23THRUST_200600_302600_NS6detail15normal_iteratorINS9_10device_ptrItEEEENSB_INSC_IjEEEEPNS0_10empty_typeENS0_5tupleIJNS9_16discard_iteratorINS9_11use_defaultEEESH_EEENSJ_IJSM_SI_EEENS0_18inequality_wrapperINS9_8equal_toItEEEEPmJSH_EEE10hipError_tPvRmT3_T4_T5_T6_T7_T9_mT8_P12ihipStream_tbDpT10_ENKUlT_T0_E_clISt17integral_constantIbLb1EES1C_IbLb0EEEEDaS18_S19_EUlS18_E_NS1_11comp_targetILNS1_3genE4ELNS1_11target_archE910ELNS1_3gpuE8ELNS1_3repE0EEENS1_30default_config_static_selectorELNS0_4arch9wavefront6targetE0EEEvT1_: ; @_ZN7rocprim17ROCPRIM_400000_NS6detail17trampoline_kernelINS0_14default_configENS1_25partition_config_selectorILNS1_17partition_subalgoE9EtjbEEZZNS1_14partition_implILS5_9ELb0ES3_jN6thrust23THRUST_200600_302600_NS6detail15normal_iteratorINS9_10device_ptrItEEEENSB_INSC_IjEEEEPNS0_10empty_typeENS0_5tupleIJNS9_16discard_iteratorINS9_11use_defaultEEESH_EEENSJ_IJSM_SI_EEENS0_18inequality_wrapperINS9_8equal_toItEEEEPmJSH_EEE10hipError_tPvRmT3_T4_T5_T6_T7_T9_mT8_P12ihipStream_tbDpT10_ENKUlT_T0_E_clISt17integral_constantIbLb1EES1C_IbLb0EEEEDaS18_S19_EUlS18_E_NS1_11comp_targetILNS1_3genE4ELNS1_11target_archE910ELNS1_3gpuE8ELNS1_3repE0EEENS1_30default_config_static_selectorELNS0_4arch9wavefront6targetE0EEEvT1_
; %bb.0:
	.section	.rodata,"a",@progbits
	.p2align	6, 0x0
	.amdhsa_kernel _ZN7rocprim17ROCPRIM_400000_NS6detail17trampoline_kernelINS0_14default_configENS1_25partition_config_selectorILNS1_17partition_subalgoE9EtjbEEZZNS1_14partition_implILS5_9ELb0ES3_jN6thrust23THRUST_200600_302600_NS6detail15normal_iteratorINS9_10device_ptrItEEEENSB_INSC_IjEEEEPNS0_10empty_typeENS0_5tupleIJNS9_16discard_iteratorINS9_11use_defaultEEESH_EEENSJ_IJSM_SI_EEENS0_18inequality_wrapperINS9_8equal_toItEEEEPmJSH_EEE10hipError_tPvRmT3_T4_T5_T6_T7_T9_mT8_P12ihipStream_tbDpT10_ENKUlT_T0_E_clISt17integral_constantIbLb1EES1C_IbLb0EEEEDaS18_S19_EUlS18_E_NS1_11comp_targetILNS1_3genE4ELNS1_11target_archE910ELNS1_3gpuE8ELNS1_3repE0EEENS1_30default_config_static_selectorELNS0_4arch9wavefront6targetE0EEEvT1_
		.amdhsa_group_segment_fixed_size 0
		.amdhsa_private_segment_fixed_size 0
		.amdhsa_kernarg_size 128
		.amdhsa_user_sgpr_count 15
		.amdhsa_user_sgpr_dispatch_ptr 0
		.amdhsa_user_sgpr_queue_ptr 0
		.amdhsa_user_sgpr_kernarg_segment_ptr 1
		.amdhsa_user_sgpr_dispatch_id 0
		.amdhsa_user_sgpr_private_segment_size 0
		.amdhsa_wavefront_size32 1
		.amdhsa_uses_dynamic_stack 0
		.amdhsa_enable_private_segment 0
		.amdhsa_system_sgpr_workgroup_id_x 1
		.amdhsa_system_sgpr_workgroup_id_y 0
		.amdhsa_system_sgpr_workgroup_id_z 0
		.amdhsa_system_sgpr_workgroup_info 0
		.amdhsa_system_vgpr_workitem_id 0
		.amdhsa_next_free_vgpr 1
		.amdhsa_next_free_sgpr 1
		.amdhsa_reserve_vcc 0
		.amdhsa_float_round_mode_32 0
		.amdhsa_float_round_mode_16_64 0
		.amdhsa_float_denorm_mode_32 3
		.amdhsa_float_denorm_mode_16_64 3
		.amdhsa_dx10_clamp 1
		.amdhsa_ieee_mode 1
		.amdhsa_fp16_overflow 0
		.amdhsa_workgroup_processor_mode 1
		.amdhsa_memory_ordered 1
		.amdhsa_forward_progress 0
		.amdhsa_shared_vgpr_count 0
		.amdhsa_exception_fp_ieee_invalid_op 0
		.amdhsa_exception_fp_denorm_src 0
		.amdhsa_exception_fp_ieee_div_zero 0
		.amdhsa_exception_fp_ieee_overflow 0
		.amdhsa_exception_fp_ieee_underflow 0
		.amdhsa_exception_fp_ieee_inexact 0
		.amdhsa_exception_int_div_zero 0
	.end_amdhsa_kernel
	.section	.text._ZN7rocprim17ROCPRIM_400000_NS6detail17trampoline_kernelINS0_14default_configENS1_25partition_config_selectorILNS1_17partition_subalgoE9EtjbEEZZNS1_14partition_implILS5_9ELb0ES3_jN6thrust23THRUST_200600_302600_NS6detail15normal_iteratorINS9_10device_ptrItEEEENSB_INSC_IjEEEEPNS0_10empty_typeENS0_5tupleIJNS9_16discard_iteratorINS9_11use_defaultEEESH_EEENSJ_IJSM_SI_EEENS0_18inequality_wrapperINS9_8equal_toItEEEEPmJSH_EEE10hipError_tPvRmT3_T4_T5_T6_T7_T9_mT8_P12ihipStream_tbDpT10_ENKUlT_T0_E_clISt17integral_constantIbLb1EES1C_IbLb0EEEEDaS18_S19_EUlS18_E_NS1_11comp_targetILNS1_3genE4ELNS1_11target_archE910ELNS1_3gpuE8ELNS1_3repE0EEENS1_30default_config_static_selectorELNS0_4arch9wavefront6targetE0EEEvT1_,"axG",@progbits,_ZN7rocprim17ROCPRIM_400000_NS6detail17trampoline_kernelINS0_14default_configENS1_25partition_config_selectorILNS1_17partition_subalgoE9EtjbEEZZNS1_14partition_implILS5_9ELb0ES3_jN6thrust23THRUST_200600_302600_NS6detail15normal_iteratorINS9_10device_ptrItEEEENSB_INSC_IjEEEEPNS0_10empty_typeENS0_5tupleIJNS9_16discard_iteratorINS9_11use_defaultEEESH_EEENSJ_IJSM_SI_EEENS0_18inequality_wrapperINS9_8equal_toItEEEEPmJSH_EEE10hipError_tPvRmT3_T4_T5_T6_T7_T9_mT8_P12ihipStream_tbDpT10_ENKUlT_T0_E_clISt17integral_constantIbLb1EES1C_IbLb0EEEEDaS18_S19_EUlS18_E_NS1_11comp_targetILNS1_3genE4ELNS1_11target_archE910ELNS1_3gpuE8ELNS1_3repE0EEENS1_30default_config_static_selectorELNS0_4arch9wavefront6targetE0EEEvT1_,comdat
.Lfunc_end903:
	.size	_ZN7rocprim17ROCPRIM_400000_NS6detail17trampoline_kernelINS0_14default_configENS1_25partition_config_selectorILNS1_17partition_subalgoE9EtjbEEZZNS1_14partition_implILS5_9ELb0ES3_jN6thrust23THRUST_200600_302600_NS6detail15normal_iteratorINS9_10device_ptrItEEEENSB_INSC_IjEEEEPNS0_10empty_typeENS0_5tupleIJNS9_16discard_iteratorINS9_11use_defaultEEESH_EEENSJ_IJSM_SI_EEENS0_18inequality_wrapperINS9_8equal_toItEEEEPmJSH_EEE10hipError_tPvRmT3_T4_T5_T6_T7_T9_mT8_P12ihipStream_tbDpT10_ENKUlT_T0_E_clISt17integral_constantIbLb1EES1C_IbLb0EEEEDaS18_S19_EUlS18_E_NS1_11comp_targetILNS1_3genE4ELNS1_11target_archE910ELNS1_3gpuE8ELNS1_3repE0EEENS1_30default_config_static_selectorELNS0_4arch9wavefront6targetE0EEEvT1_, .Lfunc_end903-_ZN7rocprim17ROCPRIM_400000_NS6detail17trampoline_kernelINS0_14default_configENS1_25partition_config_selectorILNS1_17partition_subalgoE9EtjbEEZZNS1_14partition_implILS5_9ELb0ES3_jN6thrust23THRUST_200600_302600_NS6detail15normal_iteratorINS9_10device_ptrItEEEENSB_INSC_IjEEEEPNS0_10empty_typeENS0_5tupleIJNS9_16discard_iteratorINS9_11use_defaultEEESH_EEENSJ_IJSM_SI_EEENS0_18inequality_wrapperINS9_8equal_toItEEEEPmJSH_EEE10hipError_tPvRmT3_T4_T5_T6_T7_T9_mT8_P12ihipStream_tbDpT10_ENKUlT_T0_E_clISt17integral_constantIbLb1EES1C_IbLb0EEEEDaS18_S19_EUlS18_E_NS1_11comp_targetILNS1_3genE4ELNS1_11target_archE910ELNS1_3gpuE8ELNS1_3repE0EEENS1_30default_config_static_selectorELNS0_4arch9wavefront6targetE0EEEvT1_
                                        ; -- End function
	.section	.AMDGPU.csdata,"",@progbits
; Kernel info:
; codeLenInByte = 0
; NumSgprs: 0
; NumVgprs: 0
; ScratchSize: 0
; MemoryBound: 0
; FloatMode: 240
; IeeeMode: 1
; LDSByteSize: 0 bytes/workgroup (compile time only)
; SGPRBlocks: 0
; VGPRBlocks: 0
; NumSGPRsForWavesPerEU: 1
; NumVGPRsForWavesPerEU: 1
; Occupancy: 15
; WaveLimiterHint : 0
; COMPUTE_PGM_RSRC2:SCRATCH_EN: 0
; COMPUTE_PGM_RSRC2:USER_SGPR: 15
; COMPUTE_PGM_RSRC2:TRAP_HANDLER: 0
; COMPUTE_PGM_RSRC2:TGID_X_EN: 1
; COMPUTE_PGM_RSRC2:TGID_Y_EN: 0
; COMPUTE_PGM_RSRC2:TGID_Z_EN: 0
; COMPUTE_PGM_RSRC2:TIDIG_COMP_CNT: 0
	.section	.text._ZN7rocprim17ROCPRIM_400000_NS6detail17trampoline_kernelINS0_14default_configENS1_25partition_config_selectorILNS1_17partition_subalgoE9EtjbEEZZNS1_14partition_implILS5_9ELb0ES3_jN6thrust23THRUST_200600_302600_NS6detail15normal_iteratorINS9_10device_ptrItEEEENSB_INSC_IjEEEEPNS0_10empty_typeENS0_5tupleIJNS9_16discard_iteratorINS9_11use_defaultEEESH_EEENSJ_IJSM_SI_EEENS0_18inequality_wrapperINS9_8equal_toItEEEEPmJSH_EEE10hipError_tPvRmT3_T4_T5_T6_T7_T9_mT8_P12ihipStream_tbDpT10_ENKUlT_T0_E_clISt17integral_constantIbLb1EES1C_IbLb0EEEEDaS18_S19_EUlS18_E_NS1_11comp_targetILNS1_3genE3ELNS1_11target_archE908ELNS1_3gpuE7ELNS1_3repE0EEENS1_30default_config_static_selectorELNS0_4arch9wavefront6targetE0EEEvT1_,"axG",@progbits,_ZN7rocprim17ROCPRIM_400000_NS6detail17trampoline_kernelINS0_14default_configENS1_25partition_config_selectorILNS1_17partition_subalgoE9EtjbEEZZNS1_14partition_implILS5_9ELb0ES3_jN6thrust23THRUST_200600_302600_NS6detail15normal_iteratorINS9_10device_ptrItEEEENSB_INSC_IjEEEEPNS0_10empty_typeENS0_5tupleIJNS9_16discard_iteratorINS9_11use_defaultEEESH_EEENSJ_IJSM_SI_EEENS0_18inequality_wrapperINS9_8equal_toItEEEEPmJSH_EEE10hipError_tPvRmT3_T4_T5_T6_T7_T9_mT8_P12ihipStream_tbDpT10_ENKUlT_T0_E_clISt17integral_constantIbLb1EES1C_IbLb0EEEEDaS18_S19_EUlS18_E_NS1_11comp_targetILNS1_3genE3ELNS1_11target_archE908ELNS1_3gpuE7ELNS1_3repE0EEENS1_30default_config_static_selectorELNS0_4arch9wavefront6targetE0EEEvT1_,comdat
	.protected	_ZN7rocprim17ROCPRIM_400000_NS6detail17trampoline_kernelINS0_14default_configENS1_25partition_config_selectorILNS1_17partition_subalgoE9EtjbEEZZNS1_14partition_implILS5_9ELb0ES3_jN6thrust23THRUST_200600_302600_NS6detail15normal_iteratorINS9_10device_ptrItEEEENSB_INSC_IjEEEEPNS0_10empty_typeENS0_5tupleIJNS9_16discard_iteratorINS9_11use_defaultEEESH_EEENSJ_IJSM_SI_EEENS0_18inequality_wrapperINS9_8equal_toItEEEEPmJSH_EEE10hipError_tPvRmT3_T4_T5_T6_T7_T9_mT8_P12ihipStream_tbDpT10_ENKUlT_T0_E_clISt17integral_constantIbLb1EES1C_IbLb0EEEEDaS18_S19_EUlS18_E_NS1_11comp_targetILNS1_3genE3ELNS1_11target_archE908ELNS1_3gpuE7ELNS1_3repE0EEENS1_30default_config_static_selectorELNS0_4arch9wavefront6targetE0EEEvT1_ ; -- Begin function _ZN7rocprim17ROCPRIM_400000_NS6detail17trampoline_kernelINS0_14default_configENS1_25partition_config_selectorILNS1_17partition_subalgoE9EtjbEEZZNS1_14partition_implILS5_9ELb0ES3_jN6thrust23THRUST_200600_302600_NS6detail15normal_iteratorINS9_10device_ptrItEEEENSB_INSC_IjEEEEPNS0_10empty_typeENS0_5tupleIJNS9_16discard_iteratorINS9_11use_defaultEEESH_EEENSJ_IJSM_SI_EEENS0_18inequality_wrapperINS9_8equal_toItEEEEPmJSH_EEE10hipError_tPvRmT3_T4_T5_T6_T7_T9_mT8_P12ihipStream_tbDpT10_ENKUlT_T0_E_clISt17integral_constantIbLb1EES1C_IbLb0EEEEDaS18_S19_EUlS18_E_NS1_11comp_targetILNS1_3genE3ELNS1_11target_archE908ELNS1_3gpuE7ELNS1_3repE0EEENS1_30default_config_static_selectorELNS0_4arch9wavefront6targetE0EEEvT1_
	.globl	_ZN7rocprim17ROCPRIM_400000_NS6detail17trampoline_kernelINS0_14default_configENS1_25partition_config_selectorILNS1_17partition_subalgoE9EtjbEEZZNS1_14partition_implILS5_9ELb0ES3_jN6thrust23THRUST_200600_302600_NS6detail15normal_iteratorINS9_10device_ptrItEEEENSB_INSC_IjEEEEPNS0_10empty_typeENS0_5tupleIJNS9_16discard_iteratorINS9_11use_defaultEEESH_EEENSJ_IJSM_SI_EEENS0_18inequality_wrapperINS9_8equal_toItEEEEPmJSH_EEE10hipError_tPvRmT3_T4_T5_T6_T7_T9_mT8_P12ihipStream_tbDpT10_ENKUlT_T0_E_clISt17integral_constantIbLb1EES1C_IbLb0EEEEDaS18_S19_EUlS18_E_NS1_11comp_targetILNS1_3genE3ELNS1_11target_archE908ELNS1_3gpuE7ELNS1_3repE0EEENS1_30default_config_static_selectorELNS0_4arch9wavefront6targetE0EEEvT1_
	.p2align	8
	.type	_ZN7rocprim17ROCPRIM_400000_NS6detail17trampoline_kernelINS0_14default_configENS1_25partition_config_selectorILNS1_17partition_subalgoE9EtjbEEZZNS1_14partition_implILS5_9ELb0ES3_jN6thrust23THRUST_200600_302600_NS6detail15normal_iteratorINS9_10device_ptrItEEEENSB_INSC_IjEEEEPNS0_10empty_typeENS0_5tupleIJNS9_16discard_iteratorINS9_11use_defaultEEESH_EEENSJ_IJSM_SI_EEENS0_18inequality_wrapperINS9_8equal_toItEEEEPmJSH_EEE10hipError_tPvRmT3_T4_T5_T6_T7_T9_mT8_P12ihipStream_tbDpT10_ENKUlT_T0_E_clISt17integral_constantIbLb1EES1C_IbLb0EEEEDaS18_S19_EUlS18_E_NS1_11comp_targetILNS1_3genE3ELNS1_11target_archE908ELNS1_3gpuE7ELNS1_3repE0EEENS1_30default_config_static_selectorELNS0_4arch9wavefront6targetE0EEEvT1_,@function
_ZN7rocprim17ROCPRIM_400000_NS6detail17trampoline_kernelINS0_14default_configENS1_25partition_config_selectorILNS1_17partition_subalgoE9EtjbEEZZNS1_14partition_implILS5_9ELb0ES3_jN6thrust23THRUST_200600_302600_NS6detail15normal_iteratorINS9_10device_ptrItEEEENSB_INSC_IjEEEEPNS0_10empty_typeENS0_5tupleIJNS9_16discard_iteratorINS9_11use_defaultEEESH_EEENSJ_IJSM_SI_EEENS0_18inequality_wrapperINS9_8equal_toItEEEEPmJSH_EEE10hipError_tPvRmT3_T4_T5_T6_T7_T9_mT8_P12ihipStream_tbDpT10_ENKUlT_T0_E_clISt17integral_constantIbLb1EES1C_IbLb0EEEEDaS18_S19_EUlS18_E_NS1_11comp_targetILNS1_3genE3ELNS1_11target_archE908ELNS1_3gpuE7ELNS1_3repE0EEENS1_30default_config_static_selectorELNS0_4arch9wavefront6targetE0EEEvT1_: ; @_ZN7rocprim17ROCPRIM_400000_NS6detail17trampoline_kernelINS0_14default_configENS1_25partition_config_selectorILNS1_17partition_subalgoE9EtjbEEZZNS1_14partition_implILS5_9ELb0ES3_jN6thrust23THRUST_200600_302600_NS6detail15normal_iteratorINS9_10device_ptrItEEEENSB_INSC_IjEEEEPNS0_10empty_typeENS0_5tupleIJNS9_16discard_iteratorINS9_11use_defaultEEESH_EEENSJ_IJSM_SI_EEENS0_18inequality_wrapperINS9_8equal_toItEEEEPmJSH_EEE10hipError_tPvRmT3_T4_T5_T6_T7_T9_mT8_P12ihipStream_tbDpT10_ENKUlT_T0_E_clISt17integral_constantIbLb1EES1C_IbLb0EEEEDaS18_S19_EUlS18_E_NS1_11comp_targetILNS1_3genE3ELNS1_11target_archE908ELNS1_3gpuE7ELNS1_3repE0EEENS1_30default_config_static_selectorELNS0_4arch9wavefront6targetE0EEEvT1_
; %bb.0:
	.section	.rodata,"a",@progbits
	.p2align	6, 0x0
	.amdhsa_kernel _ZN7rocprim17ROCPRIM_400000_NS6detail17trampoline_kernelINS0_14default_configENS1_25partition_config_selectorILNS1_17partition_subalgoE9EtjbEEZZNS1_14partition_implILS5_9ELb0ES3_jN6thrust23THRUST_200600_302600_NS6detail15normal_iteratorINS9_10device_ptrItEEEENSB_INSC_IjEEEEPNS0_10empty_typeENS0_5tupleIJNS9_16discard_iteratorINS9_11use_defaultEEESH_EEENSJ_IJSM_SI_EEENS0_18inequality_wrapperINS9_8equal_toItEEEEPmJSH_EEE10hipError_tPvRmT3_T4_T5_T6_T7_T9_mT8_P12ihipStream_tbDpT10_ENKUlT_T0_E_clISt17integral_constantIbLb1EES1C_IbLb0EEEEDaS18_S19_EUlS18_E_NS1_11comp_targetILNS1_3genE3ELNS1_11target_archE908ELNS1_3gpuE7ELNS1_3repE0EEENS1_30default_config_static_selectorELNS0_4arch9wavefront6targetE0EEEvT1_
		.amdhsa_group_segment_fixed_size 0
		.amdhsa_private_segment_fixed_size 0
		.amdhsa_kernarg_size 128
		.amdhsa_user_sgpr_count 15
		.amdhsa_user_sgpr_dispatch_ptr 0
		.amdhsa_user_sgpr_queue_ptr 0
		.amdhsa_user_sgpr_kernarg_segment_ptr 1
		.amdhsa_user_sgpr_dispatch_id 0
		.amdhsa_user_sgpr_private_segment_size 0
		.amdhsa_wavefront_size32 1
		.amdhsa_uses_dynamic_stack 0
		.amdhsa_enable_private_segment 0
		.amdhsa_system_sgpr_workgroup_id_x 1
		.amdhsa_system_sgpr_workgroup_id_y 0
		.amdhsa_system_sgpr_workgroup_id_z 0
		.amdhsa_system_sgpr_workgroup_info 0
		.amdhsa_system_vgpr_workitem_id 0
		.amdhsa_next_free_vgpr 1
		.amdhsa_next_free_sgpr 1
		.amdhsa_reserve_vcc 0
		.amdhsa_float_round_mode_32 0
		.amdhsa_float_round_mode_16_64 0
		.amdhsa_float_denorm_mode_32 3
		.amdhsa_float_denorm_mode_16_64 3
		.amdhsa_dx10_clamp 1
		.amdhsa_ieee_mode 1
		.amdhsa_fp16_overflow 0
		.amdhsa_workgroup_processor_mode 1
		.amdhsa_memory_ordered 1
		.amdhsa_forward_progress 0
		.amdhsa_shared_vgpr_count 0
		.amdhsa_exception_fp_ieee_invalid_op 0
		.amdhsa_exception_fp_denorm_src 0
		.amdhsa_exception_fp_ieee_div_zero 0
		.amdhsa_exception_fp_ieee_overflow 0
		.amdhsa_exception_fp_ieee_underflow 0
		.amdhsa_exception_fp_ieee_inexact 0
		.amdhsa_exception_int_div_zero 0
	.end_amdhsa_kernel
	.section	.text._ZN7rocprim17ROCPRIM_400000_NS6detail17trampoline_kernelINS0_14default_configENS1_25partition_config_selectorILNS1_17partition_subalgoE9EtjbEEZZNS1_14partition_implILS5_9ELb0ES3_jN6thrust23THRUST_200600_302600_NS6detail15normal_iteratorINS9_10device_ptrItEEEENSB_INSC_IjEEEEPNS0_10empty_typeENS0_5tupleIJNS9_16discard_iteratorINS9_11use_defaultEEESH_EEENSJ_IJSM_SI_EEENS0_18inequality_wrapperINS9_8equal_toItEEEEPmJSH_EEE10hipError_tPvRmT3_T4_T5_T6_T7_T9_mT8_P12ihipStream_tbDpT10_ENKUlT_T0_E_clISt17integral_constantIbLb1EES1C_IbLb0EEEEDaS18_S19_EUlS18_E_NS1_11comp_targetILNS1_3genE3ELNS1_11target_archE908ELNS1_3gpuE7ELNS1_3repE0EEENS1_30default_config_static_selectorELNS0_4arch9wavefront6targetE0EEEvT1_,"axG",@progbits,_ZN7rocprim17ROCPRIM_400000_NS6detail17trampoline_kernelINS0_14default_configENS1_25partition_config_selectorILNS1_17partition_subalgoE9EtjbEEZZNS1_14partition_implILS5_9ELb0ES3_jN6thrust23THRUST_200600_302600_NS6detail15normal_iteratorINS9_10device_ptrItEEEENSB_INSC_IjEEEEPNS0_10empty_typeENS0_5tupleIJNS9_16discard_iteratorINS9_11use_defaultEEESH_EEENSJ_IJSM_SI_EEENS0_18inequality_wrapperINS9_8equal_toItEEEEPmJSH_EEE10hipError_tPvRmT3_T4_T5_T6_T7_T9_mT8_P12ihipStream_tbDpT10_ENKUlT_T0_E_clISt17integral_constantIbLb1EES1C_IbLb0EEEEDaS18_S19_EUlS18_E_NS1_11comp_targetILNS1_3genE3ELNS1_11target_archE908ELNS1_3gpuE7ELNS1_3repE0EEENS1_30default_config_static_selectorELNS0_4arch9wavefront6targetE0EEEvT1_,comdat
.Lfunc_end904:
	.size	_ZN7rocprim17ROCPRIM_400000_NS6detail17trampoline_kernelINS0_14default_configENS1_25partition_config_selectorILNS1_17partition_subalgoE9EtjbEEZZNS1_14partition_implILS5_9ELb0ES3_jN6thrust23THRUST_200600_302600_NS6detail15normal_iteratorINS9_10device_ptrItEEEENSB_INSC_IjEEEEPNS0_10empty_typeENS0_5tupleIJNS9_16discard_iteratorINS9_11use_defaultEEESH_EEENSJ_IJSM_SI_EEENS0_18inequality_wrapperINS9_8equal_toItEEEEPmJSH_EEE10hipError_tPvRmT3_T4_T5_T6_T7_T9_mT8_P12ihipStream_tbDpT10_ENKUlT_T0_E_clISt17integral_constantIbLb1EES1C_IbLb0EEEEDaS18_S19_EUlS18_E_NS1_11comp_targetILNS1_3genE3ELNS1_11target_archE908ELNS1_3gpuE7ELNS1_3repE0EEENS1_30default_config_static_selectorELNS0_4arch9wavefront6targetE0EEEvT1_, .Lfunc_end904-_ZN7rocprim17ROCPRIM_400000_NS6detail17trampoline_kernelINS0_14default_configENS1_25partition_config_selectorILNS1_17partition_subalgoE9EtjbEEZZNS1_14partition_implILS5_9ELb0ES3_jN6thrust23THRUST_200600_302600_NS6detail15normal_iteratorINS9_10device_ptrItEEEENSB_INSC_IjEEEEPNS0_10empty_typeENS0_5tupleIJNS9_16discard_iteratorINS9_11use_defaultEEESH_EEENSJ_IJSM_SI_EEENS0_18inequality_wrapperINS9_8equal_toItEEEEPmJSH_EEE10hipError_tPvRmT3_T4_T5_T6_T7_T9_mT8_P12ihipStream_tbDpT10_ENKUlT_T0_E_clISt17integral_constantIbLb1EES1C_IbLb0EEEEDaS18_S19_EUlS18_E_NS1_11comp_targetILNS1_3genE3ELNS1_11target_archE908ELNS1_3gpuE7ELNS1_3repE0EEENS1_30default_config_static_selectorELNS0_4arch9wavefront6targetE0EEEvT1_
                                        ; -- End function
	.section	.AMDGPU.csdata,"",@progbits
; Kernel info:
; codeLenInByte = 0
; NumSgprs: 0
; NumVgprs: 0
; ScratchSize: 0
; MemoryBound: 0
; FloatMode: 240
; IeeeMode: 1
; LDSByteSize: 0 bytes/workgroup (compile time only)
; SGPRBlocks: 0
; VGPRBlocks: 0
; NumSGPRsForWavesPerEU: 1
; NumVGPRsForWavesPerEU: 1
; Occupancy: 16
; WaveLimiterHint : 0
; COMPUTE_PGM_RSRC2:SCRATCH_EN: 0
; COMPUTE_PGM_RSRC2:USER_SGPR: 15
; COMPUTE_PGM_RSRC2:TRAP_HANDLER: 0
; COMPUTE_PGM_RSRC2:TGID_X_EN: 1
; COMPUTE_PGM_RSRC2:TGID_Y_EN: 0
; COMPUTE_PGM_RSRC2:TGID_Z_EN: 0
; COMPUTE_PGM_RSRC2:TIDIG_COMP_CNT: 0
	.section	.text._ZN7rocprim17ROCPRIM_400000_NS6detail17trampoline_kernelINS0_14default_configENS1_25partition_config_selectorILNS1_17partition_subalgoE9EtjbEEZZNS1_14partition_implILS5_9ELb0ES3_jN6thrust23THRUST_200600_302600_NS6detail15normal_iteratorINS9_10device_ptrItEEEENSB_INSC_IjEEEEPNS0_10empty_typeENS0_5tupleIJNS9_16discard_iteratorINS9_11use_defaultEEESH_EEENSJ_IJSM_SI_EEENS0_18inequality_wrapperINS9_8equal_toItEEEEPmJSH_EEE10hipError_tPvRmT3_T4_T5_T6_T7_T9_mT8_P12ihipStream_tbDpT10_ENKUlT_T0_E_clISt17integral_constantIbLb1EES1C_IbLb0EEEEDaS18_S19_EUlS18_E_NS1_11comp_targetILNS1_3genE2ELNS1_11target_archE906ELNS1_3gpuE6ELNS1_3repE0EEENS1_30default_config_static_selectorELNS0_4arch9wavefront6targetE0EEEvT1_,"axG",@progbits,_ZN7rocprim17ROCPRIM_400000_NS6detail17trampoline_kernelINS0_14default_configENS1_25partition_config_selectorILNS1_17partition_subalgoE9EtjbEEZZNS1_14partition_implILS5_9ELb0ES3_jN6thrust23THRUST_200600_302600_NS6detail15normal_iteratorINS9_10device_ptrItEEEENSB_INSC_IjEEEEPNS0_10empty_typeENS0_5tupleIJNS9_16discard_iteratorINS9_11use_defaultEEESH_EEENSJ_IJSM_SI_EEENS0_18inequality_wrapperINS9_8equal_toItEEEEPmJSH_EEE10hipError_tPvRmT3_T4_T5_T6_T7_T9_mT8_P12ihipStream_tbDpT10_ENKUlT_T0_E_clISt17integral_constantIbLb1EES1C_IbLb0EEEEDaS18_S19_EUlS18_E_NS1_11comp_targetILNS1_3genE2ELNS1_11target_archE906ELNS1_3gpuE6ELNS1_3repE0EEENS1_30default_config_static_selectorELNS0_4arch9wavefront6targetE0EEEvT1_,comdat
	.protected	_ZN7rocprim17ROCPRIM_400000_NS6detail17trampoline_kernelINS0_14default_configENS1_25partition_config_selectorILNS1_17partition_subalgoE9EtjbEEZZNS1_14partition_implILS5_9ELb0ES3_jN6thrust23THRUST_200600_302600_NS6detail15normal_iteratorINS9_10device_ptrItEEEENSB_INSC_IjEEEEPNS0_10empty_typeENS0_5tupleIJNS9_16discard_iteratorINS9_11use_defaultEEESH_EEENSJ_IJSM_SI_EEENS0_18inequality_wrapperINS9_8equal_toItEEEEPmJSH_EEE10hipError_tPvRmT3_T4_T5_T6_T7_T9_mT8_P12ihipStream_tbDpT10_ENKUlT_T0_E_clISt17integral_constantIbLb1EES1C_IbLb0EEEEDaS18_S19_EUlS18_E_NS1_11comp_targetILNS1_3genE2ELNS1_11target_archE906ELNS1_3gpuE6ELNS1_3repE0EEENS1_30default_config_static_selectorELNS0_4arch9wavefront6targetE0EEEvT1_ ; -- Begin function _ZN7rocprim17ROCPRIM_400000_NS6detail17trampoline_kernelINS0_14default_configENS1_25partition_config_selectorILNS1_17partition_subalgoE9EtjbEEZZNS1_14partition_implILS5_9ELb0ES3_jN6thrust23THRUST_200600_302600_NS6detail15normal_iteratorINS9_10device_ptrItEEEENSB_INSC_IjEEEEPNS0_10empty_typeENS0_5tupleIJNS9_16discard_iteratorINS9_11use_defaultEEESH_EEENSJ_IJSM_SI_EEENS0_18inequality_wrapperINS9_8equal_toItEEEEPmJSH_EEE10hipError_tPvRmT3_T4_T5_T6_T7_T9_mT8_P12ihipStream_tbDpT10_ENKUlT_T0_E_clISt17integral_constantIbLb1EES1C_IbLb0EEEEDaS18_S19_EUlS18_E_NS1_11comp_targetILNS1_3genE2ELNS1_11target_archE906ELNS1_3gpuE6ELNS1_3repE0EEENS1_30default_config_static_selectorELNS0_4arch9wavefront6targetE0EEEvT1_
	.globl	_ZN7rocprim17ROCPRIM_400000_NS6detail17trampoline_kernelINS0_14default_configENS1_25partition_config_selectorILNS1_17partition_subalgoE9EtjbEEZZNS1_14partition_implILS5_9ELb0ES3_jN6thrust23THRUST_200600_302600_NS6detail15normal_iteratorINS9_10device_ptrItEEEENSB_INSC_IjEEEEPNS0_10empty_typeENS0_5tupleIJNS9_16discard_iteratorINS9_11use_defaultEEESH_EEENSJ_IJSM_SI_EEENS0_18inequality_wrapperINS9_8equal_toItEEEEPmJSH_EEE10hipError_tPvRmT3_T4_T5_T6_T7_T9_mT8_P12ihipStream_tbDpT10_ENKUlT_T0_E_clISt17integral_constantIbLb1EES1C_IbLb0EEEEDaS18_S19_EUlS18_E_NS1_11comp_targetILNS1_3genE2ELNS1_11target_archE906ELNS1_3gpuE6ELNS1_3repE0EEENS1_30default_config_static_selectorELNS0_4arch9wavefront6targetE0EEEvT1_
	.p2align	8
	.type	_ZN7rocprim17ROCPRIM_400000_NS6detail17trampoline_kernelINS0_14default_configENS1_25partition_config_selectorILNS1_17partition_subalgoE9EtjbEEZZNS1_14partition_implILS5_9ELb0ES3_jN6thrust23THRUST_200600_302600_NS6detail15normal_iteratorINS9_10device_ptrItEEEENSB_INSC_IjEEEEPNS0_10empty_typeENS0_5tupleIJNS9_16discard_iteratorINS9_11use_defaultEEESH_EEENSJ_IJSM_SI_EEENS0_18inequality_wrapperINS9_8equal_toItEEEEPmJSH_EEE10hipError_tPvRmT3_T4_T5_T6_T7_T9_mT8_P12ihipStream_tbDpT10_ENKUlT_T0_E_clISt17integral_constantIbLb1EES1C_IbLb0EEEEDaS18_S19_EUlS18_E_NS1_11comp_targetILNS1_3genE2ELNS1_11target_archE906ELNS1_3gpuE6ELNS1_3repE0EEENS1_30default_config_static_selectorELNS0_4arch9wavefront6targetE0EEEvT1_,@function
_ZN7rocprim17ROCPRIM_400000_NS6detail17trampoline_kernelINS0_14default_configENS1_25partition_config_selectorILNS1_17partition_subalgoE9EtjbEEZZNS1_14partition_implILS5_9ELb0ES3_jN6thrust23THRUST_200600_302600_NS6detail15normal_iteratorINS9_10device_ptrItEEEENSB_INSC_IjEEEEPNS0_10empty_typeENS0_5tupleIJNS9_16discard_iteratorINS9_11use_defaultEEESH_EEENSJ_IJSM_SI_EEENS0_18inequality_wrapperINS9_8equal_toItEEEEPmJSH_EEE10hipError_tPvRmT3_T4_T5_T6_T7_T9_mT8_P12ihipStream_tbDpT10_ENKUlT_T0_E_clISt17integral_constantIbLb1EES1C_IbLb0EEEEDaS18_S19_EUlS18_E_NS1_11comp_targetILNS1_3genE2ELNS1_11target_archE906ELNS1_3gpuE6ELNS1_3repE0EEENS1_30default_config_static_selectorELNS0_4arch9wavefront6targetE0EEEvT1_: ; @_ZN7rocprim17ROCPRIM_400000_NS6detail17trampoline_kernelINS0_14default_configENS1_25partition_config_selectorILNS1_17partition_subalgoE9EtjbEEZZNS1_14partition_implILS5_9ELb0ES3_jN6thrust23THRUST_200600_302600_NS6detail15normal_iteratorINS9_10device_ptrItEEEENSB_INSC_IjEEEEPNS0_10empty_typeENS0_5tupleIJNS9_16discard_iteratorINS9_11use_defaultEEESH_EEENSJ_IJSM_SI_EEENS0_18inequality_wrapperINS9_8equal_toItEEEEPmJSH_EEE10hipError_tPvRmT3_T4_T5_T6_T7_T9_mT8_P12ihipStream_tbDpT10_ENKUlT_T0_E_clISt17integral_constantIbLb1EES1C_IbLb0EEEEDaS18_S19_EUlS18_E_NS1_11comp_targetILNS1_3genE2ELNS1_11target_archE906ELNS1_3gpuE6ELNS1_3repE0EEENS1_30default_config_static_selectorELNS0_4arch9wavefront6targetE0EEEvT1_
; %bb.0:
	.section	.rodata,"a",@progbits
	.p2align	6, 0x0
	.amdhsa_kernel _ZN7rocprim17ROCPRIM_400000_NS6detail17trampoline_kernelINS0_14default_configENS1_25partition_config_selectorILNS1_17partition_subalgoE9EtjbEEZZNS1_14partition_implILS5_9ELb0ES3_jN6thrust23THRUST_200600_302600_NS6detail15normal_iteratorINS9_10device_ptrItEEEENSB_INSC_IjEEEEPNS0_10empty_typeENS0_5tupleIJNS9_16discard_iteratorINS9_11use_defaultEEESH_EEENSJ_IJSM_SI_EEENS0_18inequality_wrapperINS9_8equal_toItEEEEPmJSH_EEE10hipError_tPvRmT3_T4_T5_T6_T7_T9_mT8_P12ihipStream_tbDpT10_ENKUlT_T0_E_clISt17integral_constantIbLb1EES1C_IbLb0EEEEDaS18_S19_EUlS18_E_NS1_11comp_targetILNS1_3genE2ELNS1_11target_archE906ELNS1_3gpuE6ELNS1_3repE0EEENS1_30default_config_static_selectorELNS0_4arch9wavefront6targetE0EEEvT1_
		.amdhsa_group_segment_fixed_size 0
		.amdhsa_private_segment_fixed_size 0
		.amdhsa_kernarg_size 128
		.amdhsa_user_sgpr_count 15
		.amdhsa_user_sgpr_dispatch_ptr 0
		.amdhsa_user_sgpr_queue_ptr 0
		.amdhsa_user_sgpr_kernarg_segment_ptr 1
		.amdhsa_user_sgpr_dispatch_id 0
		.amdhsa_user_sgpr_private_segment_size 0
		.amdhsa_wavefront_size32 1
		.amdhsa_uses_dynamic_stack 0
		.amdhsa_enable_private_segment 0
		.amdhsa_system_sgpr_workgroup_id_x 1
		.amdhsa_system_sgpr_workgroup_id_y 0
		.amdhsa_system_sgpr_workgroup_id_z 0
		.amdhsa_system_sgpr_workgroup_info 0
		.amdhsa_system_vgpr_workitem_id 0
		.amdhsa_next_free_vgpr 1
		.amdhsa_next_free_sgpr 1
		.amdhsa_reserve_vcc 0
		.amdhsa_float_round_mode_32 0
		.amdhsa_float_round_mode_16_64 0
		.amdhsa_float_denorm_mode_32 3
		.amdhsa_float_denorm_mode_16_64 3
		.amdhsa_dx10_clamp 1
		.amdhsa_ieee_mode 1
		.amdhsa_fp16_overflow 0
		.amdhsa_workgroup_processor_mode 1
		.amdhsa_memory_ordered 1
		.amdhsa_forward_progress 0
		.amdhsa_shared_vgpr_count 0
		.amdhsa_exception_fp_ieee_invalid_op 0
		.amdhsa_exception_fp_denorm_src 0
		.amdhsa_exception_fp_ieee_div_zero 0
		.amdhsa_exception_fp_ieee_overflow 0
		.amdhsa_exception_fp_ieee_underflow 0
		.amdhsa_exception_fp_ieee_inexact 0
		.amdhsa_exception_int_div_zero 0
	.end_amdhsa_kernel
	.section	.text._ZN7rocprim17ROCPRIM_400000_NS6detail17trampoline_kernelINS0_14default_configENS1_25partition_config_selectorILNS1_17partition_subalgoE9EtjbEEZZNS1_14partition_implILS5_9ELb0ES3_jN6thrust23THRUST_200600_302600_NS6detail15normal_iteratorINS9_10device_ptrItEEEENSB_INSC_IjEEEEPNS0_10empty_typeENS0_5tupleIJNS9_16discard_iteratorINS9_11use_defaultEEESH_EEENSJ_IJSM_SI_EEENS0_18inequality_wrapperINS9_8equal_toItEEEEPmJSH_EEE10hipError_tPvRmT3_T4_T5_T6_T7_T9_mT8_P12ihipStream_tbDpT10_ENKUlT_T0_E_clISt17integral_constantIbLb1EES1C_IbLb0EEEEDaS18_S19_EUlS18_E_NS1_11comp_targetILNS1_3genE2ELNS1_11target_archE906ELNS1_3gpuE6ELNS1_3repE0EEENS1_30default_config_static_selectorELNS0_4arch9wavefront6targetE0EEEvT1_,"axG",@progbits,_ZN7rocprim17ROCPRIM_400000_NS6detail17trampoline_kernelINS0_14default_configENS1_25partition_config_selectorILNS1_17partition_subalgoE9EtjbEEZZNS1_14partition_implILS5_9ELb0ES3_jN6thrust23THRUST_200600_302600_NS6detail15normal_iteratorINS9_10device_ptrItEEEENSB_INSC_IjEEEEPNS0_10empty_typeENS0_5tupleIJNS9_16discard_iteratorINS9_11use_defaultEEESH_EEENSJ_IJSM_SI_EEENS0_18inequality_wrapperINS9_8equal_toItEEEEPmJSH_EEE10hipError_tPvRmT3_T4_T5_T6_T7_T9_mT8_P12ihipStream_tbDpT10_ENKUlT_T0_E_clISt17integral_constantIbLb1EES1C_IbLb0EEEEDaS18_S19_EUlS18_E_NS1_11comp_targetILNS1_3genE2ELNS1_11target_archE906ELNS1_3gpuE6ELNS1_3repE0EEENS1_30default_config_static_selectorELNS0_4arch9wavefront6targetE0EEEvT1_,comdat
.Lfunc_end905:
	.size	_ZN7rocprim17ROCPRIM_400000_NS6detail17trampoline_kernelINS0_14default_configENS1_25partition_config_selectorILNS1_17partition_subalgoE9EtjbEEZZNS1_14partition_implILS5_9ELb0ES3_jN6thrust23THRUST_200600_302600_NS6detail15normal_iteratorINS9_10device_ptrItEEEENSB_INSC_IjEEEEPNS0_10empty_typeENS0_5tupleIJNS9_16discard_iteratorINS9_11use_defaultEEESH_EEENSJ_IJSM_SI_EEENS0_18inequality_wrapperINS9_8equal_toItEEEEPmJSH_EEE10hipError_tPvRmT3_T4_T5_T6_T7_T9_mT8_P12ihipStream_tbDpT10_ENKUlT_T0_E_clISt17integral_constantIbLb1EES1C_IbLb0EEEEDaS18_S19_EUlS18_E_NS1_11comp_targetILNS1_3genE2ELNS1_11target_archE906ELNS1_3gpuE6ELNS1_3repE0EEENS1_30default_config_static_selectorELNS0_4arch9wavefront6targetE0EEEvT1_, .Lfunc_end905-_ZN7rocprim17ROCPRIM_400000_NS6detail17trampoline_kernelINS0_14default_configENS1_25partition_config_selectorILNS1_17partition_subalgoE9EtjbEEZZNS1_14partition_implILS5_9ELb0ES3_jN6thrust23THRUST_200600_302600_NS6detail15normal_iteratorINS9_10device_ptrItEEEENSB_INSC_IjEEEEPNS0_10empty_typeENS0_5tupleIJNS9_16discard_iteratorINS9_11use_defaultEEESH_EEENSJ_IJSM_SI_EEENS0_18inequality_wrapperINS9_8equal_toItEEEEPmJSH_EEE10hipError_tPvRmT3_T4_T5_T6_T7_T9_mT8_P12ihipStream_tbDpT10_ENKUlT_T0_E_clISt17integral_constantIbLb1EES1C_IbLb0EEEEDaS18_S19_EUlS18_E_NS1_11comp_targetILNS1_3genE2ELNS1_11target_archE906ELNS1_3gpuE6ELNS1_3repE0EEENS1_30default_config_static_selectorELNS0_4arch9wavefront6targetE0EEEvT1_
                                        ; -- End function
	.section	.AMDGPU.csdata,"",@progbits
; Kernel info:
; codeLenInByte = 0
; NumSgprs: 0
; NumVgprs: 0
; ScratchSize: 0
; MemoryBound: 0
; FloatMode: 240
; IeeeMode: 1
; LDSByteSize: 0 bytes/workgroup (compile time only)
; SGPRBlocks: 0
; VGPRBlocks: 0
; NumSGPRsForWavesPerEU: 1
; NumVGPRsForWavesPerEU: 1
; Occupancy: 16
; WaveLimiterHint : 0
; COMPUTE_PGM_RSRC2:SCRATCH_EN: 0
; COMPUTE_PGM_RSRC2:USER_SGPR: 15
; COMPUTE_PGM_RSRC2:TRAP_HANDLER: 0
; COMPUTE_PGM_RSRC2:TGID_X_EN: 1
; COMPUTE_PGM_RSRC2:TGID_Y_EN: 0
; COMPUTE_PGM_RSRC2:TGID_Z_EN: 0
; COMPUTE_PGM_RSRC2:TIDIG_COMP_CNT: 0
	.section	.text._ZN7rocprim17ROCPRIM_400000_NS6detail17trampoline_kernelINS0_14default_configENS1_25partition_config_selectorILNS1_17partition_subalgoE9EtjbEEZZNS1_14partition_implILS5_9ELb0ES3_jN6thrust23THRUST_200600_302600_NS6detail15normal_iteratorINS9_10device_ptrItEEEENSB_INSC_IjEEEEPNS0_10empty_typeENS0_5tupleIJNS9_16discard_iteratorINS9_11use_defaultEEESH_EEENSJ_IJSM_SI_EEENS0_18inequality_wrapperINS9_8equal_toItEEEEPmJSH_EEE10hipError_tPvRmT3_T4_T5_T6_T7_T9_mT8_P12ihipStream_tbDpT10_ENKUlT_T0_E_clISt17integral_constantIbLb1EES1C_IbLb0EEEEDaS18_S19_EUlS18_E_NS1_11comp_targetILNS1_3genE10ELNS1_11target_archE1200ELNS1_3gpuE4ELNS1_3repE0EEENS1_30default_config_static_selectorELNS0_4arch9wavefront6targetE0EEEvT1_,"axG",@progbits,_ZN7rocprim17ROCPRIM_400000_NS6detail17trampoline_kernelINS0_14default_configENS1_25partition_config_selectorILNS1_17partition_subalgoE9EtjbEEZZNS1_14partition_implILS5_9ELb0ES3_jN6thrust23THRUST_200600_302600_NS6detail15normal_iteratorINS9_10device_ptrItEEEENSB_INSC_IjEEEEPNS0_10empty_typeENS0_5tupleIJNS9_16discard_iteratorINS9_11use_defaultEEESH_EEENSJ_IJSM_SI_EEENS0_18inequality_wrapperINS9_8equal_toItEEEEPmJSH_EEE10hipError_tPvRmT3_T4_T5_T6_T7_T9_mT8_P12ihipStream_tbDpT10_ENKUlT_T0_E_clISt17integral_constantIbLb1EES1C_IbLb0EEEEDaS18_S19_EUlS18_E_NS1_11comp_targetILNS1_3genE10ELNS1_11target_archE1200ELNS1_3gpuE4ELNS1_3repE0EEENS1_30default_config_static_selectorELNS0_4arch9wavefront6targetE0EEEvT1_,comdat
	.protected	_ZN7rocprim17ROCPRIM_400000_NS6detail17trampoline_kernelINS0_14default_configENS1_25partition_config_selectorILNS1_17partition_subalgoE9EtjbEEZZNS1_14partition_implILS5_9ELb0ES3_jN6thrust23THRUST_200600_302600_NS6detail15normal_iteratorINS9_10device_ptrItEEEENSB_INSC_IjEEEEPNS0_10empty_typeENS0_5tupleIJNS9_16discard_iteratorINS9_11use_defaultEEESH_EEENSJ_IJSM_SI_EEENS0_18inequality_wrapperINS9_8equal_toItEEEEPmJSH_EEE10hipError_tPvRmT3_T4_T5_T6_T7_T9_mT8_P12ihipStream_tbDpT10_ENKUlT_T0_E_clISt17integral_constantIbLb1EES1C_IbLb0EEEEDaS18_S19_EUlS18_E_NS1_11comp_targetILNS1_3genE10ELNS1_11target_archE1200ELNS1_3gpuE4ELNS1_3repE0EEENS1_30default_config_static_selectorELNS0_4arch9wavefront6targetE0EEEvT1_ ; -- Begin function _ZN7rocprim17ROCPRIM_400000_NS6detail17trampoline_kernelINS0_14default_configENS1_25partition_config_selectorILNS1_17partition_subalgoE9EtjbEEZZNS1_14partition_implILS5_9ELb0ES3_jN6thrust23THRUST_200600_302600_NS6detail15normal_iteratorINS9_10device_ptrItEEEENSB_INSC_IjEEEEPNS0_10empty_typeENS0_5tupleIJNS9_16discard_iteratorINS9_11use_defaultEEESH_EEENSJ_IJSM_SI_EEENS0_18inequality_wrapperINS9_8equal_toItEEEEPmJSH_EEE10hipError_tPvRmT3_T4_T5_T6_T7_T9_mT8_P12ihipStream_tbDpT10_ENKUlT_T0_E_clISt17integral_constantIbLb1EES1C_IbLb0EEEEDaS18_S19_EUlS18_E_NS1_11comp_targetILNS1_3genE10ELNS1_11target_archE1200ELNS1_3gpuE4ELNS1_3repE0EEENS1_30default_config_static_selectorELNS0_4arch9wavefront6targetE0EEEvT1_
	.globl	_ZN7rocprim17ROCPRIM_400000_NS6detail17trampoline_kernelINS0_14default_configENS1_25partition_config_selectorILNS1_17partition_subalgoE9EtjbEEZZNS1_14partition_implILS5_9ELb0ES3_jN6thrust23THRUST_200600_302600_NS6detail15normal_iteratorINS9_10device_ptrItEEEENSB_INSC_IjEEEEPNS0_10empty_typeENS0_5tupleIJNS9_16discard_iteratorINS9_11use_defaultEEESH_EEENSJ_IJSM_SI_EEENS0_18inequality_wrapperINS9_8equal_toItEEEEPmJSH_EEE10hipError_tPvRmT3_T4_T5_T6_T7_T9_mT8_P12ihipStream_tbDpT10_ENKUlT_T0_E_clISt17integral_constantIbLb1EES1C_IbLb0EEEEDaS18_S19_EUlS18_E_NS1_11comp_targetILNS1_3genE10ELNS1_11target_archE1200ELNS1_3gpuE4ELNS1_3repE0EEENS1_30default_config_static_selectorELNS0_4arch9wavefront6targetE0EEEvT1_
	.p2align	8
	.type	_ZN7rocprim17ROCPRIM_400000_NS6detail17trampoline_kernelINS0_14default_configENS1_25partition_config_selectorILNS1_17partition_subalgoE9EtjbEEZZNS1_14partition_implILS5_9ELb0ES3_jN6thrust23THRUST_200600_302600_NS6detail15normal_iteratorINS9_10device_ptrItEEEENSB_INSC_IjEEEEPNS0_10empty_typeENS0_5tupleIJNS9_16discard_iteratorINS9_11use_defaultEEESH_EEENSJ_IJSM_SI_EEENS0_18inequality_wrapperINS9_8equal_toItEEEEPmJSH_EEE10hipError_tPvRmT3_T4_T5_T6_T7_T9_mT8_P12ihipStream_tbDpT10_ENKUlT_T0_E_clISt17integral_constantIbLb1EES1C_IbLb0EEEEDaS18_S19_EUlS18_E_NS1_11comp_targetILNS1_3genE10ELNS1_11target_archE1200ELNS1_3gpuE4ELNS1_3repE0EEENS1_30default_config_static_selectorELNS0_4arch9wavefront6targetE0EEEvT1_,@function
_ZN7rocprim17ROCPRIM_400000_NS6detail17trampoline_kernelINS0_14default_configENS1_25partition_config_selectorILNS1_17partition_subalgoE9EtjbEEZZNS1_14partition_implILS5_9ELb0ES3_jN6thrust23THRUST_200600_302600_NS6detail15normal_iteratorINS9_10device_ptrItEEEENSB_INSC_IjEEEEPNS0_10empty_typeENS0_5tupleIJNS9_16discard_iteratorINS9_11use_defaultEEESH_EEENSJ_IJSM_SI_EEENS0_18inequality_wrapperINS9_8equal_toItEEEEPmJSH_EEE10hipError_tPvRmT3_T4_T5_T6_T7_T9_mT8_P12ihipStream_tbDpT10_ENKUlT_T0_E_clISt17integral_constantIbLb1EES1C_IbLb0EEEEDaS18_S19_EUlS18_E_NS1_11comp_targetILNS1_3genE10ELNS1_11target_archE1200ELNS1_3gpuE4ELNS1_3repE0EEENS1_30default_config_static_selectorELNS0_4arch9wavefront6targetE0EEEvT1_: ; @_ZN7rocprim17ROCPRIM_400000_NS6detail17trampoline_kernelINS0_14default_configENS1_25partition_config_selectorILNS1_17partition_subalgoE9EtjbEEZZNS1_14partition_implILS5_9ELb0ES3_jN6thrust23THRUST_200600_302600_NS6detail15normal_iteratorINS9_10device_ptrItEEEENSB_INSC_IjEEEEPNS0_10empty_typeENS0_5tupleIJNS9_16discard_iteratorINS9_11use_defaultEEESH_EEENSJ_IJSM_SI_EEENS0_18inequality_wrapperINS9_8equal_toItEEEEPmJSH_EEE10hipError_tPvRmT3_T4_T5_T6_T7_T9_mT8_P12ihipStream_tbDpT10_ENKUlT_T0_E_clISt17integral_constantIbLb1EES1C_IbLb0EEEEDaS18_S19_EUlS18_E_NS1_11comp_targetILNS1_3genE10ELNS1_11target_archE1200ELNS1_3gpuE4ELNS1_3repE0EEENS1_30default_config_static_selectorELNS0_4arch9wavefront6targetE0EEEvT1_
; %bb.0:
	.section	.rodata,"a",@progbits
	.p2align	6, 0x0
	.amdhsa_kernel _ZN7rocprim17ROCPRIM_400000_NS6detail17trampoline_kernelINS0_14default_configENS1_25partition_config_selectorILNS1_17partition_subalgoE9EtjbEEZZNS1_14partition_implILS5_9ELb0ES3_jN6thrust23THRUST_200600_302600_NS6detail15normal_iteratorINS9_10device_ptrItEEEENSB_INSC_IjEEEEPNS0_10empty_typeENS0_5tupleIJNS9_16discard_iteratorINS9_11use_defaultEEESH_EEENSJ_IJSM_SI_EEENS0_18inequality_wrapperINS9_8equal_toItEEEEPmJSH_EEE10hipError_tPvRmT3_T4_T5_T6_T7_T9_mT8_P12ihipStream_tbDpT10_ENKUlT_T0_E_clISt17integral_constantIbLb1EES1C_IbLb0EEEEDaS18_S19_EUlS18_E_NS1_11comp_targetILNS1_3genE10ELNS1_11target_archE1200ELNS1_3gpuE4ELNS1_3repE0EEENS1_30default_config_static_selectorELNS0_4arch9wavefront6targetE0EEEvT1_
		.amdhsa_group_segment_fixed_size 0
		.amdhsa_private_segment_fixed_size 0
		.amdhsa_kernarg_size 128
		.amdhsa_user_sgpr_count 15
		.amdhsa_user_sgpr_dispatch_ptr 0
		.amdhsa_user_sgpr_queue_ptr 0
		.amdhsa_user_sgpr_kernarg_segment_ptr 1
		.amdhsa_user_sgpr_dispatch_id 0
		.amdhsa_user_sgpr_private_segment_size 0
		.amdhsa_wavefront_size32 1
		.amdhsa_uses_dynamic_stack 0
		.amdhsa_enable_private_segment 0
		.amdhsa_system_sgpr_workgroup_id_x 1
		.amdhsa_system_sgpr_workgroup_id_y 0
		.amdhsa_system_sgpr_workgroup_id_z 0
		.amdhsa_system_sgpr_workgroup_info 0
		.amdhsa_system_vgpr_workitem_id 0
		.amdhsa_next_free_vgpr 1
		.amdhsa_next_free_sgpr 1
		.amdhsa_reserve_vcc 0
		.amdhsa_float_round_mode_32 0
		.amdhsa_float_round_mode_16_64 0
		.amdhsa_float_denorm_mode_32 3
		.amdhsa_float_denorm_mode_16_64 3
		.amdhsa_dx10_clamp 1
		.amdhsa_ieee_mode 1
		.amdhsa_fp16_overflow 0
		.amdhsa_workgroup_processor_mode 1
		.amdhsa_memory_ordered 1
		.amdhsa_forward_progress 0
		.amdhsa_shared_vgpr_count 0
		.amdhsa_exception_fp_ieee_invalid_op 0
		.amdhsa_exception_fp_denorm_src 0
		.amdhsa_exception_fp_ieee_div_zero 0
		.amdhsa_exception_fp_ieee_overflow 0
		.amdhsa_exception_fp_ieee_underflow 0
		.amdhsa_exception_fp_ieee_inexact 0
		.amdhsa_exception_int_div_zero 0
	.end_amdhsa_kernel
	.section	.text._ZN7rocprim17ROCPRIM_400000_NS6detail17trampoline_kernelINS0_14default_configENS1_25partition_config_selectorILNS1_17partition_subalgoE9EtjbEEZZNS1_14partition_implILS5_9ELb0ES3_jN6thrust23THRUST_200600_302600_NS6detail15normal_iteratorINS9_10device_ptrItEEEENSB_INSC_IjEEEEPNS0_10empty_typeENS0_5tupleIJNS9_16discard_iteratorINS9_11use_defaultEEESH_EEENSJ_IJSM_SI_EEENS0_18inequality_wrapperINS9_8equal_toItEEEEPmJSH_EEE10hipError_tPvRmT3_T4_T5_T6_T7_T9_mT8_P12ihipStream_tbDpT10_ENKUlT_T0_E_clISt17integral_constantIbLb1EES1C_IbLb0EEEEDaS18_S19_EUlS18_E_NS1_11comp_targetILNS1_3genE10ELNS1_11target_archE1200ELNS1_3gpuE4ELNS1_3repE0EEENS1_30default_config_static_selectorELNS0_4arch9wavefront6targetE0EEEvT1_,"axG",@progbits,_ZN7rocprim17ROCPRIM_400000_NS6detail17trampoline_kernelINS0_14default_configENS1_25partition_config_selectorILNS1_17partition_subalgoE9EtjbEEZZNS1_14partition_implILS5_9ELb0ES3_jN6thrust23THRUST_200600_302600_NS6detail15normal_iteratorINS9_10device_ptrItEEEENSB_INSC_IjEEEEPNS0_10empty_typeENS0_5tupleIJNS9_16discard_iteratorINS9_11use_defaultEEESH_EEENSJ_IJSM_SI_EEENS0_18inequality_wrapperINS9_8equal_toItEEEEPmJSH_EEE10hipError_tPvRmT3_T4_T5_T6_T7_T9_mT8_P12ihipStream_tbDpT10_ENKUlT_T0_E_clISt17integral_constantIbLb1EES1C_IbLb0EEEEDaS18_S19_EUlS18_E_NS1_11comp_targetILNS1_3genE10ELNS1_11target_archE1200ELNS1_3gpuE4ELNS1_3repE0EEENS1_30default_config_static_selectorELNS0_4arch9wavefront6targetE0EEEvT1_,comdat
.Lfunc_end906:
	.size	_ZN7rocprim17ROCPRIM_400000_NS6detail17trampoline_kernelINS0_14default_configENS1_25partition_config_selectorILNS1_17partition_subalgoE9EtjbEEZZNS1_14partition_implILS5_9ELb0ES3_jN6thrust23THRUST_200600_302600_NS6detail15normal_iteratorINS9_10device_ptrItEEEENSB_INSC_IjEEEEPNS0_10empty_typeENS0_5tupleIJNS9_16discard_iteratorINS9_11use_defaultEEESH_EEENSJ_IJSM_SI_EEENS0_18inequality_wrapperINS9_8equal_toItEEEEPmJSH_EEE10hipError_tPvRmT3_T4_T5_T6_T7_T9_mT8_P12ihipStream_tbDpT10_ENKUlT_T0_E_clISt17integral_constantIbLb1EES1C_IbLb0EEEEDaS18_S19_EUlS18_E_NS1_11comp_targetILNS1_3genE10ELNS1_11target_archE1200ELNS1_3gpuE4ELNS1_3repE0EEENS1_30default_config_static_selectorELNS0_4arch9wavefront6targetE0EEEvT1_, .Lfunc_end906-_ZN7rocprim17ROCPRIM_400000_NS6detail17trampoline_kernelINS0_14default_configENS1_25partition_config_selectorILNS1_17partition_subalgoE9EtjbEEZZNS1_14partition_implILS5_9ELb0ES3_jN6thrust23THRUST_200600_302600_NS6detail15normal_iteratorINS9_10device_ptrItEEEENSB_INSC_IjEEEEPNS0_10empty_typeENS0_5tupleIJNS9_16discard_iteratorINS9_11use_defaultEEESH_EEENSJ_IJSM_SI_EEENS0_18inequality_wrapperINS9_8equal_toItEEEEPmJSH_EEE10hipError_tPvRmT3_T4_T5_T6_T7_T9_mT8_P12ihipStream_tbDpT10_ENKUlT_T0_E_clISt17integral_constantIbLb1EES1C_IbLb0EEEEDaS18_S19_EUlS18_E_NS1_11comp_targetILNS1_3genE10ELNS1_11target_archE1200ELNS1_3gpuE4ELNS1_3repE0EEENS1_30default_config_static_selectorELNS0_4arch9wavefront6targetE0EEEvT1_
                                        ; -- End function
	.section	.AMDGPU.csdata,"",@progbits
; Kernel info:
; codeLenInByte = 0
; NumSgprs: 0
; NumVgprs: 0
; ScratchSize: 0
; MemoryBound: 0
; FloatMode: 240
; IeeeMode: 1
; LDSByteSize: 0 bytes/workgroup (compile time only)
; SGPRBlocks: 0
; VGPRBlocks: 0
; NumSGPRsForWavesPerEU: 1
; NumVGPRsForWavesPerEU: 1
; Occupancy: 16
; WaveLimiterHint : 0
; COMPUTE_PGM_RSRC2:SCRATCH_EN: 0
; COMPUTE_PGM_RSRC2:USER_SGPR: 15
; COMPUTE_PGM_RSRC2:TRAP_HANDLER: 0
; COMPUTE_PGM_RSRC2:TGID_X_EN: 1
; COMPUTE_PGM_RSRC2:TGID_Y_EN: 0
; COMPUTE_PGM_RSRC2:TGID_Z_EN: 0
; COMPUTE_PGM_RSRC2:TIDIG_COMP_CNT: 0
	.section	.text._ZN7rocprim17ROCPRIM_400000_NS6detail17trampoline_kernelINS0_14default_configENS1_25partition_config_selectorILNS1_17partition_subalgoE9EtjbEEZZNS1_14partition_implILS5_9ELb0ES3_jN6thrust23THRUST_200600_302600_NS6detail15normal_iteratorINS9_10device_ptrItEEEENSB_INSC_IjEEEEPNS0_10empty_typeENS0_5tupleIJNS9_16discard_iteratorINS9_11use_defaultEEESH_EEENSJ_IJSM_SI_EEENS0_18inequality_wrapperINS9_8equal_toItEEEEPmJSH_EEE10hipError_tPvRmT3_T4_T5_T6_T7_T9_mT8_P12ihipStream_tbDpT10_ENKUlT_T0_E_clISt17integral_constantIbLb1EES1C_IbLb0EEEEDaS18_S19_EUlS18_E_NS1_11comp_targetILNS1_3genE9ELNS1_11target_archE1100ELNS1_3gpuE3ELNS1_3repE0EEENS1_30default_config_static_selectorELNS0_4arch9wavefront6targetE0EEEvT1_,"axG",@progbits,_ZN7rocprim17ROCPRIM_400000_NS6detail17trampoline_kernelINS0_14default_configENS1_25partition_config_selectorILNS1_17partition_subalgoE9EtjbEEZZNS1_14partition_implILS5_9ELb0ES3_jN6thrust23THRUST_200600_302600_NS6detail15normal_iteratorINS9_10device_ptrItEEEENSB_INSC_IjEEEEPNS0_10empty_typeENS0_5tupleIJNS9_16discard_iteratorINS9_11use_defaultEEESH_EEENSJ_IJSM_SI_EEENS0_18inequality_wrapperINS9_8equal_toItEEEEPmJSH_EEE10hipError_tPvRmT3_T4_T5_T6_T7_T9_mT8_P12ihipStream_tbDpT10_ENKUlT_T0_E_clISt17integral_constantIbLb1EES1C_IbLb0EEEEDaS18_S19_EUlS18_E_NS1_11comp_targetILNS1_3genE9ELNS1_11target_archE1100ELNS1_3gpuE3ELNS1_3repE0EEENS1_30default_config_static_selectorELNS0_4arch9wavefront6targetE0EEEvT1_,comdat
	.protected	_ZN7rocprim17ROCPRIM_400000_NS6detail17trampoline_kernelINS0_14default_configENS1_25partition_config_selectorILNS1_17partition_subalgoE9EtjbEEZZNS1_14partition_implILS5_9ELb0ES3_jN6thrust23THRUST_200600_302600_NS6detail15normal_iteratorINS9_10device_ptrItEEEENSB_INSC_IjEEEEPNS0_10empty_typeENS0_5tupleIJNS9_16discard_iteratorINS9_11use_defaultEEESH_EEENSJ_IJSM_SI_EEENS0_18inequality_wrapperINS9_8equal_toItEEEEPmJSH_EEE10hipError_tPvRmT3_T4_T5_T6_T7_T9_mT8_P12ihipStream_tbDpT10_ENKUlT_T0_E_clISt17integral_constantIbLb1EES1C_IbLb0EEEEDaS18_S19_EUlS18_E_NS1_11comp_targetILNS1_3genE9ELNS1_11target_archE1100ELNS1_3gpuE3ELNS1_3repE0EEENS1_30default_config_static_selectorELNS0_4arch9wavefront6targetE0EEEvT1_ ; -- Begin function _ZN7rocprim17ROCPRIM_400000_NS6detail17trampoline_kernelINS0_14default_configENS1_25partition_config_selectorILNS1_17partition_subalgoE9EtjbEEZZNS1_14partition_implILS5_9ELb0ES3_jN6thrust23THRUST_200600_302600_NS6detail15normal_iteratorINS9_10device_ptrItEEEENSB_INSC_IjEEEEPNS0_10empty_typeENS0_5tupleIJNS9_16discard_iteratorINS9_11use_defaultEEESH_EEENSJ_IJSM_SI_EEENS0_18inequality_wrapperINS9_8equal_toItEEEEPmJSH_EEE10hipError_tPvRmT3_T4_T5_T6_T7_T9_mT8_P12ihipStream_tbDpT10_ENKUlT_T0_E_clISt17integral_constantIbLb1EES1C_IbLb0EEEEDaS18_S19_EUlS18_E_NS1_11comp_targetILNS1_3genE9ELNS1_11target_archE1100ELNS1_3gpuE3ELNS1_3repE0EEENS1_30default_config_static_selectorELNS0_4arch9wavefront6targetE0EEEvT1_
	.globl	_ZN7rocprim17ROCPRIM_400000_NS6detail17trampoline_kernelINS0_14default_configENS1_25partition_config_selectorILNS1_17partition_subalgoE9EtjbEEZZNS1_14partition_implILS5_9ELb0ES3_jN6thrust23THRUST_200600_302600_NS6detail15normal_iteratorINS9_10device_ptrItEEEENSB_INSC_IjEEEEPNS0_10empty_typeENS0_5tupleIJNS9_16discard_iteratorINS9_11use_defaultEEESH_EEENSJ_IJSM_SI_EEENS0_18inequality_wrapperINS9_8equal_toItEEEEPmJSH_EEE10hipError_tPvRmT3_T4_T5_T6_T7_T9_mT8_P12ihipStream_tbDpT10_ENKUlT_T0_E_clISt17integral_constantIbLb1EES1C_IbLb0EEEEDaS18_S19_EUlS18_E_NS1_11comp_targetILNS1_3genE9ELNS1_11target_archE1100ELNS1_3gpuE3ELNS1_3repE0EEENS1_30default_config_static_selectorELNS0_4arch9wavefront6targetE0EEEvT1_
	.p2align	8
	.type	_ZN7rocprim17ROCPRIM_400000_NS6detail17trampoline_kernelINS0_14default_configENS1_25partition_config_selectorILNS1_17partition_subalgoE9EtjbEEZZNS1_14partition_implILS5_9ELb0ES3_jN6thrust23THRUST_200600_302600_NS6detail15normal_iteratorINS9_10device_ptrItEEEENSB_INSC_IjEEEEPNS0_10empty_typeENS0_5tupleIJNS9_16discard_iteratorINS9_11use_defaultEEESH_EEENSJ_IJSM_SI_EEENS0_18inequality_wrapperINS9_8equal_toItEEEEPmJSH_EEE10hipError_tPvRmT3_T4_T5_T6_T7_T9_mT8_P12ihipStream_tbDpT10_ENKUlT_T0_E_clISt17integral_constantIbLb1EES1C_IbLb0EEEEDaS18_S19_EUlS18_E_NS1_11comp_targetILNS1_3genE9ELNS1_11target_archE1100ELNS1_3gpuE3ELNS1_3repE0EEENS1_30default_config_static_selectorELNS0_4arch9wavefront6targetE0EEEvT1_,@function
_ZN7rocprim17ROCPRIM_400000_NS6detail17trampoline_kernelINS0_14default_configENS1_25partition_config_selectorILNS1_17partition_subalgoE9EtjbEEZZNS1_14partition_implILS5_9ELb0ES3_jN6thrust23THRUST_200600_302600_NS6detail15normal_iteratorINS9_10device_ptrItEEEENSB_INSC_IjEEEEPNS0_10empty_typeENS0_5tupleIJNS9_16discard_iteratorINS9_11use_defaultEEESH_EEENSJ_IJSM_SI_EEENS0_18inequality_wrapperINS9_8equal_toItEEEEPmJSH_EEE10hipError_tPvRmT3_T4_T5_T6_T7_T9_mT8_P12ihipStream_tbDpT10_ENKUlT_T0_E_clISt17integral_constantIbLb1EES1C_IbLb0EEEEDaS18_S19_EUlS18_E_NS1_11comp_targetILNS1_3genE9ELNS1_11target_archE1100ELNS1_3gpuE3ELNS1_3repE0EEENS1_30default_config_static_selectorELNS0_4arch9wavefront6targetE0EEEvT1_: ; @_ZN7rocprim17ROCPRIM_400000_NS6detail17trampoline_kernelINS0_14default_configENS1_25partition_config_selectorILNS1_17partition_subalgoE9EtjbEEZZNS1_14partition_implILS5_9ELb0ES3_jN6thrust23THRUST_200600_302600_NS6detail15normal_iteratorINS9_10device_ptrItEEEENSB_INSC_IjEEEEPNS0_10empty_typeENS0_5tupleIJNS9_16discard_iteratorINS9_11use_defaultEEESH_EEENSJ_IJSM_SI_EEENS0_18inequality_wrapperINS9_8equal_toItEEEEPmJSH_EEE10hipError_tPvRmT3_T4_T5_T6_T7_T9_mT8_P12ihipStream_tbDpT10_ENKUlT_T0_E_clISt17integral_constantIbLb1EES1C_IbLb0EEEEDaS18_S19_EUlS18_E_NS1_11comp_targetILNS1_3genE9ELNS1_11target_archE1100ELNS1_3gpuE3ELNS1_3repE0EEENS1_30default_config_static_selectorELNS0_4arch9wavefront6targetE0EEEvT1_
; %bb.0:
	s_clause 0x4
	s_load_b128 s[4:7], s[0:1], 0x8
	s_load_b32 s14, s[0:1], 0x78
	s_load_b128 s[16:19], s[0:1], 0x50
	s_load_b64 s[2:3], s[0:1], 0x60
	s_load_b64 s[8:9], s[0:1], 0x18
	v_lshlrev_b32_e32 v9, 1, v0
	s_waitcnt lgkmcnt(0)
	s_lshl_b64 s[10:11], s[6:7], 1
	s_mul_i32 s20, s14, 0x580
	s_add_u32 s21, s4, s10
	s_addc_u32 s22, s5, s11
	s_add_i32 s4, s20, s6
	s_load_b64 s[12:13], s[18:19], 0x0
	s_sub_i32 s18, s2, s4
	s_add_i32 s14, s14, -1
	s_addk_i32 s18, 0x580
	s_add_u32 s4, s6, s20
	s_addc_u32 s5, s7, 0
	s_cmp_eq_u32 s15, s14
	v_cmp_ge_u64_e64 s2, s[4:5], s[2:3]
	s_cselect_b32 s14, -1, 0
	s_mov_b32 s5, 0
	s_mul_i32 s4, s15, 0x580
	s_mov_b32 s20, -1
	s_delay_alu instid0(VALU_DEP_1)
	s_and_b32 s19, s14, s2
	s_lshl_b64 s[2:3], s[4:5], 1
	s_xor_b32 s10, s19, -1
	s_add_u32 s11, s21, s2
	s_addc_u32 s3, s22, s3
	s_and_b32 vcc_lo, exec_lo, s10
	s_cbranch_vccz .LBB907_2
; %bb.1:
	v_add_co_u32 v1, s2, s11, v9
	s_delay_alu instid0(VALU_DEP_1)
	v_add_co_ci_u32_e64 v2, null, s3, 0, s2
	s_mov_b32 s20, s5
	s_clause 0xa
	flat_load_u16 v3, v[1:2]
	flat_load_u16 v4, v[1:2] offset:256
	flat_load_u16 v5, v[1:2] offset:512
	;; [unrolled: 1-line block ×10, first 2 shown]
	s_waitcnt vmcnt(10) lgkmcnt(0)
	ds_store_b16 v9, v3
	s_waitcnt vmcnt(9)
	ds_store_b16 v9, v4 offset:256
	s_waitcnt vmcnt(8)
	ds_store_b16 v9, v5 offset:512
	;; [unrolled: 2-line block ×10, first 2 shown]
	s_waitcnt lgkmcnt(0)
	s_barrier
.LBB907_2:
	v_cmp_gt_u32_e64 s2, s18, v0
	s_and_not1_b32 vcc_lo, exec_lo, s20
	s_cbranch_vccnz .LBB907_26
; %bb.3:
                                        ; implicit-def: $vgpr1_vgpr2_vgpr3_vgpr4_vgpr5_vgpr6_vgpr7_vgpr8
	s_delay_alu instid0(VALU_DEP_1)
	s_and_saveexec_b32 s20, s2
	s_cbranch_execz .LBB907_5
; %bb.4:
	v_add_co_u32 v1, s2, s11, v9
	s_delay_alu instid0(VALU_DEP_1)
	v_add_co_ci_u32_e64 v2, null, s3, 0, s2
	flat_load_d16_b16 v1, v[1:2]
.LBB907_5:
	s_or_b32 exec_lo, exec_lo, s20
	v_or_b32_e32 v7, 0x80, v0
	s_mov_b32 s2, exec_lo
	s_delay_alu instid0(VALU_DEP_1)
	v_cmpx_gt_u32_e64 s18, v7
	s_cbranch_execz .LBB907_7
; %bb.6:
	v_add_co_u32 v7, s20, s11, v9
	s_delay_alu instid0(VALU_DEP_1)
	v_add_co_ci_u32_e64 v8, null, s3, 0, s20
	s_waitcnt vmcnt(0) lgkmcnt(0)
	flat_load_d16_hi_b16 v1, v[7:8] offset:256
.LBB907_7:
	s_or_b32 exec_lo, exec_lo, s2
	v_or_b32_e32 v7, 0x100, v0
	s_mov_b32 s2, exec_lo
	s_delay_alu instid0(VALU_DEP_1)
	v_cmpx_gt_u32_e64 s18, v7
	s_cbranch_execz .LBB907_9
; %bb.8:
	v_add_co_u32 v7, s20, s11, v9
	s_delay_alu instid0(VALU_DEP_1)
	v_add_co_ci_u32_e64 v8, null, s3, 0, s20
	flat_load_d16_b16 v2, v[7:8] offset:512
.LBB907_9:
	s_or_b32 exec_lo, exec_lo, s2
	v_or_b32_e32 v7, 0x180, v0
	s_mov_b32 s2, exec_lo
	s_delay_alu instid0(VALU_DEP_1)
	v_cmpx_gt_u32_e64 s18, v7
	s_cbranch_execz .LBB907_11
; %bb.10:
	v_add_co_u32 v7, s20, s11, v9
	s_delay_alu instid0(VALU_DEP_1)
	v_add_co_ci_u32_e64 v8, null, s3, 0, s20
	s_waitcnt vmcnt(0) lgkmcnt(0)
	flat_load_d16_hi_b16 v2, v[7:8] offset:768
.LBB907_11:
	s_or_b32 exec_lo, exec_lo, s2
	v_or_b32_e32 v7, 0x200, v0
	s_mov_b32 s2, exec_lo
	s_delay_alu instid0(VALU_DEP_1)
	v_cmpx_gt_u32_e64 s18, v7
	s_cbranch_execz .LBB907_13
; %bb.12:
	v_add_co_u32 v7, s20, s11, v9
	s_delay_alu instid0(VALU_DEP_1)
	v_add_co_ci_u32_e64 v8, null, s3, 0, s20
	flat_load_d16_b16 v3, v[7:8] offset:1024
.LBB907_13:
	;; [unrolled: 25-line block ×5, first 2 shown]
	s_or_b32 exec_lo, exec_lo, s2
	s_waitcnt vmcnt(0) lgkmcnt(0)
	ds_store_b16 v9, v1
	ds_store_b16_d16_hi v9, v1 offset:256
	ds_store_b16 v9, v2 offset:512
	ds_store_b16_d16_hi v9, v2 offset:768
	ds_store_b16 v9, v3 offset:1024
	;; [unrolled: 2-line block ×5, first 2 shown]
	s_waitcnt lgkmcnt(0)
	s_barrier
.LBB907_26:
	v_mul_u32_u24_e32 v1, 11, v0
	s_waitcnt lgkmcnt(0)
	buffer_gl0_inv
	s_lshl_b64 s[20:21], s[6:7], 2
	s_delay_alu instid0(SALU_CYCLE_1)
	s_add_u32 s2, s8, s20
	v_lshlrev_b32_e32 v2, 1, v1
	s_addc_u32 s8, s9, s21
	s_lshl_b64 s[4:5], s[4:5], 2
	ds_load_b128 v[12:15], v2
	ds_load_u16 v35, v2 offset:16
	ds_load_u16 v34, v2 offset:18
	;; [unrolled: 1-line block ×3, first 2 shown]
	s_add_u32 s2, s2, s4
	s_addc_u32 s4, s8, s5
	s_and_b32 vcc_lo, exec_lo, s10
	s_mov_b32 s5, -1
	s_waitcnt lgkmcnt(0)
	s_barrier
	buffer_gl0_inv
	s_cbranch_vccz .LBB907_28
; %bb.27:
	v_lshlrev_b32_e32 v7, 2, v0
	s_delay_alu instid0(VALU_DEP_1) | instskip(NEXT) | instid1(VALU_DEP_1)
	v_add_co_u32 v3, s5, s2, v7
	v_add_co_ci_u32_e64 v4, null, s4, 0, s5
	s_mov_b32 s5, 0
	s_delay_alu instid0(VALU_DEP_2) | instskip(NEXT) | instid1(VALU_DEP_2)
	v_add_co_u32 v5, vcc_lo, 0x1000, v3
	v_add_co_ci_u32_e32 v6, vcc_lo, 0, v4, vcc_lo
	s_clause 0xa
	flat_load_b32 v8, v[3:4]
	flat_load_b32 v10, v[3:4] offset:512
	flat_load_b32 v11, v[3:4] offset:1024
	;; [unrolled: 1-line block ×7, first 2 shown]
	flat_load_b32 v4, v[5:6]
	flat_load_b32 v20, v[5:6] offset:512
	flat_load_b32 v5, v[5:6] offset:1024
	s_waitcnt vmcnt(9) lgkmcnt(9)
	ds_store_2addr_stride64_b32 v7, v8, v10 offset1:2
	s_waitcnt vmcnt(7) lgkmcnt(8)
	ds_store_2addr_stride64_b32 v7, v11, v16 offset0:4 offset1:6
	s_waitcnt vmcnt(5) lgkmcnt(7)
	ds_store_2addr_stride64_b32 v7, v17, v18 offset0:8 offset1:10
	;; [unrolled: 2-line block ×4, first 2 shown]
	s_waitcnt vmcnt(0) lgkmcnt(5)
	ds_store_b32 v7, v5 offset:5120
	s_waitcnt lgkmcnt(0)
	s_barrier
.LBB907_28:
	s_and_not1_b32 vcc_lo, exec_lo, s5
	s_cbranch_vccnz .LBB907_52
; %bb.29:
	s_mov_b32 s5, exec_lo
                                        ; implicit-def: $vgpr3
	v_cmpx_gt_u32_e64 s18, v0
	s_cbranch_execz .LBB907_31
; %bb.30:
	v_lshlrev_b32_e32 v3, 2, v0
	s_delay_alu instid0(VALU_DEP_1) | instskip(NEXT) | instid1(VALU_DEP_1)
	v_add_co_u32 v3, s8, s2, v3
	v_add_co_ci_u32_e64 v4, null, s4, 0, s8
	flat_load_b32 v3, v[3:4]
.LBB907_31:
	s_or_b32 exec_lo, exec_lo, s5
	v_or_b32_e32 v4, 0x80, v0
	s_delay_alu instid0(VALU_DEP_1)
	v_cmp_gt_u32_e32 vcc_lo, s18, v4
                                        ; implicit-def: $vgpr4
	s_and_saveexec_b32 s5, vcc_lo
	s_cbranch_execz .LBB907_33
; %bb.32:
	v_lshlrev_b32_e32 v4, 2, v0
	s_delay_alu instid0(VALU_DEP_1) | instskip(NEXT) | instid1(VALU_DEP_1)
	v_add_co_u32 v4, s8, s2, v4
	v_add_co_ci_u32_e64 v5, null, s4, 0, s8
	flat_load_b32 v4, v[4:5] offset:512
.LBB907_33:
	s_or_b32 exec_lo, exec_lo, s5
	v_or_b32_e32 v5, 0x100, v0
	s_delay_alu instid0(VALU_DEP_1)
	v_cmp_gt_u32_e32 vcc_lo, s18, v5
                                        ; implicit-def: $vgpr5
	s_and_saveexec_b32 s5, vcc_lo
	s_cbranch_execz .LBB907_35
; %bb.34:
	v_lshlrev_b32_e32 v5, 2, v0
	s_delay_alu instid0(VALU_DEP_1) | instskip(NEXT) | instid1(VALU_DEP_1)
	v_add_co_u32 v5, s8, s2, v5
	v_add_co_ci_u32_e64 v6, null, s4, 0, s8
	flat_load_b32 v5, v[5:6] offset:1024
.LBB907_35:
	s_or_b32 exec_lo, exec_lo, s5
	v_or_b32_e32 v6, 0x180, v0
	s_delay_alu instid0(VALU_DEP_1)
	v_cmp_gt_u32_e32 vcc_lo, s18, v6
                                        ; implicit-def: $vgpr6
	s_and_saveexec_b32 s5, vcc_lo
	s_cbranch_execz .LBB907_37
; %bb.36:
	v_lshlrev_b32_e32 v6, 2, v0
	s_delay_alu instid0(VALU_DEP_1) | instskip(NEXT) | instid1(VALU_DEP_1)
	v_add_co_u32 v6, s8, s2, v6
	v_add_co_ci_u32_e64 v7, null, s4, 0, s8
	flat_load_b32 v6, v[6:7] offset:1536
.LBB907_37:
	s_or_b32 exec_lo, exec_lo, s5
	v_or_b32_e32 v7, 0x200, v0
	s_delay_alu instid0(VALU_DEP_1)
	v_cmp_gt_u32_e32 vcc_lo, s18, v7
                                        ; implicit-def: $vgpr7
	s_and_saveexec_b32 s5, vcc_lo
	s_cbranch_execz .LBB907_39
; %bb.38:
	v_lshlrev_b32_e32 v7, 2, v0
	s_delay_alu instid0(VALU_DEP_1) | instskip(NEXT) | instid1(VALU_DEP_1)
	v_add_co_u32 v7, s8, s2, v7
	v_add_co_ci_u32_e64 v8, null, s4, 0, s8
	flat_load_b32 v7, v[7:8] offset:2048
.LBB907_39:
	s_or_b32 exec_lo, exec_lo, s5
	v_or_b32_e32 v8, 0x280, v0
	s_delay_alu instid0(VALU_DEP_1)
	v_cmp_gt_u32_e32 vcc_lo, s18, v8
                                        ; implicit-def: $vgpr8
	s_and_saveexec_b32 s5, vcc_lo
	s_cbranch_execz .LBB907_41
; %bb.40:
	v_lshlrev_b32_e32 v8, 2, v0
	s_delay_alu instid0(VALU_DEP_1) | instskip(NEXT) | instid1(VALU_DEP_1)
	v_add_co_u32 v10, s8, s2, v8
	v_add_co_ci_u32_e64 v11, null, s4, 0, s8
	flat_load_b32 v8, v[10:11] offset:2560
.LBB907_41:
	s_or_b32 exec_lo, exec_lo, s5
	v_or_b32_e32 v10, 0x300, v0
	s_delay_alu instid0(VALU_DEP_1)
	v_cmp_gt_u32_e32 vcc_lo, s18, v10
                                        ; implicit-def: $vgpr10
	s_and_saveexec_b32 s5, vcc_lo
	s_cbranch_execz .LBB907_43
; %bb.42:
	v_lshlrev_b32_e32 v10, 2, v0
	s_delay_alu instid0(VALU_DEP_1) | instskip(NEXT) | instid1(VALU_DEP_1)
	v_add_co_u32 v10, s8, s2, v10
	v_add_co_ci_u32_e64 v11, null, s4, 0, s8
	flat_load_b32 v10, v[10:11] offset:3072
.LBB907_43:
	s_or_b32 exec_lo, exec_lo, s5
	v_or_b32_e32 v11, 0x380, v0
	s_delay_alu instid0(VALU_DEP_1)
	v_cmp_gt_u32_e32 vcc_lo, s18, v11
                                        ; implicit-def: $vgpr11
	s_and_saveexec_b32 s5, vcc_lo
	s_cbranch_execz .LBB907_45
; %bb.44:
	v_lshlrev_b32_e32 v11, 2, v0
	s_delay_alu instid0(VALU_DEP_1) | instskip(NEXT) | instid1(VALU_DEP_1)
	v_add_co_u32 v16, s8, s2, v11
	v_add_co_ci_u32_e64 v17, null, s4, 0, s8
	flat_load_b32 v11, v[16:17] offset:3584
.LBB907_45:
	s_or_b32 exec_lo, exec_lo, s5
	v_or_b32_e32 v17, 0x400, v0
	s_mov_b32 s5, exec_lo
                                        ; implicit-def: $vgpr16
	s_delay_alu instid0(VALU_DEP_1)
	v_cmpx_gt_u32_e64 s18, v17
	s_cbranch_execz .LBB907_47
; %bb.46:
	v_lshlrev_b32_e32 v16, 2, v17
	s_delay_alu instid0(VALU_DEP_1) | instskip(NEXT) | instid1(VALU_DEP_1)
	v_add_co_u32 v16, s8, s2, v16
	v_add_co_ci_u32_e64 v17, null, s4, 0, s8
	flat_load_b32 v16, v[16:17]
.LBB907_47:
	s_or_b32 exec_lo, exec_lo, s5
	v_or_b32_e32 v18, 0x480, v0
	s_mov_b32 s5, exec_lo
                                        ; implicit-def: $vgpr17
	s_delay_alu instid0(VALU_DEP_1)
	v_cmpx_gt_u32_e64 s18, v18
	s_cbranch_execz .LBB907_49
; %bb.48:
	v_lshlrev_b32_e32 v17, 2, v18
	s_delay_alu instid0(VALU_DEP_1) | instskip(NEXT) | instid1(VALU_DEP_1)
	v_add_co_u32 v17, s8, s2, v17
	v_add_co_ci_u32_e64 v18, null, s4, 0, s8
	flat_load_b32 v17, v[17:18]
.LBB907_49:
	s_or_b32 exec_lo, exec_lo, s5
	v_or_b32_e32 v19, 0x500, v0
	s_mov_b32 s5, exec_lo
                                        ; implicit-def: $vgpr18
	s_delay_alu instid0(VALU_DEP_1)
	v_cmpx_gt_u32_e64 s18, v19
	s_cbranch_execz .LBB907_51
; %bb.50:
	v_lshlrev_b32_e32 v18, 2, v19
	s_delay_alu instid0(VALU_DEP_1) | instskip(NEXT) | instid1(VALU_DEP_1)
	v_add_co_u32 v18, s2, s2, v18
	v_add_co_ci_u32_e64 v19, null, s4, 0, s2
	flat_load_b32 v18, v[18:19]
.LBB907_51:
	s_or_b32 exec_lo, exec_lo, s5
	v_mad_i32_i24 v2, 0xffffffee, v0, v2
	s_waitcnt vmcnt(0) lgkmcnt(0)
	ds_store_2addr_stride64_b32 v2, v3, v4 offset1:2
	ds_store_2addr_stride64_b32 v2, v5, v6 offset0:4 offset1:6
	ds_store_2addr_stride64_b32 v2, v7, v8 offset0:8 offset1:10
	;; [unrolled: 1-line block ×4, first 2 shown]
	ds_store_b32 v2, v18 offset:5120
	s_waitcnt lgkmcnt(0)
	s_barrier
.LBB907_52:
	v_lshlrev_b32_e32 v41, 2, v1
	buffer_gl0_inv
	s_cmp_lg_u32 s15, 0
	v_lshrrev_b32_e32 v40, 16, v12
	s_cselect_b32 s20, -1, 0
	ds_load_2addr_b32 v[27:28], v41 offset1:1
	ds_load_2addr_b32 v[25:26], v41 offset0:2 offset1:3
	ds_load_2addr_b32 v[23:24], v41 offset0:4 offset1:5
	;; [unrolled: 1-line block ×4, first 2 shown]
	ds_load_b32 v36, v41 offset:40
	s_cmp_lg_u64 s[6:7], 0
	v_lshrrev_b32_e32 v39, 16, v13
	s_cselect_b32 s2, -1, 0
	v_lshrrev_b32_e32 v38, 16, v14
	v_lshrrev_b32_e32 v37, 16, v15
	v_add_nc_u32_e32 v5, 1, v1
	v_add_nc_u32_e32 v6, 2, v1
	v_add_nc_u32_e32 v3, 3, v1
	v_add_nc_u32_e32 v8, 4, v1
	v_add_nc_u32_e32 v7, 5, v1
	v_add_nc_u32_e32 v4, 6, v1
	v_add_nc_u32_e32 v2, 7, v1
	v_add_nc_u32_e32 v31, 8, v1
	v_add_nc_u32_e32 v11, 9, v1
	v_add_nc_u32_e32 v10, 10, v1
	s_or_b32 s2, s20, s2
	s_mov_b32 s21, 0
	s_and_b32 vcc_lo, exec_lo, s2
	s_waitcnt lgkmcnt(0)
	s_barrier
	buffer_gl0_inv
	s_cbranch_vccz .LBB907_57
; %bb.53:
	v_add_co_u32 v16, s2, -2, s11
	s_delay_alu instid0(VALU_DEP_1)
	v_add_co_ci_u32_e64 v17, null, -1, s3, s2
	s_mov_b32 s3, -1
	s_and_b32 vcc_lo, exec_lo, s10
	flat_load_u16 v16, v[16:17]
	ds_store_b16 v9, v33
	s_cbranch_vccz .LBB907_59
; %bb.54:
	s_waitcnt vmcnt(0) lgkmcnt(1)
	v_mov_b32_e32 v17, v16
	s_mov_b32 s3, 0
	s_mov_b32 s2, exec_lo
	s_waitcnt lgkmcnt(0)
	s_barrier
	buffer_gl0_inv
	v_cmpx_ne_u32_e32 0, v0
	s_cbranch_execz .LBB907_56
; %bb.55:
	v_add_nc_u32_e32 v17, -2, v9
	ds_load_u16 v17, v17
.LBB907_56:
	s_or_b32 exec_lo, exec_lo, s2
	v_cmp_ne_u16_e32 vcc_lo, v15, v37
	s_waitcnt lgkmcnt(0)
	v_cmp_ne_u16_e64 s2, v17, v12
	v_cndmask_b32_e64 v18, 0, 1, vcc_lo
	v_cmp_ne_u16_e32 vcc_lo, v38, v15
	s_delay_alu instid0(VALU_DEP_2) | instskip(SKIP_2) | instid1(VALU_DEP_2)
	v_lshlrev_b16 v18, 8, v18
	v_cndmask_b32_e64 v29, 0, 1, vcc_lo
	v_cmp_ne_u16_e32 vcc_lo, v14, v38
	v_or_b32_e32 v18, v29, v18
	v_cndmask_b32_e64 v30, 0, 1, vcc_lo
	v_cmp_ne_u16_e32 vcc_lo, v39, v14
	s_delay_alu instid0(VALU_DEP_3) | instskip(NEXT) | instid1(VALU_DEP_3)
	v_lshlrev_b32_e32 v18, 16, v18
	v_lshlrev_b16 v30, 8, v30
	v_cndmask_b32_e64 v32, 0, 1, vcc_lo
	v_cmp_ne_u16_e32 vcc_lo, v13, v39
	s_delay_alu instid0(VALU_DEP_2) | instskip(SKIP_2) | instid1(VALU_DEP_3)
	v_or_b32_e32 v30, v32, v30
	v_cndmask_b32_e64 v42, 0, 1, vcc_lo
	v_cmp_ne_u16_e32 vcc_lo, v40, v13
	v_and_b32_e32 v30, 0xffff, v30
	s_delay_alu instid0(VALU_DEP_3) | instskip(SKIP_2) | instid1(VALU_DEP_4)
	v_lshlrev_b16 v42, 8, v42
	v_cndmask_b32_e64 v44, 0, 1, vcc_lo
	v_cmp_ne_u16_e32 vcc_lo, v12, v40
	v_or_b32_e32 v30, v30, v18
	s_delay_alu instid0(VALU_DEP_3) | instskip(SKIP_2) | instid1(VALU_DEP_3)
	v_or_b32_e32 v42, v44, v42
	v_cndmask_b32_e64 v45, 0, 1, vcc_lo
	v_cmp_ne_u16_e32 vcc_lo, v34, v33
	v_lshlrev_b32_e32 v29, 16, v42
	s_delay_alu instid0(VALU_DEP_3) | instskip(SKIP_2) | instid1(VALU_DEP_3)
	v_lshlrev_b16 v44, 8, v45
	v_cndmask_b32_e64 v43, 0, 1, vcc_lo
	v_cmp_ne_u16_e32 vcc_lo, v35, v34
	v_and_b32_e32 v44, 0xffff, v44
	v_cndmask_b32_e64 v32, 0, 1, vcc_lo
	v_cmp_ne_u16_e32 vcc_lo, v37, v35
	s_delay_alu instid0(VALU_DEP_3)
	v_or_b32_e32 v29, v44, v29
	v_cndmask_b32_e64 v42, 0, 1, vcc_lo
	s_and_b32 vcc_lo, exec_lo, s3
	s_cbranch_vccnz .LBB907_60
	s_branch .LBB907_63
.LBB907_57:
                                        ; implicit-def: $sgpr2
                                        ; implicit-def: $vgpr43
                                        ; implicit-def: $vgpr32
                                        ; implicit-def: $vgpr42
                                        ; implicit-def: $vgpr30
	s_branch .LBB907_64
.LBB907_58:
                                        ; implicit-def: $vgpr16_vgpr17_vgpr18
	s_and_saveexec_b32 s3, s21
	s_cbranch_execnz .LBB907_72
	s_branch .LBB907_73
.LBB907_59:
                                        ; implicit-def: $sgpr2
                                        ; implicit-def: $vgpr43
                                        ; implicit-def: $vgpr32
                                        ; implicit-def: $vgpr42
                                        ; implicit-def: $vgpr30
	s_and_b32 vcc_lo, exec_lo, s3
	s_cbranch_vccz .LBB907_63
.LBB907_60:
	s_mov_b32 s2, exec_lo
	s_waitcnt vmcnt(0) lgkmcnt(0)
	s_barrier
	buffer_gl0_inv
	v_cmpx_ne_u32_e32 0, v0
	s_cbranch_execz .LBB907_62
; %bb.61:
	v_add_nc_u32_e32 v9, -2, v9
	ds_load_u16 v16, v9
.LBB907_62:
	s_or_b32 exec_lo, exec_lo, s2
	v_cmp_gt_u32_e32 vcc_lo, s18, v10
	v_cmp_ne_u16_e64 s2, v34, v33
	v_cmp_gt_u32_e64 s3, s18, v11
	v_cmp_ne_u16_e64 s4, v35, v34
	v_cmp_gt_u32_e64 s5, s18, v5
	v_cmp_ne_u16_e64 s6, v12, v40
	s_and_b32 s2, vcc_lo, s2
	v_cmp_gt_u32_e32 vcc_lo, s18, v2
	v_cndmask_b32_e64 v43, 0, 1, s2
	v_cmp_ne_u16_e64 s2, v15, v37
	s_and_b32 s3, s3, s4
	v_cmp_ne_u16_e64 s4, v38, v15
	v_cndmask_b32_e64 v32, 0, 1, s3
	v_cmp_gt_u32_e64 s3, s18, v4
	s_and_b32 s2, vcc_lo, s2
	v_cmp_gt_u32_e32 vcc_lo, s18, v7
	v_cndmask_b32_e64 v9, 0, 1, s2
	v_cmp_ne_u16_e64 s2, v14, v38
	s_and_b32 s3, s3, s4
	v_cmp_ne_u16_e64 s4, v13, v39
	v_cndmask_b32_e64 v17, 0, 1, s3
	v_cmp_gt_u32_e64 s3, s18, v3
	;; [unrolled: 8-line block ×3, first 2 shown]
	s_and_b32 s2, vcc_lo, s2
	v_lshlrev_b16 v18, 8, v18
	v_cndmask_b32_e64 v30, 0, 1, s2
	v_lshlrev_b16 v29, 8, v29
	s_and_b32 s2, s3, s4
	v_lshlrev_b16 v9, 8, v9
	v_cndmask_b32_e64 v42, 0, 1, s2
	s_and_b32 s2, s5, s6
	v_or_b32_e32 v18, v30, v18
	v_cndmask_b32_e64 v44, 0, 1, s2
	v_or_b32_e32 v9, v17, v9
	v_or_b32_e32 v29, v42, v29
	v_cmp_gt_u32_e32 vcc_lo, s18, v31
	v_cmp_ne_u16_e64 s2, v37, v35
	v_lshlrev_b16 v42, 8, v44
	v_and_b32_e32 v18, 0xffff, v18
	v_lshlrev_b32_e32 v17, 16, v29
	v_lshlrev_b32_e32 v9, 16, v9
	s_and_b32 s2, vcc_lo, s2
	v_and_b32_e32 v29, 0xffff, v42
	v_cndmask_b32_e64 v42, 0, 1, s2
	v_cmp_gt_u32_e32 vcc_lo, s18, v1
	s_waitcnt lgkmcnt(0)
	v_cmp_ne_u16_e64 s2, v16, v12
	v_or_b32_e32 v30, v18, v9
	v_or_b32_e32 v29, v29, v17
	s_delay_alu instid0(VALU_DEP_3)
	s_and_b32 s2, vcc_lo, s2
.LBB907_63:
	s_mov_b32 s21, -1
	s_cbranch_execnz .LBB907_58
.LBB907_64:
	v_mad_i32_i24 v9, 0xffffffd6, v0, v41
	s_and_b32 vcc_lo, exec_lo, s10
	v_cmp_ne_u16_e64 s2, v34, v33
	v_cmp_ne_u16_e64 s9, v35, v34
	;; [unrolled: 1-line block ×10, first 2 shown]
	ds_store_b16 v9, v33
	s_cbranch_vccz .LBB907_68
; %bb.65:
	s_waitcnt vmcnt(0) lgkmcnt(2)
	v_cndmask_b32_e64 v16, 0, 1, s11
	v_cndmask_b32_e64 v32, 0, 1, s9
	;; [unrolled: 1-line block ×5, first 2 shown]
	v_lshlrev_b16 v16, 8, v16
	v_cndmask_b32_e64 v44, 0, 1, s4
	v_cndmask_b32_e64 v42, 0, 1, s10
	;; [unrolled: 1-line block ×4, first 2 shown]
	v_lshlrev_b16 v17, 8, v17
	v_lshlrev_b16 v45, 8, v32
	v_or_b32_e32 v16, v29, v16
	v_lshlrev_b16 v29, 8, v30
	v_lshlrev_b16 v30, 8, v44
	v_or_b32_e32 v17, v18, v17
	v_or_b32_e32 v18, v42, v45
	v_and_b32_e32 v16, 0xffff, v16
	v_or_b32_e32 v29, v43, v29
	v_or_b32_e32 v30, 1, v30
	v_lshlrev_b32_e32 v17, 16, v17
	v_and_b32_e32 v18, 0xffff, v18
	v_cndmask_b32_e64 v43, 0, 1, s2
	v_lshlrev_b32_e32 v29, 16, v29
	v_and_b32_e32 v44, 0xffff, v30
	v_or_b32_e32 v30, v16, v17
	s_mov_b32 s3, 0
	v_lshl_or_b32 v18, v43, 16, v18
	s_mov_b32 s4, exec_lo
	v_or_b32_e32 v29, v44, v29
	s_waitcnt lgkmcnt(0)
	s_barrier
	buffer_gl0_inv
                                        ; implicit-def: $sgpr2
	v_cmpx_ne_u32_e32 0, v0
	s_xor_b32 s4, exec_lo, s4
	s_cbranch_execz .LBB907_67
; %bb.66:
	v_add_nc_u32_e32 v16, -2, v9
	s_or_b32 s21, s21, exec_lo
	ds_load_u16 v16, v16
	s_waitcnt lgkmcnt(0)
	v_cmp_ne_u16_e32 vcc_lo, v16, v12
                                        ; implicit-def: $vgpr16_vgpr17_vgpr18
	s_and_b32 s2, vcc_lo, exec_lo
.LBB907_67:
	s_or_b32 exec_lo, exec_lo, s4
	s_delay_alu instid0(SALU_CYCLE_1)
	s_and_b32 vcc_lo, exec_lo, s3
	s_cbranch_vccnz .LBB907_69
	s_branch .LBB907_71
.LBB907_68:
                                        ; implicit-def: $sgpr2
                                        ; implicit-def: $vgpr43
                                        ; implicit-def: $vgpr32
                                        ; implicit-def: $vgpr42
                                        ; implicit-def: $vgpr30
                                        ; implicit-def: $vgpr16_vgpr17_vgpr18
	s_cbranch_execz .LBB907_71
.LBB907_69:
	v_cmp_gt_u32_e32 vcc_lo, s18, v11
	v_cmp_ne_u16_e64 s2, v35, v34
	v_cmp_gt_u32_e64 s5, s18, v31
	v_cmp_ne_u16_e64 s6, v37, v35
	v_cmp_gt_u32_e64 s3, s18, v10
	v_cmp_ne_u16_e64 s4, v34, v33
	s_and_b32 s2, vcc_lo, s2
	v_cmp_gt_u32_e32 vcc_lo, s18, v2
	v_cndmask_b32_e64 v32, 0, 1, s2
	v_cmp_ne_u16_e64 s2, v15, v37
	s_and_b32 s5, s5, s6
	v_cmp_ne_u16_e64 s6, v38, v15
	v_cndmask_b32_e64 v42, 0, 1, s5
	v_cmp_gt_u32_e64 s5, s18, v4
	s_and_b32 s2, vcc_lo, s2
	v_cmp_gt_u32_e32 vcc_lo, s18, v7
	s_waitcnt vmcnt(0) lgkmcnt(2)
	v_cndmask_b32_e64 v16, 0, 1, s2
	v_cmp_ne_u16_e64 s2, v14, v38
	s_and_b32 s5, s5, s6
	v_cmp_ne_u16_e64 s6, v39, v14
	v_cndmask_b32_e64 v17, 0, 1, s5
	v_cmp_gt_u32_e64 s5, s18, v8
	s_and_b32 s2, vcc_lo, s2
	v_cmp_gt_u32_e32 vcc_lo, s18, v3
	v_cndmask_b32_e64 v18, 0, 1, s2
	v_cmp_ne_u16_e64 s2, v13, v39
	s_and_b32 s5, s5, s6
	v_cmp_ne_u16_e64 s6, v40, v13
	v_cndmask_b32_e64 v29, 0, 1, s5
	v_cmp_gt_u32_e64 s5, s18, v6
	s_and_b32 s2, vcc_lo, s2
	v_cmp_gt_u32_e32 vcc_lo, s18, v5
	v_cndmask_b32_e64 v30, 0, 1, s2
	v_cmp_ne_u16_e64 s2, v12, v40
	v_lshlrev_b16 v18, 8, v18
	v_lshlrev_b16 v16, 8, v16
	s_and_b32 s5, s5, s6
	v_lshlrev_b16 v45, 8, v32
	s_and_b32 s2, vcc_lo, s2
	v_cndmask_b32_e64 v43, 0, 1, s5
	v_cndmask_b32_e64 v44, 0, 1, s2
	v_or_b32_e32 v18, v29, v18
	v_or_b32_e32 v16, v17, v16
	v_lshlrev_b16 v17, 8, v30
	v_or_b32_e32 v30, v42, v45
	v_lshlrev_b16 v29, 8, v44
	s_and_b32 s2, s3, s4
	v_and_b32_e32 v18, 0xffff, v18
	v_or_b32_e32 v17, v43, v17
	v_lshlrev_b32_e32 v16, 16, v16
	v_or_b32_e32 v29, 1, v29
	v_and_b32_e32 v44, 0xffff, v30
	v_cndmask_b32_e64 v43, 0, 1, s2
	v_lshlrev_b32_e32 v17, 16, v17
	v_or_b32_e32 v30, v18, v16
	v_and_b32_e32 v29, 0xffff, v29
	s_mov_b32 s3, exec_lo
	v_lshl_or_b32 v18, v43, 16, v44
	s_waitcnt lgkmcnt(0)
	s_barrier
	v_or_b32_e32 v29, v29, v17
	buffer_gl0_inv
                                        ; implicit-def: $sgpr2
	v_cmpx_ne_u32_e32 0, v0
	s_cbranch_execz .LBB907_167
; %bb.70:
	v_add_nc_u32_e32 v9, -2, v9
	v_cmp_gt_u32_e32 vcc_lo, s18, v1
	s_or_b32 s21, s21, exec_lo
                                        ; implicit-def: $vgpr16_vgpr17_vgpr18
	ds_load_u16 v9, v9
	s_waitcnt lgkmcnt(0)
	v_cmp_ne_u16_e64 s2, v9, v12
	s_delay_alu instid0(VALU_DEP_1) | instskip(NEXT) | instid1(SALU_CYCLE_1)
	s_and_b32 s2, vcc_lo, s2
	s_and_b32 s2, s2, exec_lo
	s_or_b32 exec_lo, exec_lo, s3
.LBB907_71:
	s_and_saveexec_b32 s3, s21
	s_cbranch_execz .LBB907_73
.LBB907_72:
	s_waitcnt vmcnt(0) lgkmcnt(1)
	v_lshrrev_b32_e32 v16, 24, v29
	v_lshrrev_b32_e32 v17, 16, v29
	v_lshrrev_b32_e32 v18, 8, v29
	v_cndmask_b32_e64 v9, 0, 1, s2
	v_lshlrev_b16 v29, 8, v32
	v_and_b32_e32 v32, 0xff, v42
	v_lshlrev_b16 v16, 8, v16
	v_and_b32_e32 v17, 0xff, v17
	;; [unrolled: 2-line block ×3, first 2 shown]
	v_or_b32_e32 v29, v32, v29
	s_delay_alu instid0(VALU_DEP_4) | instskip(NEXT) | instid1(VALU_DEP_4)
	v_or_b32_e32 v16, v17, v16
	v_or_b32_e32 v9, v9, v18
	s_delay_alu instid0(VALU_DEP_4) | instskip(NEXT) | instid1(VALU_DEP_4)
	v_lshlrev_b32_e32 v17, 16, v42
	v_and_b32_e32 v18, 0xffff, v29
	s_delay_alu instid0(VALU_DEP_4) | instskip(NEXT) | instid1(VALU_DEP_4)
	v_lshlrev_b32_e32 v16, 16, v16
	v_and_b32_e32 v9, 0xffff, v9
	s_delay_alu instid0(VALU_DEP_3) | instskip(NEXT) | instid1(VALU_DEP_2)
	v_or_b32_e32 v18, v18, v17
	v_or_b32_e32 v29, v9, v16
.LBB907_73:
	s_or_b32 exec_lo, exec_lo, s3
	s_load_b64 s[8:9], s[0:1], 0x70
	s_and_not1_b32 vcc_lo, exec_lo, s19
	s_cbranch_vccnz .LBB907_75
; %bb.74:
	v_cmp_gt_u32_e32 vcc_lo, s18, v1
	v_cmp_gt_u32_e64 s0, s18, v5
	v_and_b32_e32 v5, 0xffffff00, v30
	v_cmp_gt_u32_e64 s2, s18, v6
	v_cmp_gt_u32_e64 s4, s18, v3
	v_cndmask_b32_e32 v1, 0, v29, vcc_lo
	v_and_b32_e32 v9, 0xff000000, v18
	v_cmp_gt_u32_e32 vcc_lo, s18, v31
	v_cmp_gt_u32_e64 s1, s18, v11
	v_cmp_gt_u32_e64 s3, s18, v10
	v_and_b32_e32 v1, 0xff, v1
	s_delay_alu instid0(VALU_DEP_1) | instskip(SKIP_1) | instid1(VALU_DEP_2)
	v_cndmask_b32_e64 v1, v1, v29, s0
	v_cmp_gt_u32_e64 s0, s18, v8
	v_and_b32_e32 v1, 0xffff, v1
	s_delay_alu instid0(VALU_DEP_2) | instskip(NEXT) | instid1(VALU_DEP_2)
	v_cndmask_b32_e64 v5, v5, v30, s0
	v_cndmask_b32_e64 v1, v1, v29, s2
	s_delay_alu instid0(VALU_DEP_2) | instskip(SKIP_1) | instid1(VALU_DEP_3)
	v_and_b32_e32 v5, 0xffff00ff, v5
	v_cmp_gt_u32_e64 s2, s18, v7
	v_and_b32_e32 v1, 0xffffff, v1
	s_delay_alu instid0(VALU_DEP_2) | instskip(NEXT) | instid1(VALU_DEP_2)
	v_cndmask_b32_e64 v5, v5, v30, s2
	v_cndmask_b32_e64 v1, v1, v29, s4
	s_delay_alu instid0(VALU_DEP_2) | instskip(NEXT) | instid1(VALU_DEP_2)
	v_and_b32_e32 v3, 0xff00ffff, v5
	v_cndmask_b32_e64 v1, v1, v29, s0
	v_cmp_gt_u32_e64 s0, s18, v4
	s_delay_alu instid0(VALU_DEP_2) | instskip(NEXT) | instid1(VALU_DEP_2)
	v_cndmask_b32_e64 v1, v1, v29, s2
	v_cndmask_b32_e64 v3, v3, v30, s0
	v_cndmask_b32_e32 v9, v9, v18, vcc_lo
	v_cmp_gt_u32_e64 s2, s18, v2
	s_delay_alu instid0(VALU_DEP_4) | instskip(NEXT) | instid1(VALU_DEP_4)
	v_cndmask_b32_e64 v1, v1, v29, s0
	v_and_b32_e32 v2, 0xffffff, v3
	s_delay_alu instid0(VALU_DEP_4) | instskip(NEXT) | instid1(VALU_DEP_1)
	v_and_b32_e32 v9, 0xff0000ff, v9
	v_cndmask_b32_e64 v8, v9, v18, s1
	s_or_b32 s1, s3, s1
	s_delay_alu instid0(SALU_CYCLE_1) | instskip(NEXT) | instid1(VALU_DEP_1)
	s_or_b32 s0, s1, vcc_lo
	v_and_b32_e32 v6, 0xff00ffff, v8
	s_or_b32 vcc_lo, s0, s2
	v_dual_cndmask_b32 v30, v2, v30 :: v_dual_cndmask_b32 v1, v1, v29
	s_delay_alu instid0(VALU_DEP_2) | instskip(NEXT) | instid1(VALU_DEP_2)
	v_cndmask_b32_e64 v6, v6, v18, s3
	v_perm_b32 v29, v1, v1, 0x3020104
	s_delay_alu instid0(VALU_DEP_2) | instskip(SKIP_1) | instid1(VALU_DEP_2)
	v_lshrrev_b32_e32 v5, 8, v6
	v_and_b32_e32 v4, 0xff, v6
	v_lshlrev_b16 v5, 8, v5
	s_delay_alu instid0(VALU_DEP_1) | instskip(NEXT) | instid1(VALU_DEP_1)
	v_or_b32_e32 v3, v4, v5
	v_and_b32_e32 v2, 0xffff, v3
	s_delay_alu instid0(VALU_DEP_1)
	v_and_or_b32 v18, 0xff0000, v6, v2
.LBB907_75:
	v_and_b32_e32 v43, 0xff, v29
	v_bfe_u32 v44, v29, 8, 8
	v_alignbit_b32 v1, v30, v29, 24
	v_bfe_u32 v45, v29, 16, 8
	v_and_b32_e32 v46, 0xff, v30
	v_bfe_u32 v48, v30, 8, 8
	v_bfe_u32 v49, v30, 16, 8
	v_and_b32_e32 v47, 0xff, v1
	v_add3_u32 v1, v44, v43, v45
	v_lshrrev_b32_e32 v42, 24, v30
	v_mbcnt_lo_u32_b32 v52, -1, 0
	v_and_b32_e32 v50, 0xff, v18
	v_bfe_u32 v51, v18, 8, 8
	v_add3_u32 v1, v1, v47, v46
	v_bfe_u32 v3, v18, 16, 8
	v_and_b32_e32 v2, 15, v52
	v_or_b32_e32 v4, 31, v0
	v_and_b32_e32 v5, 16, v52
	v_add3_u32 v1, v1, v48, v49
	v_lshrrev_b32_e32 v53, 5, v0
	v_cmp_eq_u32_e64 s5, 0, v2
	v_cmp_lt_u32_e64 s4, 1, v2
	v_cmp_lt_u32_e64 s3, 3, v2
	v_add3_u32 v1, v1, v42, v50
	v_cmp_lt_u32_e64 s2, 7, v2
	v_cmp_eq_u32_e64 s1, 0, v5
	v_cmp_eq_u32_e64 s0, v4, v0
	s_and_b32 vcc_lo, exec_lo, s20
	v_add3_u32 v54, v1, v51, v3
	s_mov_b32 s6, -1
	s_waitcnt vmcnt(0) lgkmcnt(0)
	s_barrier
	buffer_gl0_inv
	s_cbranch_vccz .LBB907_106
; %bb.76:
	v_mov_b32_dpp v1, v54 row_shr:1 row_mask:0xf bank_mask:0xf
	s_delay_alu instid0(VALU_DEP_1) | instskip(NEXT) | instid1(VALU_DEP_1)
	v_cndmask_b32_e64 v1, v1, 0, s5
	v_add_nc_u32_e32 v1, v1, v54
	s_delay_alu instid0(VALU_DEP_1) | instskip(NEXT) | instid1(VALU_DEP_1)
	v_mov_b32_dpp v2, v1 row_shr:2 row_mask:0xf bank_mask:0xf
	v_cndmask_b32_e64 v2, 0, v2, s4
	s_delay_alu instid0(VALU_DEP_1) | instskip(NEXT) | instid1(VALU_DEP_1)
	v_add_nc_u32_e32 v1, v1, v2
	v_mov_b32_dpp v2, v1 row_shr:4 row_mask:0xf bank_mask:0xf
	s_delay_alu instid0(VALU_DEP_1) | instskip(NEXT) | instid1(VALU_DEP_1)
	v_cndmask_b32_e64 v2, 0, v2, s3
	v_add_nc_u32_e32 v1, v1, v2
	s_delay_alu instid0(VALU_DEP_1) | instskip(NEXT) | instid1(VALU_DEP_1)
	v_mov_b32_dpp v2, v1 row_shr:8 row_mask:0xf bank_mask:0xf
	v_cndmask_b32_e64 v2, 0, v2, s2
	s_delay_alu instid0(VALU_DEP_1) | instskip(SKIP_3) | instid1(VALU_DEP_1)
	v_add_nc_u32_e32 v1, v1, v2
	ds_swizzle_b32 v2, v1 offset:swizzle(BROADCAST,32,15)
	s_waitcnt lgkmcnt(0)
	v_cndmask_b32_e64 v2, v2, 0, s1
	v_add_nc_u32_e32 v1, v1, v2
	s_and_saveexec_b32 s6, s0
	s_cbranch_execz .LBB907_78
; %bb.77:
	v_lshlrev_b32_e32 v2, 2, v53
	ds_store_b32 v2, v1
.LBB907_78:
	s_or_b32 exec_lo, exec_lo, s6
	s_delay_alu instid0(SALU_CYCLE_1)
	s_mov_b32 s6, exec_lo
	s_waitcnt lgkmcnt(0)
	s_barrier
	buffer_gl0_inv
	v_cmpx_gt_u32_e32 4, v0
	s_cbranch_execz .LBB907_80
; %bb.79:
	v_and_b32_e32 v4, 3, v52
	s_delay_alu instid0(VALU_DEP_1) | instskip(SKIP_4) | instid1(VALU_DEP_1)
	v_cmp_ne_u32_e32 vcc_lo, 0, v4
	v_lshlrev_b32_e32 v2, 2, v0
	ds_load_b32 v3, v2
	s_waitcnt lgkmcnt(0)
	v_mov_b32_dpp v5, v3 row_shr:1 row_mask:0xf bank_mask:0xf
	v_cndmask_b32_e32 v5, 0, v5, vcc_lo
	v_cmp_lt_u32_e32 vcc_lo, 1, v4
	s_delay_alu instid0(VALU_DEP_2) | instskip(NEXT) | instid1(VALU_DEP_1)
	v_add_nc_u32_e32 v3, v5, v3
	v_mov_b32_dpp v5, v3 row_shr:2 row_mask:0xf bank_mask:0xf
	s_delay_alu instid0(VALU_DEP_1) | instskip(NEXT) | instid1(VALU_DEP_1)
	v_cndmask_b32_e32 v4, 0, v5, vcc_lo
	v_add_nc_u32_e32 v3, v3, v4
	ds_store_b32 v2, v3
.LBB907_80:
	s_or_b32 exec_lo, exec_lo, s6
	v_cmp_gt_u32_e32 vcc_lo, 32, v0
	s_mov_b32 s7, exec_lo
	s_waitcnt lgkmcnt(0)
	s_barrier
	buffer_gl0_inv
                                        ; implicit-def: $vgpr9
	v_cmpx_lt_u32_e32 31, v0
	s_cbranch_execz .LBB907_82
; %bb.81:
	v_lshl_add_u32 v2, v53, 2, -4
	ds_load_b32 v9, v2
	s_waitcnt lgkmcnt(0)
	v_add_nc_u32_e32 v1, v9, v1
.LBB907_82:
	s_or_b32 exec_lo, exec_lo, s7
	v_add_nc_u32_e32 v2, -1, v52
	s_delay_alu instid0(VALU_DEP_1) | instskip(NEXT) | instid1(VALU_DEP_1)
	v_cmp_gt_i32_e64 s6, 0, v2
	v_cndmask_b32_e64 v2, v2, v52, s6
	v_cmp_eq_u32_e64 s6, 0, v52
	s_delay_alu instid0(VALU_DEP_2)
	v_lshlrev_b32_e32 v2, 2, v2
	ds_bpermute_b32 v10, v2, v1
	s_and_saveexec_b32 s7, vcc_lo
	s_cbranch_execz .LBB907_105
; %bb.83:
	v_mov_b32_e32 v5, 0
	ds_load_b32 v1, v5 offset:12
	s_and_saveexec_b32 s10, s6
	s_cbranch_execz .LBB907_85
; %bb.84:
	s_add_i32 s18, s15, 32
	s_mov_b32 s19, 0
	v_mov_b32_e32 v2, 1
	s_lshl_b64 s[18:19], s[18:19], 3
	s_delay_alu instid0(SALU_CYCLE_1)
	s_add_u32 s18, s8, s18
	s_addc_u32 s19, s9, s19
	s_waitcnt lgkmcnt(0)
	global_store_b64 v5, v[1:2], s[18:19]
.LBB907_85:
	s_or_b32 exec_lo, exec_lo, s10
	v_xad_u32 v3, v52, -1, s15
	s_mov_b32 s11, 0
	s_mov_b32 s10, exec_lo
	s_delay_alu instid0(VALU_DEP_1) | instskip(NEXT) | instid1(VALU_DEP_1)
	v_add_nc_u32_e32 v4, 32, v3
	v_lshlrev_b64 v[4:5], 3, v[4:5]
	s_delay_alu instid0(VALU_DEP_1) | instskip(NEXT) | instid1(VALU_DEP_2)
	v_add_co_u32 v7, vcc_lo, s8, v4
	v_add_co_ci_u32_e32 v8, vcc_lo, s9, v5, vcc_lo
	global_load_b64 v[5:6], v[7:8], off glc
	s_waitcnt vmcnt(0)
	v_and_b32_e32 v2, 0xff, v6
	s_delay_alu instid0(VALU_DEP_1)
	v_cmpx_eq_u16_e32 0, v2
	s_cbranch_execz .LBB907_91
; %bb.86:
	s_mov_b32 s18, 1
	.p2align	6
.LBB907_87:                             ; =>This Loop Header: Depth=1
                                        ;     Child Loop BB907_88 Depth 2
	s_delay_alu instid0(SALU_CYCLE_1)
	s_max_u32 s19, s18, 1
.LBB907_88:                             ;   Parent Loop BB907_87 Depth=1
                                        ; =>  This Inner Loop Header: Depth=2
	s_delay_alu instid0(SALU_CYCLE_1)
	s_add_i32 s19, s19, -1
	s_sleep 1
	s_cmp_eq_u32 s19, 0
	s_cbranch_scc0 .LBB907_88
; %bb.89:                               ;   in Loop: Header=BB907_87 Depth=1
	global_load_b64 v[5:6], v[7:8], off glc
	s_cmp_lt_u32 s18, 32
	s_cselect_b32 s19, -1, 0
	s_delay_alu instid0(SALU_CYCLE_1) | instskip(SKIP_3) | instid1(VALU_DEP_1)
	s_cmp_lg_u32 s19, 0
	s_addc_u32 s18, s18, 0
	s_waitcnt vmcnt(0)
	v_and_b32_e32 v2, 0xff, v6
	v_cmp_ne_u16_e32 vcc_lo, 0, v2
	s_or_b32 s11, vcc_lo, s11
	s_delay_alu instid0(SALU_CYCLE_1)
	s_and_not1_b32 exec_lo, exec_lo, s11
	s_cbranch_execnz .LBB907_87
; %bb.90:
	s_or_b32 exec_lo, exec_lo, s11
.LBB907_91:
	s_delay_alu instid0(SALU_CYCLE_1)
	s_or_b32 exec_lo, exec_lo, s10
	v_cmp_ne_u32_e32 vcc_lo, 31, v52
	v_lshlrev_b32_e64 v16, v52, -1
	v_add_nc_u32_e32 v31, 2, v52
	v_add_nc_u32_e32 v55, 4, v52
	v_add_nc_u32_e32 v57, 8, v52
	v_add_co_ci_u32_e32 v2, vcc_lo, 0, v52, vcc_lo
	v_add_nc_u32_e32 v59, 16, v52
	s_delay_alu instid0(VALU_DEP_2)
	v_lshlrev_b32_e32 v11, 2, v2
	v_and_b32_e32 v2, 0xff, v6
	ds_bpermute_b32 v4, v11, v5
	v_cmp_eq_u16_e32 vcc_lo, 2, v2
	v_and_or_b32 v2, vcc_lo, v16, 0x80000000
	v_cmp_gt_u32_e32 vcc_lo, 30, v52
	s_delay_alu instid0(VALU_DEP_2) | instskip(SKIP_1) | instid1(VALU_DEP_2)
	v_ctz_i32_b32_e32 v2, v2
	v_cndmask_b32_e64 v7, 0, 1, vcc_lo
	v_cmp_lt_u32_e32 vcc_lo, v52, v2
	s_waitcnt lgkmcnt(0)
	s_delay_alu instid0(VALU_DEP_2) | instskip(NEXT) | instid1(VALU_DEP_1)
	v_dual_cndmask_b32 v4, 0, v4 :: v_dual_lshlrev_b32 v7, 1, v7
	v_add_lshl_u32 v17, v7, v52, 2
	v_cmp_gt_u32_e32 vcc_lo, 28, v52
	s_delay_alu instid0(VALU_DEP_3) | instskip(SKIP_4) | instid1(VALU_DEP_1)
	v_add_nc_u32_e32 v4, v4, v5
	v_cndmask_b32_e64 v7, 0, 1, vcc_lo
	v_cmp_le_u32_e32 vcc_lo, v31, v2
	ds_bpermute_b32 v5, v17, v4
	v_lshlrev_b32_e32 v7, 2, v7
	v_add_lshl_u32 v32, v7, v52, 2
	s_waitcnt lgkmcnt(0)
	v_cndmask_b32_e32 v5, 0, v5, vcc_lo
	v_cmp_gt_u32_e32 vcc_lo, 24, v52
	s_delay_alu instid0(VALU_DEP_2) | instskip(SKIP_4) | instid1(VALU_DEP_1)
	v_add_nc_u32_e32 v4, v4, v5
	v_cndmask_b32_e64 v7, 0, 1, vcc_lo
	v_cmp_le_u32_e32 vcc_lo, v55, v2
	ds_bpermute_b32 v5, v32, v4
	v_lshlrev_b32_e32 v7, 3, v7
	v_add_lshl_u32 v56, v7, v52, 2
	s_waitcnt lgkmcnt(0)
	v_cndmask_b32_e32 v5, 0, v5, vcc_lo
	v_cmp_gt_u32_e32 vcc_lo, 16, v52
	s_delay_alu instid0(VALU_DEP_2) | instskip(SKIP_4) | instid1(VALU_DEP_1)
	v_add_nc_u32_e32 v4, v4, v5
	v_cndmask_b32_e64 v7, 0, 1, vcc_lo
	v_cmp_le_u32_e32 vcc_lo, v57, v2
	ds_bpermute_b32 v5, v56, v4
	v_lshlrev_b32_e32 v7, 4, v7
	v_add_lshl_u32 v58, v7, v52, 2
	s_waitcnt lgkmcnt(0)
	v_cndmask_b32_e32 v5, 0, v5, vcc_lo
	v_cmp_le_u32_e32 vcc_lo, v59, v2
	s_delay_alu instid0(VALU_DEP_2) | instskip(SKIP_3) | instid1(VALU_DEP_1)
	v_add_nc_u32_e32 v4, v4, v5
	ds_bpermute_b32 v5, v58, v4
	s_waitcnt lgkmcnt(0)
	v_cndmask_b32_e32 v2, 0, v5, vcc_lo
	v_dual_mov_b32 v4, 0 :: v_dual_add_nc_u32 v5, v4, v2
	s_branch .LBB907_93
.LBB907_92:                             ;   in Loop: Header=BB907_93 Depth=1
	s_or_b32 exec_lo, exec_lo, s10
	ds_bpermute_b32 v8, v11, v5
	v_and_b32_e32 v7, 0xff, v6
	v_subrev_nc_u32_e32 v3, 32, v3
	s_delay_alu instid0(VALU_DEP_2) | instskip(SKIP_1) | instid1(VALU_DEP_1)
	v_cmp_eq_u16_e32 vcc_lo, 2, v7
	v_and_or_b32 v7, vcc_lo, v16, 0x80000000
	v_ctz_i32_b32_e32 v7, v7
	s_delay_alu instid0(VALU_DEP_1) | instskip(SKIP_3) | instid1(VALU_DEP_2)
	v_cmp_lt_u32_e32 vcc_lo, v52, v7
	s_waitcnt lgkmcnt(0)
	v_cndmask_b32_e32 v8, 0, v8, vcc_lo
	v_cmp_le_u32_e32 vcc_lo, v31, v7
	v_add_nc_u32_e32 v5, v8, v5
	ds_bpermute_b32 v8, v17, v5
	s_waitcnt lgkmcnt(0)
	v_cndmask_b32_e32 v8, 0, v8, vcc_lo
	v_cmp_le_u32_e32 vcc_lo, v55, v7
	s_delay_alu instid0(VALU_DEP_2) | instskip(SKIP_4) | instid1(VALU_DEP_2)
	v_add_nc_u32_e32 v5, v5, v8
	ds_bpermute_b32 v8, v32, v5
	s_waitcnt lgkmcnt(0)
	v_cndmask_b32_e32 v8, 0, v8, vcc_lo
	v_cmp_le_u32_e32 vcc_lo, v57, v7
	v_add_nc_u32_e32 v5, v5, v8
	ds_bpermute_b32 v8, v56, v5
	s_waitcnt lgkmcnt(0)
	v_cndmask_b32_e32 v8, 0, v8, vcc_lo
	v_cmp_le_u32_e32 vcc_lo, v59, v7
	s_delay_alu instid0(VALU_DEP_2) | instskip(SKIP_3) | instid1(VALU_DEP_1)
	v_add_nc_u32_e32 v5, v5, v8
	ds_bpermute_b32 v8, v58, v5
	s_waitcnt lgkmcnt(0)
	v_cndmask_b32_e32 v7, 0, v8, vcc_lo
	v_add3_u32 v5, v7, v2, v5
.LBB907_93:                             ; =>This Loop Header: Depth=1
                                        ;     Child Loop BB907_96 Depth 2
                                        ;       Child Loop BB907_97 Depth 3
	v_and_b32_e32 v2, 0xff, v6
	s_delay_alu instid0(VALU_DEP_1) | instskip(SKIP_2) | instid1(VALU_DEP_1)
	v_cmp_ne_u16_e32 vcc_lo, 2, v2
	v_cndmask_b32_e64 v2, 0, 1, vcc_lo
	;;#ASMSTART
	;;#ASMEND
	v_cmp_ne_u32_e32 vcc_lo, 0, v2
	v_mov_b32_e32 v2, v5
	s_cmp_lg_u32 vcc_lo, exec_lo
	s_cbranch_scc1 .LBB907_100
; %bb.94:                               ;   in Loop: Header=BB907_93 Depth=1
	v_lshlrev_b64 v[5:6], 3, v[3:4]
	s_mov_b32 s10, exec_lo
	s_delay_alu instid0(VALU_DEP_1) | instskip(NEXT) | instid1(VALU_DEP_2)
	v_add_co_u32 v7, vcc_lo, s8, v5
	v_add_co_ci_u32_e32 v8, vcc_lo, s9, v6, vcc_lo
	global_load_b64 v[5:6], v[7:8], off glc
	s_waitcnt vmcnt(0)
	v_and_b32_e32 v60, 0xff, v6
	s_delay_alu instid0(VALU_DEP_1)
	v_cmpx_eq_u16_e32 0, v60
	s_cbranch_execz .LBB907_92
; %bb.95:                               ;   in Loop: Header=BB907_93 Depth=1
	s_mov_b32 s18, 1
	s_mov_b32 s11, 0
	.p2align	6
.LBB907_96:                             ;   Parent Loop BB907_93 Depth=1
                                        ; =>  This Loop Header: Depth=2
                                        ;       Child Loop BB907_97 Depth 3
	s_max_u32 s19, s18, 1
.LBB907_97:                             ;   Parent Loop BB907_93 Depth=1
                                        ;     Parent Loop BB907_96 Depth=2
                                        ; =>    This Inner Loop Header: Depth=3
	s_delay_alu instid0(SALU_CYCLE_1)
	s_add_i32 s19, s19, -1
	s_sleep 1
	s_cmp_eq_u32 s19, 0
	s_cbranch_scc0 .LBB907_97
; %bb.98:                               ;   in Loop: Header=BB907_96 Depth=2
	global_load_b64 v[5:6], v[7:8], off glc
	s_cmp_lt_u32 s18, 32
	s_cselect_b32 s19, -1, 0
	s_delay_alu instid0(SALU_CYCLE_1) | instskip(SKIP_3) | instid1(VALU_DEP_1)
	s_cmp_lg_u32 s19, 0
	s_addc_u32 s18, s18, 0
	s_waitcnt vmcnt(0)
	v_and_b32_e32 v60, 0xff, v6
	v_cmp_ne_u16_e32 vcc_lo, 0, v60
	s_or_b32 s11, vcc_lo, s11
	s_delay_alu instid0(SALU_CYCLE_1)
	s_and_not1_b32 exec_lo, exec_lo, s11
	s_cbranch_execnz .LBB907_96
; %bb.99:                               ;   in Loop: Header=BB907_93 Depth=1
	s_or_b32 exec_lo, exec_lo, s11
	s_branch .LBB907_92
.LBB907_100:                            ;   in Loop: Header=BB907_93 Depth=1
                                        ; implicit-def: $vgpr5
                                        ; implicit-def: $vgpr6
	s_cbranch_execz .LBB907_93
; %bb.101:
	s_and_saveexec_b32 s10, s6
	s_cbranch_execz .LBB907_103
; %bb.102:
	s_add_i32 s18, s15, 32
	s_mov_b32 s19, 0
	v_dual_mov_b32 v4, 2 :: v_dual_add_nc_u32 v3, v2, v1
	s_lshl_b64 s[18:19], s[18:19], 3
	v_mov_b32_e32 v5, 0
	s_add_u32 s18, s8, s18
	s_addc_u32 s19, s9, s19
	global_store_b64 v5, v[3:4], s[18:19]
	ds_store_b64 v5, v[1:2] offset:5632
.LBB907_103:
	s_or_b32 exec_lo, exec_lo, s10
	v_cmp_eq_u32_e32 vcc_lo, 0, v0
	s_and_b32 exec_lo, exec_lo, vcc_lo
	s_cbranch_execz .LBB907_105
; %bb.104:
	v_mov_b32_e32 v1, 0
	ds_store_b32 v1, v2 offset:12
.LBB907_105:
	s_or_b32 exec_lo, exec_lo, s7
	s_waitcnt lgkmcnt(0)
	v_cndmask_b32_e64 v2, v10, v9, s6
	v_cmp_ne_u32_e32 vcc_lo, 0, v0
	v_mov_b32_e32 v11, 0
	s_waitcnt_vscnt null, 0x0
	s_barrier
	buffer_gl0_inv
	v_cndmask_b32_e32 v2, 0, v2, vcc_lo
	ds_load_b32 v1, v11 offset:12
	s_waitcnt lgkmcnt(0)
	s_barrier
	buffer_gl0_inv
	ds_load_b64 v[16:17], v11 offset:5632
	v_add_nc_u32_e32 v1, v1, v2
	s_delay_alu instid0(VALU_DEP_1) | instskip(NEXT) | instid1(VALU_DEP_1)
	v_add_nc_u32_e32 v2, v1, v43
	v_add_nc_u32_e32 v3, v2, v44
	s_delay_alu instid0(VALU_DEP_1) | instskip(NEXT) | instid1(VALU_DEP_1)
	v_add_nc_u32_e32 v4, v3, v45
	;; [unrolled: 3-line block ×5, first 2 shown]
	v_add_nc_u32_e32 v11, v10, v51
	v_lshrrev_b64 v[31:32], 24, v[29:30]
	s_branch .LBB907_116
.LBB907_106:
                                        ; implicit-def: $vgpr17
                                        ; implicit-def: $vgpr1_vgpr2_vgpr3_vgpr4_vgpr5_vgpr6_vgpr7_vgpr8_vgpr9_vgpr10_vgpr11
	v_lshrrev_b64 v[31:32], 24, v[29:30]
	s_and_b32 vcc_lo, exec_lo, s6
	s_cbranch_vccz .LBB907_116
; %bb.107:
	v_mov_b32_dpp v1, v54 row_shr:1 row_mask:0xf bank_mask:0xf
	s_delay_alu instid0(VALU_DEP_1) | instskip(NEXT) | instid1(VALU_DEP_1)
	v_cndmask_b32_e64 v1, v1, 0, s5
	v_add_nc_u32_e32 v1, v1, v54
	s_delay_alu instid0(VALU_DEP_1) | instskip(NEXT) | instid1(VALU_DEP_1)
	v_mov_b32_dpp v2, v1 row_shr:2 row_mask:0xf bank_mask:0xf
	v_cndmask_b32_e64 v2, 0, v2, s4
	s_delay_alu instid0(VALU_DEP_1) | instskip(NEXT) | instid1(VALU_DEP_1)
	v_add_nc_u32_e32 v1, v1, v2
	v_mov_b32_dpp v2, v1 row_shr:4 row_mask:0xf bank_mask:0xf
	s_delay_alu instid0(VALU_DEP_1) | instskip(NEXT) | instid1(VALU_DEP_1)
	v_cndmask_b32_e64 v2, 0, v2, s3
	v_add_nc_u32_e32 v1, v1, v2
	s_delay_alu instid0(VALU_DEP_1) | instskip(NEXT) | instid1(VALU_DEP_1)
	v_mov_b32_dpp v2, v1 row_shr:8 row_mask:0xf bank_mask:0xf
	v_cndmask_b32_e64 v2, 0, v2, s2
	s_delay_alu instid0(VALU_DEP_1) | instskip(SKIP_3) | instid1(VALU_DEP_1)
	v_add_nc_u32_e32 v1, v1, v2
	ds_swizzle_b32 v2, v1 offset:swizzle(BROADCAST,32,15)
	s_waitcnt lgkmcnt(0)
	v_cndmask_b32_e64 v2, v2, 0, s1
	v_add_nc_u32_e32 v1, v1, v2
	s_and_saveexec_b32 s1, s0
	s_cbranch_execz .LBB907_109
; %bb.108:
	v_lshlrev_b32_e32 v2, 2, v53
	ds_store_b32 v2, v1
.LBB907_109:
	s_or_b32 exec_lo, exec_lo, s1
	s_delay_alu instid0(SALU_CYCLE_1)
	s_mov_b32 s0, exec_lo
	s_waitcnt lgkmcnt(0)
	s_barrier
	buffer_gl0_inv
	v_cmpx_gt_u32_e32 4, v0
	s_cbranch_execz .LBB907_111
; %bb.110:
	v_mad_i32_i24 v2, 0xffffffd8, v0, v41
	ds_load_b32 v3, v2
	s_waitcnt lgkmcnt(0)
	v_mov_b32_dpp v5, v3 row_shr:1 row_mask:0xf bank_mask:0xf
	v_and_b32_e32 v4, 3, v52
	s_delay_alu instid0(VALU_DEP_1) | instskip(NEXT) | instid1(VALU_DEP_3)
	v_cmp_ne_u32_e32 vcc_lo, 0, v4
	v_cndmask_b32_e32 v5, 0, v5, vcc_lo
	v_cmp_lt_u32_e32 vcc_lo, 1, v4
	s_delay_alu instid0(VALU_DEP_2) | instskip(NEXT) | instid1(VALU_DEP_1)
	v_add_nc_u32_e32 v3, v5, v3
	v_mov_b32_dpp v5, v3 row_shr:2 row_mask:0xf bank_mask:0xf
	s_delay_alu instid0(VALU_DEP_1) | instskip(NEXT) | instid1(VALU_DEP_1)
	v_cndmask_b32_e32 v4, 0, v5, vcc_lo
	v_add_nc_u32_e32 v3, v3, v4
	ds_store_b32 v2, v3
.LBB907_111:
	s_or_b32 exec_lo, exec_lo, s0
	v_dual_mov_b32 v3, 0 :: v_dual_mov_b32 v2, 0
	s_mov_b32 s0, exec_lo
	s_waitcnt lgkmcnt(0)
	s_barrier
	buffer_gl0_inv
	v_cmpx_lt_u32_e32 31, v0
	s_cbranch_execz .LBB907_113
; %bb.112:
	v_lshl_add_u32 v2, v53, 2, -4
	ds_load_b32 v2, v2
.LBB907_113:
	s_or_b32 exec_lo, exec_lo, s0
	v_add_nc_u32_e32 v4, -1, v52
	ds_load_b32 v16, v3 offset:12
	s_waitcnt lgkmcnt(1)
	v_add_nc_u32_e32 v1, v2, v1
	v_cmp_gt_i32_e32 vcc_lo, 0, v4
	v_cndmask_b32_e32 v4, v4, v52, vcc_lo
	v_cmp_eq_u32_e32 vcc_lo, 0, v0
	s_delay_alu instid0(VALU_DEP_2)
	v_lshlrev_b32_e32 v4, 2, v4
	ds_bpermute_b32 v1, v4, v1
	s_and_saveexec_b32 s0, vcc_lo
	s_cbranch_execz .LBB907_115
; %bb.114:
	v_mov_b32_e32 v3, 0
	v_mov_b32_e32 v17, 2
	s_waitcnt lgkmcnt(1)
	global_store_b64 v3, v[16:17], s[8:9] offset:256
.LBB907_115:
	s_or_b32 exec_lo, exec_lo, s0
	v_cmp_eq_u32_e64 s0, 0, v52
	s_waitcnt lgkmcnt(0)
	s_waitcnt_vscnt null, 0x0
	s_barrier
	buffer_gl0_inv
	v_mov_b32_e32 v17, 0
	v_cndmask_b32_e64 v1, v1, v2, s0
	s_delay_alu instid0(VALU_DEP_1) | instskip(NEXT) | instid1(VALU_DEP_1)
	v_cndmask_b32_e64 v1, v1, 0, vcc_lo
	v_add_nc_u32_e32 v2, v1, v43
	s_delay_alu instid0(VALU_DEP_1) | instskip(NEXT) | instid1(VALU_DEP_1)
	v_add_nc_u32_e32 v3, v2, v44
	v_add_nc_u32_e32 v4, v3, v45
	s_delay_alu instid0(VALU_DEP_1) | instskip(NEXT) | instid1(VALU_DEP_1)
	v_add_nc_u32_e32 v5, v4, v47
	;; [unrolled: 3-line block ×4, first 2 shown]
	v_add_nc_u32_e32 v10, v9, v50
	s_delay_alu instid0(VALU_DEP_1)
	v_add_nc_u32_e32 v11, v10, v51
.LBB907_116:
	v_lshrrev_b32_e32 v45, 16, v29
	v_lshrrev_b32_e32 v46, 8, v29
	v_and_b32_e32 v29, 1, v29
	s_waitcnt lgkmcnt(0)
	v_cmp_gt_u32_e32 vcc_lo, 0x81, v16
	v_lshrrev_b32_e32 v32, 16, v18
	v_lshrrev_b32_e32 v44, 8, v30
	;; [unrolled: 1-line block ×4, first 2 shown]
	v_cmp_lt_u32_e64 s0, 0x80, v16
	v_cmp_eq_u32_e64 s1, 1, v29
	s_cbranch_vccnz .LBB907_140
; %bb.117:
	s_delay_alu instid0(VALU_DEP_1)
	s_and_saveexec_b32 s2, s1
	s_cbranch_execz .LBB907_119
; %bb.118:
	v_sub_nc_u32_e32 v47, v1, v17
	s_delay_alu instid0(VALU_DEP_1)
	v_lshlrev_b32_e32 v47, 1, v47
	ds_store_b16 v47, v12
.LBB907_119:
	s_or_b32 exec_lo, exec_lo, s2
	v_and_b32_e32 v12, 1, v46
	s_mov_b32 s1, exec_lo
	s_delay_alu instid0(VALU_DEP_1)
	v_cmpx_eq_u32_e32 1, v12
	s_cbranch_execz .LBB907_121
; %bb.120:
	v_sub_nc_u32_e32 v12, v2, v17
	s_delay_alu instid0(VALU_DEP_1)
	v_lshlrev_b32_e32 v12, 1, v12
	ds_store_b16 v12, v40
.LBB907_121:
	s_or_b32 exec_lo, exec_lo, s1
	v_and_b32_e32 v12, 1, v45
	s_mov_b32 s1, exec_lo
	s_delay_alu instid0(VALU_DEP_1)
	v_cmpx_eq_u32_e32 1, v12
	;; [unrolled: 12-line block ×10, first 2 shown]
	s_cbranch_execz .LBB907_139
; %bb.138:
	v_sub_nc_u32_e32 v12, v11, v17
	s_delay_alu instid0(VALU_DEP_1)
	v_lshlrev_b32_e32 v12, 1, v12
	ds_store_b16 v12, v33
.LBB907_139:
	s_or_b32 exec_lo, exec_lo, s1
	s_waitcnt lgkmcnt(0)
	s_barrier
	buffer_gl0_inv
.LBB907_140:
	s_delay_alu instid0(VALU_DEP_2)
	s_and_not1_b32 vcc_lo, exec_lo, s0
	s_barrier
	buffer_gl0_inv
	s_cbranch_vccz .LBB907_143
; %bb.141:
	v_cmp_eq_u32_e32 vcc_lo, 0, v0
	s_and_b32 s0, vcc_lo, s14
	s_delay_alu instid0(SALU_CYCLE_1)
	s_and_saveexec_b32 s1, s0
	s_cbranch_execnz .LBB907_166
.LBB907_142:
	s_endpgm
.LBB907_143:
	s_mov_b32 s0, exec_lo
	v_cmpx_eq_u32_e32 1, v29
	s_cbranch_execz .LBB907_145
; %bb.144:
	v_sub_nc_u32_e32 v1, v1, v17
	s_delay_alu instid0(VALU_DEP_1)
	v_lshlrev_b32_e32 v1, 2, v1
	ds_store_b32 v1, v27
.LBB907_145:
	s_or_b32 exec_lo, exec_lo, s0
	v_and_b32_e32 v1, 1, v46
	s_mov_b32 s0, exec_lo
	s_delay_alu instid0(VALU_DEP_1)
	v_cmpx_eq_u32_e32 1, v1
	s_cbranch_execz .LBB907_147
; %bb.146:
	v_sub_nc_u32_e32 v1, v2, v17
	s_delay_alu instid0(VALU_DEP_1)
	v_lshlrev_b32_e32 v1, 2, v1
	ds_store_b32 v1, v28
.LBB907_147:
	s_or_b32 exec_lo, exec_lo, s0
	v_and_b32_e32 v1, 1, v45
	s_mov_b32 s0, exec_lo
	s_delay_alu instid0(VALU_DEP_1)
	;; [unrolled: 12-line block ×10, first 2 shown]
	v_cmpx_eq_u32_e32 1, v1
	s_cbranch_execz .LBB907_165
; %bb.164:
	v_sub_nc_u32_e32 v1, v11, v17
	s_delay_alu instid0(VALU_DEP_1)
	v_lshlrev_b32_e32 v1, 2, v1
	ds_store_b32 v1, v36
.LBB907_165:
	s_or_b32 exec_lo, exec_lo, s0
	s_waitcnt lgkmcnt(0)
	s_barrier
	buffer_gl0_inv
	v_cmp_eq_u32_e32 vcc_lo, 0, v0
	s_and_b32 s0, vcc_lo, s14
	s_delay_alu instid0(SALU_CYCLE_1)
	s_and_saveexec_b32 s1, s0
	s_cbranch_execz .LBB907_142
.LBB907_166:
	v_add_co_u32 v0, s0, s12, v16
	s_delay_alu instid0(VALU_DEP_1) | instskip(SKIP_1) | instid1(VALU_DEP_3)
	v_add_co_ci_u32_e64 v1, null, s13, 0, s0
	v_mov_b32_e32 v2, 0
	v_add_co_u32 v0, vcc_lo, v0, v17
	s_delay_alu instid0(VALU_DEP_3)
	v_add_co_ci_u32_e32 v1, vcc_lo, 0, v1, vcc_lo
	global_store_b64 v2, v[0:1], s[16:17]
	s_nop 0
	s_sendmsg sendmsg(MSG_DEALLOC_VGPRS)
	s_endpgm
.LBB907_167:
	s_or_b32 exec_lo, exec_lo, s3
	s_and_saveexec_b32 s3, s21
	s_cbranch_execnz .LBB907_72
	s_branch .LBB907_73
	.section	.rodata,"a",@progbits
	.p2align	6, 0x0
	.amdhsa_kernel _ZN7rocprim17ROCPRIM_400000_NS6detail17trampoline_kernelINS0_14default_configENS1_25partition_config_selectorILNS1_17partition_subalgoE9EtjbEEZZNS1_14partition_implILS5_9ELb0ES3_jN6thrust23THRUST_200600_302600_NS6detail15normal_iteratorINS9_10device_ptrItEEEENSB_INSC_IjEEEEPNS0_10empty_typeENS0_5tupleIJNS9_16discard_iteratorINS9_11use_defaultEEESH_EEENSJ_IJSM_SI_EEENS0_18inequality_wrapperINS9_8equal_toItEEEEPmJSH_EEE10hipError_tPvRmT3_T4_T5_T6_T7_T9_mT8_P12ihipStream_tbDpT10_ENKUlT_T0_E_clISt17integral_constantIbLb1EES1C_IbLb0EEEEDaS18_S19_EUlS18_E_NS1_11comp_targetILNS1_3genE9ELNS1_11target_archE1100ELNS1_3gpuE3ELNS1_3repE0EEENS1_30default_config_static_selectorELNS0_4arch9wavefront6targetE0EEEvT1_
		.amdhsa_group_segment_fixed_size 5640
		.amdhsa_private_segment_fixed_size 0
		.amdhsa_kernarg_size 128
		.amdhsa_user_sgpr_count 15
		.amdhsa_user_sgpr_dispatch_ptr 0
		.amdhsa_user_sgpr_queue_ptr 0
		.amdhsa_user_sgpr_kernarg_segment_ptr 1
		.amdhsa_user_sgpr_dispatch_id 0
		.amdhsa_user_sgpr_private_segment_size 0
		.amdhsa_wavefront_size32 1
		.amdhsa_uses_dynamic_stack 0
		.amdhsa_enable_private_segment 0
		.amdhsa_system_sgpr_workgroup_id_x 1
		.amdhsa_system_sgpr_workgroup_id_y 0
		.amdhsa_system_sgpr_workgroup_id_z 0
		.amdhsa_system_sgpr_workgroup_info 0
		.amdhsa_system_vgpr_workitem_id 0
		.amdhsa_next_free_vgpr 61
		.amdhsa_next_free_sgpr 23
		.amdhsa_reserve_vcc 1
		.amdhsa_float_round_mode_32 0
		.amdhsa_float_round_mode_16_64 0
		.amdhsa_float_denorm_mode_32 3
		.amdhsa_float_denorm_mode_16_64 3
		.amdhsa_dx10_clamp 1
		.amdhsa_ieee_mode 1
		.amdhsa_fp16_overflow 0
		.amdhsa_workgroup_processor_mode 1
		.amdhsa_memory_ordered 1
		.amdhsa_forward_progress 0
		.amdhsa_shared_vgpr_count 0
		.amdhsa_exception_fp_ieee_invalid_op 0
		.amdhsa_exception_fp_denorm_src 0
		.amdhsa_exception_fp_ieee_div_zero 0
		.amdhsa_exception_fp_ieee_overflow 0
		.amdhsa_exception_fp_ieee_underflow 0
		.amdhsa_exception_fp_ieee_inexact 0
		.amdhsa_exception_int_div_zero 0
	.end_amdhsa_kernel
	.section	.text._ZN7rocprim17ROCPRIM_400000_NS6detail17trampoline_kernelINS0_14default_configENS1_25partition_config_selectorILNS1_17partition_subalgoE9EtjbEEZZNS1_14partition_implILS5_9ELb0ES3_jN6thrust23THRUST_200600_302600_NS6detail15normal_iteratorINS9_10device_ptrItEEEENSB_INSC_IjEEEEPNS0_10empty_typeENS0_5tupleIJNS9_16discard_iteratorINS9_11use_defaultEEESH_EEENSJ_IJSM_SI_EEENS0_18inequality_wrapperINS9_8equal_toItEEEEPmJSH_EEE10hipError_tPvRmT3_T4_T5_T6_T7_T9_mT8_P12ihipStream_tbDpT10_ENKUlT_T0_E_clISt17integral_constantIbLb1EES1C_IbLb0EEEEDaS18_S19_EUlS18_E_NS1_11comp_targetILNS1_3genE9ELNS1_11target_archE1100ELNS1_3gpuE3ELNS1_3repE0EEENS1_30default_config_static_selectorELNS0_4arch9wavefront6targetE0EEEvT1_,"axG",@progbits,_ZN7rocprim17ROCPRIM_400000_NS6detail17trampoline_kernelINS0_14default_configENS1_25partition_config_selectorILNS1_17partition_subalgoE9EtjbEEZZNS1_14partition_implILS5_9ELb0ES3_jN6thrust23THRUST_200600_302600_NS6detail15normal_iteratorINS9_10device_ptrItEEEENSB_INSC_IjEEEEPNS0_10empty_typeENS0_5tupleIJNS9_16discard_iteratorINS9_11use_defaultEEESH_EEENSJ_IJSM_SI_EEENS0_18inequality_wrapperINS9_8equal_toItEEEEPmJSH_EEE10hipError_tPvRmT3_T4_T5_T6_T7_T9_mT8_P12ihipStream_tbDpT10_ENKUlT_T0_E_clISt17integral_constantIbLb1EES1C_IbLb0EEEEDaS18_S19_EUlS18_E_NS1_11comp_targetILNS1_3genE9ELNS1_11target_archE1100ELNS1_3gpuE3ELNS1_3repE0EEENS1_30default_config_static_selectorELNS0_4arch9wavefront6targetE0EEEvT1_,comdat
.Lfunc_end907:
	.size	_ZN7rocprim17ROCPRIM_400000_NS6detail17trampoline_kernelINS0_14default_configENS1_25partition_config_selectorILNS1_17partition_subalgoE9EtjbEEZZNS1_14partition_implILS5_9ELb0ES3_jN6thrust23THRUST_200600_302600_NS6detail15normal_iteratorINS9_10device_ptrItEEEENSB_INSC_IjEEEEPNS0_10empty_typeENS0_5tupleIJNS9_16discard_iteratorINS9_11use_defaultEEESH_EEENSJ_IJSM_SI_EEENS0_18inequality_wrapperINS9_8equal_toItEEEEPmJSH_EEE10hipError_tPvRmT3_T4_T5_T6_T7_T9_mT8_P12ihipStream_tbDpT10_ENKUlT_T0_E_clISt17integral_constantIbLb1EES1C_IbLb0EEEEDaS18_S19_EUlS18_E_NS1_11comp_targetILNS1_3genE9ELNS1_11target_archE1100ELNS1_3gpuE3ELNS1_3repE0EEENS1_30default_config_static_selectorELNS0_4arch9wavefront6targetE0EEEvT1_, .Lfunc_end907-_ZN7rocprim17ROCPRIM_400000_NS6detail17trampoline_kernelINS0_14default_configENS1_25partition_config_selectorILNS1_17partition_subalgoE9EtjbEEZZNS1_14partition_implILS5_9ELb0ES3_jN6thrust23THRUST_200600_302600_NS6detail15normal_iteratorINS9_10device_ptrItEEEENSB_INSC_IjEEEEPNS0_10empty_typeENS0_5tupleIJNS9_16discard_iteratorINS9_11use_defaultEEESH_EEENSJ_IJSM_SI_EEENS0_18inequality_wrapperINS9_8equal_toItEEEEPmJSH_EEE10hipError_tPvRmT3_T4_T5_T6_T7_T9_mT8_P12ihipStream_tbDpT10_ENKUlT_T0_E_clISt17integral_constantIbLb1EES1C_IbLb0EEEEDaS18_S19_EUlS18_E_NS1_11comp_targetILNS1_3genE9ELNS1_11target_archE1100ELNS1_3gpuE3ELNS1_3repE0EEENS1_30default_config_static_selectorELNS0_4arch9wavefront6targetE0EEEvT1_
                                        ; -- End function
	.section	.AMDGPU.csdata,"",@progbits
; Kernel info:
; codeLenInByte = 8136
; NumSgprs: 25
; NumVgprs: 61
; ScratchSize: 0
; MemoryBound: 0
; FloatMode: 240
; IeeeMode: 1
; LDSByteSize: 5640 bytes/workgroup (compile time only)
; SGPRBlocks: 3
; VGPRBlocks: 7
; NumSGPRsForWavesPerEU: 25
; NumVGPRsForWavesPerEU: 61
; Occupancy: 16
; WaveLimiterHint : 1
; COMPUTE_PGM_RSRC2:SCRATCH_EN: 0
; COMPUTE_PGM_RSRC2:USER_SGPR: 15
; COMPUTE_PGM_RSRC2:TRAP_HANDLER: 0
; COMPUTE_PGM_RSRC2:TGID_X_EN: 1
; COMPUTE_PGM_RSRC2:TGID_Y_EN: 0
; COMPUTE_PGM_RSRC2:TGID_Z_EN: 0
; COMPUTE_PGM_RSRC2:TIDIG_COMP_CNT: 0
	.section	.text._ZN7rocprim17ROCPRIM_400000_NS6detail17trampoline_kernelINS0_14default_configENS1_25partition_config_selectorILNS1_17partition_subalgoE9EtjbEEZZNS1_14partition_implILS5_9ELb0ES3_jN6thrust23THRUST_200600_302600_NS6detail15normal_iteratorINS9_10device_ptrItEEEENSB_INSC_IjEEEEPNS0_10empty_typeENS0_5tupleIJNS9_16discard_iteratorINS9_11use_defaultEEESH_EEENSJ_IJSM_SI_EEENS0_18inequality_wrapperINS9_8equal_toItEEEEPmJSH_EEE10hipError_tPvRmT3_T4_T5_T6_T7_T9_mT8_P12ihipStream_tbDpT10_ENKUlT_T0_E_clISt17integral_constantIbLb1EES1C_IbLb0EEEEDaS18_S19_EUlS18_E_NS1_11comp_targetILNS1_3genE8ELNS1_11target_archE1030ELNS1_3gpuE2ELNS1_3repE0EEENS1_30default_config_static_selectorELNS0_4arch9wavefront6targetE0EEEvT1_,"axG",@progbits,_ZN7rocprim17ROCPRIM_400000_NS6detail17trampoline_kernelINS0_14default_configENS1_25partition_config_selectorILNS1_17partition_subalgoE9EtjbEEZZNS1_14partition_implILS5_9ELb0ES3_jN6thrust23THRUST_200600_302600_NS6detail15normal_iteratorINS9_10device_ptrItEEEENSB_INSC_IjEEEEPNS0_10empty_typeENS0_5tupleIJNS9_16discard_iteratorINS9_11use_defaultEEESH_EEENSJ_IJSM_SI_EEENS0_18inequality_wrapperINS9_8equal_toItEEEEPmJSH_EEE10hipError_tPvRmT3_T4_T5_T6_T7_T9_mT8_P12ihipStream_tbDpT10_ENKUlT_T0_E_clISt17integral_constantIbLb1EES1C_IbLb0EEEEDaS18_S19_EUlS18_E_NS1_11comp_targetILNS1_3genE8ELNS1_11target_archE1030ELNS1_3gpuE2ELNS1_3repE0EEENS1_30default_config_static_selectorELNS0_4arch9wavefront6targetE0EEEvT1_,comdat
	.protected	_ZN7rocprim17ROCPRIM_400000_NS6detail17trampoline_kernelINS0_14default_configENS1_25partition_config_selectorILNS1_17partition_subalgoE9EtjbEEZZNS1_14partition_implILS5_9ELb0ES3_jN6thrust23THRUST_200600_302600_NS6detail15normal_iteratorINS9_10device_ptrItEEEENSB_INSC_IjEEEEPNS0_10empty_typeENS0_5tupleIJNS9_16discard_iteratorINS9_11use_defaultEEESH_EEENSJ_IJSM_SI_EEENS0_18inequality_wrapperINS9_8equal_toItEEEEPmJSH_EEE10hipError_tPvRmT3_T4_T5_T6_T7_T9_mT8_P12ihipStream_tbDpT10_ENKUlT_T0_E_clISt17integral_constantIbLb1EES1C_IbLb0EEEEDaS18_S19_EUlS18_E_NS1_11comp_targetILNS1_3genE8ELNS1_11target_archE1030ELNS1_3gpuE2ELNS1_3repE0EEENS1_30default_config_static_selectorELNS0_4arch9wavefront6targetE0EEEvT1_ ; -- Begin function _ZN7rocprim17ROCPRIM_400000_NS6detail17trampoline_kernelINS0_14default_configENS1_25partition_config_selectorILNS1_17partition_subalgoE9EtjbEEZZNS1_14partition_implILS5_9ELb0ES3_jN6thrust23THRUST_200600_302600_NS6detail15normal_iteratorINS9_10device_ptrItEEEENSB_INSC_IjEEEEPNS0_10empty_typeENS0_5tupleIJNS9_16discard_iteratorINS9_11use_defaultEEESH_EEENSJ_IJSM_SI_EEENS0_18inequality_wrapperINS9_8equal_toItEEEEPmJSH_EEE10hipError_tPvRmT3_T4_T5_T6_T7_T9_mT8_P12ihipStream_tbDpT10_ENKUlT_T0_E_clISt17integral_constantIbLb1EES1C_IbLb0EEEEDaS18_S19_EUlS18_E_NS1_11comp_targetILNS1_3genE8ELNS1_11target_archE1030ELNS1_3gpuE2ELNS1_3repE0EEENS1_30default_config_static_selectorELNS0_4arch9wavefront6targetE0EEEvT1_
	.globl	_ZN7rocprim17ROCPRIM_400000_NS6detail17trampoline_kernelINS0_14default_configENS1_25partition_config_selectorILNS1_17partition_subalgoE9EtjbEEZZNS1_14partition_implILS5_9ELb0ES3_jN6thrust23THRUST_200600_302600_NS6detail15normal_iteratorINS9_10device_ptrItEEEENSB_INSC_IjEEEEPNS0_10empty_typeENS0_5tupleIJNS9_16discard_iteratorINS9_11use_defaultEEESH_EEENSJ_IJSM_SI_EEENS0_18inequality_wrapperINS9_8equal_toItEEEEPmJSH_EEE10hipError_tPvRmT3_T4_T5_T6_T7_T9_mT8_P12ihipStream_tbDpT10_ENKUlT_T0_E_clISt17integral_constantIbLb1EES1C_IbLb0EEEEDaS18_S19_EUlS18_E_NS1_11comp_targetILNS1_3genE8ELNS1_11target_archE1030ELNS1_3gpuE2ELNS1_3repE0EEENS1_30default_config_static_selectorELNS0_4arch9wavefront6targetE0EEEvT1_
	.p2align	8
	.type	_ZN7rocprim17ROCPRIM_400000_NS6detail17trampoline_kernelINS0_14default_configENS1_25partition_config_selectorILNS1_17partition_subalgoE9EtjbEEZZNS1_14partition_implILS5_9ELb0ES3_jN6thrust23THRUST_200600_302600_NS6detail15normal_iteratorINS9_10device_ptrItEEEENSB_INSC_IjEEEEPNS0_10empty_typeENS0_5tupleIJNS9_16discard_iteratorINS9_11use_defaultEEESH_EEENSJ_IJSM_SI_EEENS0_18inequality_wrapperINS9_8equal_toItEEEEPmJSH_EEE10hipError_tPvRmT3_T4_T5_T6_T7_T9_mT8_P12ihipStream_tbDpT10_ENKUlT_T0_E_clISt17integral_constantIbLb1EES1C_IbLb0EEEEDaS18_S19_EUlS18_E_NS1_11comp_targetILNS1_3genE8ELNS1_11target_archE1030ELNS1_3gpuE2ELNS1_3repE0EEENS1_30default_config_static_selectorELNS0_4arch9wavefront6targetE0EEEvT1_,@function
_ZN7rocprim17ROCPRIM_400000_NS6detail17trampoline_kernelINS0_14default_configENS1_25partition_config_selectorILNS1_17partition_subalgoE9EtjbEEZZNS1_14partition_implILS5_9ELb0ES3_jN6thrust23THRUST_200600_302600_NS6detail15normal_iteratorINS9_10device_ptrItEEEENSB_INSC_IjEEEEPNS0_10empty_typeENS0_5tupleIJNS9_16discard_iteratorINS9_11use_defaultEEESH_EEENSJ_IJSM_SI_EEENS0_18inequality_wrapperINS9_8equal_toItEEEEPmJSH_EEE10hipError_tPvRmT3_T4_T5_T6_T7_T9_mT8_P12ihipStream_tbDpT10_ENKUlT_T0_E_clISt17integral_constantIbLb1EES1C_IbLb0EEEEDaS18_S19_EUlS18_E_NS1_11comp_targetILNS1_3genE8ELNS1_11target_archE1030ELNS1_3gpuE2ELNS1_3repE0EEENS1_30default_config_static_selectorELNS0_4arch9wavefront6targetE0EEEvT1_: ; @_ZN7rocprim17ROCPRIM_400000_NS6detail17trampoline_kernelINS0_14default_configENS1_25partition_config_selectorILNS1_17partition_subalgoE9EtjbEEZZNS1_14partition_implILS5_9ELb0ES3_jN6thrust23THRUST_200600_302600_NS6detail15normal_iteratorINS9_10device_ptrItEEEENSB_INSC_IjEEEEPNS0_10empty_typeENS0_5tupleIJNS9_16discard_iteratorINS9_11use_defaultEEESH_EEENSJ_IJSM_SI_EEENS0_18inequality_wrapperINS9_8equal_toItEEEEPmJSH_EEE10hipError_tPvRmT3_T4_T5_T6_T7_T9_mT8_P12ihipStream_tbDpT10_ENKUlT_T0_E_clISt17integral_constantIbLb1EES1C_IbLb0EEEEDaS18_S19_EUlS18_E_NS1_11comp_targetILNS1_3genE8ELNS1_11target_archE1030ELNS1_3gpuE2ELNS1_3repE0EEENS1_30default_config_static_selectorELNS0_4arch9wavefront6targetE0EEEvT1_
; %bb.0:
	.section	.rodata,"a",@progbits
	.p2align	6, 0x0
	.amdhsa_kernel _ZN7rocprim17ROCPRIM_400000_NS6detail17trampoline_kernelINS0_14default_configENS1_25partition_config_selectorILNS1_17partition_subalgoE9EtjbEEZZNS1_14partition_implILS5_9ELb0ES3_jN6thrust23THRUST_200600_302600_NS6detail15normal_iteratorINS9_10device_ptrItEEEENSB_INSC_IjEEEEPNS0_10empty_typeENS0_5tupleIJNS9_16discard_iteratorINS9_11use_defaultEEESH_EEENSJ_IJSM_SI_EEENS0_18inequality_wrapperINS9_8equal_toItEEEEPmJSH_EEE10hipError_tPvRmT3_T4_T5_T6_T7_T9_mT8_P12ihipStream_tbDpT10_ENKUlT_T0_E_clISt17integral_constantIbLb1EES1C_IbLb0EEEEDaS18_S19_EUlS18_E_NS1_11comp_targetILNS1_3genE8ELNS1_11target_archE1030ELNS1_3gpuE2ELNS1_3repE0EEENS1_30default_config_static_selectorELNS0_4arch9wavefront6targetE0EEEvT1_
		.amdhsa_group_segment_fixed_size 0
		.amdhsa_private_segment_fixed_size 0
		.amdhsa_kernarg_size 128
		.amdhsa_user_sgpr_count 15
		.amdhsa_user_sgpr_dispatch_ptr 0
		.amdhsa_user_sgpr_queue_ptr 0
		.amdhsa_user_sgpr_kernarg_segment_ptr 1
		.amdhsa_user_sgpr_dispatch_id 0
		.amdhsa_user_sgpr_private_segment_size 0
		.amdhsa_wavefront_size32 1
		.amdhsa_uses_dynamic_stack 0
		.amdhsa_enable_private_segment 0
		.amdhsa_system_sgpr_workgroup_id_x 1
		.amdhsa_system_sgpr_workgroup_id_y 0
		.amdhsa_system_sgpr_workgroup_id_z 0
		.amdhsa_system_sgpr_workgroup_info 0
		.amdhsa_system_vgpr_workitem_id 0
		.amdhsa_next_free_vgpr 1
		.amdhsa_next_free_sgpr 1
		.amdhsa_reserve_vcc 0
		.amdhsa_float_round_mode_32 0
		.amdhsa_float_round_mode_16_64 0
		.amdhsa_float_denorm_mode_32 3
		.amdhsa_float_denorm_mode_16_64 3
		.amdhsa_dx10_clamp 1
		.amdhsa_ieee_mode 1
		.amdhsa_fp16_overflow 0
		.amdhsa_workgroup_processor_mode 1
		.amdhsa_memory_ordered 1
		.amdhsa_forward_progress 0
		.amdhsa_shared_vgpr_count 0
		.amdhsa_exception_fp_ieee_invalid_op 0
		.amdhsa_exception_fp_denorm_src 0
		.amdhsa_exception_fp_ieee_div_zero 0
		.amdhsa_exception_fp_ieee_overflow 0
		.amdhsa_exception_fp_ieee_underflow 0
		.amdhsa_exception_fp_ieee_inexact 0
		.amdhsa_exception_int_div_zero 0
	.end_amdhsa_kernel
	.section	.text._ZN7rocprim17ROCPRIM_400000_NS6detail17trampoline_kernelINS0_14default_configENS1_25partition_config_selectorILNS1_17partition_subalgoE9EtjbEEZZNS1_14partition_implILS5_9ELb0ES3_jN6thrust23THRUST_200600_302600_NS6detail15normal_iteratorINS9_10device_ptrItEEEENSB_INSC_IjEEEEPNS0_10empty_typeENS0_5tupleIJNS9_16discard_iteratorINS9_11use_defaultEEESH_EEENSJ_IJSM_SI_EEENS0_18inequality_wrapperINS9_8equal_toItEEEEPmJSH_EEE10hipError_tPvRmT3_T4_T5_T6_T7_T9_mT8_P12ihipStream_tbDpT10_ENKUlT_T0_E_clISt17integral_constantIbLb1EES1C_IbLb0EEEEDaS18_S19_EUlS18_E_NS1_11comp_targetILNS1_3genE8ELNS1_11target_archE1030ELNS1_3gpuE2ELNS1_3repE0EEENS1_30default_config_static_selectorELNS0_4arch9wavefront6targetE0EEEvT1_,"axG",@progbits,_ZN7rocprim17ROCPRIM_400000_NS6detail17trampoline_kernelINS0_14default_configENS1_25partition_config_selectorILNS1_17partition_subalgoE9EtjbEEZZNS1_14partition_implILS5_9ELb0ES3_jN6thrust23THRUST_200600_302600_NS6detail15normal_iteratorINS9_10device_ptrItEEEENSB_INSC_IjEEEEPNS0_10empty_typeENS0_5tupleIJNS9_16discard_iteratorINS9_11use_defaultEEESH_EEENSJ_IJSM_SI_EEENS0_18inequality_wrapperINS9_8equal_toItEEEEPmJSH_EEE10hipError_tPvRmT3_T4_T5_T6_T7_T9_mT8_P12ihipStream_tbDpT10_ENKUlT_T0_E_clISt17integral_constantIbLb1EES1C_IbLb0EEEEDaS18_S19_EUlS18_E_NS1_11comp_targetILNS1_3genE8ELNS1_11target_archE1030ELNS1_3gpuE2ELNS1_3repE0EEENS1_30default_config_static_selectorELNS0_4arch9wavefront6targetE0EEEvT1_,comdat
.Lfunc_end908:
	.size	_ZN7rocprim17ROCPRIM_400000_NS6detail17trampoline_kernelINS0_14default_configENS1_25partition_config_selectorILNS1_17partition_subalgoE9EtjbEEZZNS1_14partition_implILS5_9ELb0ES3_jN6thrust23THRUST_200600_302600_NS6detail15normal_iteratorINS9_10device_ptrItEEEENSB_INSC_IjEEEEPNS0_10empty_typeENS0_5tupleIJNS9_16discard_iteratorINS9_11use_defaultEEESH_EEENSJ_IJSM_SI_EEENS0_18inequality_wrapperINS9_8equal_toItEEEEPmJSH_EEE10hipError_tPvRmT3_T4_T5_T6_T7_T9_mT8_P12ihipStream_tbDpT10_ENKUlT_T0_E_clISt17integral_constantIbLb1EES1C_IbLb0EEEEDaS18_S19_EUlS18_E_NS1_11comp_targetILNS1_3genE8ELNS1_11target_archE1030ELNS1_3gpuE2ELNS1_3repE0EEENS1_30default_config_static_selectorELNS0_4arch9wavefront6targetE0EEEvT1_, .Lfunc_end908-_ZN7rocprim17ROCPRIM_400000_NS6detail17trampoline_kernelINS0_14default_configENS1_25partition_config_selectorILNS1_17partition_subalgoE9EtjbEEZZNS1_14partition_implILS5_9ELb0ES3_jN6thrust23THRUST_200600_302600_NS6detail15normal_iteratorINS9_10device_ptrItEEEENSB_INSC_IjEEEEPNS0_10empty_typeENS0_5tupleIJNS9_16discard_iteratorINS9_11use_defaultEEESH_EEENSJ_IJSM_SI_EEENS0_18inequality_wrapperINS9_8equal_toItEEEEPmJSH_EEE10hipError_tPvRmT3_T4_T5_T6_T7_T9_mT8_P12ihipStream_tbDpT10_ENKUlT_T0_E_clISt17integral_constantIbLb1EES1C_IbLb0EEEEDaS18_S19_EUlS18_E_NS1_11comp_targetILNS1_3genE8ELNS1_11target_archE1030ELNS1_3gpuE2ELNS1_3repE0EEENS1_30default_config_static_selectorELNS0_4arch9wavefront6targetE0EEEvT1_
                                        ; -- End function
	.section	.AMDGPU.csdata,"",@progbits
; Kernel info:
; codeLenInByte = 0
; NumSgprs: 0
; NumVgprs: 0
; ScratchSize: 0
; MemoryBound: 0
; FloatMode: 240
; IeeeMode: 1
; LDSByteSize: 0 bytes/workgroup (compile time only)
; SGPRBlocks: 0
; VGPRBlocks: 0
; NumSGPRsForWavesPerEU: 1
; NumVGPRsForWavesPerEU: 1
; Occupancy: 16
; WaveLimiterHint : 0
; COMPUTE_PGM_RSRC2:SCRATCH_EN: 0
; COMPUTE_PGM_RSRC2:USER_SGPR: 15
; COMPUTE_PGM_RSRC2:TRAP_HANDLER: 0
; COMPUTE_PGM_RSRC2:TGID_X_EN: 1
; COMPUTE_PGM_RSRC2:TGID_Y_EN: 0
; COMPUTE_PGM_RSRC2:TGID_Z_EN: 0
; COMPUTE_PGM_RSRC2:TIDIG_COMP_CNT: 0
	.section	.text._ZN7rocprim17ROCPRIM_400000_NS6detail17trampoline_kernelINS0_14default_configENS1_25partition_config_selectorILNS1_17partition_subalgoE9EtjbEEZZNS1_14partition_implILS5_9ELb0ES3_jN6thrust23THRUST_200600_302600_NS6detail15normal_iteratorINS9_10device_ptrItEEEENSB_INSC_IjEEEEPNS0_10empty_typeENS0_5tupleIJNS9_16discard_iteratorINS9_11use_defaultEEESH_EEENSJ_IJSM_SI_EEENS0_18inequality_wrapperINS9_8equal_toItEEEEPmJSH_EEE10hipError_tPvRmT3_T4_T5_T6_T7_T9_mT8_P12ihipStream_tbDpT10_ENKUlT_T0_E_clISt17integral_constantIbLb0EES1C_IbLb1EEEEDaS18_S19_EUlS18_E_NS1_11comp_targetILNS1_3genE0ELNS1_11target_archE4294967295ELNS1_3gpuE0ELNS1_3repE0EEENS1_30default_config_static_selectorELNS0_4arch9wavefront6targetE0EEEvT1_,"axG",@progbits,_ZN7rocprim17ROCPRIM_400000_NS6detail17trampoline_kernelINS0_14default_configENS1_25partition_config_selectorILNS1_17partition_subalgoE9EtjbEEZZNS1_14partition_implILS5_9ELb0ES3_jN6thrust23THRUST_200600_302600_NS6detail15normal_iteratorINS9_10device_ptrItEEEENSB_INSC_IjEEEEPNS0_10empty_typeENS0_5tupleIJNS9_16discard_iteratorINS9_11use_defaultEEESH_EEENSJ_IJSM_SI_EEENS0_18inequality_wrapperINS9_8equal_toItEEEEPmJSH_EEE10hipError_tPvRmT3_T4_T5_T6_T7_T9_mT8_P12ihipStream_tbDpT10_ENKUlT_T0_E_clISt17integral_constantIbLb0EES1C_IbLb1EEEEDaS18_S19_EUlS18_E_NS1_11comp_targetILNS1_3genE0ELNS1_11target_archE4294967295ELNS1_3gpuE0ELNS1_3repE0EEENS1_30default_config_static_selectorELNS0_4arch9wavefront6targetE0EEEvT1_,comdat
	.protected	_ZN7rocprim17ROCPRIM_400000_NS6detail17trampoline_kernelINS0_14default_configENS1_25partition_config_selectorILNS1_17partition_subalgoE9EtjbEEZZNS1_14partition_implILS5_9ELb0ES3_jN6thrust23THRUST_200600_302600_NS6detail15normal_iteratorINS9_10device_ptrItEEEENSB_INSC_IjEEEEPNS0_10empty_typeENS0_5tupleIJNS9_16discard_iteratorINS9_11use_defaultEEESH_EEENSJ_IJSM_SI_EEENS0_18inequality_wrapperINS9_8equal_toItEEEEPmJSH_EEE10hipError_tPvRmT3_T4_T5_T6_T7_T9_mT8_P12ihipStream_tbDpT10_ENKUlT_T0_E_clISt17integral_constantIbLb0EES1C_IbLb1EEEEDaS18_S19_EUlS18_E_NS1_11comp_targetILNS1_3genE0ELNS1_11target_archE4294967295ELNS1_3gpuE0ELNS1_3repE0EEENS1_30default_config_static_selectorELNS0_4arch9wavefront6targetE0EEEvT1_ ; -- Begin function _ZN7rocprim17ROCPRIM_400000_NS6detail17trampoline_kernelINS0_14default_configENS1_25partition_config_selectorILNS1_17partition_subalgoE9EtjbEEZZNS1_14partition_implILS5_9ELb0ES3_jN6thrust23THRUST_200600_302600_NS6detail15normal_iteratorINS9_10device_ptrItEEEENSB_INSC_IjEEEEPNS0_10empty_typeENS0_5tupleIJNS9_16discard_iteratorINS9_11use_defaultEEESH_EEENSJ_IJSM_SI_EEENS0_18inequality_wrapperINS9_8equal_toItEEEEPmJSH_EEE10hipError_tPvRmT3_T4_T5_T6_T7_T9_mT8_P12ihipStream_tbDpT10_ENKUlT_T0_E_clISt17integral_constantIbLb0EES1C_IbLb1EEEEDaS18_S19_EUlS18_E_NS1_11comp_targetILNS1_3genE0ELNS1_11target_archE4294967295ELNS1_3gpuE0ELNS1_3repE0EEENS1_30default_config_static_selectorELNS0_4arch9wavefront6targetE0EEEvT1_
	.globl	_ZN7rocprim17ROCPRIM_400000_NS6detail17trampoline_kernelINS0_14default_configENS1_25partition_config_selectorILNS1_17partition_subalgoE9EtjbEEZZNS1_14partition_implILS5_9ELb0ES3_jN6thrust23THRUST_200600_302600_NS6detail15normal_iteratorINS9_10device_ptrItEEEENSB_INSC_IjEEEEPNS0_10empty_typeENS0_5tupleIJNS9_16discard_iteratorINS9_11use_defaultEEESH_EEENSJ_IJSM_SI_EEENS0_18inequality_wrapperINS9_8equal_toItEEEEPmJSH_EEE10hipError_tPvRmT3_T4_T5_T6_T7_T9_mT8_P12ihipStream_tbDpT10_ENKUlT_T0_E_clISt17integral_constantIbLb0EES1C_IbLb1EEEEDaS18_S19_EUlS18_E_NS1_11comp_targetILNS1_3genE0ELNS1_11target_archE4294967295ELNS1_3gpuE0ELNS1_3repE0EEENS1_30default_config_static_selectorELNS0_4arch9wavefront6targetE0EEEvT1_
	.p2align	8
	.type	_ZN7rocprim17ROCPRIM_400000_NS6detail17trampoline_kernelINS0_14default_configENS1_25partition_config_selectorILNS1_17partition_subalgoE9EtjbEEZZNS1_14partition_implILS5_9ELb0ES3_jN6thrust23THRUST_200600_302600_NS6detail15normal_iteratorINS9_10device_ptrItEEEENSB_INSC_IjEEEEPNS0_10empty_typeENS0_5tupleIJNS9_16discard_iteratorINS9_11use_defaultEEESH_EEENSJ_IJSM_SI_EEENS0_18inequality_wrapperINS9_8equal_toItEEEEPmJSH_EEE10hipError_tPvRmT3_T4_T5_T6_T7_T9_mT8_P12ihipStream_tbDpT10_ENKUlT_T0_E_clISt17integral_constantIbLb0EES1C_IbLb1EEEEDaS18_S19_EUlS18_E_NS1_11comp_targetILNS1_3genE0ELNS1_11target_archE4294967295ELNS1_3gpuE0ELNS1_3repE0EEENS1_30default_config_static_selectorELNS0_4arch9wavefront6targetE0EEEvT1_,@function
_ZN7rocprim17ROCPRIM_400000_NS6detail17trampoline_kernelINS0_14default_configENS1_25partition_config_selectorILNS1_17partition_subalgoE9EtjbEEZZNS1_14partition_implILS5_9ELb0ES3_jN6thrust23THRUST_200600_302600_NS6detail15normal_iteratorINS9_10device_ptrItEEEENSB_INSC_IjEEEEPNS0_10empty_typeENS0_5tupleIJNS9_16discard_iteratorINS9_11use_defaultEEESH_EEENSJ_IJSM_SI_EEENS0_18inequality_wrapperINS9_8equal_toItEEEEPmJSH_EEE10hipError_tPvRmT3_T4_T5_T6_T7_T9_mT8_P12ihipStream_tbDpT10_ENKUlT_T0_E_clISt17integral_constantIbLb0EES1C_IbLb1EEEEDaS18_S19_EUlS18_E_NS1_11comp_targetILNS1_3genE0ELNS1_11target_archE4294967295ELNS1_3gpuE0ELNS1_3repE0EEENS1_30default_config_static_selectorELNS0_4arch9wavefront6targetE0EEEvT1_: ; @_ZN7rocprim17ROCPRIM_400000_NS6detail17trampoline_kernelINS0_14default_configENS1_25partition_config_selectorILNS1_17partition_subalgoE9EtjbEEZZNS1_14partition_implILS5_9ELb0ES3_jN6thrust23THRUST_200600_302600_NS6detail15normal_iteratorINS9_10device_ptrItEEEENSB_INSC_IjEEEEPNS0_10empty_typeENS0_5tupleIJNS9_16discard_iteratorINS9_11use_defaultEEESH_EEENSJ_IJSM_SI_EEENS0_18inequality_wrapperINS9_8equal_toItEEEEPmJSH_EEE10hipError_tPvRmT3_T4_T5_T6_T7_T9_mT8_P12ihipStream_tbDpT10_ENKUlT_T0_E_clISt17integral_constantIbLb0EES1C_IbLb1EEEEDaS18_S19_EUlS18_E_NS1_11comp_targetILNS1_3genE0ELNS1_11target_archE4294967295ELNS1_3gpuE0ELNS1_3repE0EEENS1_30default_config_static_selectorELNS0_4arch9wavefront6targetE0EEEvT1_
; %bb.0:
	.section	.rodata,"a",@progbits
	.p2align	6, 0x0
	.amdhsa_kernel _ZN7rocprim17ROCPRIM_400000_NS6detail17trampoline_kernelINS0_14default_configENS1_25partition_config_selectorILNS1_17partition_subalgoE9EtjbEEZZNS1_14partition_implILS5_9ELb0ES3_jN6thrust23THRUST_200600_302600_NS6detail15normal_iteratorINS9_10device_ptrItEEEENSB_INSC_IjEEEEPNS0_10empty_typeENS0_5tupleIJNS9_16discard_iteratorINS9_11use_defaultEEESH_EEENSJ_IJSM_SI_EEENS0_18inequality_wrapperINS9_8equal_toItEEEEPmJSH_EEE10hipError_tPvRmT3_T4_T5_T6_T7_T9_mT8_P12ihipStream_tbDpT10_ENKUlT_T0_E_clISt17integral_constantIbLb0EES1C_IbLb1EEEEDaS18_S19_EUlS18_E_NS1_11comp_targetILNS1_3genE0ELNS1_11target_archE4294967295ELNS1_3gpuE0ELNS1_3repE0EEENS1_30default_config_static_selectorELNS0_4arch9wavefront6targetE0EEEvT1_
		.amdhsa_group_segment_fixed_size 0
		.amdhsa_private_segment_fixed_size 0
		.amdhsa_kernarg_size 144
		.amdhsa_user_sgpr_count 15
		.amdhsa_user_sgpr_dispatch_ptr 0
		.amdhsa_user_sgpr_queue_ptr 0
		.amdhsa_user_sgpr_kernarg_segment_ptr 1
		.amdhsa_user_sgpr_dispatch_id 0
		.amdhsa_user_sgpr_private_segment_size 0
		.amdhsa_wavefront_size32 1
		.amdhsa_uses_dynamic_stack 0
		.amdhsa_enable_private_segment 0
		.amdhsa_system_sgpr_workgroup_id_x 1
		.amdhsa_system_sgpr_workgroup_id_y 0
		.amdhsa_system_sgpr_workgroup_id_z 0
		.amdhsa_system_sgpr_workgroup_info 0
		.amdhsa_system_vgpr_workitem_id 0
		.amdhsa_next_free_vgpr 1
		.amdhsa_next_free_sgpr 1
		.amdhsa_reserve_vcc 0
		.amdhsa_float_round_mode_32 0
		.amdhsa_float_round_mode_16_64 0
		.amdhsa_float_denorm_mode_32 3
		.amdhsa_float_denorm_mode_16_64 3
		.amdhsa_dx10_clamp 1
		.amdhsa_ieee_mode 1
		.amdhsa_fp16_overflow 0
		.amdhsa_workgroup_processor_mode 1
		.amdhsa_memory_ordered 1
		.amdhsa_forward_progress 0
		.amdhsa_shared_vgpr_count 0
		.amdhsa_exception_fp_ieee_invalid_op 0
		.amdhsa_exception_fp_denorm_src 0
		.amdhsa_exception_fp_ieee_div_zero 0
		.amdhsa_exception_fp_ieee_overflow 0
		.amdhsa_exception_fp_ieee_underflow 0
		.amdhsa_exception_fp_ieee_inexact 0
		.amdhsa_exception_int_div_zero 0
	.end_amdhsa_kernel
	.section	.text._ZN7rocprim17ROCPRIM_400000_NS6detail17trampoline_kernelINS0_14default_configENS1_25partition_config_selectorILNS1_17partition_subalgoE9EtjbEEZZNS1_14partition_implILS5_9ELb0ES3_jN6thrust23THRUST_200600_302600_NS6detail15normal_iteratorINS9_10device_ptrItEEEENSB_INSC_IjEEEEPNS0_10empty_typeENS0_5tupleIJNS9_16discard_iteratorINS9_11use_defaultEEESH_EEENSJ_IJSM_SI_EEENS0_18inequality_wrapperINS9_8equal_toItEEEEPmJSH_EEE10hipError_tPvRmT3_T4_T5_T6_T7_T9_mT8_P12ihipStream_tbDpT10_ENKUlT_T0_E_clISt17integral_constantIbLb0EES1C_IbLb1EEEEDaS18_S19_EUlS18_E_NS1_11comp_targetILNS1_3genE0ELNS1_11target_archE4294967295ELNS1_3gpuE0ELNS1_3repE0EEENS1_30default_config_static_selectorELNS0_4arch9wavefront6targetE0EEEvT1_,"axG",@progbits,_ZN7rocprim17ROCPRIM_400000_NS6detail17trampoline_kernelINS0_14default_configENS1_25partition_config_selectorILNS1_17partition_subalgoE9EtjbEEZZNS1_14partition_implILS5_9ELb0ES3_jN6thrust23THRUST_200600_302600_NS6detail15normal_iteratorINS9_10device_ptrItEEEENSB_INSC_IjEEEEPNS0_10empty_typeENS0_5tupleIJNS9_16discard_iteratorINS9_11use_defaultEEESH_EEENSJ_IJSM_SI_EEENS0_18inequality_wrapperINS9_8equal_toItEEEEPmJSH_EEE10hipError_tPvRmT3_T4_T5_T6_T7_T9_mT8_P12ihipStream_tbDpT10_ENKUlT_T0_E_clISt17integral_constantIbLb0EES1C_IbLb1EEEEDaS18_S19_EUlS18_E_NS1_11comp_targetILNS1_3genE0ELNS1_11target_archE4294967295ELNS1_3gpuE0ELNS1_3repE0EEENS1_30default_config_static_selectorELNS0_4arch9wavefront6targetE0EEEvT1_,comdat
.Lfunc_end909:
	.size	_ZN7rocprim17ROCPRIM_400000_NS6detail17trampoline_kernelINS0_14default_configENS1_25partition_config_selectorILNS1_17partition_subalgoE9EtjbEEZZNS1_14partition_implILS5_9ELb0ES3_jN6thrust23THRUST_200600_302600_NS6detail15normal_iteratorINS9_10device_ptrItEEEENSB_INSC_IjEEEEPNS0_10empty_typeENS0_5tupleIJNS9_16discard_iteratorINS9_11use_defaultEEESH_EEENSJ_IJSM_SI_EEENS0_18inequality_wrapperINS9_8equal_toItEEEEPmJSH_EEE10hipError_tPvRmT3_T4_T5_T6_T7_T9_mT8_P12ihipStream_tbDpT10_ENKUlT_T0_E_clISt17integral_constantIbLb0EES1C_IbLb1EEEEDaS18_S19_EUlS18_E_NS1_11comp_targetILNS1_3genE0ELNS1_11target_archE4294967295ELNS1_3gpuE0ELNS1_3repE0EEENS1_30default_config_static_selectorELNS0_4arch9wavefront6targetE0EEEvT1_, .Lfunc_end909-_ZN7rocprim17ROCPRIM_400000_NS6detail17trampoline_kernelINS0_14default_configENS1_25partition_config_selectorILNS1_17partition_subalgoE9EtjbEEZZNS1_14partition_implILS5_9ELb0ES3_jN6thrust23THRUST_200600_302600_NS6detail15normal_iteratorINS9_10device_ptrItEEEENSB_INSC_IjEEEEPNS0_10empty_typeENS0_5tupleIJNS9_16discard_iteratorINS9_11use_defaultEEESH_EEENSJ_IJSM_SI_EEENS0_18inequality_wrapperINS9_8equal_toItEEEEPmJSH_EEE10hipError_tPvRmT3_T4_T5_T6_T7_T9_mT8_P12ihipStream_tbDpT10_ENKUlT_T0_E_clISt17integral_constantIbLb0EES1C_IbLb1EEEEDaS18_S19_EUlS18_E_NS1_11comp_targetILNS1_3genE0ELNS1_11target_archE4294967295ELNS1_3gpuE0ELNS1_3repE0EEENS1_30default_config_static_selectorELNS0_4arch9wavefront6targetE0EEEvT1_
                                        ; -- End function
	.section	.AMDGPU.csdata,"",@progbits
; Kernel info:
; codeLenInByte = 0
; NumSgprs: 0
; NumVgprs: 0
; ScratchSize: 0
; MemoryBound: 0
; FloatMode: 240
; IeeeMode: 1
; LDSByteSize: 0 bytes/workgroup (compile time only)
; SGPRBlocks: 0
; VGPRBlocks: 0
; NumSGPRsForWavesPerEU: 1
; NumVGPRsForWavesPerEU: 1
; Occupancy: 16
; WaveLimiterHint : 0
; COMPUTE_PGM_RSRC2:SCRATCH_EN: 0
; COMPUTE_PGM_RSRC2:USER_SGPR: 15
; COMPUTE_PGM_RSRC2:TRAP_HANDLER: 0
; COMPUTE_PGM_RSRC2:TGID_X_EN: 1
; COMPUTE_PGM_RSRC2:TGID_Y_EN: 0
; COMPUTE_PGM_RSRC2:TGID_Z_EN: 0
; COMPUTE_PGM_RSRC2:TIDIG_COMP_CNT: 0
	.section	.text._ZN7rocprim17ROCPRIM_400000_NS6detail17trampoline_kernelINS0_14default_configENS1_25partition_config_selectorILNS1_17partition_subalgoE9EtjbEEZZNS1_14partition_implILS5_9ELb0ES3_jN6thrust23THRUST_200600_302600_NS6detail15normal_iteratorINS9_10device_ptrItEEEENSB_INSC_IjEEEEPNS0_10empty_typeENS0_5tupleIJNS9_16discard_iteratorINS9_11use_defaultEEESH_EEENSJ_IJSM_SI_EEENS0_18inequality_wrapperINS9_8equal_toItEEEEPmJSH_EEE10hipError_tPvRmT3_T4_T5_T6_T7_T9_mT8_P12ihipStream_tbDpT10_ENKUlT_T0_E_clISt17integral_constantIbLb0EES1C_IbLb1EEEEDaS18_S19_EUlS18_E_NS1_11comp_targetILNS1_3genE5ELNS1_11target_archE942ELNS1_3gpuE9ELNS1_3repE0EEENS1_30default_config_static_selectorELNS0_4arch9wavefront6targetE0EEEvT1_,"axG",@progbits,_ZN7rocprim17ROCPRIM_400000_NS6detail17trampoline_kernelINS0_14default_configENS1_25partition_config_selectorILNS1_17partition_subalgoE9EtjbEEZZNS1_14partition_implILS5_9ELb0ES3_jN6thrust23THRUST_200600_302600_NS6detail15normal_iteratorINS9_10device_ptrItEEEENSB_INSC_IjEEEEPNS0_10empty_typeENS0_5tupleIJNS9_16discard_iteratorINS9_11use_defaultEEESH_EEENSJ_IJSM_SI_EEENS0_18inequality_wrapperINS9_8equal_toItEEEEPmJSH_EEE10hipError_tPvRmT3_T4_T5_T6_T7_T9_mT8_P12ihipStream_tbDpT10_ENKUlT_T0_E_clISt17integral_constantIbLb0EES1C_IbLb1EEEEDaS18_S19_EUlS18_E_NS1_11comp_targetILNS1_3genE5ELNS1_11target_archE942ELNS1_3gpuE9ELNS1_3repE0EEENS1_30default_config_static_selectorELNS0_4arch9wavefront6targetE0EEEvT1_,comdat
	.protected	_ZN7rocprim17ROCPRIM_400000_NS6detail17trampoline_kernelINS0_14default_configENS1_25partition_config_selectorILNS1_17partition_subalgoE9EtjbEEZZNS1_14partition_implILS5_9ELb0ES3_jN6thrust23THRUST_200600_302600_NS6detail15normal_iteratorINS9_10device_ptrItEEEENSB_INSC_IjEEEEPNS0_10empty_typeENS0_5tupleIJNS9_16discard_iteratorINS9_11use_defaultEEESH_EEENSJ_IJSM_SI_EEENS0_18inequality_wrapperINS9_8equal_toItEEEEPmJSH_EEE10hipError_tPvRmT3_T4_T5_T6_T7_T9_mT8_P12ihipStream_tbDpT10_ENKUlT_T0_E_clISt17integral_constantIbLb0EES1C_IbLb1EEEEDaS18_S19_EUlS18_E_NS1_11comp_targetILNS1_3genE5ELNS1_11target_archE942ELNS1_3gpuE9ELNS1_3repE0EEENS1_30default_config_static_selectorELNS0_4arch9wavefront6targetE0EEEvT1_ ; -- Begin function _ZN7rocprim17ROCPRIM_400000_NS6detail17trampoline_kernelINS0_14default_configENS1_25partition_config_selectorILNS1_17partition_subalgoE9EtjbEEZZNS1_14partition_implILS5_9ELb0ES3_jN6thrust23THRUST_200600_302600_NS6detail15normal_iteratorINS9_10device_ptrItEEEENSB_INSC_IjEEEEPNS0_10empty_typeENS0_5tupleIJNS9_16discard_iteratorINS9_11use_defaultEEESH_EEENSJ_IJSM_SI_EEENS0_18inequality_wrapperINS9_8equal_toItEEEEPmJSH_EEE10hipError_tPvRmT3_T4_T5_T6_T7_T9_mT8_P12ihipStream_tbDpT10_ENKUlT_T0_E_clISt17integral_constantIbLb0EES1C_IbLb1EEEEDaS18_S19_EUlS18_E_NS1_11comp_targetILNS1_3genE5ELNS1_11target_archE942ELNS1_3gpuE9ELNS1_3repE0EEENS1_30default_config_static_selectorELNS0_4arch9wavefront6targetE0EEEvT1_
	.globl	_ZN7rocprim17ROCPRIM_400000_NS6detail17trampoline_kernelINS0_14default_configENS1_25partition_config_selectorILNS1_17partition_subalgoE9EtjbEEZZNS1_14partition_implILS5_9ELb0ES3_jN6thrust23THRUST_200600_302600_NS6detail15normal_iteratorINS9_10device_ptrItEEEENSB_INSC_IjEEEEPNS0_10empty_typeENS0_5tupleIJNS9_16discard_iteratorINS9_11use_defaultEEESH_EEENSJ_IJSM_SI_EEENS0_18inequality_wrapperINS9_8equal_toItEEEEPmJSH_EEE10hipError_tPvRmT3_T4_T5_T6_T7_T9_mT8_P12ihipStream_tbDpT10_ENKUlT_T0_E_clISt17integral_constantIbLb0EES1C_IbLb1EEEEDaS18_S19_EUlS18_E_NS1_11comp_targetILNS1_3genE5ELNS1_11target_archE942ELNS1_3gpuE9ELNS1_3repE0EEENS1_30default_config_static_selectorELNS0_4arch9wavefront6targetE0EEEvT1_
	.p2align	8
	.type	_ZN7rocprim17ROCPRIM_400000_NS6detail17trampoline_kernelINS0_14default_configENS1_25partition_config_selectorILNS1_17partition_subalgoE9EtjbEEZZNS1_14partition_implILS5_9ELb0ES3_jN6thrust23THRUST_200600_302600_NS6detail15normal_iteratorINS9_10device_ptrItEEEENSB_INSC_IjEEEEPNS0_10empty_typeENS0_5tupleIJNS9_16discard_iteratorINS9_11use_defaultEEESH_EEENSJ_IJSM_SI_EEENS0_18inequality_wrapperINS9_8equal_toItEEEEPmJSH_EEE10hipError_tPvRmT3_T4_T5_T6_T7_T9_mT8_P12ihipStream_tbDpT10_ENKUlT_T0_E_clISt17integral_constantIbLb0EES1C_IbLb1EEEEDaS18_S19_EUlS18_E_NS1_11comp_targetILNS1_3genE5ELNS1_11target_archE942ELNS1_3gpuE9ELNS1_3repE0EEENS1_30default_config_static_selectorELNS0_4arch9wavefront6targetE0EEEvT1_,@function
_ZN7rocprim17ROCPRIM_400000_NS6detail17trampoline_kernelINS0_14default_configENS1_25partition_config_selectorILNS1_17partition_subalgoE9EtjbEEZZNS1_14partition_implILS5_9ELb0ES3_jN6thrust23THRUST_200600_302600_NS6detail15normal_iteratorINS9_10device_ptrItEEEENSB_INSC_IjEEEEPNS0_10empty_typeENS0_5tupleIJNS9_16discard_iteratorINS9_11use_defaultEEESH_EEENSJ_IJSM_SI_EEENS0_18inequality_wrapperINS9_8equal_toItEEEEPmJSH_EEE10hipError_tPvRmT3_T4_T5_T6_T7_T9_mT8_P12ihipStream_tbDpT10_ENKUlT_T0_E_clISt17integral_constantIbLb0EES1C_IbLb1EEEEDaS18_S19_EUlS18_E_NS1_11comp_targetILNS1_3genE5ELNS1_11target_archE942ELNS1_3gpuE9ELNS1_3repE0EEENS1_30default_config_static_selectorELNS0_4arch9wavefront6targetE0EEEvT1_: ; @_ZN7rocprim17ROCPRIM_400000_NS6detail17trampoline_kernelINS0_14default_configENS1_25partition_config_selectorILNS1_17partition_subalgoE9EtjbEEZZNS1_14partition_implILS5_9ELb0ES3_jN6thrust23THRUST_200600_302600_NS6detail15normal_iteratorINS9_10device_ptrItEEEENSB_INSC_IjEEEEPNS0_10empty_typeENS0_5tupleIJNS9_16discard_iteratorINS9_11use_defaultEEESH_EEENSJ_IJSM_SI_EEENS0_18inequality_wrapperINS9_8equal_toItEEEEPmJSH_EEE10hipError_tPvRmT3_T4_T5_T6_T7_T9_mT8_P12ihipStream_tbDpT10_ENKUlT_T0_E_clISt17integral_constantIbLb0EES1C_IbLb1EEEEDaS18_S19_EUlS18_E_NS1_11comp_targetILNS1_3genE5ELNS1_11target_archE942ELNS1_3gpuE9ELNS1_3repE0EEENS1_30default_config_static_selectorELNS0_4arch9wavefront6targetE0EEEvT1_
; %bb.0:
	.section	.rodata,"a",@progbits
	.p2align	6, 0x0
	.amdhsa_kernel _ZN7rocprim17ROCPRIM_400000_NS6detail17trampoline_kernelINS0_14default_configENS1_25partition_config_selectorILNS1_17partition_subalgoE9EtjbEEZZNS1_14partition_implILS5_9ELb0ES3_jN6thrust23THRUST_200600_302600_NS6detail15normal_iteratorINS9_10device_ptrItEEEENSB_INSC_IjEEEEPNS0_10empty_typeENS0_5tupleIJNS9_16discard_iteratorINS9_11use_defaultEEESH_EEENSJ_IJSM_SI_EEENS0_18inequality_wrapperINS9_8equal_toItEEEEPmJSH_EEE10hipError_tPvRmT3_T4_T5_T6_T7_T9_mT8_P12ihipStream_tbDpT10_ENKUlT_T0_E_clISt17integral_constantIbLb0EES1C_IbLb1EEEEDaS18_S19_EUlS18_E_NS1_11comp_targetILNS1_3genE5ELNS1_11target_archE942ELNS1_3gpuE9ELNS1_3repE0EEENS1_30default_config_static_selectorELNS0_4arch9wavefront6targetE0EEEvT1_
		.amdhsa_group_segment_fixed_size 0
		.amdhsa_private_segment_fixed_size 0
		.amdhsa_kernarg_size 144
		.amdhsa_user_sgpr_count 15
		.amdhsa_user_sgpr_dispatch_ptr 0
		.amdhsa_user_sgpr_queue_ptr 0
		.amdhsa_user_sgpr_kernarg_segment_ptr 1
		.amdhsa_user_sgpr_dispatch_id 0
		.amdhsa_user_sgpr_private_segment_size 0
		.amdhsa_wavefront_size32 1
		.amdhsa_uses_dynamic_stack 0
		.amdhsa_enable_private_segment 0
		.amdhsa_system_sgpr_workgroup_id_x 1
		.amdhsa_system_sgpr_workgroup_id_y 0
		.amdhsa_system_sgpr_workgroup_id_z 0
		.amdhsa_system_sgpr_workgroup_info 0
		.amdhsa_system_vgpr_workitem_id 0
		.amdhsa_next_free_vgpr 1
		.amdhsa_next_free_sgpr 1
		.amdhsa_reserve_vcc 0
		.amdhsa_float_round_mode_32 0
		.amdhsa_float_round_mode_16_64 0
		.amdhsa_float_denorm_mode_32 3
		.amdhsa_float_denorm_mode_16_64 3
		.amdhsa_dx10_clamp 1
		.amdhsa_ieee_mode 1
		.amdhsa_fp16_overflow 0
		.amdhsa_workgroup_processor_mode 1
		.amdhsa_memory_ordered 1
		.amdhsa_forward_progress 0
		.amdhsa_shared_vgpr_count 0
		.amdhsa_exception_fp_ieee_invalid_op 0
		.amdhsa_exception_fp_denorm_src 0
		.amdhsa_exception_fp_ieee_div_zero 0
		.amdhsa_exception_fp_ieee_overflow 0
		.amdhsa_exception_fp_ieee_underflow 0
		.amdhsa_exception_fp_ieee_inexact 0
		.amdhsa_exception_int_div_zero 0
	.end_amdhsa_kernel
	.section	.text._ZN7rocprim17ROCPRIM_400000_NS6detail17trampoline_kernelINS0_14default_configENS1_25partition_config_selectorILNS1_17partition_subalgoE9EtjbEEZZNS1_14partition_implILS5_9ELb0ES3_jN6thrust23THRUST_200600_302600_NS6detail15normal_iteratorINS9_10device_ptrItEEEENSB_INSC_IjEEEEPNS0_10empty_typeENS0_5tupleIJNS9_16discard_iteratorINS9_11use_defaultEEESH_EEENSJ_IJSM_SI_EEENS0_18inequality_wrapperINS9_8equal_toItEEEEPmJSH_EEE10hipError_tPvRmT3_T4_T5_T6_T7_T9_mT8_P12ihipStream_tbDpT10_ENKUlT_T0_E_clISt17integral_constantIbLb0EES1C_IbLb1EEEEDaS18_S19_EUlS18_E_NS1_11comp_targetILNS1_3genE5ELNS1_11target_archE942ELNS1_3gpuE9ELNS1_3repE0EEENS1_30default_config_static_selectorELNS0_4arch9wavefront6targetE0EEEvT1_,"axG",@progbits,_ZN7rocprim17ROCPRIM_400000_NS6detail17trampoline_kernelINS0_14default_configENS1_25partition_config_selectorILNS1_17partition_subalgoE9EtjbEEZZNS1_14partition_implILS5_9ELb0ES3_jN6thrust23THRUST_200600_302600_NS6detail15normal_iteratorINS9_10device_ptrItEEEENSB_INSC_IjEEEEPNS0_10empty_typeENS0_5tupleIJNS9_16discard_iteratorINS9_11use_defaultEEESH_EEENSJ_IJSM_SI_EEENS0_18inequality_wrapperINS9_8equal_toItEEEEPmJSH_EEE10hipError_tPvRmT3_T4_T5_T6_T7_T9_mT8_P12ihipStream_tbDpT10_ENKUlT_T0_E_clISt17integral_constantIbLb0EES1C_IbLb1EEEEDaS18_S19_EUlS18_E_NS1_11comp_targetILNS1_3genE5ELNS1_11target_archE942ELNS1_3gpuE9ELNS1_3repE0EEENS1_30default_config_static_selectorELNS0_4arch9wavefront6targetE0EEEvT1_,comdat
.Lfunc_end910:
	.size	_ZN7rocprim17ROCPRIM_400000_NS6detail17trampoline_kernelINS0_14default_configENS1_25partition_config_selectorILNS1_17partition_subalgoE9EtjbEEZZNS1_14partition_implILS5_9ELb0ES3_jN6thrust23THRUST_200600_302600_NS6detail15normal_iteratorINS9_10device_ptrItEEEENSB_INSC_IjEEEEPNS0_10empty_typeENS0_5tupleIJNS9_16discard_iteratorINS9_11use_defaultEEESH_EEENSJ_IJSM_SI_EEENS0_18inequality_wrapperINS9_8equal_toItEEEEPmJSH_EEE10hipError_tPvRmT3_T4_T5_T6_T7_T9_mT8_P12ihipStream_tbDpT10_ENKUlT_T0_E_clISt17integral_constantIbLb0EES1C_IbLb1EEEEDaS18_S19_EUlS18_E_NS1_11comp_targetILNS1_3genE5ELNS1_11target_archE942ELNS1_3gpuE9ELNS1_3repE0EEENS1_30default_config_static_selectorELNS0_4arch9wavefront6targetE0EEEvT1_, .Lfunc_end910-_ZN7rocprim17ROCPRIM_400000_NS6detail17trampoline_kernelINS0_14default_configENS1_25partition_config_selectorILNS1_17partition_subalgoE9EtjbEEZZNS1_14partition_implILS5_9ELb0ES3_jN6thrust23THRUST_200600_302600_NS6detail15normal_iteratorINS9_10device_ptrItEEEENSB_INSC_IjEEEEPNS0_10empty_typeENS0_5tupleIJNS9_16discard_iteratorINS9_11use_defaultEEESH_EEENSJ_IJSM_SI_EEENS0_18inequality_wrapperINS9_8equal_toItEEEEPmJSH_EEE10hipError_tPvRmT3_T4_T5_T6_T7_T9_mT8_P12ihipStream_tbDpT10_ENKUlT_T0_E_clISt17integral_constantIbLb0EES1C_IbLb1EEEEDaS18_S19_EUlS18_E_NS1_11comp_targetILNS1_3genE5ELNS1_11target_archE942ELNS1_3gpuE9ELNS1_3repE0EEENS1_30default_config_static_selectorELNS0_4arch9wavefront6targetE0EEEvT1_
                                        ; -- End function
	.section	.AMDGPU.csdata,"",@progbits
; Kernel info:
; codeLenInByte = 0
; NumSgprs: 0
; NumVgprs: 0
; ScratchSize: 0
; MemoryBound: 0
; FloatMode: 240
; IeeeMode: 1
; LDSByteSize: 0 bytes/workgroup (compile time only)
; SGPRBlocks: 0
; VGPRBlocks: 0
; NumSGPRsForWavesPerEU: 1
; NumVGPRsForWavesPerEU: 1
; Occupancy: 16
; WaveLimiterHint : 0
; COMPUTE_PGM_RSRC2:SCRATCH_EN: 0
; COMPUTE_PGM_RSRC2:USER_SGPR: 15
; COMPUTE_PGM_RSRC2:TRAP_HANDLER: 0
; COMPUTE_PGM_RSRC2:TGID_X_EN: 1
; COMPUTE_PGM_RSRC2:TGID_Y_EN: 0
; COMPUTE_PGM_RSRC2:TGID_Z_EN: 0
; COMPUTE_PGM_RSRC2:TIDIG_COMP_CNT: 0
	.section	.text._ZN7rocprim17ROCPRIM_400000_NS6detail17trampoline_kernelINS0_14default_configENS1_25partition_config_selectorILNS1_17partition_subalgoE9EtjbEEZZNS1_14partition_implILS5_9ELb0ES3_jN6thrust23THRUST_200600_302600_NS6detail15normal_iteratorINS9_10device_ptrItEEEENSB_INSC_IjEEEEPNS0_10empty_typeENS0_5tupleIJNS9_16discard_iteratorINS9_11use_defaultEEESH_EEENSJ_IJSM_SI_EEENS0_18inequality_wrapperINS9_8equal_toItEEEEPmJSH_EEE10hipError_tPvRmT3_T4_T5_T6_T7_T9_mT8_P12ihipStream_tbDpT10_ENKUlT_T0_E_clISt17integral_constantIbLb0EES1C_IbLb1EEEEDaS18_S19_EUlS18_E_NS1_11comp_targetILNS1_3genE4ELNS1_11target_archE910ELNS1_3gpuE8ELNS1_3repE0EEENS1_30default_config_static_selectorELNS0_4arch9wavefront6targetE0EEEvT1_,"axG",@progbits,_ZN7rocprim17ROCPRIM_400000_NS6detail17trampoline_kernelINS0_14default_configENS1_25partition_config_selectorILNS1_17partition_subalgoE9EtjbEEZZNS1_14partition_implILS5_9ELb0ES3_jN6thrust23THRUST_200600_302600_NS6detail15normal_iteratorINS9_10device_ptrItEEEENSB_INSC_IjEEEEPNS0_10empty_typeENS0_5tupleIJNS9_16discard_iteratorINS9_11use_defaultEEESH_EEENSJ_IJSM_SI_EEENS0_18inequality_wrapperINS9_8equal_toItEEEEPmJSH_EEE10hipError_tPvRmT3_T4_T5_T6_T7_T9_mT8_P12ihipStream_tbDpT10_ENKUlT_T0_E_clISt17integral_constantIbLb0EES1C_IbLb1EEEEDaS18_S19_EUlS18_E_NS1_11comp_targetILNS1_3genE4ELNS1_11target_archE910ELNS1_3gpuE8ELNS1_3repE0EEENS1_30default_config_static_selectorELNS0_4arch9wavefront6targetE0EEEvT1_,comdat
	.protected	_ZN7rocprim17ROCPRIM_400000_NS6detail17trampoline_kernelINS0_14default_configENS1_25partition_config_selectorILNS1_17partition_subalgoE9EtjbEEZZNS1_14partition_implILS5_9ELb0ES3_jN6thrust23THRUST_200600_302600_NS6detail15normal_iteratorINS9_10device_ptrItEEEENSB_INSC_IjEEEEPNS0_10empty_typeENS0_5tupleIJNS9_16discard_iteratorINS9_11use_defaultEEESH_EEENSJ_IJSM_SI_EEENS0_18inequality_wrapperINS9_8equal_toItEEEEPmJSH_EEE10hipError_tPvRmT3_T4_T5_T6_T7_T9_mT8_P12ihipStream_tbDpT10_ENKUlT_T0_E_clISt17integral_constantIbLb0EES1C_IbLb1EEEEDaS18_S19_EUlS18_E_NS1_11comp_targetILNS1_3genE4ELNS1_11target_archE910ELNS1_3gpuE8ELNS1_3repE0EEENS1_30default_config_static_selectorELNS0_4arch9wavefront6targetE0EEEvT1_ ; -- Begin function _ZN7rocprim17ROCPRIM_400000_NS6detail17trampoline_kernelINS0_14default_configENS1_25partition_config_selectorILNS1_17partition_subalgoE9EtjbEEZZNS1_14partition_implILS5_9ELb0ES3_jN6thrust23THRUST_200600_302600_NS6detail15normal_iteratorINS9_10device_ptrItEEEENSB_INSC_IjEEEEPNS0_10empty_typeENS0_5tupleIJNS9_16discard_iteratorINS9_11use_defaultEEESH_EEENSJ_IJSM_SI_EEENS0_18inequality_wrapperINS9_8equal_toItEEEEPmJSH_EEE10hipError_tPvRmT3_T4_T5_T6_T7_T9_mT8_P12ihipStream_tbDpT10_ENKUlT_T0_E_clISt17integral_constantIbLb0EES1C_IbLb1EEEEDaS18_S19_EUlS18_E_NS1_11comp_targetILNS1_3genE4ELNS1_11target_archE910ELNS1_3gpuE8ELNS1_3repE0EEENS1_30default_config_static_selectorELNS0_4arch9wavefront6targetE0EEEvT1_
	.globl	_ZN7rocprim17ROCPRIM_400000_NS6detail17trampoline_kernelINS0_14default_configENS1_25partition_config_selectorILNS1_17partition_subalgoE9EtjbEEZZNS1_14partition_implILS5_9ELb0ES3_jN6thrust23THRUST_200600_302600_NS6detail15normal_iteratorINS9_10device_ptrItEEEENSB_INSC_IjEEEEPNS0_10empty_typeENS0_5tupleIJNS9_16discard_iteratorINS9_11use_defaultEEESH_EEENSJ_IJSM_SI_EEENS0_18inequality_wrapperINS9_8equal_toItEEEEPmJSH_EEE10hipError_tPvRmT3_T4_T5_T6_T7_T9_mT8_P12ihipStream_tbDpT10_ENKUlT_T0_E_clISt17integral_constantIbLb0EES1C_IbLb1EEEEDaS18_S19_EUlS18_E_NS1_11comp_targetILNS1_3genE4ELNS1_11target_archE910ELNS1_3gpuE8ELNS1_3repE0EEENS1_30default_config_static_selectorELNS0_4arch9wavefront6targetE0EEEvT1_
	.p2align	8
	.type	_ZN7rocprim17ROCPRIM_400000_NS6detail17trampoline_kernelINS0_14default_configENS1_25partition_config_selectorILNS1_17partition_subalgoE9EtjbEEZZNS1_14partition_implILS5_9ELb0ES3_jN6thrust23THRUST_200600_302600_NS6detail15normal_iteratorINS9_10device_ptrItEEEENSB_INSC_IjEEEEPNS0_10empty_typeENS0_5tupleIJNS9_16discard_iteratorINS9_11use_defaultEEESH_EEENSJ_IJSM_SI_EEENS0_18inequality_wrapperINS9_8equal_toItEEEEPmJSH_EEE10hipError_tPvRmT3_T4_T5_T6_T7_T9_mT8_P12ihipStream_tbDpT10_ENKUlT_T0_E_clISt17integral_constantIbLb0EES1C_IbLb1EEEEDaS18_S19_EUlS18_E_NS1_11comp_targetILNS1_3genE4ELNS1_11target_archE910ELNS1_3gpuE8ELNS1_3repE0EEENS1_30default_config_static_selectorELNS0_4arch9wavefront6targetE0EEEvT1_,@function
_ZN7rocprim17ROCPRIM_400000_NS6detail17trampoline_kernelINS0_14default_configENS1_25partition_config_selectorILNS1_17partition_subalgoE9EtjbEEZZNS1_14partition_implILS5_9ELb0ES3_jN6thrust23THRUST_200600_302600_NS6detail15normal_iteratorINS9_10device_ptrItEEEENSB_INSC_IjEEEEPNS0_10empty_typeENS0_5tupleIJNS9_16discard_iteratorINS9_11use_defaultEEESH_EEENSJ_IJSM_SI_EEENS0_18inequality_wrapperINS9_8equal_toItEEEEPmJSH_EEE10hipError_tPvRmT3_T4_T5_T6_T7_T9_mT8_P12ihipStream_tbDpT10_ENKUlT_T0_E_clISt17integral_constantIbLb0EES1C_IbLb1EEEEDaS18_S19_EUlS18_E_NS1_11comp_targetILNS1_3genE4ELNS1_11target_archE910ELNS1_3gpuE8ELNS1_3repE0EEENS1_30default_config_static_selectorELNS0_4arch9wavefront6targetE0EEEvT1_: ; @_ZN7rocprim17ROCPRIM_400000_NS6detail17trampoline_kernelINS0_14default_configENS1_25partition_config_selectorILNS1_17partition_subalgoE9EtjbEEZZNS1_14partition_implILS5_9ELb0ES3_jN6thrust23THRUST_200600_302600_NS6detail15normal_iteratorINS9_10device_ptrItEEEENSB_INSC_IjEEEEPNS0_10empty_typeENS0_5tupleIJNS9_16discard_iteratorINS9_11use_defaultEEESH_EEENSJ_IJSM_SI_EEENS0_18inequality_wrapperINS9_8equal_toItEEEEPmJSH_EEE10hipError_tPvRmT3_T4_T5_T6_T7_T9_mT8_P12ihipStream_tbDpT10_ENKUlT_T0_E_clISt17integral_constantIbLb0EES1C_IbLb1EEEEDaS18_S19_EUlS18_E_NS1_11comp_targetILNS1_3genE4ELNS1_11target_archE910ELNS1_3gpuE8ELNS1_3repE0EEENS1_30default_config_static_selectorELNS0_4arch9wavefront6targetE0EEEvT1_
; %bb.0:
	.section	.rodata,"a",@progbits
	.p2align	6, 0x0
	.amdhsa_kernel _ZN7rocprim17ROCPRIM_400000_NS6detail17trampoline_kernelINS0_14default_configENS1_25partition_config_selectorILNS1_17partition_subalgoE9EtjbEEZZNS1_14partition_implILS5_9ELb0ES3_jN6thrust23THRUST_200600_302600_NS6detail15normal_iteratorINS9_10device_ptrItEEEENSB_INSC_IjEEEEPNS0_10empty_typeENS0_5tupleIJNS9_16discard_iteratorINS9_11use_defaultEEESH_EEENSJ_IJSM_SI_EEENS0_18inequality_wrapperINS9_8equal_toItEEEEPmJSH_EEE10hipError_tPvRmT3_T4_T5_T6_T7_T9_mT8_P12ihipStream_tbDpT10_ENKUlT_T0_E_clISt17integral_constantIbLb0EES1C_IbLb1EEEEDaS18_S19_EUlS18_E_NS1_11comp_targetILNS1_3genE4ELNS1_11target_archE910ELNS1_3gpuE8ELNS1_3repE0EEENS1_30default_config_static_selectorELNS0_4arch9wavefront6targetE0EEEvT1_
		.amdhsa_group_segment_fixed_size 0
		.amdhsa_private_segment_fixed_size 0
		.amdhsa_kernarg_size 144
		.amdhsa_user_sgpr_count 15
		.amdhsa_user_sgpr_dispatch_ptr 0
		.amdhsa_user_sgpr_queue_ptr 0
		.amdhsa_user_sgpr_kernarg_segment_ptr 1
		.amdhsa_user_sgpr_dispatch_id 0
		.amdhsa_user_sgpr_private_segment_size 0
		.amdhsa_wavefront_size32 1
		.amdhsa_uses_dynamic_stack 0
		.amdhsa_enable_private_segment 0
		.amdhsa_system_sgpr_workgroup_id_x 1
		.amdhsa_system_sgpr_workgroup_id_y 0
		.amdhsa_system_sgpr_workgroup_id_z 0
		.amdhsa_system_sgpr_workgroup_info 0
		.amdhsa_system_vgpr_workitem_id 0
		.amdhsa_next_free_vgpr 1
		.amdhsa_next_free_sgpr 1
		.amdhsa_reserve_vcc 0
		.amdhsa_float_round_mode_32 0
		.amdhsa_float_round_mode_16_64 0
		.amdhsa_float_denorm_mode_32 3
		.amdhsa_float_denorm_mode_16_64 3
		.amdhsa_dx10_clamp 1
		.amdhsa_ieee_mode 1
		.amdhsa_fp16_overflow 0
		.amdhsa_workgroup_processor_mode 1
		.amdhsa_memory_ordered 1
		.amdhsa_forward_progress 0
		.amdhsa_shared_vgpr_count 0
		.amdhsa_exception_fp_ieee_invalid_op 0
		.amdhsa_exception_fp_denorm_src 0
		.amdhsa_exception_fp_ieee_div_zero 0
		.amdhsa_exception_fp_ieee_overflow 0
		.amdhsa_exception_fp_ieee_underflow 0
		.amdhsa_exception_fp_ieee_inexact 0
		.amdhsa_exception_int_div_zero 0
	.end_amdhsa_kernel
	.section	.text._ZN7rocprim17ROCPRIM_400000_NS6detail17trampoline_kernelINS0_14default_configENS1_25partition_config_selectorILNS1_17partition_subalgoE9EtjbEEZZNS1_14partition_implILS5_9ELb0ES3_jN6thrust23THRUST_200600_302600_NS6detail15normal_iteratorINS9_10device_ptrItEEEENSB_INSC_IjEEEEPNS0_10empty_typeENS0_5tupleIJNS9_16discard_iteratorINS9_11use_defaultEEESH_EEENSJ_IJSM_SI_EEENS0_18inequality_wrapperINS9_8equal_toItEEEEPmJSH_EEE10hipError_tPvRmT3_T4_T5_T6_T7_T9_mT8_P12ihipStream_tbDpT10_ENKUlT_T0_E_clISt17integral_constantIbLb0EES1C_IbLb1EEEEDaS18_S19_EUlS18_E_NS1_11comp_targetILNS1_3genE4ELNS1_11target_archE910ELNS1_3gpuE8ELNS1_3repE0EEENS1_30default_config_static_selectorELNS0_4arch9wavefront6targetE0EEEvT1_,"axG",@progbits,_ZN7rocprim17ROCPRIM_400000_NS6detail17trampoline_kernelINS0_14default_configENS1_25partition_config_selectorILNS1_17partition_subalgoE9EtjbEEZZNS1_14partition_implILS5_9ELb0ES3_jN6thrust23THRUST_200600_302600_NS6detail15normal_iteratorINS9_10device_ptrItEEEENSB_INSC_IjEEEEPNS0_10empty_typeENS0_5tupleIJNS9_16discard_iteratorINS9_11use_defaultEEESH_EEENSJ_IJSM_SI_EEENS0_18inequality_wrapperINS9_8equal_toItEEEEPmJSH_EEE10hipError_tPvRmT3_T4_T5_T6_T7_T9_mT8_P12ihipStream_tbDpT10_ENKUlT_T0_E_clISt17integral_constantIbLb0EES1C_IbLb1EEEEDaS18_S19_EUlS18_E_NS1_11comp_targetILNS1_3genE4ELNS1_11target_archE910ELNS1_3gpuE8ELNS1_3repE0EEENS1_30default_config_static_selectorELNS0_4arch9wavefront6targetE0EEEvT1_,comdat
.Lfunc_end911:
	.size	_ZN7rocprim17ROCPRIM_400000_NS6detail17trampoline_kernelINS0_14default_configENS1_25partition_config_selectorILNS1_17partition_subalgoE9EtjbEEZZNS1_14partition_implILS5_9ELb0ES3_jN6thrust23THRUST_200600_302600_NS6detail15normal_iteratorINS9_10device_ptrItEEEENSB_INSC_IjEEEEPNS0_10empty_typeENS0_5tupleIJNS9_16discard_iteratorINS9_11use_defaultEEESH_EEENSJ_IJSM_SI_EEENS0_18inequality_wrapperINS9_8equal_toItEEEEPmJSH_EEE10hipError_tPvRmT3_T4_T5_T6_T7_T9_mT8_P12ihipStream_tbDpT10_ENKUlT_T0_E_clISt17integral_constantIbLb0EES1C_IbLb1EEEEDaS18_S19_EUlS18_E_NS1_11comp_targetILNS1_3genE4ELNS1_11target_archE910ELNS1_3gpuE8ELNS1_3repE0EEENS1_30default_config_static_selectorELNS0_4arch9wavefront6targetE0EEEvT1_, .Lfunc_end911-_ZN7rocprim17ROCPRIM_400000_NS6detail17trampoline_kernelINS0_14default_configENS1_25partition_config_selectorILNS1_17partition_subalgoE9EtjbEEZZNS1_14partition_implILS5_9ELb0ES3_jN6thrust23THRUST_200600_302600_NS6detail15normal_iteratorINS9_10device_ptrItEEEENSB_INSC_IjEEEEPNS0_10empty_typeENS0_5tupleIJNS9_16discard_iteratorINS9_11use_defaultEEESH_EEENSJ_IJSM_SI_EEENS0_18inequality_wrapperINS9_8equal_toItEEEEPmJSH_EEE10hipError_tPvRmT3_T4_T5_T6_T7_T9_mT8_P12ihipStream_tbDpT10_ENKUlT_T0_E_clISt17integral_constantIbLb0EES1C_IbLb1EEEEDaS18_S19_EUlS18_E_NS1_11comp_targetILNS1_3genE4ELNS1_11target_archE910ELNS1_3gpuE8ELNS1_3repE0EEENS1_30default_config_static_selectorELNS0_4arch9wavefront6targetE0EEEvT1_
                                        ; -- End function
	.section	.AMDGPU.csdata,"",@progbits
; Kernel info:
; codeLenInByte = 0
; NumSgprs: 0
; NumVgprs: 0
; ScratchSize: 0
; MemoryBound: 0
; FloatMode: 240
; IeeeMode: 1
; LDSByteSize: 0 bytes/workgroup (compile time only)
; SGPRBlocks: 0
; VGPRBlocks: 0
; NumSGPRsForWavesPerEU: 1
; NumVGPRsForWavesPerEU: 1
; Occupancy: 15
; WaveLimiterHint : 0
; COMPUTE_PGM_RSRC2:SCRATCH_EN: 0
; COMPUTE_PGM_RSRC2:USER_SGPR: 15
; COMPUTE_PGM_RSRC2:TRAP_HANDLER: 0
; COMPUTE_PGM_RSRC2:TGID_X_EN: 1
; COMPUTE_PGM_RSRC2:TGID_Y_EN: 0
; COMPUTE_PGM_RSRC2:TGID_Z_EN: 0
; COMPUTE_PGM_RSRC2:TIDIG_COMP_CNT: 0
	.section	.text._ZN7rocprim17ROCPRIM_400000_NS6detail17trampoline_kernelINS0_14default_configENS1_25partition_config_selectorILNS1_17partition_subalgoE9EtjbEEZZNS1_14partition_implILS5_9ELb0ES3_jN6thrust23THRUST_200600_302600_NS6detail15normal_iteratorINS9_10device_ptrItEEEENSB_INSC_IjEEEEPNS0_10empty_typeENS0_5tupleIJNS9_16discard_iteratorINS9_11use_defaultEEESH_EEENSJ_IJSM_SI_EEENS0_18inequality_wrapperINS9_8equal_toItEEEEPmJSH_EEE10hipError_tPvRmT3_T4_T5_T6_T7_T9_mT8_P12ihipStream_tbDpT10_ENKUlT_T0_E_clISt17integral_constantIbLb0EES1C_IbLb1EEEEDaS18_S19_EUlS18_E_NS1_11comp_targetILNS1_3genE3ELNS1_11target_archE908ELNS1_3gpuE7ELNS1_3repE0EEENS1_30default_config_static_selectorELNS0_4arch9wavefront6targetE0EEEvT1_,"axG",@progbits,_ZN7rocprim17ROCPRIM_400000_NS6detail17trampoline_kernelINS0_14default_configENS1_25partition_config_selectorILNS1_17partition_subalgoE9EtjbEEZZNS1_14partition_implILS5_9ELb0ES3_jN6thrust23THRUST_200600_302600_NS6detail15normal_iteratorINS9_10device_ptrItEEEENSB_INSC_IjEEEEPNS0_10empty_typeENS0_5tupleIJNS9_16discard_iteratorINS9_11use_defaultEEESH_EEENSJ_IJSM_SI_EEENS0_18inequality_wrapperINS9_8equal_toItEEEEPmJSH_EEE10hipError_tPvRmT3_T4_T5_T6_T7_T9_mT8_P12ihipStream_tbDpT10_ENKUlT_T0_E_clISt17integral_constantIbLb0EES1C_IbLb1EEEEDaS18_S19_EUlS18_E_NS1_11comp_targetILNS1_3genE3ELNS1_11target_archE908ELNS1_3gpuE7ELNS1_3repE0EEENS1_30default_config_static_selectorELNS0_4arch9wavefront6targetE0EEEvT1_,comdat
	.protected	_ZN7rocprim17ROCPRIM_400000_NS6detail17trampoline_kernelINS0_14default_configENS1_25partition_config_selectorILNS1_17partition_subalgoE9EtjbEEZZNS1_14partition_implILS5_9ELb0ES3_jN6thrust23THRUST_200600_302600_NS6detail15normal_iteratorINS9_10device_ptrItEEEENSB_INSC_IjEEEEPNS0_10empty_typeENS0_5tupleIJNS9_16discard_iteratorINS9_11use_defaultEEESH_EEENSJ_IJSM_SI_EEENS0_18inequality_wrapperINS9_8equal_toItEEEEPmJSH_EEE10hipError_tPvRmT3_T4_T5_T6_T7_T9_mT8_P12ihipStream_tbDpT10_ENKUlT_T0_E_clISt17integral_constantIbLb0EES1C_IbLb1EEEEDaS18_S19_EUlS18_E_NS1_11comp_targetILNS1_3genE3ELNS1_11target_archE908ELNS1_3gpuE7ELNS1_3repE0EEENS1_30default_config_static_selectorELNS0_4arch9wavefront6targetE0EEEvT1_ ; -- Begin function _ZN7rocprim17ROCPRIM_400000_NS6detail17trampoline_kernelINS0_14default_configENS1_25partition_config_selectorILNS1_17partition_subalgoE9EtjbEEZZNS1_14partition_implILS5_9ELb0ES3_jN6thrust23THRUST_200600_302600_NS6detail15normal_iteratorINS9_10device_ptrItEEEENSB_INSC_IjEEEEPNS0_10empty_typeENS0_5tupleIJNS9_16discard_iteratorINS9_11use_defaultEEESH_EEENSJ_IJSM_SI_EEENS0_18inequality_wrapperINS9_8equal_toItEEEEPmJSH_EEE10hipError_tPvRmT3_T4_T5_T6_T7_T9_mT8_P12ihipStream_tbDpT10_ENKUlT_T0_E_clISt17integral_constantIbLb0EES1C_IbLb1EEEEDaS18_S19_EUlS18_E_NS1_11comp_targetILNS1_3genE3ELNS1_11target_archE908ELNS1_3gpuE7ELNS1_3repE0EEENS1_30default_config_static_selectorELNS0_4arch9wavefront6targetE0EEEvT1_
	.globl	_ZN7rocprim17ROCPRIM_400000_NS6detail17trampoline_kernelINS0_14default_configENS1_25partition_config_selectorILNS1_17partition_subalgoE9EtjbEEZZNS1_14partition_implILS5_9ELb0ES3_jN6thrust23THRUST_200600_302600_NS6detail15normal_iteratorINS9_10device_ptrItEEEENSB_INSC_IjEEEEPNS0_10empty_typeENS0_5tupleIJNS9_16discard_iteratorINS9_11use_defaultEEESH_EEENSJ_IJSM_SI_EEENS0_18inequality_wrapperINS9_8equal_toItEEEEPmJSH_EEE10hipError_tPvRmT3_T4_T5_T6_T7_T9_mT8_P12ihipStream_tbDpT10_ENKUlT_T0_E_clISt17integral_constantIbLb0EES1C_IbLb1EEEEDaS18_S19_EUlS18_E_NS1_11comp_targetILNS1_3genE3ELNS1_11target_archE908ELNS1_3gpuE7ELNS1_3repE0EEENS1_30default_config_static_selectorELNS0_4arch9wavefront6targetE0EEEvT1_
	.p2align	8
	.type	_ZN7rocprim17ROCPRIM_400000_NS6detail17trampoline_kernelINS0_14default_configENS1_25partition_config_selectorILNS1_17partition_subalgoE9EtjbEEZZNS1_14partition_implILS5_9ELb0ES3_jN6thrust23THRUST_200600_302600_NS6detail15normal_iteratorINS9_10device_ptrItEEEENSB_INSC_IjEEEEPNS0_10empty_typeENS0_5tupleIJNS9_16discard_iteratorINS9_11use_defaultEEESH_EEENSJ_IJSM_SI_EEENS0_18inequality_wrapperINS9_8equal_toItEEEEPmJSH_EEE10hipError_tPvRmT3_T4_T5_T6_T7_T9_mT8_P12ihipStream_tbDpT10_ENKUlT_T0_E_clISt17integral_constantIbLb0EES1C_IbLb1EEEEDaS18_S19_EUlS18_E_NS1_11comp_targetILNS1_3genE3ELNS1_11target_archE908ELNS1_3gpuE7ELNS1_3repE0EEENS1_30default_config_static_selectorELNS0_4arch9wavefront6targetE0EEEvT1_,@function
_ZN7rocprim17ROCPRIM_400000_NS6detail17trampoline_kernelINS0_14default_configENS1_25partition_config_selectorILNS1_17partition_subalgoE9EtjbEEZZNS1_14partition_implILS5_9ELb0ES3_jN6thrust23THRUST_200600_302600_NS6detail15normal_iteratorINS9_10device_ptrItEEEENSB_INSC_IjEEEEPNS0_10empty_typeENS0_5tupleIJNS9_16discard_iteratorINS9_11use_defaultEEESH_EEENSJ_IJSM_SI_EEENS0_18inequality_wrapperINS9_8equal_toItEEEEPmJSH_EEE10hipError_tPvRmT3_T4_T5_T6_T7_T9_mT8_P12ihipStream_tbDpT10_ENKUlT_T0_E_clISt17integral_constantIbLb0EES1C_IbLb1EEEEDaS18_S19_EUlS18_E_NS1_11comp_targetILNS1_3genE3ELNS1_11target_archE908ELNS1_3gpuE7ELNS1_3repE0EEENS1_30default_config_static_selectorELNS0_4arch9wavefront6targetE0EEEvT1_: ; @_ZN7rocprim17ROCPRIM_400000_NS6detail17trampoline_kernelINS0_14default_configENS1_25partition_config_selectorILNS1_17partition_subalgoE9EtjbEEZZNS1_14partition_implILS5_9ELb0ES3_jN6thrust23THRUST_200600_302600_NS6detail15normal_iteratorINS9_10device_ptrItEEEENSB_INSC_IjEEEEPNS0_10empty_typeENS0_5tupleIJNS9_16discard_iteratorINS9_11use_defaultEEESH_EEENSJ_IJSM_SI_EEENS0_18inequality_wrapperINS9_8equal_toItEEEEPmJSH_EEE10hipError_tPvRmT3_T4_T5_T6_T7_T9_mT8_P12ihipStream_tbDpT10_ENKUlT_T0_E_clISt17integral_constantIbLb0EES1C_IbLb1EEEEDaS18_S19_EUlS18_E_NS1_11comp_targetILNS1_3genE3ELNS1_11target_archE908ELNS1_3gpuE7ELNS1_3repE0EEENS1_30default_config_static_selectorELNS0_4arch9wavefront6targetE0EEEvT1_
; %bb.0:
	.section	.rodata,"a",@progbits
	.p2align	6, 0x0
	.amdhsa_kernel _ZN7rocprim17ROCPRIM_400000_NS6detail17trampoline_kernelINS0_14default_configENS1_25partition_config_selectorILNS1_17partition_subalgoE9EtjbEEZZNS1_14partition_implILS5_9ELb0ES3_jN6thrust23THRUST_200600_302600_NS6detail15normal_iteratorINS9_10device_ptrItEEEENSB_INSC_IjEEEEPNS0_10empty_typeENS0_5tupleIJNS9_16discard_iteratorINS9_11use_defaultEEESH_EEENSJ_IJSM_SI_EEENS0_18inequality_wrapperINS9_8equal_toItEEEEPmJSH_EEE10hipError_tPvRmT3_T4_T5_T6_T7_T9_mT8_P12ihipStream_tbDpT10_ENKUlT_T0_E_clISt17integral_constantIbLb0EES1C_IbLb1EEEEDaS18_S19_EUlS18_E_NS1_11comp_targetILNS1_3genE3ELNS1_11target_archE908ELNS1_3gpuE7ELNS1_3repE0EEENS1_30default_config_static_selectorELNS0_4arch9wavefront6targetE0EEEvT1_
		.amdhsa_group_segment_fixed_size 0
		.amdhsa_private_segment_fixed_size 0
		.amdhsa_kernarg_size 144
		.amdhsa_user_sgpr_count 15
		.amdhsa_user_sgpr_dispatch_ptr 0
		.amdhsa_user_sgpr_queue_ptr 0
		.amdhsa_user_sgpr_kernarg_segment_ptr 1
		.amdhsa_user_sgpr_dispatch_id 0
		.amdhsa_user_sgpr_private_segment_size 0
		.amdhsa_wavefront_size32 1
		.amdhsa_uses_dynamic_stack 0
		.amdhsa_enable_private_segment 0
		.amdhsa_system_sgpr_workgroup_id_x 1
		.amdhsa_system_sgpr_workgroup_id_y 0
		.amdhsa_system_sgpr_workgroup_id_z 0
		.amdhsa_system_sgpr_workgroup_info 0
		.amdhsa_system_vgpr_workitem_id 0
		.amdhsa_next_free_vgpr 1
		.amdhsa_next_free_sgpr 1
		.amdhsa_reserve_vcc 0
		.amdhsa_float_round_mode_32 0
		.amdhsa_float_round_mode_16_64 0
		.amdhsa_float_denorm_mode_32 3
		.amdhsa_float_denorm_mode_16_64 3
		.amdhsa_dx10_clamp 1
		.amdhsa_ieee_mode 1
		.amdhsa_fp16_overflow 0
		.amdhsa_workgroup_processor_mode 1
		.amdhsa_memory_ordered 1
		.amdhsa_forward_progress 0
		.amdhsa_shared_vgpr_count 0
		.amdhsa_exception_fp_ieee_invalid_op 0
		.amdhsa_exception_fp_denorm_src 0
		.amdhsa_exception_fp_ieee_div_zero 0
		.amdhsa_exception_fp_ieee_overflow 0
		.amdhsa_exception_fp_ieee_underflow 0
		.amdhsa_exception_fp_ieee_inexact 0
		.amdhsa_exception_int_div_zero 0
	.end_amdhsa_kernel
	.section	.text._ZN7rocprim17ROCPRIM_400000_NS6detail17trampoline_kernelINS0_14default_configENS1_25partition_config_selectorILNS1_17partition_subalgoE9EtjbEEZZNS1_14partition_implILS5_9ELb0ES3_jN6thrust23THRUST_200600_302600_NS6detail15normal_iteratorINS9_10device_ptrItEEEENSB_INSC_IjEEEEPNS0_10empty_typeENS0_5tupleIJNS9_16discard_iteratorINS9_11use_defaultEEESH_EEENSJ_IJSM_SI_EEENS0_18inequality_wrapperINS9_8equal_toItEEEEPmJSH_EEE10hipError_tPvRmT3_T4_T5_T6_T7_T9_mT8_P12ihipStream_tbDpT10_ENKUlT_T0_E_clISt17integral_constantIbLb0EES1C_IbLb1EEEEDaS18_S19_EUlS18_E_NS1_11comp_targetILNS1_3genE3ELNS1_11target_archE908ELNS1_3gpuE7ELNS1_3repE0EEENS1_30default_config_static_selectorELNS0_4arch9wavefront6targetE0EEEvT1_,"axG",@progbits,_ZN7rocprim17ROCPRIM_400000_NS6detail17trampoline_kernelINS0_14default_configENS1_25partition_config_selectorILNS1_17partition_subalgoE9EtjbEEZZNS1_14partition_implILS5_9ELb0ES3_jN6thrust23THRUST_200600_302600_NS6detail15normal_iteratorINS9_10device_ptrItEEEENSB_INSC_IjEEEEPNS0_10empty_typeENS0_5tupleIJNS9_16discard_iteratorINS9_11use_defaultEEESH_EEENSJ_IJSM_SI_EEENS0_18inequality_wrapperINS9_8equal_toItEEEEPmJSH_EEE10hipError_tPvRmT3_T4_T5_T6_T7_T9_mT8_P12ihipStream_tbDpT10_ENKUlT_T0_E_clISt17integral_constantIbLb0EES1C_IbLb1EEEEDaS18_S19_EUlS18_E_NS1_11comp_targetILNS1_3genE3ELNS1_11target_archE908ELNS1_3gpuE7ELNS1_3repE0EEENS1_30default_config_static_selectorELNS0_4arch9wavefront6targetE0EEEvT1_,comdat
.Lfunc_end912:
	.size	_ZN7rocprim17ROCPRIM_400000_NS6detail17trampoline_kernelINS0_14default_configENS1_25partition_config_selectorILNS1_17partition_subalgoE9EtjbEEZZNS1_14partition_implILS5_9ELb0ES3_jN6thrust23THRUST_200600_302600_NS6detail15normal_iteratorINS9_10device_ptrItEEEENSB_INSC_IjEEEEPNS0_10empty_typeENS0_5tupleIJNS9_16discard_iteratorINS9_11use_defaultEEESH_EEENSJ_IJSM_SI_EEENS0_18inequality_wrapperINS9_8equal_toItEEEEPmJSH_EEE10hipError_tPvRmT3_T4_T5_T6_T7_T9_mT8_P12ihipStream_tbDpT10_ENKUlT_T0_E_clISt17integral_constantIbLb0EES1C_IbLb1EEEEDaS18_S19_EUlS18_E_NS1_11comp_targetILNS1_3genE3ELNS1_11target_archE908ELNS1_3gpuE7ELNS1_3repE0EEENS1_30default_config_static_selectorELNS0_4arch9wavefront6targetE0EEEvT1_, .Lfunc_end912-_ZN7rocprim17ROCPRIM_400000_NS6detail17trampoline_kernelINS0_14default_configENS1_25partition_config_selectorILNS1_17partition_subalgoE9EtjbEEZZNS1_14partition_implILS5_9ELb0ES3_jN6thrust23THRUST_200600_302600_NS6detail15normal_iteratorINS9_10device_ptrItEEEENSB_INSC_IjEEEEPNS0_10empty_typeENS0_5tupleIJNS9_16discard_iteratorINS9_11use_defaultEEESH_EEENSJ_IJSM_SI_EEENS0_18inequality_wrapperINS9_8equal_toItEEEEPmJSH_EEE10hipError_tPvRmT3_T4_T5_T6_T7_T9_mT8_P12ihipStream_tbDpT10_ENKUlT_T0_E_clISt17integral_constantIbLb0EES1C_IbLb1EEEEDaS18_S19_EUlS18_E_NS1_11comp_targetILNS1_3genE3ELNS1_11target_archE908ELNS1_3gpuE7ELNS1_3repE0EEENS1_30default_config_static_selectorELNS0_4arch9wavefront6targetE0EEEvT1_
                                        ; -- End function
	.section	.AMDGPU.csdata,"",@progbits
; Kernel info:
; codeLenInByte = 0
; NumSgprs: 0
; NumVgprs: 0
; ScratchSize: 0
; MemoryBound: 0
; FloatMode: 240
; IeeeMode: 1
; LDSByteSize: 0 bytes/workgroup (compile time only)
; SGPRBlocks: 0
; VGPRBlocks: 0
; NumSGPRsForWavesPerEU: 1
; NumVGPRsForWavesPerEU: 1
; Occupancy: 16
; WaveLimiterHint : 0
; COMPUTE_PGM_RSRC2:SCRATCH_EN: 0
; COMPUTE_PGM_RSRC2:USER_SGPR: 15
; COMPUTE_PGM_RSRC2:TRAP_HANDLER: 0
; COMPUTE_PGM_RSRC2:TGID_X_EN: 1
; COMPUTE_PGM_RSRC2:TGID_Y_EN: 0
; COMPUTE_PGM_RSRC2:TGID_Z_EN: 0
; COMPUTE_PGM_RSRC2:TIDIG_COMP_CNT: 0
	.section	.text._ZN7rocprim17ROCPRIM_400000_NS6detail17trampoline_kernelINS0_14default_configENS1_25partition_config_selectorILNS1_17partition_subalgoE9EtjbEEZZNS1_14partition_implILS5_9ELb0ES3_jN6thrust23THRUST_200600_302600_NS6detail15normal_iteratorINS9_10device_ptrItEEEENSB_INSC_IjEEEEPNS0_10empty_typeENS0_5tupleIJNS9_16discard_iteratorINS9_11use_defaultEEESH_EEENSJ_IJSM_SI_EEENS0_18inequality_wrapperINS9_8equal_toItEEEEPmJSH_EEE10hipError_tPvRmT3_T4_T5_T6_T7_T9_mT8_P12ihipStream_tbDpT10_ENKUlT_T0_E_clISt17integral_constantIbLb0EES1C_IbLb1EEEEDaS18_S19_EUlS18_E_NS1_11comp_targetILNS1_3genE2ELNS1_11target_archE906ELNS1_3gpuE6ELNS1_3repE0EEENS1_30default_config_static_selectorELNS0_4arch9wavefront6targetE0EEEvT1_,"axG",@progbits,_ZN7rocprim17ROCPRIM_400000_NS6detail17trampoline_kernelINS0_14default_configENS1_25partition_config_selectorILNS1_17partition_subalgoE9EtjbEEZZNS1_14partition_implILS5_9ELb0ES3_jN6thrust23THRUST_200600_302600_NS6detail15normal_iteratorINS9_10device_ptrItEEEENSB_INSC_IjEEEEPNS0_10empty_typeENS0_5tupleIJNS9_16discard_iteratorINS9_11use_defaultEEESH_EEENSJ_IJSM_SI_EEENS0_18inequality_wrapperINS9_8equal_toItEEEEPmJSH_EEE10hipError_tPvRmT3_T4_T5_T6_T7_T9_mT8_P12ihipStream_tbDpT10_ENKUlT_T0_E_clISt17integral_constantIbLb0EES1C_IbLb1EEEEDaS18_S19_EUlS18_E_NS1_11comp_targetILNS1_3genE2ELNS1_11target_archE906ELNS1_3gpuE6ELNS1_3repE0EEENS1_30default_config_static_selectorELNS0_4arch9wavefront6targetE0EEEvT1_,comdat
	.protected	_ZN7rocprim17ROCPRIM_400000_NS6detail17trampoline_kernelINS0_14default_configENS1_25partition_config_selectorILNS1_17partition_subalgoE9EtjbEEZZNS1_14partition_implILS5_9ELb0ES3_jN6thrust23THRUST_200600_302600_NS6detail15normal_iteratorINS9_10device_ptrItEEEENSB_INSC_IjEEEEPNS0_10empty_typeENS0_5tupleIJNS9_16discard_iteratorINS9_11use_defaultEEESH_EEENSJ_IJSM_SI_EEENS0_18inequality_wrapperINS9_8equal_toItEEEEPmJSH_EEE10hipError_tPvRmT3_T4_T5_T6_T7_T9_mT8_P12ihipStream_tbDpT10_ENKUlT_T0_E_clISt17integral_constantIbLb0EES1C_IbLb1EEEEDaS18_S19_EUlS18_E_NS1_11comp_targetILNS1_3genE2ELNS1_11target_archE906ELNS1_3gpuE6ELNS1_3repE0EEENS1_30default_config_static_selectorELNS0_4arch9wavefront6targetE0EEEvT1_ ; -- Begin function _ZN7rocprim17ROCPRIM_400000_NS6detail17trampoline_kernelINS0_14default_configENS1_25partition_config_selectorILNS1_17partition_subalgoE9EtjbEEZZNS1_14partition_implILS5_9ELb0ES3_jN6thrust23THRUST_200600_302600_NS6detail15normal_iteratorINS9_10device_ptrItEEEENSB_INSC_IjEEEEPNS0_10empty_typeENS0_5tupleIJNS9_16discard_iteratorINS9_11use_defaultEEESH_EEENSJ_IJSM_SI_EEENS0_18inequality_wrapperINS9_8equal_toItEEEEPmJSH_EEE10hipError_tPvRmT3_T4_T5_T6_T7_T9_mT8_P12ihipStream_tbDpT10_ENKUlT_T0_E_clISt17integral_constantIbLb0EES1C_IbLb1EEEEDaS18_S19_EUlS18_E_NS1_11comp_targetILNS1_3genE2ELNS1_11target_archE906ELNS1_3gpuE6ELNS1_3repE0EEENS1_30default_config_static_selectorELNS0_4arch9wavefront6targetE0EEEvT1_
	.globl	_ZN7rocprim17ROCPRIM_400000_NS6detail17trampoline_kernelINS0_14default_configENS1_25partition_config_selectorILNS1_17partition_subalgoE9EtjbEEZZNS1_14partition_implILS5_9ELb0ES3_jN6thrust23THRUST_200600_302600_NS6detail15normal_iteratorINS9_10device_ptrItEEEENSB_INSC_IjEEEEPNS0_10empty_typeENS0_5tupleIJNS9_16discard_iteratorINS9_11use_defaultEEESH_EEENSJ_IJSM_SI_EEENS0_18inequality_wrapperINS9_8equal_toItEEEEPmJSH_EEE10hipError_tPvRmT3_T4_T5_T6_T7_T9_mT8_P12ihipStream_tbDpT10_ENKUlT_T0_E_clISt17integral_constantIbLb0EES1C_IbLb1EEEEDaS18_S19_EUlS18_E_NS1_11comp_targetILNS1_3genE2ELNS1_11target_archE906ELNS1_3gpuE6ELNS1_3repE0EEENS1_30default_config_static_selectorELNS0_4arch9wavefront6targetE0EEEvT1_
	.p2align	8
	.type	_ZN7rocprim17ROCPRIM_400000_NS6detail17trampoline_kernelINS0_14default_configENS1_25partition_config_selectorILNS1_17partition_subalgoE9EtjbEEZZNS1_14partition_implILS5_9ELb0ES3_jN6thrust23THRUST_200600_302600_NS6detail15normal_iteratorINS9_10device_ptrItEEEENSB_INSC_IjEEEEPNS0_10empty_typeENS0_5tupleIJNS9_16discard_iteratorINS9_11use_defaultEEESH_EEENSJ_IJSM_SI_EEENS0_18inequality_wrapperINS9_8equal_toItEEEEPmJSH_EEE10hipError_tPvRmT3_T4_T5_T6_T7_T9_mT8_P12ihipStream_tbDpT10_ENKUlT_T0_E_clISt17integral_constantIbLb0EES1C_IbLb1EEEEDaS18_S19_EUlS18_E_NS1_11comp_targetILNS1_3genE2ELNS1_11target_archE906ELNS1_3gpuE6ELNS1_3repE0EEENS1_30default_config_static_selectorELNS0_4arch9wavefront6targetE0EEEvT1_,@function
_ZN7rocprim17ROCPRIM_400000_NS6detail17trampoline_kernelINS0_14default_configENS1_25partition_config_selectorILNS1_17partition_subalgoE9EtjbEEZZNS1_14partition_implILS5_9ELb0ES3_jN6thrust23THRUST_200600_302600_NS6detail15normal_iteratorINS9_10device_ptrItEEEENSB_INSC_IjEEEEPNS0_10empty_typeENS0_5tupleIJNS9_16discard_iteratorINS9_11use_defaultEEESH_EEENSJ_IJSM_SI_EEENS0_18inequality_wrapperINS9_8equal_toItEEEEPmJSH_EEE10hipError_tPvRmT3_T4_T5_T6_T7_T9_mT8_P12ihipStream_tbDpT10_ENKUlT_T0_E_clISt17integral_constantIbLb0EES1C_IbLb1EEEEDaS18_S19_EUlS18_E_NS1_11comp_targetILNS1_3genE2ELNS1_11target_archE906ELNS1_3gpuE6ELNS1_3repE0EEENS1_30default_config_static_selectorELNS0_4arch9wavefront6targetE0EEEvT1_: ; @_ZN7rocprim17ROCPRIM_400000_NS6detail17trampoline_kernelINS0_14default_configENS1_25partition_config_selectorILNS1_17partition_subalgoE9EtjbEEZZNS1_14partition_implILS5_9ELb0ES3_jN6thrust23THRUST_200600_302600_NS6detail15normal_iteratorINS9_10device_ptrItEEEENSB_INSC_IjEEEEPNS0_10empty_typeENS0_5tupleIJNS9_16discard_iteratorINS9_11use_defaultEEESH_EEENSJ_IJSM_SI_EEENS0_18inequality_wrapperINS9_8equal_toItEEEEPmJSH_EEE10hipError_tPvRmT3_T4_T5_T6_T7_T9_mT8_P12ihipStream_tbDpT10_ENKUlT_T0_E_clISt17integral_constantIbLb0EES1C_IbLb1EEEEDaS18_S19_EUlS18_E_NS1_11comp_targetILNS1_3genE2ELNS1_11target_archE906ELNS1_3gpuE6ELNS1_3repE0EEENS1_30default_config_static_selectorELNS0_4arch9wavefront6targetE0EEEvT1_
; %bb.0:
	.section	.rodata,"a",@progbits
	.p2align	6, 0x0
	.amdhsa_kernel _ZN7rocprim17ROCPRIM_400000_NS6detail17trampoline_kernelINS0_14default_configENS1_25partition_config_selectorILNS1_17partition_subalgoE9EtjbEEZZNS1_14partition_implILS5_9ELb0ES3_jN6thrust23THRUST_200600_302600_NS6detail15normal_iteratorINS9_10device_ptrItEEEENSB_INSC_IjEEEEPNS0_10empty_typeENS0_5tupleIJNS9_16discard_iteratorINS9_11use_defaultEEESH_EEENSJ_IJSM_SI_EEENS0_18inequality_wrapperINS9_8equal_toItEEEEPmJSH_EEE10hipError_tPvRmT3_T4_T5_T6_T7_T9_mT8_P12ihipStream_tbDpT10_ENKUlT_T0_E_clISt17integral_constantIbLb0EES1C_IbLb1EEEEDaS18_S19_EUlS18_E_NS1_11comp_targetILNS1_3genE2ELNS1_11target_archE906ELNS1_3gpuE6ELNS1_3repE0EEENS1_30default_config_static_selectorELNS0_4arch9wavefront6targetE0EEEvT1_
		.amdhsa_group_segment_fixed_size 0
		.amdhsa_private_segment_fixed_size 0
		.amdhsa_kernarg_size 144
		.amdhsa_user_sgpr_count 15
		.amdhsa_user_sgpr_dispatch_ptr 0
		.amdhsa_user_sgpr_queue_ptr 0
		.amdhsa_user_sgpr_kernarg_segment_ptr 1
		.amdhsa_user_sgpr_dispatch_id 0
		.amdhsa_user_sgpr_private_segment_size 0
		.amdhsa_wavefront_size32 1
		.amdhsa_uses_dynamic_stack 0
		.amdhsa_enable_private_segment 0
		.amdhsa_system_sgpr_workgroup_id_x 1
		.amdhsa_system_sgpr_workgroup_id_y 0
		.amdhsa_system_sgpr_workgroup_id_z 0
		.amdhsa_system_sgpr_workgroup_info 0
		.amdhsa_system_vgpr_workitem_id 0
		.amdhsa_next_free_vgpr 1
		.amdhsa_next_free_sgpr 1
		.amdhsa_reserve_vcc 0
		.amdhsa_float_round_mode_32 0
		.amdhsa_float_round_mode_16_64 0
		.amdhsa_float_denorm_mode_32 3
		.amdhsa_float_denorm_mode_16_64 3
		.amdhsa_dx10_clamp 1
		.amdhsa_ieee_mode 1
		.amdhsa_fp16_overflow 0
		.amdhsa_workgroup_processor_mode 1
		.amdhsa_memory_ordered 1
		.amdhsa_forward_progress 0
		.amdhsa_shared_vgpr_count 0
		.amdhsa_exception_fp_ieee_invalid_op 0
		.amdhsa_exception_fp_denorm_src 0
		.amdhsa_exception_fp_ieee_div_zero 0
		.amdhsa_exception_fp_ieee_overflow 0
		.amdhsa_exception_fp_ieee_underflow 0
		.amdhsa_exception_fp_ieee_inexact 0
		.amdhsa_exception_int_div_zero 0
	.end_amdhsa_kernel
	.section	.text._ZN7rocprim17ROCPRIM_400000_NS6detail17trampoline_kernelINS0_14default_configENS1_25partition_config_selectorILNS1_17partition_subalgoE9EtjbEEZZNS1_14partition_implILS5_9ELb0ES3_jN6thrust23THRUST_200600_302600_NS6detail15normal_iteratorINS9_10device_ptrItEEEENSB_INSC_IjEEEEPNS0_10empty_typeENS0_5tupleIJNS9_16discard_iteratorINS9_11use_defaultEEESH_EEENSJ_IJSM_SI_EEENS0_18inequality_wrapperINS9_8equal_toItEEEEPmJSH_EEE10hipError_tPvRmT3_T4_T5_T6_T7_T9_mT8_P12ihipStream_tbDpT10_ENKUlT_T0_E_clISt17integral_constantIbLb0EES1C_IbLb1EEEEDaS18_S19_EUlS18_E_NS1_11comp_targetILNS1_3genE2ELNS1_11target_archE906ELNS1_3gpuE6ELNS1_3repE0EEENS1_30default_config_static_selectorELNS0_4arch9wavefront6targetE0EEEvT1_,"axG",@progbits,_ZN7rocprim17ROCPRIM_400000_NS6detail17trampoline_kernelINS0_14default_configENS1_25partition_config_selectorILNS1_17partition_subalgoE9EtjbEEZZNS1_14partition_implILS5_9ELb0ES3_jN6thrust23THRUST_200600_302600_NS6detail15normal_iteratorINS9_10device_ptrItEEEENSB_INSC_IjEEEEPNS0_10empty_typeENS0_5tupleIJNS9_16discard_iteratorINS9_11use_defaultEEESH_EEENSJ_IJSM_SI_EEENS0_18inequality_wrapperINS9_8equal_toItEEEEPmJSH_EEE10hipError_tPvRmT3_T4_T5_T6_T7_T9_mT8_P12ihipStream_tbDpT10_ENKUlT_T0_E_clISt17integral_constantIbLb0EES1C_IbLb1EEEEDaS18_S19_EUlS18_E_NS1_11comp_targetILNS1_3genE2ELNS1_11target_archE906ELNS1_3gpuE6ELNS1_3repE0EEENS1_30default_config_static_selectorELNS0_4arch9wavefront6targetE0EEEvT1_,comdat
.Lfunc_end913:
	.size	_ZN7rocprim17ROCPRIM_400000_NS6detail17trampoline_kernelINS0_14default_configENS1_25partition_config_selectorILNS1_17partition_subalgoE9EtjbEEZZNS1_14partition_implILS5_9ELb0ES3_jN6thrust23THRUST_200600_302600_NS6detail15normal_iteratorINS9_10device_ptrItEEEENSB_INSC_IjEEEEPNS0_10empty_typeENS0_5tupleIJNS9_16discard_iteratorINS9_11use_defaultEEESH_EEENSJ_IJSM_SI_EEENS0_18inequality_wrapperINS9_8equal_toItEEEEPmJSH_EEE10hipError_tPvRmT3_T4_T5_T6_T7_T9_mT8_P12ihipStream_tbDpT10_ENKUlT_T0_E_clISt17integral_constantIbLb0EES1C_IbLb1EEEEDaS18_S19_EUlS18_E_NS1_11comp_targetILNS1_3genE2ELNS1_11target_archE906ELNS1_3gpuE6ELNS1_3repE0EEENS1_30default_config_static_selectorELNS0_4arch9wavefront6targetE0EEEvT1_, .Lfunc_end913-_ZN7rocprim17ROCPRIM_400000_NS6detail17trampoline_kernelINS0_14default_configENS1_25partition_config_selectorILNS1_17partition_subalgoE9EtjbEEZZNS1_14partition_implILS5_9ELb0ES3_jN6thrust23THRUST_200600_302600_NS6detail15normal_iteratorINS9_10device_ptrItEEEENSB_INSC_IjEEEEPNS0_10empty_typeENS0_5tupleIJNS9_16discard_iteratorINS9_11use_defaultEEESH_EEENSJ_IJSM_SI_EEENS0_18inequality_wrapperINS9_8equal_toItEEEEPmJSH_EEE10hipError_tPvRmT3_T4_T5_T6_T7_T9_mT8_P12ihipStream_tbDpT10_ENKUlT_T0_E_clISt17integral_constantIbLb0EES1C_IbLb1EEEEDaS18_S19_EUlS18_E_NS1_11comp_targetILNS1_3genE2ELNS1_11target_archE906ELNS1_3gpuE6ELNS1_3repE0EEENS1_30default_config_static_selectorELNS0_4arch9wavefront6targetE0EEEvT1_
                                        ; -- End function
	.section	.AMDGPU.csdata,"",@progbits
; Kernel info:
; codeLenInByte = 0
; NumSgprs: 0
; NumVgprs: 0
; ScratchSize: 0
; MemoryBound: 0
; FloatMode: 240
; IeeeMode: 1
; LDSByteSize: 0 bytes/workgroup (compile time only)
; SGPRBlocks: 0
; VGPRBlocks: 0
; NumSGPRsForWavesPerEU: 1
; NumVGPRsForWavesPerEU: 1
; Occupancy: 16
; WaveLimiterHint : 0
; COMPUTE_PGM_RSRC2:SCRATCH_EN: 0
; COMPUTE_PGM_RSRC2:USER_SGPR: 15
; COMPUTE_PGM_RSRC2:TRAP_HANDLER: 0
; COMPUTE_PGM_RSRC2:TGID_X_EN: 1
; COMPUTE_PGM_RSRC2:TGID_Y_EN: 0
; COMPUTE_PGM_RSRC2:TGID_Z_EN: 0
; COMPUTE_PGM_RSRC2:TIDIG_COMP_CNT: 0
	.section	.text._ZN7rocprim17ROCPRIM_400000_NS6detail17trampoline_kernelINS0_14default_configENS1_25partition_config_selectorILNS1_17partition_subalgoE9EtjbEEZZNS1_14partition_implILS5_9ELb0ES3_jN6thrust23THRUST_200600_302600_NS6detail15normal_iteratorINS9_10device_ptrItEEEENSB_INSC_IjEEEEPNS0_10empty_typeENS0_5tupleIJNS9_16discard_iteratorINS9_11use_defaultEEESH_EEENSJ_IJSM_SI_EEENS0_18inequality_wrapperINS9_8equal_toItEEEEPmJSH_EEE10hipError_tPvRmT3_T4_T5_T6_T7_T9_mT8_P12ihipStream_tbDpT10_ENKUlT_T0_E_clISt17integral_constantIbLb0EES1C_IbLb1EEEEDaS18_S19_EUlS18_E_NS1_11comp_targetILNS1_3genE10ELNS1_11target_archE1200ELNS1_3gpuE4ELNS1_3repE0EEENS1_30default_config_static_selectorELNS0_4arch9wavefront6targetE0EEEvT1_,"axG",@progbits,_ZN7rocprim17ROCPRIM_400000_NS6detail17trampoline_kernelINS0_14default_configENS1_25partition_config_selectorILNS1_17partition_subalgoE9EtjbEEZZNS1_14partition_implILS5_9ELb0ES3_jN6thrust23THRUST_200600_302600_NS6detail15normal_iteratorINS9_10device_ptrItEEEENSB_INSC_IjEEEEPNS0_10empty_typeENS0_5tupleIJNS9_16discard_iteratorINS9_11use_defaultEEESH_EEENSJ_IJSM_SI_EEENS0_18inequality_wrapperINS9_8equal_toItEEEEPmJSH_EEE10hipError_tPvRmT3_T4_T5_T6_T7_T9_mT8_P12ihipStream_tbDpT10_ENKUlT_T0_E_clISt17integral_constantIbLb0EES1C_IbLb1EEEEDaS18_S19_EUlS18_E_NS1_11comp_targetILNS1_3genE10ELNS1_11target_archE1200ELNS1_3gpuE4ELNS1_3repE0EEENS1_30default_config_static_selectorELNS0_4arch9wavefront6targetE0EEEvT1_,comdat
	.protected	_ZN7rocprim17ROCPRIM_400000_NS6detail17trampoline_kernelINS0_14default_configENS1_25partition_config_selectorILNS1_17partition_subalgoE9EtjbEEZZNS1_14partition_implILS5_9ELb0ES3_jN6thrust23THRUST_200600_302600_NS6detail15normal_iteratorINS9_10device_ptrItEEEENSB_INSC_IjEEEEPNS0_10empty_typeENS0_5tupleIJNS9_16discard_iteratorINS9_11use_defaultEEESH_EEENSJ_IJSM_SI_EEENS0_18inequality_wrapperINS9_8equal_toItEEEEPmJSH_EEE10hipError_tPvRmT3_T4_T5_T6_T7_T9_mT8_P12ihipStream_tbDpT10_ENKUlT_T0_E_clISt17integral_constantIbLb0EES1C_IbLb1EEEEDaS18_S19_EUlS18_E_NS1_11comp_targetILNS1_3genE10ELNS1_11target_archE1200ELNS1_3gpuE4ELNS1_3repE0EEENS1_30default_config_static_selectorELNS0_4arch9wavefront6targetE0EEEvT1_ ; -- Begin function _ZN7rocprim17ROCPRIM_400000_NS6detail17trampoline_kernelINS0_14default_configENS1_25partition_config_selectorILNS1_17partition_subalgoE9EtjbEEZZNS1_14partition_implILS5_9ELb0ES3_jN6thrust23THRUST_200600_302600_NS6detail15normal_iteratorINS9_10device_ptrItEEEENSB_INSC_IjEEEEPNS0_10empty_typeENS0_5tupleIJNS9_16discard_iteratorINS9_11use_defaultEEESH_EEENSJ_IJSM_SI_EEENS0_18inequality_wrapperINS9_8equal_toItEEEEPmJSH_EEE10hipError_tPvRmT3_T4_T5_T6_T7_T9_mT8_P12ihipStream_tbDpT10_ENKUlT_T0_E_clISt17integral_constantIbLb0EES1C_IbLb1EEEEDaS18_S19_EUlS18_E_NS1_11comp_targetILNS1_3genE10ELNS1_11target_archE1200ELNS1_3gpuE4ELNS1_3repE0EEENS1_30default_config_static_selectorELNS0_4arch9wavefront6targetE0EEEvT1_
	.globl	_ZN7rocprim17ROCPRIM_400000_NS6detail17trampoline_kernelINS0_14default_configENS1_25partition_config_selectorILNS1_17partition_subalgoE9EtjbEEZZNS1_14partition_implILS5_9ELb0ES3_jN6thrust23THRUST_200600_302600_NS6detail15normal_iteratorINS9_10device_ptrItEEEENSB_INSC_IjEEEEPNS0_10empty_typeENS0_5tupleIJNS9_16discard_iteratorINS9_11use_defaultEEESH_EEENSJ_IJSM_SI_EEENS0_18inequality_wrapperINS9_8equal_toItEEEEPmJSH_EEE10hipError_tPvRmT3_T4_T5_T6_T7_T9_mT8_P12ihipStream_tbDpT10_ENKUlT_T0_E_clISt17integral_constantIbLb0EES1C_IbLb1EEEEDaS18_S19_EUlS18_E_NS1_11comp_targetILNS1_3genE10ELNS1_11target_archE1200ELNS1_3gpuE4ELNS1_3repE0EEENS1_30default_config_static_selectorELNS0_4arch9wavefront6targetE0EEEvT1_
	.p2align	8
	.type	_ZN7rocprim17ROCPRIM_400000_NS6detail17trampoline_kernelINS0_14default_configENS1_25partition_config_selectorILNS1_17partition_subalgoE9EtjbEEZZNS1_14partition_implILS5_9ELb0ES3_jN6thrust23THRUST_200600_302600_NS6detail15normal_iteratorINS9_10device_ptrItEEEENSB_INSC_IjEEEEPNS0_10empty_typeENS0_5tupleIJNS9_16discard_iteratorINS9_11use_defaultEEESH_EEENSJ_IJSM_SI_EEENS0_18inequality_wrapperINS9_8equal_toItEEEEPmJSH_EEE10hipError_tPvRmT3_T4_T5_T6_T7_T9_mT8_P12ihipStream_tbDpT10_ENKUlT_T0_E_clISt17integral_constantIbLb0EES1C_IbLb1EEEEDaS18_S19_EUlS18_E_NS1_11comp_targetILNS1_3genE10ELNS1_11target_archE1200ELNS1_3gpuE4ELNS1_3repE0EEENS1_30default_config_static_selectorELNS0_4arch9wavefront6targetE0EEEvT1_,@function
_ZN7rocprim17ROCPRIM_400000_NS6detail17trampoline_kernelINS0_14default_configENS1_25partition_config_selectorILNS1_17partition_subalgoE9EtjbEEZZNS1_14partition_implILS5_9ELb0ES3_jN6thrust23THRUST_200600_302600_NS6detail15normal_iteratorINS9_10device_ptrItEEEENSB_INSC_IjEEEEPNS0_10empty_typeENS0_5tupleIJNS9_16discard_iteratorINS9_11use_defaultEEESH_EEENSJ_IJSM_SI_EEENS0_18inequality_wrapperINS9_8equal_toItEEEEPmJSH_EEE10hipError_tPvRmT3_T4_T5_T6_T7_T9_mT8_P12ihipStream_tbDpT10_ENKUlT_T0_E_clISt17integral_constantIbLb0EES1C_IbLb1EEEEDaS18_S19_EUlS18_E_NS1_11comp_targetILNS1_3genE10ELNS1_11target_archE1200ELNS1_3gpuE4ELNS1_3repE0EEENS1_30default_config_static_selectorELNS0_4arch9wavefront6targetE0EEEvT1_: ; @_ZN7rocprim17ROCPRIM_400000_NS6detail17trampoline_kernelINS0_14default_configENS1_25partition_config_selectorILNS1_17partition_subalgoE9EtjbEEZZNS1_14partition_implILS5_9ELb0ES3_jN6thrust23THRUST_200600_302600_NS6detail15normal_iteratorINS9_10device_ptrItEEEENSB_INSC_IjEEEEPNS0_10empty_typeENS0_5tupleIJNS9_16discard_iteratorINS9_11use_defaultEEESH_EEENSJ_IJSM_SI_EEENS0_18inequality_wrapperINS9_8equal_toItEEEEPmJSH_EEE10hipError_tPvRmT3_T4_T5_T6_T7_T9_mT8_P12ihipStream_tbDpT10_ENKUlT_T0_E_clISt17integral_constantIbLb0EES1C_IbLb1EEEEDaS18_S19_EUlS18_E_NS1_11comp_targetILNS1_3genE10ELNS1_11target_archE1200ELNS1_3gpuE4ELNS1_3repE0EEENS1_30default_config_static_selectorELNS0_4arch9wavefront6targetE0EEEvT1_
; %bb.0:
	.section	.rodata,"a",@progbits
	.p2align	6, 0x0
	.amdhsa_kernel _ZN7rocprim17ROCPRIM_400000_NS6detail17trampoline_kernelINS0_14default_configENS1_25partition_config_selectorILNS1_17partition_subalgoE9EtjbEEZZNS1_14partition_implILS5_9ELb0ES3_jN6thrust23THRUST_200600_302600_NS6detail15normal_iteratorINS9_10device_ptrItEEEENSB_INSC_IjEEEEPNS0_10empty_typeENS0_5tupleIJNS9_16discard_iteratorINS9_11use_defaultEEESH_EEENSJ_IJSM_SI_EEENS0_18inequality_wrapperINS9_8equal_toItEEEEPmJSH_EEE10hipError_tPvRmT3_T4_T5_T6_T7_T9_mT8_P12ihipStream_tbDpT10_ENKUlT_T0_E_clISt17integral_constantIbLb0EES1C_IbLb1EEEEDaS18_S19_EUlS18_E_NS1_11comp_targetILNS1_3genE10ELNS1_11target_archE1200ELNS1_3gpuE4ELNS1_3repE0EEENS1_30default_config_static_selectorELNS0_4arch9wavefront6targetE0EEEvT1_
		.amdhsa_group_segment_fixed_size 0
		.amdhsa_private_segment_fixed_size 0
		.amdhsa_kernarg_size 144
		.amdhsa_user_sgpr_count 15
		.amdhsa_user_sgpr_dispatch_ptr 0
		.amdhsa_user_sgpr_queue_ptr 0
		.amdhsa_user_sgpr_kernarg_segment_ptr 1
		.amdhsa_user_sgpr_dispatch_id 0
		.amdhsa_user_sgpr_private_segment_size 0
		.amdhsa_wavefront_size32 1
		.amdhsa_uses_dynamic_stack 0
		.amdhsa_enable_private_segment 0
		.amdhsa_system_sgpr_workgroup_id_x 1
		.amdhsa_system_sgpr_workgroup_id_y 0
		.amdhsa_system_sgpr_workgroup_id_z 0
		.amdhsa_system_sgpr_workgroup_info 0
		.amdhsa_system_vgpr_workitem_id 0
		.amdhsa_next_free_vgpr 1
		.amdhsa_next_free_sgpr 1
		.amdhsa_reserve_vcc 0
		.amdhsa_float_round_mode_32 0
		.amdhsa_float_round_mode_16_64 0
		.amdhsa_float_denorm_mode_32 3
		.amdhsa_float_denorm_mode_16_64 3
		.amdhsa_dx10_clamp 1
		.amdhsa_ieee_mode 1
		.amdhsa_fp16_overflow 0
		.amdhsa_workgroup_processor_mode 1
		.amdhsa_memory_ordered 1
		.amdhsa_forward_progress 0
		.amdhsa_shared_vgpr_count 0
		.amdhsa_exception_fp_ieee_invalid_op 0
		.amdhsa_exception_fp_denorm_src 0
		.amdhsa_exception_fp_ieee_div_zero 0
		.amdhsa_exception_fp_ieee_overflow 0
		.amdhsa_exception_fp_ieee_underflow 0
		.amdhsa_exception_fp_ieee_inexact 0
		.amdhsa_exception_int_div_zero 0
	.end_amdhsa_kernel
	.section	.text._ZN7rocprim17ROCPRIM_400000_NS6detail17trampoline_kernelINS0_14default_configENS1_25partition_config_selectorILNS1_17partition_subalgoE9EtjbEEZZNS1_14partition_implILS5_9ELb0ES3_jN6thrust23THRUST_200600_302600_NS6detail15normal_iteratorINS9_10device_ptrItEEEENSB_INSC_IjEEEEPNS0_10empty_typeENS0_5tupleIJNS9_16discard_iteratorINS9_11use_defaultEEESH_EEENSJ_IJSM_SI_EEENS0_18inequality_wrapperINS9_8equal_toItEEEEPmJSH_EEE10hipError_tPvRmT3_T4_T5_T6_T7_T9_mT8_P12ihipStream_tbDpT10_ENKUlT_T0_E_clISt17integral_constantIbLb0EES1C_IbLb1EEEEDaS18_S19_EUlS18_E_NS1_11comp_targetILNS1_3genE10ELNS1_11target_archE1200ELNS1_3gpuE4ELNS1_3repE0EEENS1_30default_config_static_selectorELNS0_4arch9wavefront6targetE0EEEvT1_,"axG",@progbits,_ZN7rocprim17ROCPRIM_400000_NS6detail17trampoline_kernelINS0_14default_configENS1_25partition_config_selectorILNS1_17partition_subalgoE9EtjbEEZZNS1_14partition_implILS5_9ELb0ES3_jN6thrust23THRUST_200600_302600_NS6detail15normal_iteratorINS9_10device_ptrItEEEENSB_INSC_IjEEEEPNS0_10empty_typeENS0_5tupleIJNS9_16discard_iteratorINS9_11use_defaultEEESH_EEENSJ_IJSM_SI_EEENS0_18inequality_wrapperINS9_8equal_toItEEEEPmJSH_EEE10hipError_tPvRmT3_T4_T5_T6_T7_T9_mT8_P12ihipStream_tbDpT10_ENKUlT_T0_E_clISt17integral_constantIbLb0EES1C_IbLb1EEEEDaS18_S19_EUlS18_E_NS1_11comp_targetILNS1_3genE10ELNS1_11target_archE1200ELNS1_3gpuE4ELNS1_3repE0EEENS1_30default_config_static_selectorELNS0_4arch9wavefront6targetE0EEEvT1_,comdat
.Lfunc_end914:
	.size	_ZN7rocprim17ROCPRIM_400000_NS6detail17trampoline_kernelINS0_14default_configENS1_25partition_config_selectorILNS1_17partition_subalgoE9EtjbEEZZNS1_14partition_implILS5_9ELb0ES3_jN6thrust23THRUST_200600_302600_NS6detail15normal_iteratorINS9_10device_ptrItEEEENSB_INSC_IjEEEEPNS0_10empty_typeENS0_5tupleIJNS9_16discard_iteratorINS9_11use_defaultEEESH_EEENSJ_IJSM_SI_EEENS0_18inequality_wrapperINS9_8equal_toItEEEEPmJSH_EEE10hipError_tPvRmT3_T4_T5_T6_T7_T9_mT8_P12ihipStream_tbDpT10_ENKUlT_T0_E_clISt17integral_constantIbLb0EES1C_IbLb1EEEEDaS18_S19_EUlS18_E_NS1_11comp_targetILNS1_3genE10ELNS1_11target_archE1200ELNS1_3gpuE4ELNS1_3repE0EEENS1_30default_config_static_selectorELNS0_4arch9wavefront6targetE0EEEvT1_, .Lfunc_end914-_ZN7rocprim17ROCPRIM_400000_NS6detail17trampoline_kernelINS0_14default_configENS1_25partition_config_selectorILNS1_17partition_subalgoE9EtjbEEZZNS1_14partition_implILS5_9ELb0ES3_jN6thrust23THRUST_200600_302600_NS6detail15normal_iteratorINS9_10device_ptrItEEEENSB_INSC_IjEEEEPNS0_10empty_typeENS0_5tupleIJNS9_16discard_iteratorINS9_11use_defaultEEESH_EEENSJ_IJSM_SI_EEENS0_18inequality_wrapperINS9_8equal_toItEEEEPmJSH_EEE10hipError_tPvRmT3_T4_T5_T6_T7_T9_mT8_P12ihipStream_tbDpT10_ENKUlT_T0_E_clISt17integral_constantIbLb0EES1C_IbLb1EEEEDaS18_S19_EUlS18_E_NS1_11comp_targetILNS1_3genE10ELNS1_11target_archE1200ELNS1_3gpuE4ELNS1_3repE0EEENS1_30default_config_static_selectorELNS0_4arch9wavefront6targetE0EEEvT1_
                                        ; -- End function
	.section	.AMDGPU.csdata,"",@progbits
; Kernel info:
; codeLenInByte = 0
; NumSgprs: 0
; NumVgprs: 0
; ScratchSize: 0
; MemoryBound: 0
; FloatMode: 240
; IeeeMode: 1
; LDSByteSize: 0 bytes/workgroup (compile time only)
; SGPRBlocks: 0
; VGPRBlocks: 0
; NumSGPRsForWavesPerEU: 1
; NumVGPRsForWavesPerEU: 1
; Occupancy: 16
; WaveLimiterHint : 0
; COMPUTE_PGM_RSRC2:SCRATCH_EN: 0
; COMPUTE_PGM_RSRC2:USER_SGPR: 15
; COMPUTE_PGM_RSRC2:TRAP_HANDLER: 0
; COMPUTE_PGM_RSRC2:TGID_X_EN: 1
; COMPUTE_PGM_RSRC2:TGID_Y_EN: 0
; COMPUTE_PGM_RSRC2:TGID_Z_EN: 0
; COMPUTE_PGM_RSRC2:TIDIG_COMP_CNT: 0
	.section	.text._ZN7rocprim17ROCPRIM_400000_NS6detail17trampoline_kernelINS0_14default_configENS1_25partition_config_selectorILNS1_17partition_subalgoE9EtjbEEZZNS1_14partition_implILS5_9ELb0ES3_jN6thrust23THRUST_200600_302600_NS6detail15normal_iteratorINS9_10device_ptrItEEEENSB_INSC_IjEEEEPNS0_10empty_typeENS0_5tupleIJNS9_16discard_iteratorINS9_11use_defaultEEESH_EEENSJ_IJSM_SI_EEENS0_18inequality_wrapperINS9_8equal_toItEEEEPmJSH_EEE10hipError_tPvRmT3_T4_T5_T6_T7_T9_mT8_P12ihipStream_tbDpT10_ENKUlT_T0_E_clISt17integral_constantIbLb0EES1C_IbLb1EEEEDaS18_S19_EUlS18_E_NS1_11comp_targetILNS1_3genE9ELNS1_11target_archE1100ELNS1_3gpuE3ELNS1_3repE0EEENS1_30default_config_static_selectorELNS0_4arch9wavefront6targetE0EEEvT1_,"axG",@progbits,_ZN7rocprim17ROCPRIM_400000_NS6detail17trampoline_kernelINS0_14default_configENS1_25partition_config_selectorILNS1_17partition_subalgoE9EtjbEEZZNS1_14partition_implILS5_9ELb0ES3_jN6thrust23THRUST_200600_302600_NS6detail15normal_iteratorINS9_10device_ptrItEEEENSB_INSC_IjEEEEPNS0_10empty_typeENS0_5tupleIJNS9_16discard_iteratorINS9_11use_defaultEEESH_EEENSJ_IJSM_SI_EEENS0_18inequality_wrapperINS9_8equal_toItEEEEPmJSH_EEE10hipError_tPvRmT3_T4_T5_T6_T7_T9_mT8_P12ihipStream_tbDpT10_ENKUlT_T0_E_clISt17integral_constantIbLb0EES1C_IbLb1EEEEDaS18_S19_EUlS18_E_NS1_11comp_targetILNS1_3genE9ELNS1_11target_archE1100ELNS1_3gpuE3ELNS1_3repE0EEENS1_30default_config_static_selectorELNS0_4arch9wavefront6targetE0EEEvT1_,comdat
	.protected	_ZN7rocprim17ROCPRIM_400000_NS6detail17trampoline_kernelINS0_14default_configENS1_25partition_config_selectorILNS1_17partition_subalgoE9EtjbEEZZNS1_14partition_implILS5_9ELb0ES3_jN6thrust23THRUST_200600_302600_NS6detail15normal_iteratorINS9_10device_ptrItEEEENSB_INSC_IjEEEEPNS0_10empty_typeENS0_5tupleIJNS9_16discard_iteratorINS9_11use_defaultEEESH_EEENSJ_IJSM_SI_EEENS0_18inequality_wrapperINS9_8equal_toItEEEEPmJSH_EEE10hipError_tPvRmT3_T4_T5_T6_T7_T9_mT8_P12ihipStream_tbDpT10_ENKUlT_T0_E_clISt17integral_constantIbLb0EES1C_IbLb1EEEEDaS18_S19_EUlS18_E_NS1_11comp_targetILNS1_3genE9ELNS1_11target_archE1100ELNS1_3gpuE3ELNS1_3repE0EEENS1_30default_config_static_selectorELNS0_4arch9wavefront6targetE0EEEvT1_ ; -- Begin function _ZN7rocprim17ROCPRIM_400000_NS6detail17trampoline_kernelINS0_14default_configENS1_25partition_config_selectorILNS1_17partition_subalgoE9EtjbEEZZNS1_14partition_implILS5_9ELb0ES3_jN6thrust23THRUST_200600_302600_NS6detail15normal_iteratorINS9_10device_ptrItEEEENSB_INSC_IjEEEEPNS0_10empty_typeENS0_5tupleIJNS9_16discard_iteratorINS9_11use_defaultEEESH_EEENSJ_IJSM_SI_EEENS0_18inequality_wrapperINS9_8equal_toItEEEEPmJSH_EEE10hipError_tPvRmT3_T4_T5_T6_T7_T9_mT8_P12ihipStream_tbDpT10_ENKUlT_T0_E_clISt17integral_constantIbLb0EES1C_IbLb1EEEEDaS18_S19_EUlS18_E_NS1_11comp_targetILNS1_3genE9ELNS1_11target_archE1100ELNS1_3gpuE3ELNS1_3repE0EEENS1_30default_config_static_selectorELNS0_4arch9wavefront6targetE0EEEvT1_
	.globl	_ZN7rocprim17ROCPRIM_400000_NS6detail17trampoline_kernelINS0_14default_configENS1_25partition_config_selectorILNS1_17partition_subalgoE9EtjbEEZZNS1_14partition_implILS5_9ELb0ES3_jN6thrust23THRUST_200600_302600_NS6detail15normal_iteratorINS9_10device_ptrItEEEENSB_INSC_IjEEEEPNS0_10empty_typeENS0_5tupleIJNS9_16discard_iteratorINS9_11use_defaultEEESH_EEENSJ_IJSM_SI_EEENS0_18inequality_wrapperINS9_8equal_toItEEEEPmJSH_EEE10hipError_tPvRmT3_T4_T5_T6_T7_T9_mT8_P12ihipStream_tbDpT10_ENKUlT_T0_E_clISt17integral_constantIbLb0EES1C_IbLb1EEEEDaS18_S19_EUlS18_E_NS1_11comp_targetILNS1_3genE9ELNS1_11target_archE1100ELNS1_3gpuE3ELNS1_3repE0EEENS1_30default_config_static_selectorELNS0_4arch9wavefront6targetE0EEEvT1_
	.p2align	8
	.type	_ZN7rocprim17ROCPRIM_400000_NS6detail17trampoline_kernelINS0_14default_configENS1_25partition_config_selectorILNS1_17partition_subalgoE9EtjbEEZZNS1_14partition_implILS5_9ELb0ES3_jN6thrust23THRUST_200600_302600_NS6detail15normal_iteratorINS9_10device_ptrItEEEENSB_INSC_IjEEEEPNS0_10empty_typeENS0_5tupleIJNS9_16discard_iteratorINS9_11use_defaultEEESH_EEENSJ_IJSM_SI_EEENS0_18inequality_wrapperINS9_8equal_toItEEEEPmJSH_EEE10hipError_tPvRmT3_T4_T5_T6_T7_T9_mT8_P12ihipStream_tbDpT10_ENKUlT_T0_E_clISt17integral_constantIbLb0EES1C_IbLb1EEEEDaS18_S19_EUlS18_E_NS1_11comp_targetILNS1_3genE9ELNS1_11target_archE1100ELNS1_3gpuE3ELNS1_3repE0EEENS1_30default_config_static_selectorELNS0_4arch9wavefront6targetE0EEEvT1_,@function
_ZN7rocprim17ROCPRIM_400000_NS6detail17trampoline_kernelINS0_14default_configENS1_25partition_config_selectorILNS1_17partition_subalgoE9EtjbEEZZNS1_14partition_implILS5_9ELb0ES3_jN6thrust23THRUST_200600_302600_NS6detail15normal_iteratorINS9_10device_ptrItEEEENSB_INSC_IjEEEEPNS0_10empty_typeENS0_5tupleIJNS9_16discard_iteratorINS9_11use_defaultEEESH_EEENSJ_IJSM_SI_EEENS0_18inequality_wrapperINS9_8equal_toItEEEEPmJSH_EEE10hipError_tPvRmT3_T4_T5_T6_T7_T9_mT8_P12ihipStream_tbDpT10_ENKUlT_T0_E_clISt17integral_constantIbLb0EES1C_IbLb1EEEEDaS18_S19_EUlS18_E_NS1_11comp_targetILNS1_3genE9ELNS1_11target_archE1100ELNS1_3gpuE3ELNS1_3repE0EEENS1_30default_config_static_selectorELNS0_4arch9wavefront6targetE0EEEvT1_: ; @_ZN7rocprim17ROCPRIM_400000_NS6detail17trampoline_kernelINS0_14default_configENS1_25partition_config_selectorILNS1_17partition_subalgoE9EtjbEEZZNS1_14partition_implILS5_9ELb0ES3_jN6thrust23THRUST_200600_302600_NS6detail15normal_iteratorINS9_10device_ptrItEEEENSB_INSC_IjEEEEPNS0_10empty_typeENS0_5tupleIJNS9_16discard_iteratorINS9_11use_defaultEEESH_EEENSJ_IJSM_SI_EEENS0_18inequality_wrapperINS9_8equal_toItEEEEPmJSH_EEE10hipError_tPvRmT3_T4_T5_T6_T7_T9_mT8_P12ihipStream_tbDpT10_ENKUlT_T0_E_clISt17integral_constantIbLb0EES1C_IbLb1EEEEDaS18_S19_EUlS18_E_NS1_11comp_targetILNS1_3genE9ELNS1_11target_archE1100ELNS1_3gpuE3ELNS1_3repE0EEENS1_30default_config_static_selectorELNS0_4arch9wavefront6targetE0EEEvT1_
; %bb.0:
	s_clause 0x4
	s_load_b128 s[4:7], s[0:1], 0x8
	s_load_b64 s[8:9], s[0:1], 0x18
	s_load_b64 s[10:11], s[0:1], 0x60
	s_load_b128 s[12:15], s[0:1], 0x50
	s_load_b64 s[16:17], s[0:1], 0x70
	v_cmp_ne_u32_e64 s3, 0, v0
	v_cmp_eq_u32_e64 s2, 0, v0
	s_delay_alu instid0(VALU_DEP_1)
	s_and_saveexec_b32 s18, s2
	s_cbranch_execz .LBB915_4
; %bb.1:
	s_mov_b32 s20, exec_lo
	s_mov_b32 s19, exec_lo
	v_mbcnt_lo_u32_b32 v1, s20, 0
                                        ; implicit-def: $vgpr2
	s_delay_alu instid0(VALU_DEP_1)
	v_cmpx_eq_u32_e32 0, v1
	s_cbranch_execz .LBB915_3
; %bb.2:
	s_load_b64 s[22:23], s[0:1], 0x80
	s_bcnt1_i32_b32 s20, s20
	s_delay_alu instid0(SALU_CYCLE_1)
	v_dual_mov_b32 v2, 0 :: v_dual_mov_b32 v3, s20
	s_waitcnt lgkmcnt(0)
	global_atomic_add_u32 v2, v2, v3, s[22:23] glc
.LBB915_3:
	s_or_b32 exec_lo, exec_lo, s19
	s_waitcnt vmcnt(0)
	v_readfirstlane_b32 s19, v2
	s_delay_alu instid0(VALU_DEP_1)
	v_dual_mov_b32 v2, 0 :: v_dual_add_nc_u32 v1, s19, v1
	ds_store_b32 v2, v1
.LBB915_4:
	s_or_b32 exec_lo, exec_lo, s18
	v_mov_b32_e32 v1, 0
	s_waitcnt lgkmcnt(0)
	s_barrier
	buffer_gl0_inv
	s_load_b32 s0, s[0:1], 0x78
	ds_load_b32 v2, v1
	s_waitcnt lgkmcnt(0)
	s_barrier
	buffer_gl0_inv
	global_load_b64 v[19:20], v1, s[14:15]
	s_lshl_b64 s[14:15], s[6:7], 1
	v_lshlrev_b32_e32 v9, 1, v0
	s_add_u32 s20, s4, s14
	s_addc_u32 s21, s5, s15
	s_mov_b32 s5, 0
	s_mul_i32 s1, s0, 0x580
	v_readfirstlane_b32 s15, v2
	s_add_i32 s4, s1, s6
	s_delay_alu instid0(SALU_CYCLE_1)
	s_sub_i32 s18, s10, s4
	s_add_i32 s4, s0, -1
	s_addk_i32 s18, 0x580
	s_add_u32 s0, s6, s1
	s_addc_u32 s1, s7, 0
	s_cmp_eq_u32 s15, s4
	v_cmp_ge_u64_e64 s0, s[0:1], s[10:11]
	s_cselect_b32 s14, -1, 0
	s_mul_i32 s4, s15, 0x580
	s_delay_alu instid0(VALU_DEP_1)
	s_and_b32 s19, s0, s14
	s_lshl_b64 s[0:1], s[4:5], 1
	s_xor_b32 s10, s19, -1
	s_add_u32 s11, s20, s0
	s_addc_u32 s1, s21, s1
	s_and_b32 vcc_lo, exec_lo, s10
	s_mov_b32 s20, -1
	s_cbranch_vccz .LBB915_6
; %bb.5:
	v_add_co_u32 v1, s0, s11, v9
	s_delay_alu instid0(VALU_DEP_1)
	v_add_co_ci_u32_e64 v2, null, s1, 0, s0
	s_mov_b32 s20, s5
	s_clause 0xa
	flat_load_u16 v3, v[1:2]
	flat_load_u16 v4, v[1:2] offset:256
	flat_load_u16 v5, v[1:2] offset:512
	;; [unrolled: 1-line block ×10, first 2 shown]
	s_waitcnt vmcnt(10) lgkmcnt(10)
	ds_store_b16 v9, v3
	s_waitcnt vmcnt(9) lgkmcnt(10)
	ds_store_b16 v9, v4 offset:256
	s_waitcnt vmcnt(8) lgkmcnt(10)
	ds_store_b16 v9, v5 offset:512
	;; [unrolled: 2-line block ×10, first 2 shown]
	s_waitcnt lgkmcnt(0)
	s_barrier
.LBB915_6:
	v_cmp_gt_u32_e64 s0, s18, v0
	s_and_not1_b32 vcc_lo, exec_lo, s20
	s_cbranch_vccnz .LBB915_30
; %bb.7:
                                        ; implicit-def: $vgpr1_vgpr2_vgpr3_vgpr4_vgpr5_vgpr6_vgpr7_vgpr8
	s_delay_alu instid0(VALU_DEP_1)
	s_and_saveexec_b32 s20, s0
	s_cbranch_execz .LBB915_9
; %bb.8:
	v_add_co_u32 v1, s0, s11, v9
	s_delay_alu instid0(VALU_DEP_1)
	v_add_co_ci_u32_e64 v2, null, s1, 0, s0
	flat_load_d16_b16 v1, v[1:2]
.LBB915_9:
	s_or_b32 exec_lo, exec_lo, s20
	v_or_b32_e32 v7, 0x80, v0
	s_mov_b32 s0, exec_lo
	s_delay_alu instid0(VALU_DEP_1)
	v_cmpx_gt_u32_e64 s18, v7
	s_cbranch_execz .LBB915_11
; %bb.10:
	v_add_co_u32 v7, s20, s11, v9
	s_delay_alu instid0(VALU_DEP_1)
	v_add_co_ci_u32_e64 v8, null, s1, 0, s20
	s_waitcnt vmcnt(0) lgkmcnt(0)
	flat_load_d16_hi_b16 v1, v[7:8] offset:256
.LBB915_11:
	s_or_b32 exec_lo, exec_lo, s0
	v_or_b32_e32 v7, 0x100, v0
	s_mov_b32 s0, exec_lo
	s_delay_alu instid0(VALU_DEP_1)
	v_cmpx_gt_u32_e64 s18, v7
	s_cbranch_execz .LBB915_13
; %bb.12:
	v_add_co_u32 v7, s20, s11, v9
	s_delay_alu instid0(VALU_DEP_1)
	v_add_co_ci_u32_e64 v8, null, s1, 0, s20
	flat_load_d16_b16 v2, v[7:8] offset:512
.LBB915_13:
	s_or_b32 exec_lo, exec_lo, s0
	v_or_b32_e32 v7, 0x180, v0
	s_mov_b32 s0, exec_lo
	s_delay_alu instid0(VALU_DEP_1)
	v_cmpx_gt_u32_e64 s18, v7
	s_cbranch_execz .LBB915_15
; %bb.14:
	v_add_co_u32 v7, s20, s11, v9
	s_delay_alu instid0(VALU_DEP_1)
	v_add_co_ci_u32_e64 v8, null, s1, 0, s20
	s_waitcnt vmcnt(0) lgkmcnt(0)
	flat_load_d16_hi_b16 v2, v[7:8] offset:768
.LBB915_15:
	s_or_b32 exec_lo, exec_lo, s0
	v_or_b32_e32 v7, 0x200, v0
	s_mov_b32 s0, exec_lo
	s_delay_alu instid0(VALU_DEP_1)
	v_cmpx_gt_u32_e64 s18, v7
	s_cbranch_execz .LBB915_17
; %bb.16:
	v_add_co_u32 v7, s20, s11, v9
	s_delay_alu instid0(VALU_DEP_1)
	v_add_co_ci_u32_e64 v8, null, s1, 0, s20
	flat_load_d16_b16 v3, v[7:8] offset:1024
.LBB915_17:
	;; [unrolled: 25-line block ×5, first 2 shown]
	s_or_b32 exec_lo, exec_lo, s0
	s_waitcnt vmcnt(0) lgkmcnt(0)
	ds_store_b16 v9, v1
	ds_store_b16_d16_hi v9, v1 offset:256
	ds_store_b16 v9, v2 offset:512
	ds_store_b16_d16_hi v9, v2 offset:768
	ds_store_b16 v9, v3 offset:1024
	;; [unrolled: 2-line block ×5, first 2 shown]
	s_waitcnt lgkmcnt(0)
	s_barrier
.LBB915_30:
	v_mul_u32_u24_e32 v1, 11, v0
	s_waitcnt vmcnt(0)
	buffer_gl0_inv
	s_lshl_b64 s[20:21], s[6:7], 2
	s_delay_alu instid0(SALU_CYCLE_1)
	s_add_u32 s0, s8, s20
	v_lshlrev_b32_e32 v2, 1, v1
	s_addc_u32 s8, s9, s21
	s_lshl_b64 s[4:5], s[4:5], 2
	ds_load_b128 v[12:15], v2
	ds_load_u16 v37, v2 offset:16
	ds_load_u16 v36, v2 offset:18
	;; [unrolled: 1-line block ×3, first 2 shown]
	s_add_u32 s0, s0, s4
	s_addc_u32 s4, s8, s5
	s_and_b32 vcc_lo, exec_lo, s10
	s_mov_b32 s5, -1
	s_waitcnt lgkmcnt(0)
	s_barrier
	buffer_gl0_inv
	s_cbranch_vccz .LBB915_32
; %bb.31:
	v_lshlrev_b32_e32 v7, 2, v0
	s_delay_alu instid0(VALU_DEP_1) | instskip(NEXT) | instid1(VALU_DEP_1)
	v_add_co_u32 v3, s5, s0, v7
	v_add_co_ci_u32_e64 v4, null, s4, 0, s5
	s_mov_b32 s5, 0
	s_delay_alu instid0(VALU_DEP_2) | instskip(NEXT) | instid1(VALU_DEP_2)
	v_add_co_u32 v5, vcc_lo, 0x1000, v3
	v_add_co_ci_u32_e32 v6, vcc_lo, 0, v4, vcc_lo
	s_clause 0xa
	flat_load_b32 v8, v[3:4]
	flat_load_b32 v10, v[3:4] offset:512
	flat_load_b32 v11, v[3:4] offset:1024
	flat_load_b32 v16, v[3:4] offset:1536
	flat_load_b32 v17, v[3:4] offset:2048
	flat_load_b32 v18, v[3:4] offset:2560
	flat_load_b32 v21, v[3:4] offset:3072
	flat_load_b32 v3, v[3:4] offset:3584
	flat_load_b32 v4, v[5:6]
	flat_load_b32 v22, v[5:6] offset:512
	flat_load_b32 v5, v[5:6] offset:1024
	s_waitcnt vmcnt(9) lgkmcnt(9)
	ds_store_2addr_stride64_b32 v7, v8, v10 offset1:2
	s_waitcnt vmcnt(7) lgkmcnt(8)
	ds_store_2addr_stride64_b32 v7, v11, v16 offset0:4 offset1:6
	s_waitcnt vmcnt(5) lgkmcnt(7)
	ds_store_2addr_stride64_b32 v7, v17, v18 offset0:8 offset1:10
	;; [unrolled: 2-line block ×4, first 2 shown]
	s_waitcnt vmcnt(0) lgkmcnt(5)
	ds_store_b32 v7, v5 offset:5120
	s_waitcnt lgkmcnt(0)
	s_barrier
.LBB915_32:
	s_and_not1_b32 vcc_lo, exec_lo, s5
	s_cbranch_vccnz .LBB915_56
; %bb.33:
	s_mov_b32 s5, exec_lo
                                        ; implicit-def: $vgpr3
	v_cmpx_gt_u32_e64 s18, v0
	s_cbranch_execz .LBB915_35
; %bb.34:
	v_lshlrev_b32_e32 v3, 2, v0
	s_delay_alu instid0(VALU_DEP_1) | instskip(NEXT) | instid1(VALU_DEP_1)
	v_add_co_u32 v3, s8, s0, v3
	v_add_co_ci_u32_e64 v4, null, s4, 0, s8
	flat_load_b32 v3, v[3:4]
.LBB915_35:
	s_or_b32 exec_lo, exec_lo, s5
	v_or_b32_e32 v4, 0x80, v0
	s_delay_alu instid0(VALU_DEP_1)
	v_cmp_gt_u32_e32 vcc_lo, s18, v4
                                        ; implicit-def: $vgpr4
	s_and_saveexec_b32 s5, vcc_lo
	s_cbranch_execz .LBB915_37
; %bb.36:
	v_lshlrev_b32_e32 v4, 2, v0
	s_delay_alu instid0(VALU_DEP_1) | instskip(NEXT) | instid1(VALU_DEP_1)
	v_add_co_u32 v4, s8, s0, v4
	v_add_co_ci_u32_e64 v5, null, s4, 0, s8
	flat_load_b32 v4, v[4:5] offset:512
.LBB915_37:
	s_or_b32 exec_lo, exec_lo, s5
	v_or_b32_e32 v5, 0x100, v0
	s_delay_alu instid0(VALU_DEP_1)
	v_cmp_gt_u32_e32 vcc_lo, s18, v5
                                        ; implicit-def: $vgpr5
	s_and_saveexec_b32 s5, vcc_lo
	s_cbranch_execz .LBB915_39
; %bb.38:
	v_lshlrev_b32_e32 v5, 2, v0
	s_delay_alu instid0(VALU_DEP_1) | instskip(NEXT) | instid1(VALU_DEP_1)
	v_add_co_u32 v5, s8, s0, v5
	v_add_co_ci_u32_e64 v6, null, s4, 0, s8
	flat_load_b32 v5, v[5:6] offset:1024
.LBB915_39:
	s_or_b32 exec_lo, exec_lo, s5
	v_or_b32_e32 v6, 0x180, v0
	s_delay_alu instid0(VALU_DEP_1)
	v_cmp_gt_u32_e32 vcc_lo, s18, v6
                                        ; implicit-def: $vgpr6
	s_and_saveexec_b32 s5, vcc_lo
	s_cbranch_execz .LBB915_41
; %bb.40:
	v_lshlrev_b32_e32 v6, 2, v0
	s_delay_alu instid0(VALU_DEP_1) | instskip(NEXT) | instid1(VALU_DEP_1)
	v_add_co_u32 v6, s8, s0, v6
	v_add_co_ci_u32_e64 v7, null, s4, 0, s8
	flat_load_b32 v6, v[6:7] offset:1536
.LBB915_41:
	s_or_b32 exec_lo, exec_lo, s5
	v_or_b32_e32 v7, 0x200, v0
	s_delay_alu instid0(VALU_DEP_1)
	v_cmp_gt_u32_e32 vcc_lo, s18, v7
                                        ; implicit-def: $vgpr7
	s_and_saveexec_b32 s5, vcc_lo
	s_cbranch_execz .LBB915_43
; %bb.42:
	v_lshlrev_b32_e32 v7, 2, v0
	s_delay_alu instid0(VALU_DEP_1) | instskip(NEXT) | instid1(VALU_DEP_1)
	v_add_co_u32 v7, s8, s0, v7
	v_add_co_ci_u32_e64 v8, null, s4, 0, s8
	flat_load_b32 v7, v[7:8] offset:2048
.LBB915_43:
	s_or_b32 exec_lo, exec_lo, s5
	v_or_b32_e32 v8, 0x280, v0
	s_delay_alu instid0(VALU_DEP_1)
	v_cmp_gt_u32_e32 vcc_lo, s18, v8
                                        ; implicit-def: $vgpr8
	s_and_saveexec_b32 s5, vcc_lo
	s_cbranch_execz .LBB915_45
; %bb.44:
	v_lshlrev_b32_e32 v8, 2, v0
	s_delay_alu instid0(VALU_DEP_1) | instskip(NEXT) | instid1(VALU_DEP_1)
	v_add_co_u32 v10, s8, s0, v8
	v_add_co_ci_u32_e64 v11, null, s4, 0, s8
	flat_load_b32 v8, v[10:11] offset:2560
.LBB915_45:
	s_or_b32 exec_lo, exec_lo, s5
	v_or_b32_e32 v10, 0x300, v0
	s_delay_alu instid0(VALU_DEP_1)
	v_cmp_gt_u32_e32 vcc_lo, s18, v10
                                        ; implicit-def: $vgpr10
	s_and_saveexec_b32 s5, vcc_lo
	s_cbranch_execz .LBB915_47
; %bb.46:
	v_lshlrev_b32_e32 v10, 2, v0
	s_delay_alu instid0(VALU_DEP_1) | instskip(NEXT) | instid1(VALU_DEP_1)
	v_add_co_u32 v10, s8, s0, v10
	v_add_co_ci_u32_e64 v11, null, s4, 0, s8
	flat_load_b32 v10, v[10:11] offset:3072
.LBB915_47:
	s_or_b32 exec_lo, exec_lo, s5
	v_or_b32_e32 v11, 0x380, v0
	s_delay_alu instid0(VALU_DEP_1)
	v_cmp_gt_u32_e32 vcc_lo, s18, v11
                                        ; implicit-def: $vgpr11
	s_and_saveexec_b32 s5, vcc_lo
	s_cbranch_execz .LBB915_49
; %bb.48:
	v_lshlrev_b32_e32 v11, 2, v0
	s_delay_alu instid0(VALU_DEP_1) | instskip(NEXT) | instid1(VALU_DEP_1)
	v_add_co_u32 v16, s8, s0, v11
	v_add_co_ci_u32_e64 v17, null, s4, 0, s8
	flat_load_b32 v11, v[16:17] offset:3584
.LBB915_49:
	s_or_b32 exec_lo, exec_lo, s5
	v_or_b32_e32 v17, 0x400, v0
	s_mov_b32 s5, exec_lo
                                        ; implicit-def: $vgpr16
	s_delay_alu instid0(VALU_DEP_1)
	v_cmpx_gt_u32_e64 s18, v17
	s_cbranch_execz .LBB915_51
; %bb.50:
	v_lshlrev_b32_e32 v16, 2, v17
	s_delay_alu instid0(VALU_DEP_1) | instskip(NEXT) | instid1(VALU_DEP_1)
	v_add_co_u32 v16, s8, s0, v16
	v_add_co_ci_u32_e64 v17, null, s4, 0, s8
	flat_load_b32 v16, v[16:17]
.LBB915_51:
	s_or_b32 exec_lo, exec_lo, s5
	v_or_b32_e32 v18, 0x480, v0
	s_mov_b32 s5, exec_lo
                                        ; implicit-def: $vgpr17
	s_delay_alu instid0(VALU_DEP_1)
	v_cmpx_gt_u32_e64 s18, v18
	s_cbranch_execz .LBB915_53
; %bb.52:
	v_lshlrev_b32_e32 v17, 2, v18
	s_delay_alu instid0(VALU_DEP_1) | instskip(NEXT) | instid1(VALU_DEP_1)
	v_add_co_u32 v17, s8, s0, v17
	v_add_co_ci_u32_e64 v18, null, s4, 0, s8
	flat_load_b32 v17, v[17:18]
.LBB915_53:
	s_or_b32 exec_lo, exec_lo, s5
	v_or_b32_e32 v21, 0x500, v0
	s_mov_b32 s5, exec_lo
                                        ; implicit-def: $vgpr18
	s_delay_alu instid0(VALU_DEP_1)
	v_cmpx_gt_u32_e64 s18, v21
	s_cbranch_execz .LBB915_55
; %bb.54:
	v_lshlrev_b32_e32 v18, 2, v21
	s_delay_alu instid0(VALU_DEP_1) | instskip(NEXT) | instid1(VALU_DEP_1)
	v_add_co_u32 v21, s0, s0, v18
	v_add_co_ci_u32_e64 v22, null, s4, 0, s0
	flat_load_b32 v18, v[21:22]
.LBB915_55:
	s_or_b32 exec_lo, exec_lo, s5
	v_mad_i32_i24 v2, 0xffffffee, v0, v2
	s_waitcnt vmcnt(0) lgkmcnt(0)
	ds_store_2addr_stride64_b32 v2, v3, v4 offset1:2
	ds_store_2addr_stride64_b32 v2, v5, v6 offset0:4 offset1:6
	ds_store_2addr_stride64_b32 v2, v7, v8 offset0:8 offset1:10
	;; [unrolled: 1-line block ×4, first 2 shown]
	ds_store_b32 v2, v18 offset:5120
	s_waitcnt lgkmcnt(0)
	s_barrier
.LBB915_56:
	v_lshlrev_b32_e32 v43, 2, v1
	buffer_gl0_inv
	s_cmp_lg_u32 s15, 0
	v_lshrrev_b32_e32 v42, 16, v12
	s_cselect_b32 s20, -1, 0
	ds_load_2addr_b32 v[29:30], v43 offset1:1
	ds_load_2addr_b32 v[27:28], v43 offset0:2 offset1:3
	ds_load_2addr_b32 v[25:26], v43 offset0:4 offset1:5
	;; [unrolled: 1-line block ×4, first 2 shown]
	ds_load_b32 v38, v43 offset:40
	s_cmp_lg_u64 s[6:7], 0
	v_lshrrev_b32_e32 v41, 16, v13
	s_cselect_b32 s0, -1, 0
	v_lshrrev_b32_e32 v40, 16, v14
	v_lshrrev_b32_e32 v39, 16, v15
	v_add_nc_u32_e32 v5, 1, v1
	v_add_nc_u32_e32 v6, 2, v1
	;; [unrolled: 1-line block ×10, first 2 shown]
	s_or_b32 s0, s0, s20
	s_mov_b32 s21, 0
	s_and_b32 vcc_lo, exec_lo, s0
	s_waitcnt lgkmcnt(0)
	s_barrier
	buffer_gl0_inv
	s_cbranch_vccz .LBB915_61
; %bb.57:
	v_add_co_u32 v16, s0, -2, s11
	s_delay_alu instid0(VALU_DEP_1)
	v_add_co_ci_u32_e64 v17, null, -1, s1, s0
	s_mov_b32 s1, -1
	s_and_b32 vcc_lo, exec_lo, s10
	flat_load_u16 v16, v[16:17]
	ds_store_b16 v9, v35
	s_cbranch_vccz .LBB915_63
; %bb.58:
	s_waitcnt vmcnt(0) lgkmcnt(1)
	v_mov_b32_e32 v17, v16
	s_waitcnt lgkmcnt(0)
	s_barrier
	buffer_gl0_inv
	s_and_saveexec_b32 s0, s3
	s_cbranch_execz .LBB915_60
; %bb.59:
	v_add_nc_u32_e32 v17, -2, v9
	ds_load_u16 v17, v17
.LBB915_60:
	s_or_b32 exec_lo, exec_lo, s0
	v_cmp_ne_u16_e32 vcc_lo, v15, v39
	s_waitcnt lgkmcnt(0)
	v_cmp_ne_u16_e64 s0, v17, v12
	v_cndmask_b32_e64 v18, 0, 1, vcc_lo
	v_cmp_ne_u16_e32 vcc_lo, v40, v15
	s_delay_alu instid0(VALU_DEP_2) | instskip(SKIP_2) | instid1(VALU_DEP_2)
	v_lshlrev_b16 v18, 8, v18
	v_cndmask_b32_e64 v31, 0, 1, vcc_lo
	v_cmp_ne_u16_e32 vcc_lo, v14, v40
	v_or_b32_e32 v18, v31, v18
	v_cndmask_b32_e64 v32, 0, 1, vcc_lo
	v_cmp_ne_u16_e32 vcc_lo, v41, v14
	s_delay_alu instid0(VALU_DEP_3) | instskip(NEXT) | instid1(VALU_DEP_3)
	v_lshlrev_b32_e32 v18, 16, v18
	v_lshlrev_b16 v32, 8, v32
	v_cndmask_b32_e64 v34, 0, 1, vcc_lo
	v_cmp_ne_u16_e32 vcc_lo, v13, v41
	s_delay_alu instid0(VALU_DEP_2) | instskip(SKIP_2) | instid1(VALU_DEP_3)
	v_or_b32_e32 v32, v34, v32
	v_cndmask_b32_e64 v44, 0, 1, vcc_lo
	v_cmp_ne_u16_e32 vcc_lo, v42, v13
	v_and_b32_e32 v32, 0xffff, v32
	s_delay_alu instid0(VALU_DEP_3) | instskip(SKIP_2) | instid1(VALU_DEP_4)
	v_lshlrev_b16 v44, 8, v44
	v_cndmask_b32_e64 v46, 0, 1, vcc_lo
	v_cmp_ne_u16_e32 vcc_lo, v12, v42
	v_or_b32_e32 v32, v32, v18
	s_delay_alu instid0(VALU_DEP_3) | instskip(SKIP_2) | instid1(VALU_DEP_3)
	v_or_b32_e32 v44, v46, v44
	v_cndmask_b32_e64 v47, 0, 1, vcc_lo
	v_cmp_ne_u16_e32 vcc_lo, v36, v35
	v_lshlrev_b32_e32 v31, 16, v44
	s_delay_alu instid0(VALU_DEP_3) | instskip(SKIP_2) | instid1(VALU_DEP_3)
	v_lshlrev_b16 v46, 8, v47
	v_cndmask_b32_e64 v45, 0, 1, vcc_lo
	v_cmp_ne_u16_e32 vcc_lo, v37, v36
	v_and_b32_e32 v46, 0xffff, v46
	v_cndmask_b32_e64 v34, 0, 1, vcc_lo
	v_cmp_ne_u16_e32 vcc_lo, v39, v37
	s_delay_alu instid0(VALU_DEP_3)
	v_or_b32_e32 v31, v46, v31
	v_cndmask_b32_e64 v44, 0, 1, vcc_lo
	s_branch .LBB915_67
.LBB915_61:
                                        ; implicit-def: $sgpr0
                                        ; implicit-def: $vgpr45
                                        ; implicit-def: $vgpr34
                                        ; implicit-def: $vgpr44
                                        ; implicit-def: $vgpr32
	s_branch .LBB915_68
.LBB915_62:
                                        ; implicit-def: $vgpr16_vgpr17_vgpr18
	s_and_saveexec_b32 s1, s21
	s_cbranch_execnz .LBB915_76
	s_branch .LBB915_77
.LBB915_63:
                                        ; implicit-def: $sgpr0
                                        ; implicit-def: $vgpr45
                                        ; implicit-def: $vgpr34
                                        ; implicit-def: $vgpr44
                                        ; implicit-def: $vgpr32
	s_and_b32 vcc_lo, exec_lo, s1
	s_cbranch_vccz .LBB915_67
; %bb.64:
	s_waitcnt vmcnt(0) lgkmcnt(0)
	s_barrier
	buffer_gl0_inv
	s_and_saveexec_b32 s0, s3
	s_cbranch_execz .LBB915_66
; %bb.65:
	v_add_nc_u32_e32 v9, -2, v9
	ds_load_u16 v16, v9
.LBB915_66:
	s_or_b32 exec_lo, exec_lo, s0
	v_cmp_gt_u32_e32 vcc_lo, s18, v10
	v_cmp_ne_u16_e64 s0, v36, v35
	v_cmp_gt_u32_e64 s1, s18, v11
	v_cmp_ne_u16_e64 s4, v37, v36
	v_cmp_gt_u32_e64 s5, s18, v5
	v_cmp_ne_u16_e64 s6, v12, v42
	s_and_b32 s0, vcc_lo, s0
	v_cmp_gt_u32_e32 vcc_lo, s18, v2
	v_cndmask_b32_e64 v45, 0, 1, s0
	v_cmp_ne_u16_e64 s0, v15, v39
	s_and_b32 s1, s1, s4
	v_cmp_ne_u16_e64 s4, v40, v15
	v_cndmask_b32_e64 v34, 0, 1, s1
	v_cmp_gt_u32_e64 s1, s18, v4
	s_and_b32 s0, vcc_lo, s0
	v_cmp_gt_u32_e32 vcc_lo, s18, v7
	v_cndmask_b32_e64 v9, 0, 1, s0
	v_cmp_ne_u16_e64 s0, v14, v40
	s_and_b32 s1, s1, s4
	v_cmp_ne_u16_e64 s4, v13, v41
	v_cndmask_b32_e64 v17, 0, 1, s1
	v_cmp_gt_u32_e64 s1, s18, v3
	;; [unrolled: 8-line block ×3, first 2 shown]
	s_and_b32 s0, vcc_lo, s0
	v_lshlrev_b16 v18, 8, v18
	v_cndmask_b32_e64 v32, 0, 1, s0
	v_lshlrev_b16 v31, 8, v31
	s_and_b32 s0, s1, s4
	v_lshlrev_b16 v9, 8, v9
	v_cndmask_b32_e64 v44, 0, 1, s0
	s_and_b32 s0, s5, s6
	v_or_b32_e32 v18, v32, v18
	v_cndmask_b32_e64 v46, 0, 1, s0
	v_or_b32_e32 v9, v17, v9
	v_or_b32_e32 v31, v44, v31
	v_cmp_gt_u32_e32 vcc_lo, s18, v33
	v_cmp_ne_u16_e64 s0, v39, v37
	v_lshlrev_b16 v44, 8, v46
	v_and_b32_e32 v18, 0xffff, v18
	v_lshlrev_b32_e32 v17, 16, v31
	v_lshlrev_b32_e32 v9, 16, v9
	s_and_b32 s0, vcc_lo, s0
	v_and_b32_e32 v31, 0xffff, v44
	v_cndmask_b32_e64 v44, 0, 1, s0
	v_cmp_gt_u32_e32 vcc_lo, s18, v1
	s_waitcnt lgkmcnt(0)
	v_cmp_ne_u16_e64 s0, v16, v12
	v_or_b32_e32 v32, v18, v9
	v_or_b32_e32 v31, v31, v17
	s_delay_alu instid0(VALU_DEP_3)
	s_and_b32 s0, vcc_lo, s0
.LBB915_67:
	s_mov_b32 s21, -1
	s_cbranch_execnz .LBB915_62
.LBB915_68:
	v_mad_i32_i24 v9, 0xffffffd6, v0, v43
	s_and_b32 vcc_lo, exec_lo, s10
	v_cmp_ne_u16_e64 s0, v36, v35
	v_cmp_ne_u16_e64 s9, v37, v36
	;; [unrolled: 1-line block ×10, first 2 shown]
	ds_store_b16 v9, v35
	s_cbranch_vccz .LBB915_72
; %bb.69:
	s_waitcnt vmcnt(0) lgkmcnt(2)
	v_cndmask_b32_e64 v16, 0, 1, s11
	v_cndmask_b32_e64 v34, 0, 1, s9
	v_cndmask_b32_e64 v17, 0, 1, s5
	v_cndmask_b32_e64 v31, 0, 1, s7
	v_cndmask_b32_e64 v32, 0, 1, s8
	v_lshlrev_b16 v16, 8, v16
	v_cndmask_b32_e64 v46, 0, 1, s4
	v_cndmask_b32_e64 v44, 0, 1, s10
	;; [unrolled: 1-line block ×4, first 2 shown]
	v_lshlrev_b16 v17, 8, v17
	v_lshlrev_b16 v47, 8, v34
	v_or_b32_e32 v16, v31, v16
	v_lshlrev_b16 v31, 8, v32
	v_lshlrev_b16 v32, 8, v46
	v_or_b32_e32 v17, v18, v17
	v_or_b32_e32 v18, v44, v47
	v_and_b32_e32 v16, 0xffff, v16
	v_or_b32_e32 v31, v45, v31
	v_or_b32_e32 v32, 1, v32
	v_lshlrev_b32_e32 v17, 16, v17
	v_and_b32_e32 v18, 0xffff, v18
	v_cndmask_b32_e64 v45, 0, 1, s0
	v_lshlrev_b32_e32 v31, 16, v31
	v_and_b32_e32 v46, 0xffff, v32
	v_or_b32_e32 v32, v16, v17
	s_waitcnt lgkmcnt(0)
	v_lshl_or_b32 v18, v45, 16, v18
	s_barrier
	v_or_b32_e32 v31, v46, v31
	buffer_gl0_inv
                                        ; implicit-def: $sgpr0
	s_and_saveexec_b32 s1, s3
	s_delay_alu instid0(SALU_CYCLE_1)
	s_xor_b32 s1, exec_lo, s1
	s_cbranch_execz .LBB915_71
; %bb.70:
	v_add_nc_u32_e32 v16, -2, v9
	s_or_b32 s21, s21, exec_lo
	ds_load_u16 v16, v16
	s_waitcnt lgkmcnt(0)
	v_cmp_ne_u16_e32 vcc_lo, v16, v12
                                        ; implicit-def: $vgpr16_vgpr17_vgpr18
	s_and_b32 s0, vcc_lo, exec_lo
.LBB915_71:
	s_or_b32 exec_lo, exec_lo, s1
	s_branch .LBB915_75
.LBB915_72:
                                        ; implicit-def: $sgpr0
                                        ; implicit-def: $vgpr45
                                        ; implicit-def: $vgpr34
                                        ; implicit-def: $vgpr44
                                        ; implicit-def: $vgpr32
                                        ; implicit-def: $vgpr16_vgpr17_vgpr18
	s_cbranch_execz .LBB915_75
; %bb.73:
	v_cmp_gt_u32_e32 vcc_lo, s18, v11
	v_cmp_ne_u16_e64 s0, v37, v36
	v_cmp_gt_u32_e64 s5, s18, v33
	v_cmp_ne_u16_e64 s6, v39, v37
	v_cmp_gt_u32_e64 s1, s18, v10
	v_cmp_ne_u16_e64 s4, v36, v35
	s_and_b32 s0, vcc_lo, s0
	v_cmp_gt_u32_e32 vcc_lo, s18, v2
	v_cndmask_b32_e64 v34, 0, 1, s0
	v_cmp_ne_u16_e64 s0, v15, v39
	s_and_b32 s5, s5, s6
	v_cmp_ne_u16_e64 s6, v40, v15
	v_cndmask_b32_e64 v44, 0, 1, s5
	v_cmp_gt_u32_e64 s5, s18, v4
	s_and_b32 s0, vcc_lo, s0
	v_cmp_gt_u32_e32 vcc_lo, s18, v7
	s_waitcnt vmcnt(0) lgkmcnt(2)
	v_cndmask_b32_e64 v16, 0, 1, s0
	v_cmp_ne_u16_e64 s0, v14, v40
	s_and_b32 s5, s5, s6
	v_cmp_ne_u16_e64 s6, v41, v14
	v_cndmask_b32_e64 v17, 0, 1, s5
	v_cmp_gt_u32_e64 s5, s18, v8
	s_and_b32 s0, vcc_lo, s0
	v_cmp_gt_u32_e32 vcc_lo, s18, v3
	v_cndmask_b32_e64 v18, 0, 1, s0
	v_cmp_ne_u16_e64 s0, v13, v41
	s_and_b32 s5, s5, s6
	v_cmp_ne_u16_e64 s6, v42, v13
	v_cndmask_b32_e64 v31, 0, 1, s5
	v_cmp_gt_u32_e64 s5, s18, v6
	s_and_b32 s0, vcc_lo, s0
	v_cmp_gt_u32_e32 vcc_lo, s18, v5
	v_cndmask_b32_e64 v32, 0, 1, s0
	v_cmp_ne_u16_e64 s0, v12, v42
	v_lshlrev_b16 v18, 8, v18
	v_lshlrev_b16 v16, 8, v16
	s_and_b32 s5, s5, s6
	v_lshlrev_b16 v47, 8, v34
	s_and_b32 s0, vcc_lo, s0
	v_cndmask_b32_e64 v45, 0, 1, s5
	v_cndmask_b32_e64 v46, 0, 1, s0
	v_or_b32_e32 v18, v31, v18
	v_or_b32_e32 v16, v17, v16
	v_lshlrev_b16 v17, 8, v32
	v_or_b32_e32 v32, v44, v47
	v_lshlrev_b16 v31, 8, v46
	s_and_b32 s0, s1, s4
	v_and_b32_e32 v18, 0xffff, v18
	v_or_b32_e32 v17, v45, v17
	v_lshlrev_b32_e32 v16, 16, v16
	v_or_b32_e32 v31, 1, v31
	v_and_b32_e32 v46, 0xffff, v32
	v_cndmask_b32_e64 v45, 0, 1, s0
	v_lshlrev_b32_e32 v17, 16, v17
	v_or_b32_e32 v32, v18, v16
	v_and_b32_e32 v31, 0xffff, v31
	s_waitcnt lgkmcnt(0)
	v_lshl_or_b32 v18, v45, 16, v46
	s_barrier
	buffer_gl0_inv
	v_or_b32_e32 v31, v31, v17
                                        ; implicit-def: $sgpr0
	s_and_saveexec_b32 s1, s3
	s_cbranch_execz .LBB915_166
; %bb.74:
	v_add_nc_u32_e32 v9, -2, v9
	v_cmp_gt_u32_e32 vcc_lo, s18, v1
	s_or_b32 s21, s21, exec_lo
                                        ; implicit-def: $vgpr16_vgpr17_vgpr18
	ds_load_u16 v9, v9
	s_waitcnt lgkmcnt(0)
	v_cmp_ne_u16_e64 s0, v9, v12
	s_delay_alu instid0(VALU_DEP_1) | instskip(NEXT) | instid1(SALU_CYCLE_1)
	s_and_b32 s0, vcc_lo, s0
	s_and_b32 s0, s0, exec_lo
	s_or_b32 exec_lo, exec_lo, s1
.LBB915_75:
	s_and_saveexec_b32 s1, s21
	s_cbranch_execz .LBB915_77
.LBB915_76:
	s_waitcnt vmcnt(0) lgkmcnt(1)
	v_lshrrev_b32_e32 v16, 24, v31
	v_lshrrev_b32_e32 v17, 16, v31
	;; [unrolled: 1-line block ×3, first 2 shown]
	v_cndmask_b32_e64 v9, 0, 1, s0
	v_lshlrev_b16 v31, 8, v34
	v_and_b32_e32 v34, 0xff, v44
	v_lshlrev_b16 v16, 8, v16
	v_and_b32_e32 v17, 0xff, v17
	;; [unrolled: 2-line block ×3, first 2 shown]
	v_or_b32_e32 v31, v34, v31
	s_delay_alu instid0(VALU_DEP_4) | instskip(NEXT) | instid1(VALU_DEP_4)
	v_or_b32_e32 v16, v17, v16
	v_or_b32_e32 v9, v9, v18
	s_delay_alu instid0(VALU_DEP_4) | instskip(NEXT) | instid1(VALU_DEP_4)
	v_lshlrev_b32_e32 v17, 16, v44
	v_and_b32_e32 v18, 0xffff, v31
	s_delay_alu instid0(VALU_DEP_4) | instskip(NEXT) | instid1(VALU_DEP_4)
	v_lshlrev_b32_e32 v16, 16, v16
	v_and_b32_e32 v9, 0xffff, v9
	s_delay_alu instid0(VALU_DEP_3) | instskip(NEXT) | instid1(VALU_DEP_2)
	v_or_b32_e32 v18, v18, v17
	v_or_b32_e32 v31, v9, v16
.LBB915_77:
	s_or_b32 exec_lo, exec_lo, s1
	s_delay_alu instid0(SALU_CYCLE_1)
	s_and_not1_b32 vcc_lo, exec_lo, s19
	s_cbranch_vccnz .LBB915_79
; %bb.78:
	v_cmp_gt_u32_e32 vcc_lo, s18, v1
	v_cmp_gt_u32_e64 s0, s18, v5
	v_and_b32_e32 v5, 0xffffff00, v32
	v_cmp_gt_u32_e64 s3, s18, v6
	v_cmp_gt_u32_e64 s5, s18, v3
	v_cndmask_b32_e32 v1, 0, v31, vcc_lo
	v_cmp_gt_u32_e32 vcc_lo, s18, v33
	v_cmp_gt_u32_e64 s1, s18, v11
	v_cmp_gt_u32_e64 s4, s18, v10
	s_delay_alu instid0(VALU_DEP_4) | instskip(NEXT) | instid1(VALU_DEP_1)
	v_and_b32_e32 v1, 0xff, v1
	v_cndmask_b32_e64 v1, v1, v31, s0
	v_cmp_gt_u32_e64 s0, s18, v8
	s_delay_alu instid0(VALU_DEP_2) | instskip(NEXT) | instid1(VALU_DEP_2)
	v_and_b32_e32 v1, 0xffff, v1
	v_cndmask_b32_e64 v5, v5, v32, s0
	s_delay_alu instid0(VALU_DEP_2) | instskip(NEXT) | instid1(VALU_DEP_2)
	v_cndmask_b32_e64 v1, v1, v31, s3
	v_and_b32_e32 v5, 0xffff00ff, v5
	v_cmp_gt_u32_e64 s3, s18, v7
	s_delay_alu instid0(VALU_DEP_3) | instskip(NEXT) | instid1(VALU_DEP_2)
	v_and_b32_e32 v1, 0xffffff, v1
	v_cndmask_b32_e64 v5, v5, v32, s3
	s_delay_alu instid0(VALU_DEP_2) | instskip(NEXT) | instid1(VALU_DEP_2)
	v_cndmask_b32_e64 v1, v1, v31, s5
	v_and_b32_e32 v3, 0xff00ffff, v5
	s_delay_alu instid0(VALU_DEP_2) | instskip(SKIP_1) | instid1(VALU_DEP_2)
	v_cndmask_b32_e64 v1, v1, v31, s0
	v_cmp_gt_u32_e64 s0, s18, v4
	v_cndmask_b32_e64 v1, v1, v31, s3
	s_delay_alu instid0(VALU_DEP_2) | instskip(SKIP_1) | instid1(VALU_DEP_3)
	v_cndmask_b32_e64 v3, v3, v32, s0
	v_cmp_gt_u32_e64 s3, s18, v2
	v_cndmask_b32_e64 v1, v1, v31, s0
	s_delay_alu instid0(VALU_DEP_3) | instskip(SKIP_1) | instid1(VALU_DEP_1)
	v_and_b32_e32 v2, 0xffffff, v3
	v_and_b32_e32 v9, 0xff000000, v18
	v_cndmask_b32_e32 v9, v9, v18, vcc_lo
	s_delay_alu instid0(VALU_DEP_1) | instskip(NEXT) | instid1(VALU_DEP_1)
	v_and_b32_e32 v9, 0xff0000ff, v9
	v_cndmask_b32_e64 v8, v9, v18, s1
	s_or_b32 s1, s4, s1
	s_delay_alu instid0(SALU_CYCLE_1) | instskip(NEXT) | instid1(VALU_DEP_1)
	s_or_b32 s0, s1, vcc_lo
	v_and_b32_e32 v6, 0xff00ffff, v8
	s_or_b32 vcc_lo, s0, s3
	v_dual_cndmask_b32 v32, v2, v32 :: v_dual_cndmask_b32 v1, v1, v31
	s_delay_alu instid0(VALU_DEP_2) | instskip(NEXT) | instid1(VALU_DEP_2)
	v_cndmask_b32_e64 v6, v6, v18, s4
	v_perm_b32 v31, v1, v1, 0x3020104
	s_delay_alu instid0(VALU_DEP_2) | instskip(SKIP_1) | instid1(VALU_DEP_2)
	v_lshrrev_b32_e32 v5, 8, v6
	v_and_b32_e32 v4, 0xff, v6
	v_lshlrev_b16 v5, 8, v5
	s_delay_alu instid0(VALU_DEP_1) | instskip(NEXT) | instid1(VALU_DEP_1)
	v_or_b32_e32 v3, v4, v5
	v_and_b32_e32 v2, 0xffff, v3
	s_delay_alu instid0(VALU_DEP_1)
	v_and_or_b32 v18, 0xff0000, v6, v2
.LBB915_79:
	s_delay_alu instid0(VALU_DEP_1)
	v_and_b32_e32 v45, 0xff, v31
	v_bfe_u32 v46, v31, 8, 8
	v_alignbit_b32 v1, v32, v31, 24
	v_bfe_u32 v47, v31, 16, 8
	v_and_b32_e32 v48, 0xff, v32
	v_bfe_u32 v50, v32, 8, 8
	v_bfe_u32 v51, v32, 16, 8
	v_and_b32_e32 v49, 0xff, v1
	v_add3_u32 v1, v46, v45, v47
	v_lshrrev_b32_e32 v44, 24, v32
	v_mbcnt_lo_u32_b32 v54, -1, 0
	v_and_b32_e32 v52, 0xff, v18
	v_bfe_u32 v53, v18, 8, 8
	v_add3_u32 v1, v1, v49, v48
	v_bfe_u32 v3, v18, 16, 8
	v_and_b32_e32 v2, 15, v54
	v_or_b32_e32 v4, 31, v0
	v_and_b32_e32 v5, 16, v54
	v_add3_u32 v1, v1, v50, v51
	v_lshrrev_b32_e32 v55, 5, v0
	v_cmp_eq_u32_e64 s6, 0, v2
	v_cmp_lt_u32_e64 s5, 1, v2
	v_cmp_lt_u32_e64 s4, 3, v2
	v_add3_u32 v1, v1, v44, v52
	v_cmp_lt_u32_e64 s3, 7, v2
	v_cmp_eq_u32_e64 s1, 0, v5
	v_cmp_eq_u32_e64 s0, v4, v0
	s_and_b32 vcc_lo, exec_lo, s20
	v_add3_u32 v56, v1, v53, v3
	s_mov_b32 s7, -1
	s_waitcnt vmcnt(0) lgkmcnt(0)
	s_barrier
	buffer_gl0_inv
	s_cbranch_vccz .LBB915_105
; %bb.80:
	v_mov_b32_dpp v1, v56 row_shr:1 row_mask:0xf bank_mask:0xf
	s_delay_alu instid0(VALU_DEP_1) | instskip(NEXT) | instid1(VALU_DEP_1)
	v_cndmask_b32_e64 v1, v1, 0, s6
	v_add_nc_u32_e32 v1, v1, v56
	s_delay_alu instid0(VALU_DEP_1) | instskip(NEXT) | instid1(VALU_DEP_1)
	v_mov_b32_dpp v2, v1 row_shr:2 row_mask:0xf bank_mask:0xf
	v_cndmask_b32_e64 v2, 0, v2, s5
	s_delay_alu instid0(VALU_DEP_1) | instskip(NEXT) | instid1(VALU_DEP_1)
	v_add_nc_u32_e32 v1, v1, v2
	v_mov_b32_dpp v2, v1 row_shr:4 row_mask:0xf bank_mask:0xf
	s_delay_alu instid0(VALU_DEP_1) | instskip(NEXT) | instid1(VALU_DEP_1)
	v_cndmask_b32_e64 v2, 0, v2, s4
	v_add_nc_u32_e32 v1, v1, v2
	s_delay_alu instid0(VALU_DEP_1) | instskip(NEXT) | instid1(VALU_DEP_1)
	v_mov_b32_dpp v2, v1 row_shr:8 row_mask:0xf bank_mask:0xf
	v_cndmask_b32_e64 v2, 0, v2, s3
	s_delay_alu instid0(VALU_DEP_1) | instskip(SKIP_3) | instid1(VALU_DEP_1)
	v_add_nc_u32_e32 v1, v1, v2
	ds_swizzle_b32 v2, v1 offset:swizzle(BROADCAST,32,15)
	s_waitcnt lgkmcnt(0)
	v_cndmask_b32_e64 v2, v2, 0, s1
	v_add_nc_u32_e32 v1, v1, v2
	s_and_saveexec_b32 s7, s0
	s_cbranch_execz .LBB915_82
; %bb.81:
	v_lshlrev_b32_e32 v2, 2, v55
	ds_store_b32 v2, v1
.LBB915_82:
	s_or_b32 exec_lo, exec_lo, s7
	s_delay_alu instid0(SALU_CYCLE_1)
	s_mov_b32 s7, exec_lo
	s_waitcnt lgkmcnt(0)
	s_barrier
	buffer_gl0_inv
	v_cmpx_gt_u32_e32 4, v0
	s_cbranch_execz .LBB915_84
; %bb.83:
	v_and_b32_e32 v4, 3, v54
	s_delay_alu instid0(VALU_DEP_1) | instskip(SKIP_4) | instid1(VALU_DEP_1)
	v_cmp_ne_u32_e32 vcc_lo, 0, v4
	v_lshlrev_b32_e32 v2, 2, v0
	ds_load_b32 v3, v2
	s_waitcnt lgkmcnt(0)
	v_mov_b32_dpp v5, v3 row_shr:1 row_mask:0xf bank_mask:0xf
	v_cndmask_b32_e32 v5, 0, v5, vcc_lo
	v_cmp_lt_u32_e32 vcc_lo, 1, v4
	s_delay_alu instid0(VALU_DEP_2) | instskip(NEXT) | instid1(VALU_DEP_1)
	v_add_nc_u32_e32 v3, v5, v3
	v_mov_b32_dpp v5, v3 row_shr:2 row_mask:0xf bank_mask:0xf
	s_delay_alu instid0(VALU_DEP_1) | instskip(NEXT) | instid1(VALU_DEP_1)
	v_cndmask_b32_e32 v4, 0, v5, vcc_lo
	v_add_nc_u32_e32 v3, v3, v4
	ds_store_b32 v2, v3
.LBB915_84:
	s_or_b32 exec_lo, exec_lo, s7
	v_cmp_gt_u32_e32 vcc_lo, 32, v0
	s_mov_b32 s8, exec_lo
	s_waitcnt lgkmcnt(0)
	s_barrier
	buffer_gl0_inv
                                        ; implicit-def: $vgpr9
	v_cmpx_lt_u32_e32 31, v0
	s_cbranch_execz .LBB915_86
; %bb.85:
	v_lshl_add_u32 v2, v55, 2, -4
	ds_load_b32 v9, v2
	s_waitcnt lgkmcnt(0)
	v_add_nc_u32_e32 v1, v9, v1
.LBB915_86:
	s_or_b32 exec_lo, exec_lo, s8
	v_add_nc_u32_e32 v2, -1, v54
	s_delay_alu instid0(VALU_DEP_1) | instskip(NEXT) | instid1(VALU_DEP_1)
	v_cmp_gt_i32_e64 s7, 0, v2
	v_cndmask_b32_e64 v2, v2, v54, s7
	v_cmp_eq_u32_e64 s7, 0, v54
	s_delay_alu instid0(VALU_DEP_2)
	v_lshlrev_b32_e32 v2, 2, v2
	ds_bpermute_b32 v10, v2, v1
	s_and_saveexec_b32 s8, vcc_lo
	s_cbranch_execz .LBB915_104
; %bb.87:
	v_mov_b32_e32 v5, 0
	ds_load_b32 v1, v5 offset:12
	s_and_saveexec_b32 s9, s7
	s_cbranch_execz .LBB915_89
; %bb.88:
	s_add_i32 s10, s15, 32
	s_mov_b32 s11, 0
	v_mov_b32_e32 v2, 1
	s_lshl_b64 s[10:11], s[10:11], 3
	s_delay_alu instid0(SALU_CYCLE_1)
	s_add_u32 s10, s16, s10
	s_addc_u32 s11, s17, s11
	s_waitcnt lgkmcnt(0)
	global_store_b64 v5, v[1:2], s[10:11]
.LBB915_89:
	s_or_b32 exec_lo, exec_lo, s9
	v_xad_u32 v3, v54, -1, s15
	s_mov_b32 s10, 0
	s_mov_b32 s9, exec_lo
	s_delay_alu instid0(VALU_DEP_1) | instskip(NEXT) | instid1(VALU_DEP_1)
	v_add_nc_u32_e32 v4, 32, v3
	v_lshlrev_b64 v[4:5], 3, v[4:5]
	s_delay_alu instid0(VALU_DEP_1) | instskip(NEXT) | instid1(VALU_DEP_2)
	v_add_co_u32 v7, vcc_lo, s16, v4
	v_add_co_ci_u32_e32 v8, vcc_lo, s17, v5, vcc_lo
	global_load_b64 v[5:6], v[7:8], off glc
	s_waitcnt vmcnt(0)
	v_and_b32_e32 v2, 0xff, v6
	s_delay_alu instid0(VALU_DEP_1)
	v_cmpx_eq_u16_e32 0, v2
	s_cbranch_execz .LBB915_92
.LBB915_90:                             ; =>This Inner Loop Header: Depth=1
	global_load_b64 v[5:6], v[7:8], off glc
	s_waitcnt vmcnt(0)
	v_and_b32_e32 v2, 0xff, v6
	s_delay_alu instid0(VALU_DEP_1) | instskip(SKIP_1) | instid1(SALU_CYCLE_1)
	v_cmp_ne_u16_e32 vcc_lo, 0, v2
	s_or_b32 s10, vcc_lo, s10
	s_and_not1_b32 exec_lo, exec_lo, s10
	s_cbranch_execnz .LBB915_90
; %bb.91:
	s_or_b32 exec_lo, exec_lo, s10
.LBB915_92:
	s_delay_alu instid0(SALU_CYCLE_1)
	s_or_b32 exec_lo, exec_lo, s9
	v_cmp_ne_u32_e32 vcc_lo, 31, v54
	v_lshlrev_b32_e64 v16, v54, -1
	v_add_nc_u32_e32 v33, 2, v54
	v_add_nc_u32_e32 v57, 4, v54
	;; [unrolled: 1-line block ×3, first 2 shown]
	v_add_co_ci_u32_e32 v2, vcc_lo, 0, v54, vcc_lo
	v_add_nc_u32_e32 v61, 16, v54
	s_delay_alu instid0(VALU_DEP_2)
	v_lshlrev_b32_e32 v11, 2, v2
	v_and_b32_e32 v2, 0xff, v6
	ds_bpermute_b32 v4, v11, v5
	v_cmp_eq_u16_e32 vcc_lo, 2, v2
	v_and_or_b32 v2, vcc_lo, v16, 0x80000000
	v_cmp_gt_u32_e32 vcc_lo, 30, v54
	s_delay_alu instid0(VALU_DEP_2) | instskip(SKIP_1) | instid1(VALU_DEP_2)
	v_ctz_i32_b32_e32 v2, v2
	v_cndmask_b32_e64 v7, 0, 1, vcc_lo
	v_cmp_lt_u32_e32 vcc_lo, v54, v2
	s_waitcnt lgkmcnt(0)
	s_delay_alu instid0(VALU_DEP_2) | instskip(NEXT) | instid1(VALU_DEP_1)
	v_dual_cndmask_b32 v4, 0, v4 :: v_dual_lshlrev_b32 v7, 1, v7
	v_add_lshl_u32 v17, v7, v54, 2
	v_cmp_gt_u32_e32 vcc_lo, 28, v54
	s_delay_alu instid0(VALU_DEP_3) | instskip(SKIP_4) | instid1(VALU_DEP_1)
	v_add_nc_u32_e32 v4, v4, v5
	v_cndmask_b32_e64 v7, 0, 1, vcc_lo
	v_cmp_le_u32_e32 vcc_lo, v33, v2
	ds_bpermute_b32 v5, v17, v4
	v_lshlrev_b32_e32 v7, 2, v7
	v_add_lshl_u32 v34, v7, v54, 2
	s_waitcnt lgkmcnt(0)
	v_cndmask_b32_e32 v5, 0, v5, vcc_lo
	v_cmp_gt_u32_e32 vcc_lo, 24, v54
	s_delay_alu instid0(VALU_DEP_2) | instskip(SKIP_4) | instid1(VALU_DEP_1)
	v_add_nc_u32_e32 v4, v4, v5
	v_cndmask_b32_e64 v7, 0, 1, vcc_lo
	v_cmp_le_u32_e32 vcc_lo, v57, v2
	ds_bpermute_b32 v5, v34, v4
	v_lshlrev_b32_e32 v7, 3, v7
	v_add_lshl_u32 v58, v7, v54, 2
	s_waitcnt lgkmcnt(0)
	v_cndmask_b32_e32 v5, 0, v5, vcc_lo
	v_cmp_gt_u32_e32 vcc_lo, 16, v54
	s_delay_alu instid0(VALU_DEP_2) | instskip(SKIP_4) | instid1(VALU_DEP_1)
	v_add_nc_u32_e32 v4, v4, v5
	v_cndmask_b32_e64 v7, 0, 1, vcc_lo
	v_cmp_le_u32_e32 vcc_lo, v59, v2
	ds_bpermute_b32 v5, v58, v4
	v_lshlrev_b32_e32 v7, 4, v7
	v_add_lshl_u32 v60, v7, v54, 2
	s_waitcnt lgkmcnt(0)
	v_cndmask_b32_e32 v5, 0, v5, vcc_lo
	v_cmp_le_u32_e32 vcc_lo, v61, v2
	s_delay_alu instid0(VALU_DEP_2) | instskip(SKIP_3) | instid1(VALU_DEP_1)
	v_add_nc_u32_e32 v4, v4, v5
	ds_bpermute_b32 v5, v60, v4
	s_waitcnt lgkmcnt(0)
	v_cndmask_b32_e32 v2, 0, v5, vcc_lo
	v_dual_mov_b32 v4, 0 :: v_dual_add_nc_u32 v5, v4, v2
	s_branch .LBB915_94
.LBB915_93:                             ;   in Loop: Header=BB915_94 Depth=1
	s_or_b32 exec_lo, exec_lo, s9
	ds_bpermute_b32 v8, v11, v5
	v_and_b32_e32 v7, 0xff, v6
	v_subrev_nc_u32_e32 v3, 32, v3
	s_delay_alu instid0(VALU_DEP_2) | instskip(SKIP_1) | instid1(VALU_DEP_1)
	v_cmp_eq_u16_e32 vcc_lo, 2, v7
	v_and_or_b32 v7, vcc_lo, v16, 0x80000000
	v_ctz_i32_b32_e32 v7, v7
	s_delay_alu instid0(VALU_DEP_1) | instskip(SKIP_3) | instid1(VALU_DEP_2)
	v_cmp_lt_u32_e32 vcc_lo, v54, v7
	s_waitcnt lgkmcnt(0)
	v_cndmask_b32_e32 v8, 0, v8, vcc_lo
	v_cmp_le_u32_e32 vcc_lo, v33, v7
	v_add_nc_u32_e32 v5, v8, v5
	ds_bpermute_b32 v8, v17, v5
	s_waitcnt lgkmcnt(0)
	v_cndmask_b32_e32 v8, 0, v8, vcc_lo
	v_cmp_le_u32_e32 vcc_lo, v57, v7
	s_delay_alu instid0(VALU_DEP_2) | instskip(SKIP_4) | instid1(VALU_DEP_2)
	v_add_nc_u32_e32 v5, v5, v8
	ds_bpermute_b32 v8, v34, v5
	s_waitcnt lgkmcnt(0)
	v_cndmask_b32_e32 v8, 0, v8, vcc_lo
	v_cmp_le_u32_e32 vcc_lo, v59, v7
	v_add_nc_u32_e32 v5, v5, v8
	ds_bpermute_b32 v8, v58, v5
	s_waitcnt lgkmcnt(0)
	v_cndmask_b32_e32 v8, 0, v8, vcc_lo
	v_cmp_le_u32_e32 vcc_lo, v61, v7
	s_delay_alu instid0(VALU_DEP_2) | instskip(SKIP_3) | instid1(VALU_DEP_1)
	v_add_nc_u32_e32 v5, v5, v8
	ds_bpermute_b32 v8, v60, v5
	s_waitcnt lgkmcnt(0)
	v_cndmask_b32_e32 v7, 0, v8, vcc_lo
	v_add3_u32 v5, v7, v2, v5
.LBB915_94:                             ; =>This Loop Header: Depth=1
                                        ;     Child Loop BB915_97 Depth 2
	v_and_b32_e32 v2, 0xff, v6
	s_delay_alu instid0(VALU_DEP_1) | instskip(SKIP_2) | instid1(VALU_DEP_1)
	v_cmp_ne_u16_e32 vcc_lo, 2, v2
	v_cndmask_b32_e64 v2, 0, 1, vcc_lo
	;;#ASMSTART
	;;#ASMEND
	v_cmp_ne_u32_e32 vcc_lo, 0, v2
	v_mov_b32_e32 v2, v5
	s_cmp_lg_u32 vcc_lo, exec_lo
	s_cbranch_scc1 .LBB915_99
; %bb.95:                               ;   in Loop: Header=BB915_94 Depth=1
	v_lshlrev_b64 v[5:6], 3, v[3:4]
	s_mov_b32 s9, exec_lo
	s_delay_alu instid0(VALU_DEP_1) | instskip(NEXT) | instid1(VALU_DEP_2)
	v_add_co_u32 v7, vcc_lo, s16, v5
	v_add_co_ci_u32_e32 v8, vcc_lo, s17, v6, vcc_lo
	global_load_b64 v[5:6], v[7:8], off glc
	s_waitcnt vmcnt(0)
	v_and_b32_e32 v62, 0xff, v6
	s_delay_alu instid0(VALU_DEP_1)
	v_cmpx_eq_u16_e32 0, v62
	s_cbranch_execz .LBB915_93
; %bb.96:                               ;   in Loop: Header=BB915_94 Depth=1
	s_mov_b32 s10, 0
.LBB915_97:                             ;   Parent Loop BB915_94 Depth=1
                                        ; =>  This Inner Loop Header: Depth=2
	global_load_b64 v[5:6], v[7:8], off glc
	s_waitcnt vmcnt(0)
	v_and_b32_e32 v62, 0xff, v6
	s_delay_alu instid0(VALU_DEP_1) | instskip(SKIP_1) | instid1(SALU_CYCLE_1)
	v_cmp_ne_u16_e32 vcc_lo, 0, v62
	s_or_b32 s10, vcc_lo, s10
	s_and_not1_b32 exec_lo, exec_lo, s10
	s_cbranch_execnz .LBB915_97
; %bb.98:                               ;   in Loop: Header=BB915_94 Depth=1
	s_or_b32 exec_lo, exec_lo, s10
	s_branch .LBB915_93
.LBB915_99:                             ;   in Loop: Header=BB915_94 Depth=1
                                        ; implicit-def: $vgpr5
                                        ; implicit-def: $vgpr6
	s_cbranch_execz .LBB915_94
; %bb.100:
	s_and_saveexec_b32 s9, s7
	s_cbranch_execz .LBB915_102
; %bb.101:
	s_add_i32 s10, s15, 32
	s_mov_b32 s11, 0
	v_dual_mov_b32 v4, 2 :: v_dual_add_nc_u32 v3, v2, v1
	s_lshl_b64 s[10:11], s[10:11], 3
	v_mov_b32_e32 v5, 0
	s_add_u32 s10, s16, s10
	s_addc_u32 s11, s17, s11
	global_store_b64 v5, v[3:4], s[10:11]
	ds_store_b64 v5, v[1:2] offset:5632
.LBB915_102:
	s_or_b32 exec_lo, exec_lo, s9
	s_delay_alu instid0(SALU_CYCLE_1)
	s_and_b32 exec_lo, exec_lo, s2
	s_cbranch_execz .LBB915_104
; %bb.103:
	v_mov_b32_e32 v1, 0
	ds_store_b32 v1, v2 offset:12
.LBB915_104:
	s_or_b32 exec_lo, exec_lo, s8
	v_mov_b32_e32 v11, 0
	s_waitcnt lgkmcnt(0)
	s_waitcnt_vscnt null, 0x0
	s_barrier
	buffer_gl0_inv
	v_cndmask_b32_e64 v2, v10, v9, s7
	ds_load_b32 v1, v11 offset:12
	s_waitcnt lgkmcnt(0)
	s_barrier
	buffer_gl0_inv
	v_cndmask_b32_e64 v2, v2, 0, s2
	s_delay_alu instid0(VALU_DEP_1) | instskip(NEXT) | instid1(VALU_DEP_1)
	v_add_nc_u32_e32 v1, v1, v2
	v_add_nc_u32_e32 v2, v1, v45
	ds_load_b64 v[16:17], v11 offset:5632
	v_add_nc_u32_e32 v3, v2, v46
	s_delay_alu instid0(VALU_DEP_1) | instskip(NEXT) | instid1(VALU_DEP_1)
	v_add_nc_u32_e32 v4, v3, v47
	v_add_nc_u32_e32 v5, v4, v49
	s_delay_alu instid0(VALU_DEP_1) | instskip(NEXT) | instid1(VALU_DEP_1)
	v_add_nc_u32_e32 v6, v5, v48
	;; [unrolled: 3-line block ×4, first 2 shown]
	v_add_nc_u32_e32 v11, v10, v53
	v_lshrrev_b64 v[33:34], 24, v[31:32]
	s_branch .LBB915_115
.LBB915_105:
                                        ; implicit-def: $vgpr17
                                        ; implicit-def: $vgpr1_vgpr2_vgpr3_vgpr4_vgpr5_vgpr6_vgpr7_vgpr8_vgpr9_vgpr10_vgpr11
	v_lshrrev_b64 v[33:34], 24, v[31:32]
	s_and_b32 vcc_lo, exec_lo, s7
	s_cbranch_vccz .LBB915_115
; %bb.106:
	v_mov_b32_dpp v1, v56 row_shr:1 row_mask:0xf bank_mask:0xf
	s_delay_alu instid0(VALU_DEP_1) | instskip(NEXT) | instid1(VALU_DEP_1)
	v_cndmask_b32_e64 v1, v1, 0, s6
	v_add_nc_u32_e32 v1, v1, v56
	s_delay_alu instid0(VALU_DEP_1) | instskip(NEXT) | instid1(VALU_DEP_1)
	v_mov_b32_dpp v2, v1 row_shr:2 row_mask:0xf bank_mask:0xf
	v_cndmask_b32_e64 v2, 0, v2, s5
	s_delay_alu instid0(VALU_DEP_1) | instskip(NEXT) | instid1(VALU_DEP_1)
	v_add_nc_u32_e32 v1, v1, v2
	v_mov_b32_dpp v2, v1 row_shr:4 row_mask:0xf bank_mask:0xf
	s_delay_alu instid0(VALU_DEP_1) | instskip(NEXT) | instid1(VALU_DEP_1)
	v_cndmask_b32_e64 v2, 0, v2, s4
	v_add_nc_u32_e32 v1, v1, v2
	s_delay_alu instid0(VALU_DEP_1) | instskip(NEXT) | instid1(VALU_DEP_1)
	v_mov_b32_dpp v2, v1 row_shr:8 row_mask:0xf bank_mask:0xf
	v_cndmask_b32_e64 v2, 0, v2, s3
	s_delay_alu instid0(VALU_DEP_1) | instskip(SKIP_3) | instid1(VALU_DEP_1)
	v_add_nc_u32_e32 v1, v1, v2
	ds_swizzle_b32 v2, v1 offset:swizzle(BROADCAST,32,15)
	s_waitcnt lgkmcnt(0)
	v_cndmask_b32_e64 v2, v2, 0, s1
	v_add_nc_u32_e32 v1, v1, v2
	s_and_saveexec_b32 s1, s0
	s_cbranch_execz .LBB915_108
; %bb.107:
	v_lshlrev_b32_e32 v2, 2, v55
	ds_store_b32 v2, v1
.LBB915_108:
	s_or_b32 exec_lo, exec_lo, s1
	s_delay_alu instid0(SALU_CYCLE_1)
	s_mov_b32 s0, exec_lo
	s_waitcnt lgkmcnt(0)
	s_barrier
	buffer_gl0_inv
	v_cmpx_gt_u32_e32 4, v0
	s_cbranch_execz .LBB915_110
; %bb.109:
	v_mad_i32_i24 v2, 0xffffffd8, v0, v43
	ds_load_b32 v3, v2
	s_waitcnt lgkmcnt(0)
	v_mov_b32_dpp v5, v3 row_shr:1 row_mask:0xf bank_mask:0xf
	v_and_b32_e32 v4, 3, v54
	s_delay_alu instid0(VALU_DEP_1) | instskip(NEXT) | instid1(VALU_DEP_3)
	v_cmp_ne_u32_e32 vcc_lo, 0, v4
	v_cndmask_b32_e32 v5, 0, v5, vcc_lo
	v_cmp_lt_u32_e32 vcc_lo, 1, v4
	s_delay_alu instid0(VALU_DEP_2) | instskip(NEXT) | instid1(VALU_DEP_1)
	v_add_nc_u32_e32 v3, v5, v3
	v_mov_b32_dpp v5, v3 row_shr:2 row_mask:0xf bank_mask:0xf
	s_delay_alu instid0(VALU_DEP_1) | instskip(NEXT) | instid1(VALU_DEP_1)
	v_cndmask_b32_e32 v4, 0, v5, vcc_lo
	v_add_nc_u32_e32 v3, v3, v4
	ds_store_b32 v2, v3
.LBB915_110:
	s_or_b32 exec_lo, exec_lo, s0
	v_cmp_lt_u32_e32 vcc_lo, 31, v0
	v_mov_b32_e32 v2, 0
	v_mov_b32_e32 v0, 0
	s_waitcnt lgkmcnt(0)
	s_barrier
	buffer_gl0_inv
	s_and_saveexec_b32 s0, vcc_lo
	s_cbranch_execz .LBB915_112
; %bb.111:
	v_lshl_add_u32 v0, v55, 2, -4
	ds_load_b32 v0, v0
.LBB915_112:
	s_or_b32 exec_lo, exec_lo, s0
	v_add_nc_u32_e32 v3, -1, v54
	s_waitcnt lgkmcnt(0)
	v_add_nc_u32_e32 v1, v0, v1
	ds_load_b32 v16, v2 offset:12
	v_cmp_gt_i32_e32 vcc_lo, 0, v3
	v_cndmask_b32_e32 v3, v3, v54, vcc_lo
	s_delay_alu instid0(VALU_DEP_1)
	v_lshlrev_b32_e32 v3, 2, v3
	ds_bpermute_b32 v1, v3, v1
	s_and_saveexec_b32 s0, s2
	s_cbranch_execz .LBB915_114
; %bb.113:
	v_dual_mov_b32 v2, 0 :: v_dual_mov_b32 v17, 2
	s_waitcnt lgkmcnt(1)
	global_store_b64 v2, v[16:17], s[16:17] offset:256
.LBB915_114:
	s_or_b32 exec_lo, exec_lo, s0
	v_cmp_eq_u32_e32 vcc_lo, 0, v54
	s_waitcnt lgkmcnt(0)
	s_waitcnt_vscnt null, 0x0
	s_barrier
	buffer_gl0_inv
	v_dual_mov_b32 v17, 0 :: v_dual_cndmask_b32 v0, v1, v0
	s_delay_alu instid0(VALU_DEP_1) | instskip(NEXT) | instid1(VALU_DEP_1)
	v_cndmask_b32_e64 v1, v0, 0, s2
	v_add_nc_u32_e32 v2, v1, v45
	s_delay_alu instid0(VALU_DEP_1) | instskip(NEXT) | instid1(VALU_DEP_1)
	v_add_nc_u32_e32 v3, v2, v46
	v_add_nc_u32_e32 v4, v3, v47
	s_delay_alu instid0(VALU_DEP_1) | instskip(NEXT) | instid1(VALU_DEP_1)
	v_add_nc_u32_e32 v5, v4, v49
	;; [unrolled: 3-line block ×4, first 2 shown]
	v_add_nc_u32_e32 v10, v9, v52
	s_delay_alu instid0(VALU_DEP_1)
	v_add_nc_u32_e32 v11, v10, v53
.LBB915_115:
	v_lshrrev_b32_e32 v46, 16, v31
	v_lshrrev_b32_e32 v47, 8, v31
	v_and_b32_e32 v31, 1, v31
	s_waitcnt lgkmcnt(0)
	v_cmp_gt_u32_e32 vcc_lo, 0x81, v16
	v_lshrrev_b32_e32 v0, 16, v18
	v_lshrrev_b32_e32 v45, 8, v32
	;; [unrolled: 1-line block ×4, first 2 shown]
	v_cmp_lt_u32_e64 s0, 0x80, v16
	v_cmp_eq_u32_e64 s1, 1, v31
	s_cbranch_vccnz .LBB915_139
; %bb.116:
	s_delay_alu instid0(VALU_DEP_1)
	s_and_saveexec_b32 s3, s1
	s_cbranch_execz .LBB915_118
; %bb.117:
	v_sub_nc_u32_e32 v48, v1, v17
	s_delay_alu instid0(VALU_DEP_1)
	v_lshlrev_b32_e32 v48, 1, v48
	ds_store_b16 v48, v12
.LBB915_118:
	s_or_b32 exec_lo, exec_lo, s3
	v_and_b32_e32 v12, 1, v47
	s_mov_b32 s1, exec_lo
	s_delay_alu instid0(VALU_DEP_1)
	v_cmpx_eq_u32_e32 1, v12
	s_cbranch_execz .LBB915_120
; %bb.119:
	v_sub_nc_u32_e32 v12, v2, v17
	s_delay_alu instid0(VALU_DEP_1)
	v_lshlrev_b32_e32 v12, 1, v12
	ds_store_b16 v12, v42
.LBB915_120:
	s_or_b32 exec_lo, exec_lo, s1
	v_and_b32_e32 v12, 1, v46
	s_mov_b32 s1, exec_lo
	s_delay_alu instid0(VALU_DEP_1)
	v_cmpx_eq_u32_e32 1, v12
	;; [unrolled: 12-line block ×10, first 2 shown]
	s_cbranch_execz .LBB915_138
; %bb.137:
	v_sub_nc_u32_e32 v12, v11, v17
	s_delay_alu instid0(VALU_DEP_1)
	v_lshlrev_b32_e32 v12, 1, v12
	ds_store_b16 v12, v35
.LBB915_138:
	s_or_b32 exec_lo, exec_lo, s1
	s_waitcnt lgkmcnt(0)
	s_barrier
	buffer_gl0_inv
.LBB915_139:
	s_delay_alu instid0(VALU_DEP_2)
	s_and_not1_b32 vcc_lo, exec_lo, s0
	s_barrier
	buffer_gl0_inv
	s_cbranch_vccz .LBB915_142
; %bb.140:
	s_and_b32 s0, s2, s14
	s_delay_alu instid0(SALU_CYCLE_1)
	s_and_saveexec_b32 s1, s0
	s_cbranch_execnz .LBB915_165
.LBB915_141:
	s_endpgm
.LBB915_142:
	s_mov_b32 s0, exec_lo
	v_cmpx_eq_u32_e32 1, v31
	s_cbranch_execz .LBB915_144
; %bb.143:
	v_sub_nc_u32_e32 v1, v1, v17
	s_delay_alu instid0(VALU_DEP_1)
	v_lshlrev_b32_e32 v1, 2, v1
	ds_store_b32 v1, v29
.LBB915_144:
	s_or_b32 exec_lo, exec_lo, s0
	v_and_b32_e32 v1, 1, v47
	s_mov_b32 s0, exec_lo
	s_delay_alu instid0(VALU_DEP_1)
	v_cmpx_eq_u32_e32 1, v1
	s_cbranch_execz .LBB915_146
; %bb.145:
	v_sub_nc_u32_e32 v1, v2, v17
	s_delay_alu instid0(VALU_DEP_1)
	v_lshlrev_b32_e32 v1, 2, v1
	ds_store_b32 v1, v30
.LBB915_146:
	s_or_b32 exec_lo, exec_lo, s0
	v_and_b32_e32 v1, 1, v46
	s_mov_b32 s0, exec_lo
	s_delay_alu instid0(VALU_DEP_1)
	;; [unrolled: 12-line block ×10, first 2 shown]
	v_cmpx_eq_u32_e32 1, v0
	s_cbranch_execz .LBB915_164
; %bb.163:
	v_sub_nc_u32_e32 v0, v11, v17
	s_delay_alu instid0(VALU_DEP_1)
	v_lshlrev_b32_e32 v0, 2, v0
	ds_store_b32 v0, v38
.LBB915_164:
	s_or_b32 exec_lo, exec_lo, s0
	s_waitcnt lgkmcnt(0)
	s_barrier
	buffer_gl0_inv
	s_and_b32 s0, s2, s14
	s_delay_alu instid0(SALU_CYCLE_1)
	s_and_saveexec_b32 s1, s0
	s_cbranch_execz .LBB915_141
.LBB915_165:
	v_add_co_u32 v0, vcc_lo, v19, v16
	v_add_co_ci_u32_e32 v1, vcc_lo, 0, v20, vcc_lo
	v_mov_b32_e32 v2, 0
	s_delay_alu instid0(VALU_DEP_3) | instskip(NEXT) | instid1(VALU_DEP_3)
	v_add_co_u32 v0, vcc_lo, v0, v17
	v_add_co_ci_u32_e32 v1, vcc_lo, 0, v1, vcc_lo
	global_store_b64 v2, v[0:1], s[12:13]
	s_nop 0
	s_sendmsg sendmsg(MSG_DEALLOC_VGPRS)
	s_endpgm
.LBB915_166:
	s_or_b32 exec_lo, exec_lo, s1
	s_and_saveexec_b32 s1, s21
	s_cbranch_execnz .LBB915_76
	s_branch .LBB915_77
	.section	.rodata,"a",@progbits
	.p2align	6, 0x0
	.amdhsa_kernel _ZN7rocprim17ROCPRIM_400000_NS6detail17trampoline_kernelINS0_14default_configENS1_25partition_config_selectorILNS1_17partition_subalgoE9EtjbEEZZNS1_14partition_implILS5_9ELb0ES3_jN6thrust23THRUST_200600_302600_NS6detail15normal_iteratorINS9_10device_ptrItEEEENSB_INSC_IjEEEEPNS0_10empty_typeENS0_5tupleIJNS9_16discard_iteratorINS9_11use_defaultEEESH_EEENSJ_IJSM_SI_EEENS0_18inequality_wrapperINS9_8equal_toItEEEEPmJSH_EEE10hipError_tPvRmT3_T4_T5_T6_T7_T9_mT8_P12ihipStream_tbDpT10_ENKUlT_T0_E_clISt17integral_constantIbLb0EES1C_IbLb1EEEEDaS18_S19_EUlS18_E_NS1_11comp_targetILNS1_3genE9ELNS1_11target_archE1100ELNS1_3gpuE3ELNS1_3repE0EEENS1_30default_config_static_selectorELNS0_4arch9wavefront6targetE0EEEvT1_
		.amdhsa_group_segment_fixed_size 5640
		.amdhsa_private_segment_fixed_size 0
		.amdhsa_kernarg_size 144
		.amdhsa_user_sgpr_count 15
		.amdhsa_user_sgpr_dispatch_ptr 0
		.amdhsa_user_sgpr_queue_ptr 0
		.amdhsa_user_sgpr_kernarg_segment_ptr 1
		.amdhsa_user_sgpr_dispatch_id 0
		.amdhsa_user_sgpr_private_segment_size 0
		.amdhsa_wavefront_size32 1
		.amdhsa_uses_dynamic_stack 0
		.amdhsa_enable_private_segment 0
		.amdhsa_system_sgpr_workgroup_id_x 1
		.amdhsa_system_sgpr_workgroup_id_y 0
		.amdhsa_system_sgpr_workgroup_id_z 0
		.amdhsa_system_sgpr_workgroup_info 0
		.amdhsa_system_vgpr_workitem_id 0
		.amdhsa_next_free_vgpr 63
		.amdhsa_next_free_sgpr 24
		.amdhsa_reserve_vcc 1
		.amdhsa_float_round_mode_32 0
		.amdhsa_float_round_mode_16_64 0
		.amdhsa_float_denorm_mode_32 3
		.amdhsa_float_denorm_mode_16_64 3
		.amdhsa_dx10_clamp 1
		.amdhsa_ieee_mode 1
		.amdhsa_fp16_overflow 0
		.amdhsa_workgroup_processor_mode 1
		.amdhsa_memory_ordered 1
		.amdhsa_forward_progress 0
		.amdhsa_shared_vgpr_count 0
		.amdhsa_exception_fp_ieee_invalid_op 0
		.amdhsa_exception_fp_denorm_src 0
		.amdhsa_exception_fp_ieee_div_zero 0
		.amdhsa_exception_fp_ieee_overflow 0
		.amdhsa_exception_fp_ieee_underflow 0
		.amdhsa_exception_fp_ieee_inexact 0
		.amdhsa_exception_int_div_zero 0
	.end_amdhsa_kernel
	.section	.text._ZN7rocprim17ROCPRIM_400000_NS6detail17trampoline_kernelINS0_14default_configENS1_25partition_config_selectorILNS1_17partition_subalgoE9EtjbEEZZNS1_14partition_implILS5_9ELb0ES3_jN6thrust23THRUST_200600_302600_NS6detail15normal_iteratorINS9_10device_ptrItEEEENSB_INSC_IjEEEEPNS0_10empty_typeENS0_5tupleIJNS9_16discard_iteratorINS9_11use_defaultEEESH_EEENSJ_IJSM_SI_EEENS0_18inequality_wrapperINS9_8equal_toItEEEEPmJSH_EEE10hipError_tPvRmT3_T4_T5_T6_T7_T9_mT8_P12ihipStream_tbDpT10_ENKUlT_T0_E_clISt17integral_constantIbLb0EES1C_IbLb1EEEEDaS18_S19_EUlS18_E_NS1_11comp_targetILNS1_3genE9ELNS1_11target_archE1100ELNS1_3gpuE3ELNS1_3repE0EEENS1_30default_config_static_selectorELNS0_4arch9wavefront6targetE0EEEvT1_,"axG",@progbits,_ZN7rocprim17ROCPRIM_400000_NS6detail17trampoline_kernelINS0_14default_configENS1_25partition_config_selectorILNS1_17partition_subalgoE9EtjbEEZZNS1_14partition_implILS5_9ELb0ES3_jN6thrust23THRUST_200600_302600_NS6detail15normal_iteratorINS9_10device_ptrItEEEENSB_INSC_IjEEEEPNS0_10empty_typeENS0_5tupleIJNS9_16discard_iteratorINS9_11use_defaultEEESH_EEENSJ_IJSM_SI_EEENS0_18inequality_wrapperINS9_8equal_toItEEEEPmJSH_EEE10hipError_tPvRmT3_T4_T5_T6_T7_T9_mT8_P12ihipStream_tbDpT10_ENKUlT_T0_E_clISt17integral_constantIbLb0EES1C_IbLb1EEEEDaS18_S19_EUlS18_E_NS1_11comp_targetILNS1_3genE9ELNS1_11target_archE1100ELNS1_3gpuE3ELNS1_3repE0EEENS1_30default_config_static_selectorELNS0_4arch9wavefront6targetE0EEEvT1_,comdat
.Lfunc_end915:
	.size	_ZN7rocprim17ROCPRIM_400000_NS6detail17trampoline_kernelINS0_14default_configENS1_25partition_config_selectorILNS1_17partition_subalgoE9EtjbEEZZNS1_14partition_implILS5_9ELb0ES3_jN6thrust23THRUST_200600_302600_NS6detail15normal_iteratorINS9_10device_ptrItEEEENSB_INSC_IjEEEEPNS0_10empty_typeENS0_5tupleIJNS9_16discard_iteratorINS9_11use_defaultEEESH_EEENSJ_IJSM_SI_EEENS0_18inequality_wrapperINS9_8equal_toItEEEEPmJSH_EEE10hipError_tPvRmT3_T4_T5_T6_T7_T9_mT8_P12ihipStream_tbDpT10_ENKUlT_T0_E_clISt17integral_constantIbLb0EES1C_IbLb1EEEEDaS18_S19_EUlS18_E_NS1_11comp_targetILNS1_3genE9ELNS1_11target_archE1100ELNS1_3gpuE3ELNS1_3repE0EEENS1_30default_config_static_selectorELNS0_4arch9wavefront6targetE0EEEvT1_, .Lfunc_end915-_ZN7rocprim17ROCPRIM_400000_NS6detail17trampoline_kernelINS0_14default_configENS1_25partition_config_selectorILNS1_17partition_subalgoE9EtjbEEZZNS1_14partition_implILS5_9ELb0ES3_jN6thrust23THRUST_200600_302600_NS6detail15normal_iteratorINS9_10device_ptrItEEEENSB_INSC_IjEEEEPNS0_10empty_typeENS0_5tupleIJNS9_16discard_iteratorINS9_11use_defaultEEESH_EEENSJ_IJSM_SI_EEENS0_18inequality_wrapperINS9_8equal_toItEEEEPmJSH_EEE10hipError_tPvRmT3_T4_T5_T6_T7_T9_mT8_P12ihipStream_tbDpT10_ENKUlT_T0_E_clISt17integral_constantIbLb0EES1C_IbLb1EEEEDaS18_S19_EUlS18_E_NS1_11comp_targetILNS1_3genE9ELNS1_11target_archE1100ELNS1_3gpuE3ELNS1_3repE0EEENS1_30default_config_static_selectorELNS0_4arch9wavefront6targetE0EEEvT1_
                                        ; -- End function
	.section	.AMDGPU.csdata,"",@progbits
; Kernel info:
; codeLenInByte = 8156
; NumSgprs: 26
; NumVgprs: 63
; ScratchSize: 0
; MemoryBound: 0
; FloatMode: 240
; IeeeMode: 1
; LDSByteSize: 5640 bytes/workgroup (compile time only)
; SGPRBlocks: 3
; VGPRBlocks: 7
; NumSGPRsForWavesPerEU: 26
; NumVGPRsForWavesPerEU: 63
; Occupancy: 16
; WaveLimiterHint : 1
; COMPUTE_PGM_RSRC2:SCRATCH_EN: 0
; COMPUTE_PGM_RSRC2:USER_SGPR: 15
; COMPUTE_PGM_RSRC2:TRAP_HANDLER: 0
; COMPUTE_PGM_RSRC2:TGID_X_EN: 1
; COMPUTE_PGM_RSRC2:TGID_Y_EN: 0
; COMPUTE_PGM_RSRC2:TGID_Z_EN: 0
; COMPUTE_PGM_RSRC2:TIDIG_COMP_CNT: 0
	.section	.text._ZN7rocprim17ROCPRIM_400000_NS6detail17trampoline_kernelINS0_14default_configENS1_25partition_config_selectorILNS1_17partition_subalgoE9EtjbEEZZNS1_14partition_implILS5_9ELb0ES3_jN6thrust23THRUST_200600_302600_NS6detail15normal_iteratorINS9_10device_ptrItEEEENSB_INSC_IjEEEEPNS0_10empty_typeENS0_5tupleIJNS9_16discard_iteratorINS9_11use_defaultEEESH_EEENSJ_IJSM_SI_EEENS0_18inequality_wrapperINS9_8equal_toItEEEEPmJSH_EEE10hipError_tPvRmT3_T4_T5_T6_T7_T9_mT8_P12ihipStream_tbDpT10_ENKUlT_T0_E_clISt17integral_constantIbLb0EES1C_IbLb1EEEEDaS18_S19_EUlS18_E_NS1_11comp_targetILNS1_3genE8ELNS1_11target_archE1030ELNS1_3gpuE2ELNS1_3repE0EEENS1_30default_config_static_selectorELNS0_4arch9wavefront6targetE0EEEvT1_,"axG",@progbits,_ZN7rocprim17ROCPRIM_400000_NS6detail17trampoline_kernelINS0_14default_configENS1_25partition_config_selectorILNS1_17partition_subalgoE9EtjbEEZZNS1_14partition_implILS5_9ELb0ES3_jN6thrust23THRUST_200600_302600_NS6detail15normal_iteratorINS9_10device_ptrItEEEENSB_INSC_IjEEEEPNS0_10empty_typeENS0_5tupleIJNS9_16discard_iteratorINS9_11use_defaultEEESH_EEENSJ_IJSM_SI_EEENS0_18inequality_wrapperINS9_8equal_toItEEEEPmJSH_EEE10hipError_tPvRmT3_T4_T5_T6_T7_T9_mT8_P12ihipStream_tbDpT10_ENKUlT_T0_E_clISt17integral_constantIbLb0EES1C_IbLb1EEEEDaS18_S19_EUlS18_E_NS1_11comp_targetILNS1_3genE8ELNS1_11target_archE1030ELNS1_3gpuE2ELNS1_3repE0EEENS1_30default_config_static_selectorELNS0_4arch9wavefront6targetE0EEEvT1_,comdat
	.protected	_ZN7rocprim17ROCPRIM_400000_NS6detail17trampoline_kernelINS0_14default_configENS1_25partition_config_selectorILNS1_17partition_subalgoE9EtjbEEZZNS1_14partition_implILS5_9ELb0ES3_jN6thrust23THRUST_200600_302600_NS6detail15normal_iteratorINS9_10device_ptrItEEEENSB_INSC_IjEEEEPNS0_10empty_typeENS0_5tupleIJNS9_16discard_iteratorINS9_11use_defaultEEESH_EEENSJ_IJSM_SI_EEENS0_18inequality_wrapperINS9_8equal_toItEEEEPmJSH_EEE10hipError_tPvRmT3_T4_T5_T6_T7_T9_mT8_P12ihipStream_tbDpT10_ENKUlT_T0_E_clISt17integral_constantIbLb0EES1C_IbLb1EEEEDaS18_S19_EUlS18_E_NS1_11comp_targetILNS1_3genE8ELNS1_11target_archE1030ELNS1_3gpuE2ELNS1_3repE0EEENS1_30default_config_static_selectorELNS0_4arch9wavefront6targetE0EEEvT1_ ; -- Begin function _ZN7rocprim17ROCPRIM_400000_NS6detail17trampoline_kernelINS0_14default_configENS1_25partition_config_selectorILNS1_17partition_subalgoE9EtjbEEZZNS1_14partition_implILS5_9ELb0ES3_jN6thrust23THRUST_200600_302600_NS6detail15normal_iteratorINS9_10device_ptrItEEEENSB_INSC_IjEEEEPNS0_10empty_typeENS0_5tupleIJNS9_16discard_iteratorINS9_11use_defaultEEESH_EEENSJ_IJSM_SI_EEENS0_18inequality_wrapperINS9_8equal_toItEEEEPmJSH_EEE10hipError_tPvRmT3_T4_T5_T6_T7_T9_mT8_P12ihipStream_tbDpT10_ENKUlT_T0_E_clISt17integral_constantIbLb0EES1C_IbLb1EEEEDaS18_S19_EUlS18_E_NS1_11comp_targetILNS1_3genE8ELNS1_11target_archE1030ELNS1_3gpuE2ELNS1_3repE0EEENS1_30default_config_static_selectorELNS0_4arch9wavefront6targetE0EEEvT1_
	.globl	_ZN7rocprim17ROCPRIM_400000_NS6detail17trampoline_kernelINS0_14default_configENS1_25partition_config_selectorILNS1_17partition_subalgoE9EtjbEEZZNS1_14partition_implILS5_9ELb0ES3_jN6thrust23THRUST_200600_302600_NS6detail15normal_iteratorINS9_10device_ptrItEEEENSB_INSC_IjEEEEPNS0_10empty_typeENS0_5tupleIJNS9_16discard_iteratorINS9_11use_defaultEEESH_EEENSJ_IJSM_SI_EEENS0_18inequality_wrapperINS9_8equal_toItEEEEPmJSH_EEE10hipError_tPvRmT3_T4_T5_T6_T7_T9_mT8_P12ihipStream_tbDpT10_ENKUlT_T0_E_clISt17integral_constantIbLb0EES1C_IbLb1EEEEDaS18_S19_EUlS18_E_NS1_11comp_targetILNS1_3genE8ELNS1_11target_archE1030ELNS1_3gpuE2ELNS1_3repE0EEENS1_30default_config_static_selectorELNS0_4arch9wavefront6targetE0EEEvT1_
	.p2align	8
	.type	_ZN7rocprim17ROCPRIM_400000_NS6detail17trampoline_kernelINS0_14default_configENS1_25partition_config_selectorILNS1_17partition_subalgoE9EtjbEEZZNS1_14partition_implILS5_9ELb0ES3_jN6thrust23THRUST_200600_302600_NS6detail15normal_iteratorINS9_10device_ptrItEEEENSB_INSC_IjEEEEPNS0_10empty_typeENS0_5tupleIJNS9_16discard_iteratorINS9_11use_defaultEEESH_EEENSJ_IJSM_SI_EEENS0_18inequality_wrapperINS9_8equal_toItEEEEPmJSH_EEE10hipError_tPvRmT3_T4_T5_T6_T7_T9_mT8_P12ihipStream_tbDpT10_ENKUlT_T0_E_clISt17integral_constantIbLb0EES1C_IbLb1EEEEDaS18_S19_EUlS18_E_NS1_11comp_targetILNS1_3genE8ELNS1_11target_archE1030ELNS1_3gpuE2ELNS1_3repE0EEENS1_30default_config_static_selectorELNS0_4arch9wavefront6targetE0EEEvT1_,@function
_ZN7rocprim17ROCPRIM_400000_NS6detail17trampoline_kernelINS0_14default_configENS1_25partition_config_selectorILNS1_17partition_subalgoE9EtjbEEZZNS1_14partition_implILS5_9ELb0ES3_jN6thrust23THRUST_200600_302600_NS6detail15normal_iteratorINS9_10device_ptrItEEEENSB_INSC_IjEEEEPNS0_10empty_typeENS0_5tupleIJNS9_16discard_iteratorINS9_11use_defaultEEESH_EEENSJ_IJSM_SI_EEENS0_18inequality_wrapperINS9_8equal_toItEEEEPmJSH_EEE10hipError_tPvRmT3_T4_T5_T6_T7_T9_mT8_P12ihipStream_tbDpT10_ENKUlT_T0_E_clISt17integral_constantIbLb0EES1C_IbLb1EEEEDaS18_S19_EUlS18_E_NS1_11comp_targetILNS1_3genE8ELNS1_11target_archE1030ELNS1_3gpuE2ELNS1_3repE0EEENS1_30default_config_static_selectorELNS0_4arch9wavefront6targetE0EEEvT1_: ; @_ZN7rocprim17ROCPRIM_400000_NS6detail17trampoline_kernelINS0_14default_configENS1_25partition_config_selectorILNS1_17partition_subalgoE9EtjbEEZZNS1_14partition_implILS5_9ELb0ES3_jN6thrust23THRUST_200600_302600_NS6detail15normal_iteratorINS9_10device_ptrItEEEENSB_INSC_IjEEEEPNS0_10empty_typeENS0_5tupleIJNS9_16discard_iteratorINS9_11use_defaultEEESH_EEENSJ_IJSM_SI_EEENS0_18inequality_wrapperINS9_8equal_toItEEEEPmJSH_EEE10hipError_tPvRmT3_T4_T5_T6_T7_T9_mT8_P12ihipStream_tbDpT10_ENKUlT_T0_E_clISt17integral_constantIbLb0EES1C_IbLb1EEEEDaS18_S19_EUlS18_E_NS1_11comp_targetILNS1_3genE8ELNS1_11target_archE1030ELNS1_3gpuE2ELNS1_3repE0EEENS1_30default_config_static_selectorELNS0_4arch9wavefront6targetE0EEEvT1_
; %bb.0:
	.section	.rodata,"a",@progbits
	.p2align	6, 0x0
	.amdhsa_kernel _ZN7rocprim17ROCPRIM_400000_NS6detail17trampoline_kernelINS0_14default_configENS1_25partition_config_selectorILNS1_17partition_subalgoE9EtjbEEZZNS1_14partition_implILS5_9ELb0ES3_jN6thrust23THRUST_200600_302600_NS6detail15normal_iteratorINS9_10device_ptrItEEEENSB_INSC_IjEEEEPNS0_10empty_typeENS0_5tupleIJNS9_16discard_iteratorINS9_11use_defaultEEESH_EEENSJ_IJSM_SI_EEENS0_18inequality_wrapperINS9_8equal_toItEEEEPmJSH_EEE10hipError_tPvRmT3_T4_T5_T6_T7_T9_mT8_P12ihipStream_tbDpT10_ENKUlT_T0_E_clISt17integral_constantIbLb0EES1C_IbLb1EEEEDaS18_S19_EUlS18_E_NS1_11comp_targetILNS1_3genE8ELNS1_11target_archE1030ELNS1_3gpuE2ELNS1_3repE0EEENS1_30default_config_static_selectorELNS0_4arch9wavefront6targetE0EEEvT1_
		.amdhsa_group_segment_fixed_size 0
		.amdhsa_private_segment_fixed_size 0
		.amdhsa_kernarg_size 144
		.amdhsa_user_sgpr_count 15
		.amdhsa_user_sgpr_dispatch_ptr 0
		.amdhsa_user_sgpr_queue_ptr 0
		.amdhsa_user_sgpr_kernarg_segment_ptr 1
		.amdhsa_user_sgpr_dispatch_id 0
		.amdhsa_user_sgpr_private_segment_size 0
		.amdhsa_wavefront_size32 1
		.amdhsa_uses_dynamic_stack 0
		.amdhsa_enable_private_segment 0
		.amdhsa_system_sgpr_workgroup_id_x 1
		.amdhsa_system_sgpr_workgroup_id_y 0
		.amdhsa_system_sgpr_workgroup_id_z 0
		.amdhsa_system_sgpr_workgroup_info 0
		.amdhsa_system_vgpr_workitem_id 0
		.amdhsa_next_free_vgpr 1
		.amdhsa_next_free_sgpr 1
		.amdhsa_reserve_vcc 0
		.amdhsa_float_round_mode_32 0
		.amdhsa_float_round_mode_16_64 0
		.amdhsa_float_denorm_mode_32 3
		.amdhsa_float_denorm_mode_16_64 3
		.amdhsa_dx10_clamp 1
		.amdhsa_ieee_mode 1
		.amdhsa_fp16_overflow 0
		.amdhsa_workgroup_processor_mode 1
		.amdhsa_memory_ordered 1
		.amdhsa_forward_progress 0
		.amdhsa_shared_vgpr_count 0
		.amdhsa_exception_fp_ieee_invalid_op 0
		.amdhsa_exception_fp_denorm_src 0
		.amdhsa_exception_fp_ieee_div_zero 0
		.amdhsa_exception_fp_ieee_overflow 0
		.amdhsa_exception_fp_ieee_underflow 0
		.amdhsa_exception_fp_ieee_inexact 0
		.amdhsa_exception_int_div_zero 0
	.end_amdhsa_kernel
	.section	.text._ZN7rocprim17ROCPRIM_400000_NS6detail17trampoline_kernelINS0_14default_configENS1_25partition_config_selectorILNS1_17partition_subalgoE9EtjbEEZZNS1_14partition_implILS5_9ELb0ES3_jN6thrust23THRUST_200600_302600_NS6detail15normal_iteratorINS9_10device_ptrItEEEENSB_INSC_IjEEEEPNS0_10empty_typeENS0_5tupleIJNS9_16discard_iteratorINS9_11use_defaultEEESH_EEENSJ_IJSM_SI_EEENS0_18inequality_wrapperINS9_8equal_toItEEEEPmJSH_EEE10hipError_tPvRmT3_T4_T5_T6_T7_T9_mT8_P12ihipStream_tbDpT10_ENKUlT_T0_E_clISt17integral_constantIbLb0EES1C_IbLb1EEEEDaS18_S19_EUlS18_E_NS1_11comp_targetILNS1_3genE8ELNS1_11target_archE1030ELNS1_3gpuE2ELNS1_3repE0EEENS1_30default_config_static_selectorELNS0_4arch9wavefront6targetE0EEEvT1_,"axG",@progbits,_ZN7rocprim17ROCPRIM_400000_NS6detail17trampoline_kernelINS0_14default_configENS1_25partition_config_selectorILNS1_17partition_subalgoE9EtjbEEZZNS1_14partition_implILS5_9ELb0ES3_jN6thrust23THRUST_200600_302600_NS6detail15normal_iteratorINS9_10device_ptrItEEEENSB_INSC_IjEEEEPNS0_10empty_typeENS0_5tupleIJNS9_16discard_iteratorINS9_11use_defaultEEESH_EEENSJ_IJSM_SI_EEENS0_18inequality_wrapperINS9_8equal_toItEEEEPmJSH_EEE10hipError_tPvRmT3_T4_T5_T6_T7_T9_mT8_P12ihipStream_tbDpT10_ENKUlT_T0_E_clISt17integral_constantIbLb0EES1C_IbLb1EEEEDaS18_S19_EUlS18_E_NS1_11comp_targetILNS1_3genE8ELNS1_11target_archE1030ELNS1_3gpuE2ELNS1_3repE0EEENS1_30default_config_static_selectorELNS0_4arch9wavefront6targetE0EEEvT1_,comdat
.Lfunc_end916:
	.size	_ZN7rocprim17ROCPRIM_400000_NS6detail17trampoline_kernelINS0_14default_configENS1_25partition_config_selectorILNS1_17partition_subalgoE9EtjbEEZZNS1_14partition_implILS5_9ELb0ES3_jN6thrust23THRUST_200600_302600_NS6detail15normal_iteratorINS9_10device_ptrItEEEENSB_INSC_IjEEEEPNS0_10empty_typeENS0_5tupleIJNS9_16discard_iteratorINS9_11use_defaultEEESH_EEENSJ_IJSM_SI_EEENS0_18inequality_wrapperINS9_8equal_toItEEEEPmJSH_EEE10hipError_tPvRmT3_T4_T5_T6_T7_T9_mT8_P12ihipStream_tbDpT10_ENKUlT_T0_E_clISt17integral_constantIbLb0EES1C_IbLb1EEEEDaS18_S19_EUlS18_E_NS1_11comp_targetILNS1_3genE8ELNS1_11target_archE1030ELNS1_3gpuE2ELNS1_3repE0EEENS1_30default_config_static_selectorELNS0_4arch9wavefront6targetE0EEEvT1_, .Lfunc_end916-_ZN7rocprim17ROCPRIM_400000_NS6detail17trampoline_kernelINS0_14default_configENS1_25partition_config_selectorILNS1_17partition_subalgoE9EtjbEEZZNS1_14partition_implILS5_9ELb0ES3_jN6thrust23THRUST_200600_302600_NS6detail15normal_iteratorINS9_10device_ptrItEEEENSB_INSC_IjEEEEPNS0_10empty_typeENS0_5tupleIJNS9_16discard_iteratorINS9_11use_defaultEEESH_EEENSJ_IJSM_SI_EEENS0_18inequality_wrapperINS9_8equal_toItEEEEPmJSH_EEE10hipError_tPvRmT3_T4_T5_T6_T7_T9_mT8_P12ihipStream_tbDpT10_ENKUlT_T0_E_clISt17integral_constantIbLb0EES1C_IbLb1EEEEDaS18_S19_EUlS18_E_NS1_11comp_targetILNS1_3genE8ELNS1_11target_archE1030ELNS1_3gpuE2ELNS1_3repE0EEENS1_30default_config_static_selectorELNS0_4arch9wavefront6targetE0EEEvT1_
                                        ; -- End function
	.section	.AMDGPU.csdata,"",@progbits
; Kernel info:
; codeLenInByte = 0
; NumSgprs: 0
; NumVgprs: 0
; ScratchSize: 0
; MemoryBound: 0
; FloatMode: 240
; IeeeMode: 1
; LDSByteSize: 0 bytes/workgroup (compile time only)
; SGPRBlocks: 0
; VGPRBlocks: 0
; NumSGPRsForWavesPerEU: 1
; NumVGPRsForWavesPerEU: 1
; Occupancy: 16
; WaveLimiterHint : 0
; COMPUTE_PGM_RSRC2:SCRATCH_EN: 0
; COMPUTE_PGM_RSRC2:USER_SGPR: 15
; COMPUTE_PGM_RSRC2:TRAP_HANDLER: 0
; COMPUTE_PGM_RSRC2:TGID_X_EN: 1
; COMPUTE_PGM_RSRC2:TGID_Y_EN: 0
; COMPUTE_PGM_RSRC2:TGID_Z_EN: 0
; COMPUTE_PGM_RSRC2:TIDIG_COMP_CNT: 0
	.section	.text._ZN7rocprim17ROCPRIM_400000_NS6detail17trampoline_kernelINS0_14default_configENS1_25partition_config_selectorILNS1_17partition_subalgoE9EtjbEEZZNS1_14partition_implILS5_9ELb0ES3_jN6thrust23THRUST_200600_302600_NS6detail15normal_iteratorINS9_10device_ptrItEEEENSB_INSC_IjEEEEPNS0_10empty_typeENS0_5tupleIJSE_SH_EEENSJ_IJNS9_16discard_iteratorINS9_11use_defaultEEESI_EEENS0_18inequality_wrapperINS9_8equal_toItEEEEPmJSH_EEE10hipError_tPvRmT3_T4_T5_T6_T7_T9_mT8_P12ihipStream_tbDpT10_ENKUlT_T0_E_clISt17integral_constantIbLb0EES1D_EEDaS18_S19_EUlS18_E_NS1_11comp_targetILNS1_3genE0ELNS1_11target_archE4294967295ELNS1_3gpuE0ELNS1_3repE0EEENS1_30default_config_static_selectorELNS0_4arch9wavefront6targetE0EEEvT1_,"axG",@progbits,_ZN7rocprim17ROCPRIM_400000_NS6detail17trampoline_kernelINS0_14default_configENS1_25partition_config_selectorILNS1_17partition_subalgoE9EtjbEEZZNS1_14partition_implILS5_9ELb0ES3_jN6thrust23THRUST_200600_302600_NS6detail15normal_iteratorINS9_10device_ptrItEEEENSB_INSC_IjEEEEPNS0_10empty_typeENS0_5tupleIJSE_SH_EEENSJ_IJNS9_16discard_iteratorINS9_11use_defaultEEESI_EEENS0_18inequality_wrapperINS9_8equal_toItEEEEPmJSH_EEE10hipError_tPvRmT3_T4_T5_T6_T7_T9_mT8_P12ihipStream_tbDpT10_ENKUlT_T0_E_clISt17integral_constantIbLb0EES1D_EEDaS18_S19_EUlS18_E_NS1_11comp_targetILNS1_3genE0ELNS1_11target_archE4294967295ELNS1_3gpuE0ELNS1_3repE0EEENS1_30default_config_static_selectorELNS0_4arch9wavefront6targetE0EEEvT1_,comdat
	.protected	_ZN7rocprim17ROCPRIM_400000_NS6detail17trampoline_kernelINS0_14default_configENS1_25partition_config_selectorILNS1_17partition_subalgoE9EtjbEEZZNS1_14partition_implILS5_9ELb0ES3_jN6thrust23THRUST_200600_302600_NS6detail15normal_iteratorINS9_10device_ptrItEEEENSB_INSC_IjEEEEPNS0_10empty_typeENS0_5tupleIJSE_SH_EEENSJ_IJNS9_16discard_iteratorINS9_11use_defaultEEESI_EEENS0_18inequality_wrapperINS9_8equal_toItEEEEPmJSH_EEE10hipError_tPvRmT3_T4_T5_T6_T7_T9_mT8_P12ihipStream_tbDpT10_ENKUlT_T0_E_clISt17integral_constantIbLb0EES1D_EEDaS18_S19_EUlS18_E_NS1_11comp_targetILNS1_3genE0ELNS1_11target_archE4294967295ELNS1_3gpuE0ELNS1_3repE0EEENS1_30default_config_static_selectorELNS0_4arch9wavefront6targetE0EEEvT1_ ; -- Begin function _ZN7rocprim17ROCPRIM_400000_NS6detail17trampoline_kernelINS0_14default_configENS1_25partition_config_selectorILNS1_17partition_subalgoE9EtjbEEZZNS1_14partition_implILS5_9ELb0ES3_jN6thrust23THRUST_200600_302600_NS6detail15normal_iteratorINS9_10device_ptrItEEEENSB_INSC_IjEEEEPNS0_10empty_typeENS0_5tupleIJSE_SH_EEENSJ_IJNS9_16discard_iteratorINS9_11use_defaultEEESI_EEENS0_18inequality_wrapperINS9_8equal_toItEEEEPmJSH_EEE10hipError_tPvRmT3_T4_T5_T6_T7_T9_mT8_P12ihipStream_tbDpT10_ENKUlT_T0_E_clISt17integral_constantIbLb0EES1D_EEDaS18_S19_EUlS18_E_NS1_11comp_targetILNS1_3genE0ELNS1_11target_archE4294967295ELNS1_3gpuE0ELNS1_3repE0EEENS1_30default_config_static_selectorELNS0_4arch9wavefront6targetE0EEEvT1_
	.globl	_ZN7rocprim17ROCPRIM_400000_NS6detail17trampoline_kernelINS0_14default_configENS1_25partition_config_selectorILNS1_17partition_subalgoE9EtjbEEZZNS1_14partition_implILS5_9ELb0ES3_jN6thrust23THRUST_200600_302600_NS6detail15normal_iteratorINS9_10device_ptrItEEEENSB_INSC_IjEEEEPNS0_10empty_typeENS0_5tupleIJSE_SH_EEENSJ_IJNS9_16discard_iteratorINS9_11use_defaultEEESI_EEENS0_18inequality_wrapperINS9_8equal_toItEEEEPmJSH_EEE10hipError_tPvRmT3_T4_T5_T6_T7_T9_mT8_P12ihipStream_tbDpT10_ENKUlT_T0_E_clISt17integral_constantIbLb0EES1D_EEDaS18_S19_EUlS18_E_NS1_11comp_targetILNS1_3genE0ELNS1_11target_archE4294967295ELNS1_3gpuE0ELNS1_3repE0EEENS1_30default_config_static_selectorELNS0_4arch9wavefront6targetE0EEEvT1_
	.p2align	8
	.type	_ZN7rocprim17ROCPRIM_400000_NS6detail17trampoline_kernelINS0_14default_configENS1_25partition_config_selectorILNS1_17partition_subalgoE9EtjbEEZZNS1_14partition_implILS5_9ELb0ES3_jN6thrust23THRUST_200600_302600_NS6detail15normal_iteratorINS9_10device_ptrItEEEENSB_INSC_IjEEEEPNS0_10empty_typeENS0_5tupleIJSE_SH_EEENSJ_IJNS9_16discard_iteratorINS9_11use_defaultEEESI_EEENS0_18inequality_wrapperINS9_8equal_toItEEEEPmJSH_EEE10hipError_tPvRmT3_T4_T5_T6_T7_T9_mT8_P12ihipStream_tbDpT10_ENKUlT_T0_E_clISt17integral_constantIbLb0EES1D_EEDaS18_S19_EUlS18_E_NS1_11comp_targetILNS1_3genE0ELNS1_11target_archE4294967295ELNS1_3gpuE0ELNS1_3repE0EEENS1_30default_config_static_selectorELNS0_4arch9wavefront6targetE0EEEvT1_,@function
_ZN7rocprim17ROCPRIM_400000_NS6detail17trampoline_kernelINS0_14default_configENS1_25partition_config_selectorILNS1_17partition_subalgoE9EtjbEEZZNS1_14partition_implILS5_9ELb0ES3_jN6thrust23THRUST_200600_302600_NS6detail15normal_iteratorINS9_10device_ptrItEEEENSB_INSC_IjEEEEPNS0_10empty_typeENS0_5tupleIJSE_SH_EEENSJ_IJNS9_16discard_iteratorINS9_11use_defaultEEESI_EEENS0_18inequality_wrapperINS9_8equal_toItEEEEPmJSH_EEE10hipError_tPvRmT3_T4_T5_T6_T7_T9_mT8_P12ihipStream_tbDpT10_ENKUlT_T0_E_clISt17integral_constantIbLb0EES1D_EEDaS18_S19_EUlS18_E_NS1_11comp_targetILNS1_3genE0ELNS1_11target_archE4294967295ELNS1_3gpuE0ELNS1_3repE0EEENS1_30default_config_static_selectorELNS0_4arch9wavefront6targetE0EEEvT1_: ; @_ZN7rocprim17ROCPRIM_400000_NS6detail17trampoline_kernelINS0_14default_configENS1_25partition_config_selectorILNS1_17partition_subalgoE9EtjbEEZZNS1_14partition_implILS5_9ELb0ES3_jN6thrust23THRUST_200600_302600_NS6detail15normal_iteratorINS9_10device_ptrItEEEENSB_INSC_IjEEEEPNS0_10empty_typeENS0_5tupleIJSE_SH_EEENSJ_IJNS9_16discard_iteratorINS9_11use_defaultEEESI_EEENS0_18inequality_wrapperINS9_8equal_toItEEEEPmJSH_EEE10hipError_tPvRmT3_T4_T5_T6_T7_T9_mT8_P12ihipStream_tbDpT10_ENKUlT_T0_E_clISt17integral_constantIbLb0EES1D_EEDaS18_S19_EUlS18_E_NS1_11comp_targetILNS1_3genE0ELNS1_11target_archE4294967295ELNS1_3gpuE0ELNS1_3repE0EEENS1_30default_config_static_selectorELNS0_4arch9wavefront6targetE0EEEvT1_
; %bb.0:
	.section	.rodata,"a",@progbits
	.p2align	6, 0x0
	.amdhsa_kernel _ZN7rocprim17ROCPRIM_400000_NS6detail17trampoline_kernelINS0_14default_configENS1_25partition_config_selectorILNS1_17partition_subalgoE9EtjbEEZZNS1_14partition_implILS5_9ELb0ES3_jN6thrust23THRUST_200600_302600_NS6detail15normal_iteratorINS9_10device_ptrItEEEENSB_INSC_IjEEEEPNS0_10empty_typeENS0_5tupleIJSE_SH_EEENSJ_IJNS9_16discard_iteratorINS9_11use_defaultEEESI_EEENS0_18inequality_wrapperINS9_8equal_toItEEEEPmJSH_EEE10hipError_tPvRmT3_T4_T5_T6_T7_T9_mT8_P12ihipStream_tbDpT10_ENKUlT_T0_E_clISt17integral_constantIbLb0EES1D_EEDaS18_S19_EUlS18_E_NS1_11comp_targetILNS1_3genE0ELNS1_11target_archE4294967295ELNS1_3gpuE0ELNS1_3repE0EEENS1_30default_config_static_selectorELNS0_4arch9wavefront6targetE0EEEvT1_
		.amdhsa_group_segment_fixed_size 0
		.amdhsa_private_segment_fixed_size 0
		.amdhsa_kernarg_size 120
		.amdhsa_user_sgpr_count 15
		.amdhsa_user_sgpr_dispatch_ptr 0
		.amdhsa_user_sgpr_queue_ptr 0
		.amdhsa_user_sgpr_kernarg_segment_ptr 1
		.amdhsa_user_sgpr_dispatch_id 0
		.amdhsa_user_sgpr_private_segment_size 0
		.amdhsa_wavefront_size32 1
		.amdhsa_uses_dynamic_stack 0
		.amdhsa_enable_private_segment 0
		.amdhsa_system_sgpr_workgroup_id_x 1
		.amdhsa_system_sgpr_workgroup_id_y 0
		.amdhsa_system_sgpr_workgroup_id_z 0
		.amdhsa_system_sgpr_workgroup_info 0
		.amdhsa_system_vgpr_workitem_id 0
		.amdhsa_next_free_vgpr 1
		.amdhsa_next_free_sgpr 1
		.amdhsa_reserve_vcc 0
		.amdhsa_float_round_mode_32 0
		.amdhsa_float_round_mode_16_64 0
		.amdhsa_float_denorm_mode_32 3
		.amdhsa_float_denorm_mode_16_64 3
		.amdhsa_dx10_clamp 1
		.amdhsa_ieee_mode 1
		.amdhsa_fp16_overflow 0
		.amdhsa_workgroup_processor_mode 1
		.amdhsa_memory_ordered 1
		.amdhsa_forward_progress 0
		.amdhsa_shared_vgpr_count 0
		.amdhsa_exception_fp_ieee_invalid_op 0
		.amdhsa_exception_fp_denorm_src 0
		.amdhsa_exception_fp_ieee_div_zero 0
		.amdhsa_exception_fp_ieee_overflow 0
		.amdhsa_exception_fp_ieee_underflow 0
		.amdhsa_exception_fp_ieee_inexact 0
		.amdhsa_exception_int_div_zero 0
	.end_amdhsa_kernel
	.section	.text._ZN7rocprim17ROCPRIM_400000_NS6detail17trampoline_kernelINS0_14default_configENS1_25partition_config_selectorILNS1_17partition_subalgoE9EtjbEEZZNS1_14partition_implILS5_9ELb0ES3_jN6thrust23THRUST_200600_302600_NS6detail15normal_iteratorINS9_10device_ptrItEEEENSB_INSC_IjEEEEPNS0_10empty_typeENS0_5tupleIJSE_SH_EEENSJ_IJNS9_16discard_iteratorINS9_11use_defaultEEESI_EEENS0_18inequality_wrapperINS9_8equal_toItEEEEPmJSH_EEE10hipError_tPvRmT3_T4_T5_T6_T7_T9_mT8_P12ihipStream_tbDpT10_ENKUlT_T0_E_clISt17integral_constantIbLb0EES1D_EEDaS18_S19_EUlS18_E_NS1_11comp_targetILNS1_3genE0ELNS1_11target_archE4294967295ELNS1_3gpuE0ELNS1_3repE0EEENS1_30default_config_static_selectorELNS0_4arch9wavefront6targetE0EEEvT1_,"axG",@progbits,_ZN7rocprim17ROCPRIM_400000_NS6detail17trampoline_kernelINS0_14default_configENS1_25partition_config_selectorILNS1_17partition_subalgoE9EtjbEEZZNS1_14partition_implILS5_9ELb0ES3_jN6thrust23THRUST_200600_302600_NS6detail15normal_iteratorINS9_10device_ptrItEEEENSB_INSC_IjEEEEPNS0_10empty_typeENS0_5tupleIJSE_SH_EEENSJ_IJNS9_16discard_iteratorINS9_11use_defaultEEESI_EEENS0_18inequality_wrapperINS9_8equal_toItEEEEPmJSH_EEE10hipError_tPvRmT3_T4_T5_T6_T7_T9_mT8_P12ihipStream_tbDpT10_ENKUlT_T0_E_clISt17integral_constantIbLb0EES1D_EEDaS18_S19_EUlS18_E_NS1_11comp_targetILNS1_3genE0ELNS1_11target_archE4294967295ELNS1_3gpuE0ELNS1_3repE0EEENS1_30default_config_static_selectorELNS0_4arch9wavefront6targetE0EEEvT1_,comdat
.Lfunc_end917:
	.size	_ZN7rocprim17ROCPRIM_400000_NS6detail17trampoline_kernelINS0_14default_configENS1_25partition_config_selectorILNS1_17partition_subalgoE9EtjbEEZZNS1_14partition_implILS5_9ELb0ES3_jN6thrust23THRUST_200600_302600_NS6detail15normal_iteratorINS9_10device_ptrItEEEENSB_INSC_IjEEEEPNS0_10empty_typeENS0_5tupleIJSE_SH_EEENSJ_IJNS9_16discard_iteratorINS9_11use_defaultEEESI_EEENS0_18inequality_wrapperINS9_8equal_toItEEEEPmJSH_EEE10hipError_tPvRmT3_T4_T5_T6_T7_T9_mT8_P12ihipStream_tbDpT10_ENKUlT_T0_E_clISt17integral_constantIbLb0EES1D_EEDaS18_S19_EUlS18_E_NS1_11comp_targetILNS1_3genE0ELNS1_11target_archE4294967295ELNS1_3gpuE0ELNS1_3repE0EEENS1_30default_config_static_selectorELNS0_4arch9wavefront6targetE0EEEvT1_, .Lfunc_end917-_ZN7rocprim17ROCPRIM_400000_NS6detail17trampoline_kernelINS0_14default_configENS1_25partition_config_selectorILNS1_17partition_subalgoE9EtjbEEZZNS1_14partition_implILS5_9ELb0ES3_jN6thrust23THRUST_200600_302600_NS6detail15normal_iteratorINS9_10device_ptrItEEEENSB_INSC_IjEEEEPNS0_10empty_typeENS0_5tupleIJSE_SH_EEENSJ_IJNS9_16discard_iteratorINS9_11use_defaultEEESI_EEENS0_18inequality_wrapperINS9_8equal_toItEEEEPmJSH_EEE10hipError_tPvRmT3_T4_T5_T6_T7_T9_mT8_P12ihipStream_tbDpT10_ENKUlT_T0_E_clISt17integral_constantIbLb0EES1D_EEDaS18_S19_EUlS18_E_NS1_11comp_targetILNS1_3genE0ELNS1_11target_archE4294967295ELNS1_3gpuE0ELNS1_3repE0EEENS1_30default_config_static_selectorELNS0_4arch9wavefront6targetE0EEEvT1_
                                        ; -- End function
	.section	.AMDGPU.csdata,"",@progbits
; Kernel info:
; codeLenInByte = 0
; NumSgprs: 0
; NumVgprs: 0
; ScratchSize: 0
; MemoryBound: 0
; FloatMode: 240
; IeeeMode: 1
; LDSByteSize: 0 bytes/workgroup (compile time only)
; SGPRBlocks: 0
; VGPRBlocks: 0
; NumSGPRsForWavesPerEU: 1
; NumVGPRsForWavesPerEU: 1
; Occupancy: 16
; WaveLimiterHint : 0
; COMPUTE_PGM_RSRC2:SCRATCH_EN: 0
; COMPUTE_PGM_RSRC2:USER_SGPR: 15
; COMPUTE_PGM_RSRC2:TRAP_HANDLER: 0
; COMPUTE_PGM_RSRC2:TGID_X_EN: 1
; COMPUTE_PGM_RSRC2:TGID_Y_EN: 0
; COMPUTE_PGM_RSRC2:TGID_Z_EN: 0
; COMPUTE_PGM_RSRC2:TIDIG_COMP_CNT: 0
	.section	.text._ZN7rocprim17ROCPRIM_400000_NS6detail17trampoline_kernelINS0_14default_configENS1_25partition_config_selectorILNS1_17partition_subalgoE9EtjbEEZZNS1_14partition_implILS5_9ELb0ES3_jN6thrust23THRUST_200600_302600_NS6detail15normal_iteratorINS9_10device_ptrItEEEENSB_INSC_IjEEEEPNS0_10empty_typeENS0_5tupleIJSE_SH_EEENSJ_IJNS9_16discard_iteratorINS9_11use_defaultEEESI_EEENS0_18inequality_wrapperINS9_8equal_toItEEEEPmJSH_EEE10hipError_tPvRmT3_T4_T5_T6_T7_T9_mT8_P12ihipStream_tbDpT10_ENKUlT_T0_E_clISt17integral_constantIbLb0EES1D_EEDaS18_S19_EUlS18_E_NS1_11comp_targetILNS1_3genE5ELNS1_11target_archE942ELNS1_3gpuE9ELNS1_3repE0EEENS1_30default_config_static_selectorELNS0_4arch9wavefront6targetE0EEEvT1_,"axG",@progbits,_ZN7rocprim17ROCPRIM_400000_NS6detail17trampoline_kernelINS0_14default_configENS1_25partition_config_selectorILNS1_17partition_subalgoE9EtjbEEZZNS1_14partition_implILS5_9ELb0ES3_jN6thrust23THRUST_200600_302600_NS6detail15normal_iteratorINS9_10device_ptrItEEEENSB_INSC_IjEEEEPNS0_10empty_typeENS0_5tupleIJSE_SH_EEENSJ_IJNS9_16discard_iteratorINS9_11use_defaultEEESI_EEENS0_18inequality_wrapperINS9_8equal_toItEEEEPmJSH_EEE10hipError_tPvRmT3_T4_T5_T6_T7_T9_mT8_P12ihipStream_tbDpT10_ENKUlT_T0_E_clISt17integral_constantIbLb0EES1D_EEDaS18_S19_EUlS18_E_NS1_11comp_targetILNS1_3genE5ELNS1_11target_archE942ELNS1_3gpuE9ELNS1_3repE0EEENS1_30default_config_static_selectorELNS0_4arch9wavefront6targetE0EEEvT1_,comdat
	.protected	_ZN7rocprim17ROCPRIM_400000_NS6detail17trampoline_kernelINS0_14default_configENS1_25partition_config_selectorILNS1_17partition_subalgoE9EtjbEEZZNS1_14partition_implILS5_9ELb0ES3_jN6thrust23THRUST_200600_302600_NS6detail15normal_iteratorINS9_10device_ptrItEEEENSB_INSC_IjEEEEPNS0_10empty_typeENS0_5tupleIJSE_SH_EEENSJ_IJNS9_16discard_iteratorINS9_11use_defaultEEESI_EEENS0_18inequality_wrapperINS9_8equal_toItEEEEPmJSH_EEE10hipError_tPvRmT3_T4_T5_T6_T7_T9_mT8_P12ihipStream_tbDpT10_ENKUlT_T0_E_clISt17integral_constantIbLb0EES1D_EEDaS18_S19_EUlS18_E_NS1_11comp_targetILNS1_3genE5ELNS1_11target_archE942ELNS1_3gpuE9ELNS1_3repE0EEENS1_30default_config_static_selectorELNS0_4arch9wavefront6targetE0EEEvT1_ ; -- Begin function _ZN7rocprim17ROCPRIM_400000_NS6detail17trampoline_kernelINS0_14default_configENS1_25partition_config_selectorILNS1_17partition_subalgoE9EtjbEEZZNS1_14partition_implILS5_9ELb0ES3_jN6thrust23THRUST_200600_302600_NS6detail15normal_iteratorINS9_10device_ptrItEEEENSB_INSC_IjEEEEPNS0_10empty_typeENS0_5tupleIJSE_SH_EEENSJ_IJNS9_16discard_iteratorINS9_11use_defaultEEESI_EEENS0_18inequality_wrapperINS9_8equal_toItEEEEPmJSH_EEE10hipError_tPvRmT3_T4_T5_T6_T7_T9_mT8_P12ihipStream_tbDpT10_ENKUlT_T0_E_clISt17integral_constantIbLb0EES1D_EEDaS18_S19_EUlS18_E_NS1_11comp_targetILNS1_3genE5ELNS1_11target_archE942ELNS1_3gpuE9ELNS1_3repE0EEENS1_30default_config_static_selectorELNS0_4arch9wavefront6targetE0EEEvT1_
	.globl	_ZN7rocprim17ROCPRIM_400000_NS6detail17trampoline_kernelINS0_14default_configENS1_25partition_config_selectorILNS1_17partition_subalgoE9EtjbEEZZNS1_14partition_implILS5_9ELb0ES3_jN6thrust23THRUST_200600_302600_NS6detail15normal_iteratorINS9_10device_ptrItEEEENSB_INSC_IjEEEEPNS0_10empty_typeENS0_5tupleIJSE_SH_EEENSJ_IJNS9_16discard_iteratorINS9_11use_defaultEEESI_EEENS0_18inequality_wrapperINS9_8equal_toItEEEEPmJSH_EEE10hipError_tPvRmT3_T4_T5_T6_T7_T9_mT8_P12ihipStream_tbDpT10_ENKUlT_T0_E_clISt17integral_constantIbLb0EES1D_EEDaS18_S19_EUlS18_E_NS1_11comp_targetILNS1_3genE5ELNS1_11target_archE942ELNS1_3gpuE9ELNS1_3repE0EEENS1_30default_config_static_selectorELNS0_4arch9wavefront6targetE0EEEvT1_
	.p2align	8
	.type	_ZN7rocprim17ROCPRIM_400000_NS6detail17trampoline_kernelINS0_14default_configENS1_25partition_config_selectorILNS1_17partition_subalgoE9EtjbEEZZNS1_14partition_implILS5_9ELb0ES3_jN6thrust23THRUST_200600_302600_NS6detail15normal_iteratorINS9_10device_ptrItEEEENSB_INSC_IjEEEEPNS0_10empty_typeENS0_5tupleIJSE_SH_EEENSJ_IJNS9_16discard_iteratorINS9_11use_defaultEEESI_EEENS0_18inequality_wrapperINS9_8equal_toItEEEEPmJSH_EEE10hipError_tPvRmT3_T4_T5_T6_T7_T9_mT8_P12ihipStream_tbDpT10_ENKUlT_T0_E_clISt17integral_constantIbLb0EES1D_EEDaS18_S19_EUlS18_E_NS1_11comp_targetILNS1_3genE5ELNS1_11target_archE942ELNS1_3gpuE9ELNS1_3repE0EEENS1_30default_config_static_selectorELNS0_4arch9wavefront6targetE0EEEvT1_,@function
_ZN7rocprim17ROCPRIM_400000_NS6detail17trampoline_kernelINS0_14default_configENS1_25partition_config_selectorILNS1_17partition_subalgoE9EtjbEEZZNS1_14partition_implILS5_9ELb0ES3_jN6thrust23THRUST_200600_302600_NS6detail15normal_iteratorINS9_10device_ptrItEEEENSB_INSC_IjEEEEPNS0_10empty_typeENS0_5tupleIJSE_SH_EEENSJ_IJNS9_16discard_iteratorINS9_11use_defaultEEESI_EEENS0_18inequality_wrapperINS9_8equal_toItEEEEPmJSH_EEE10hipError_tPvRmT3_T4_T5_T6_T7_T9_mT8_P12ihipStream_tbDpT10_ENKUlT_T0_E_clISt17integral_constantIbLb0EES1D_EEDaS18_S19_EUlS18_E_NS1_11comp_targetILNS1_3genE5ELNS1_11target_archE942ELNS1_3gpuE9ELNS1_3repE0EEENS1_30default_config_static_selectorELNS0_4arch9wavefront6targetE0EEEvT1_: ; @_ZN7rocprim17ROCPRIM_400000_NS6detail17trampoline_kernelINS0_14default_configENS1_25partition_config_selectorILNS1_17partition_subalgoE9EtjbEEZZNS1_14partition_implILS5_9ELb0ES3_jN6thrust23THRUST_200600_302600_NS6detail15normal_iteratorINS9_10device_ptrItEEEENSB_INSC_IjEEEEPNS0_10empty_typeENS0_5tupleIJSE_SH_EEENSJ_IJNS9_16discard_iteratorINS9_11use_defaultEEESI_EEENS0_18inequality_wrapperINS9_8equal_toItEEEEPmJSH_EEE10hipError_tPvRmT3_T4_T5_T6_T7_T9_mT8_P12ihipStream_tbDpT10_ENKUlT_T0_E_clISt17integral_constantIbLb0EES1D_EEDaS18_S19_EUlS18_E_NS1_11comp_targetILNS1_3genE5ELNS1_11target_archE942ELNS1_3gpuE9ELNS1_3repE0EEENS1_30default_config_static_selectorELNS0_4arch9wavefront6targetE0EEEvT1_
; %bb.0:
	.section	.rodata,"a",@progbits
	.p2align	6, 0x0
	.amdhsa_kernel _ZN7rocprim17ROCPRIM_400000_NS6detail17trampoline_kernelINS0_14default_configENS1_25partition_config_selectorILNS1_17partition_subalgoE9EtjbEEZZNS1_14partition_implILS5_9ELb0ES3_jN6thrust23THRUST_200600_302600_NS6detail15normal_iteratorINS9_10device_ptrItEEEENSB_INSC_IjEEEEPNS0_10empty_typeENS0_5tupleIJSE_SH_EEENSJ_IJNS9_16discard_iteratorINS9_11use_defaultEEESI_EEENS0_18inequality_wrapperINS9_8equal_toItEEEEPmJSH_EEE10hipError_tPvRmT3_T4_T5_T6_T7_T9_mT8_P12ihipStream_tbDpT10_ENKUlT_T0_E_clISt17integral_constantIbLb0EES1D_EEDaS18_S19_EUlS18_E_NS1_11comp_targetILNS1_3genE5ELNS1_11target_archE942ELNS1_3gpuE9ELNS1_3repE0EEENS1_30default_config_static_selectorELNS0_4arch9wavefront6targetE0EEEvT1_
		.amdhsa_group_segment_fixed_size 0
		.amdhsa_private_segment_fixed_size 0
		.amdhsa_kernarg_size 120
		.amdhsa_user_sgpr_count 15
		.amdhsa_user_sgpr_dispatch_ptr 0
		.amdhsa_user_sgpr_queue_ptr 0
		.amdhsa_user_sgpr_kernarg_segment_ptr 1
		.amdhsa_user_sgpr_dispatch_id 0
		.amdhsa_user_sgpr_private_segment_size 0
		.amdhsa_wavefront_size32 1
		.amdhsa_uses_dynamic_stack 0
		.amdhsa_enable_private_segment 0
		.amdhsa_system_sgpr_workgroup_id_x 1
		.amdhsa_system_sgpr_workgroup_id_y 0
		.amdhsa_system_sgpr_workgroup_id_z 0
		.amdhsa_system_sgpr_workgroup_info 0
		.amdhsa_system_vgpr_workitem_id 0
		.amdhsa_next_free_vgpr 1
		.amdhsa_next_free_sgpr 1
		.amdhsa_reserve_vcc 0
		.amdhsa_float_round_mode_32 0
		.amdhsa_float_round_mode_16_64 0
		.amdhsa_float_denorm_mode_32 3
		.amdhsa_float_denorm_mode_16_64 3
		.amdhsa_dx10_clamp 1
		.amdhsa_ieee_mode 1
		.amdhsa_fp16_overflow 0
		.amdhsa_workgroup_processor_mode 1
		.amdhsa_memory_ordered 1
		.amdhsa_forward_progress 0
		.amdhsa_shared_vgpr_count 0
		.amdhsa_exception_fp_ieee_invalid_op 0
		.amdhsa_exception_fp_denorm_src 0
		.amdhsa_exception_fp_ieee_div_zero 0
		.amdhsa_exception_fp_ieee_overflow 0
		.amdhsa_exception_fp_ieee_underflow 0
		.amdhsa_exception_fp_ieee_inexact 0
		.amdhsa_exception_int_div_zero 0
	.end_amdhsa_kernel
	.section	.text._ZN7rocprim17ROCPRIM_400000_NS6detail17trampoline_kernelINS0_14default_configENS1_25partition_config_selectorILNS1_17partition_subalgoE9EtjbEEZZNS1_14partition_implILS5_9ELb0ES3_jN6thrust23THRUST_200600_302600_NS6detail15normal_iteratorINS9_10device_ptrItEEEENSB_INSC_IjEEEEPNS0_10empty_typeENS0_5tupleIJSE_SH_EEENSJ_IJNS9_16discard_iteratorINS9_11use_defaultEEESI_EEENS0_18inequality_wrapperINS9_8equal_toItEEEEPmJSH_EEE10hipError_tPvRmT3_T4_T5_T6_T7_T9_mT8_P12ihipStream_tbDpT10_ENKUlT_T0_E_clISt17integral_constantIbLb0EES1D_EEDaS18_S19_EUlS18_E_NS1_11comp_targetILNS1_3genE5ELNS1_11target_archE942ELNS1_3gpuE9ELNS1_3repE0EEENS1_30default_config_static_selectorELNS0_4arch9wavefront6targetE0EEEvT1_,"axG",@progbits,_ZN7rocprim17ROCPRIM_400000_NS6detail17trampoline_kernelINS0_14default_configENS1_25partition_config_selectorILNS1_17partition_subalgoE9EtjbEEZZNS1_14partition_implILS5_9ELb0ES3_jN6thrust23THRUST_200600_302600_NS6detail15normal_iteratorINS9_10device_ptrItEEEENSB_INSC_IjEEEEPNS0_10empty_typeENS0_5tupleIJSE_SH_EEENSJ_IJNS9_16discard_iteratorINS9_11use_defaultEEESI_EEENS0_18inequality_wrapperINS9_8equal_toItEEEEPmJSH_EEE10hipError_tPvRmT3_T4_T5_T6_T7_T9_mT8_P12ihipStream_tbDpT10_ENKUlT_T0_E_clISt17integral_constantIbLb0EES1D_EEDaS18_S19_EUlS18_E_NS1_11comp_targetILNS1_3genE5ELNS1_11target_archE942ELNS1_3gpuE9ELNS1_3repE0EEENS1_30default_config_static_selectorELNS0_4arch9wavefront6targetE0EEEvT1_,comdat
.Lfunc_end918:
	.size	_ZN7rocprim17ROCPRIM_400000_NS6detail17trampoline_kernelINS0_14default_configENS1_25partition_config_selectorILNS1_17partition_subalgoE9EtjbEEZZNS1_14partition_implILS5_9ELb0ES3_jN6thrust23THRUST_200600_302600_NS6detail15normal_iteratorINS9_10device_ptrItEEEENSB_INSC_IjEEEEPNS0_10empty_typeENS0_5tupleIJSE_SH_EEENSJ_IJNS9_16discard_iteratorINS9_11use_defaultEEESI_EEENS0_18inequality_wrapperINS9_8equal_toItEEEEPmJSH_EEE10hipError_tPvRmT3_T4_T5_T6_T7_T9_mT8_P12ihipStream_tbDpT10_ENKUlT_T0_E_clISt17integral_constantIbLb0EES1D_EEDaS18_S19_EUlS18_E_NS1_11comp_targetILNS1_3genE5ELNS1_11target_archE942ELNS1_3gpuE9ELNS1_3repE0EEENS1_30default_config_static_selectorELNS0_4arch9wavefront6targetE0EEEvT1_, .Lfunc_end918-_ZN7rocprim17ROCPRIM_400000_NS6detail17trampoline_kernelINS0_14default_configENS1_25partition_config_selectorILNS1_17partition_subalgoE9EtjbEEZZNS1_14partition_implILS5_9ELb0ES3_jN6thrust23THRUST_200600_302600_NS6detail15normal_iteratorINS9_10device_ptrItEEEENSB_INSC_IjEEEEPNS0_10empty_typeENS0_5tupleIJSE_SH_EEENSJ_IJNS9_16discard_iteratorINS9_11use_defaultEEESI_EEENS0_18inequality_wrapperINS9_8equal_toItEEEEPmJSH_EEE10hipError_tPvRmT3_T4_T5_T6_T7_T9_mT8_P12ihipStream_tbDpT10_ENKUlT_T0_E_clISt17integral_constantIbLb0EES1D_EEDaS18_S19_EUlS18_E_NS1_11comp_targetILNS1_3genE5ELNS1_11target_archE942ELNS1_3gpuE9ELNS1_3repE0EEENS1_30default_config_static_selectorELNS0_4arch9wavefront6targetE0EEEvT1_
                                        ; -- End function
	.section	.AMDGPU.csdata,"",@progbits
; Kernel info:
; codeLenInByte = 0
; NumSgprs: 0
; NumVgprs: 0
; ScratchSize: 0
; MemoryBound: 0
; FloatMode: 240
; IeeeMode: 1
; LDSByteSize: 0 bytes/workgroup (compile time only)
; SGPRBlocks: 0
; VGPRBlocks: 0
; NumSGPRsForWavesPerEU: 1
; NumVGPRsForWavesPerEU: 1
; Occupancy: 16
; WaveLimiterHint : 0
; COMPUTE_PGM_RSRC2:SCRATCH_EN: 0
; COMPUTE_PGM_RSRC2:USER_SGPR: 15
; COMPUTE_PGM_RSRC2:TRAP_HANDLER: 0
; COMPUTE_PGM_RSRC2:TGID_X_EN: 1
; COMPUTE_PGM_RSRC2:TGID_Y_EN: 0
; COMPUTE_PGM_RSRC2:TGID_Z_EN: 0
; COMPUTE_PGM_RSRC2:TIDIG_COMP_CNT: 0
	.section	.text._ZN7rocprim17ROCPRIM_400000_NS6detail17trampoline_kernelINS0_14default_configENS1_25partition_config_selectorILNS1_17partition_subalgoE9EtjbEEZZNS1_14partition_implILS5_9ELb0ES3_jN6thrust23THRUST_200600_302600_NS6detail15normal_iteratorINS9_10device_ptrItEEEENSB_INSC_IjEEEEPNS0_10empty_typeENS0_5tupleIJSE_SH_EEENSJ_IJNS9_16discard_iteratorINS9_11use_defaultEEESI_EEENS0_18inequality_wrapperINS9_8equal_toItEEEEPmJSH_EEE10hipError_tPvRmT3_T4_T5_T6_T7_T9_mT8_P12ihipStream_tbDpT10_ENKUlT_T0_E_clISt17integral_constantIbLb0EES1D_EEDaS18_S19_EUlS18_E_NS1_11comp_targetILNS1_3genE4ELNS1_11target_archE910ELNS1_3gpuE8ELNS1_3repE0EEENS1_30default_config_static_selectorELNS0_4arch9wavefront6targetE0EEEvT1_,"axG",@progbits,_ZN7rocprim17ROCPRIM_400000_NS6detail17trampoline_kernelINS0_14default_configENS1_25partition_config_selectorILNS1_17partition_subalgoE9EtjbEEZZNS1_14partition_implILS5_9ELb0ES3_jN6thrust23THRUST_200600_302600_NS6detail15normal_iteratorINS9_10device_ptrItEEEENSB_INSC_IjEEEEPNS0_10empty_typeENS0_5tupleIJSE_SH_EEENSJ_IJNS9_16discard_iteratorINS9_11use_defaultEEESI_EEENS0_18inequality_wrapperINS9_8equal_toItEEEEPmJSH_EEE10hipError_tPvRmT3_T4_T5_T6_T7_T9_mT8_P12ihipStream_tbDpT10_ENKUlT_T0_E_clISt17integral_constantIbLb0EES1D_EEDaS18_S19_EUlS18_E_NS1_11comp_targetILNS1_3genE4ELNS1_11target_archE910ELNS1_3gpuE8ELNS1_3repE0EEENS1_30default_config_static_selectorELNS0_4arch9wavefront6targetE0EEEvT1_,comdat
	.protected	_ZN7rocprim17ROCPRIM_400000_NS6detail17trampoline_kernelINS0_14default_configENS1_25partition_config_selectorILNS1_17partition_subalgoE9EtjbEEZZNS1_14partition_implILS5_9ELb0ES3_jN6thrust23THRUST_200600_302600_NS6detail15normal_iteratorINS9_10device_ptrItEEEENSB_INSC_IjEEEEPNS0_10empty_typeENS0_5tupleIJSE_SH_EEENSJ_IJNS9_16discard_iteratorINS9_11use_defaultEEESI_EEENS0_18inequality_wrapperINS9_8equal_toItEEEEPmJSH_EEE10hipError_tPvRmT3_T4_T5_T6_T7_T9_mT8_P12ihipStream_tbDpT10_ENKUlT_T0_E_clISt17integral_constantIbLb0EES1D_EEDaS18_S19_EUlS18_E_NS1_11comp_targetILNS1_3genE4ELNS1_11target_archE910ELNS1_3gpuE8ELNS1_3repE0EEENS1_30default_config_static_selectorELNS0_4arch9wavefront6targetE0EEEvT1_ ; -- Begin function _ZN7rocprim17ROCPRIM_400000_NS6detail17trampoline_kernelINS0_14default_configENS1_25partition_config_selectorILNS1_17partition_subalgoE9EtjbEEZZNS1_14partition_implILS5_9ELb0ES3_jN6thrust23THRUST_200600_302600_NS6detail15normal_iteratorINS9_10device_ptrItEEEENSB_INSC_IjEEEEPNS0_10empty_typeENS0_5tupleIJSE_SH_EEENSJ_IJNS9_16discard_iteratorINS9_11use_defaultEEESI_EEENS0_18inequality_wrapperINS9_8equal_toItEEEEPmJSH_EEE10hipError_tPvRmT3_T4_T5_T6_T7_T9_mT8_P12ihipStream_tbDpT10_ENKUlT_T0_E_clISt17integral_constantIbLb0EES1D_EEDaS18_S19_EUlS18_E_NS1_11comp_targetILNS1_3genE4ELNS1_11target_archE910ELNS1_3gpuE8ELNS1_3repE0EEENS1_30default_config_static_selectorELNS0_4arch9wavefront6targetE0EEEvT1_
	.globl	_ZN7rocprim17ROCPRIM_400000_NS6detail17trampoline_kernelINS0_14default_configENS1_25partition_config_selectorILNS1_17partition_subalgoE9EtjbEEZZNS1_14partition_implILS5_9ELb0ES3_jN6thrust23THRUST_200600_302600_NS6detail15normal_iteratorINS9_10device_ptrItEEEENSB_INSC_IjEEEEPNS0_10empty_typeENS0_5tupleIJSE_SH_EEENSJ_IJNS9_16discard_iteratorINS9_11use_defaultEEESI_EEENS0_18inequality_wrapperINS9_8equal_toItEEEEPmJSH_EEE10hipError_tPvRmT3_T4_T5_T6_T7_T9_mT8_P12ihipStream_tbDpT10_ENKUlT_T0_E_clISt17integral_constantIbLb0EES1D_EEDaS18_S19_EUlS18_E_NS1_11comp_targetILNS1_3genE4ELNS1_11target_archE910ELNS1_3gpuE8ELNS1_3repE0EEENS1_30default_config_static_selectorELNS0_4arch9wavefront6targetE0EEEvT1_
	.p2align	8
	.type	_ZN7rocprim17ROCPRIM_400000_NS6detail17trampoline_kernelINS0_14default_configENS1_25partition_config_selectorILNS1_17partition_subalgoE9EtjbEEZZNS1_14partition_implILS5_9ELb0ES3_jN6thrust23THRUST_200600_302600_NS6detail15normal_iteratorINS9_10device_ptrItEEEENSB_INSC_IjEEEEPNS0_10empty_typeENS0_5tupleIJSE_SH_EEENSJ_IJNS9_16discard_iteratorINS9_11use_defaultEEESI_EEENS0_18inequality_wrapperINS9_8equal_toItEEEEPmJSH_EEE10hipError_tPvRmT3_T4_T5_T6_T7_T9_mT8_P12ihipStream_tbDpT10_ENKUlT_T0_E_clISt17integral_constantIbLb0EES1D_EEDaS18_S19_EUlS18_E_NS1_11comp_targetILNS1_3genE4ELNS1_11target_archE910ELNS1_3gpuE8ELNS1_3repE0EEENS1_30default_config_static_selectorELNS0_4arch9wavefront6targetE0EEEvT1_,@function
_ZN7rocprim17ROCPRIM_400000_NS6detail17trampoline_kernelINS0_14default_configENS1_25partition_config_selectorILNS1_17partition_subalgoE9EtjbEEZZNS1_14partition_implILS5_9ELb0ES3_jN6thrust23THRUST_200600_302600_NS6detail15normal_iteratorINS9_10device_ptrItEEEENSB_INSC_IjEEEEPNS0_10empty_typeENS0_5tupleIJSE_SH_EEENSJ_IJNS9_16discard_iteratorINS9_11use_defaultEEESI_EEENS0_18inequality_wrapperINS9_8equal_toItEEEEPmJSH_EEE10hipError_tPvRmT3_T4_T5_T6_T7_T9_mT8_P12ihipStream_tbDpT10_ENKUlT_T0_E_clISt17integral_constantIbLb0EES1D_EEDaS18_S19_EUlS18_E_NS1_11comp_targetILNS1_3genE4ELNS1_11target_archE910ELNS1_3gpuE8ELNS1_3repE0EEENS1_30default_config_static_selectorELNS0_4arch9wavefront6targetE0EEEvT1_: ; @_ZN7rocprim17ROCPRIM_400000_NS6detail17trampoline_kernelINS0_14default_configENS1_25partition_config_selectorILNS1_17partition_subalgoE9EtjbEEZZNS1_14partition_implILS5_9ELb0ES3_jN6thrust23THRUST_200600_302600_NS6detail15normal_iteratorINS9_10device_ptrItEEEENSB_INSC_IjEEEEPNS0_10empty_typeENS0_5tupleIJSE_SH_EEENSJ_IJNS9_16discard_iteratorINS9_11use_defaultEEESI_EEENS0_18inequality_wrapperINS9_8equal_toItEEEEPmJSH_EEE10hipError_tPvRmT3_T4_T5_T6_T7_T9_mT8_P12ihipStream_tbDpT10_ENKUlT_T0_E_clISt17integral_constantIbLb0EES1D_EEDaS18_S19_EUlS18_E_NS1_11comp_targetILNS1_3genE4ELNS1_11target_archE910ELNS1_3gpuE8ELNS1_3repE0EEENS1_30default_config_static_selectorELNS0_4arch9wavefront6targetE0EEEvT1_
; %bb.0:
	.section	.rodata,"a",@progbits
	.p2align	6, 0x0
	.amdhsa_kernel _ZN7rocprim17ROCPRIM_400000_NS6detail17trampoline_kernelINS0_14default_configENS1_25partition_config_selectorILNS1_17partition_subalgoE9EtjbEEZZNS1_14partition_implILS5_9ELb0ES3_jN6thrust23THRUST_200600_302600_NS6detail15normal_iteratorINS9_10device_ptrItEEEENSB_INSC_IjEEEEPNS0_10empty_typeENS0_5tupleIJSE_SH_EEENSJ_IJNS9_16discard_iteratorINS9_11use_defaultEEESI_EEENS0_18inequality_wrapperINS9_8equal_toItEEEEPmJSH_EEE10hipError_tPvRmT3_T4_T5_T6_T7_T9_mT8_P12ihipStream_tbDpT10_ENKUlT_T0_E_clISt17integral_constantIbLb0EES1D_EEDaS18_S19_EUlS18_E_NS1_11comp_targetILNS1_3genE4ELNS1_11target_archE910ELNS1_3gpuE8ELNS1_3repE0EEENS1_30default_config_static_selectorELNS0_4arch9wavefront6targetE0EEEvT1_
		.amdhsa_group_segment_fixed_size 0
		.amdhsa_private_segment_fixed_size 0
		.amdhsa_kernarg_size 120
		.amdhsa_user_sgpr_count 15
		.amdhsa_user_sgpr_dispatch_ptr 0
		.amdhsa_user_sgpr_queue_ptr 0
		.amdhsa_user_sgpr_kernarg_segment_ptr 1
		.amdhsa_user_sgpr_dispatch_id 0
		.amdhsa_user_sgpr_private_segment_size 0
		.amdhsa_wavefront_size32 1
		.amdhsa_uses_dynamic_stack 0
		.amdhsa_enable_private_segment 0
		.amdhsa_system_sgpr_workgroup_id_x 1
		.amdhsa_system_sgpr_workgroup_id_y 0
		.amdhsa_system_sgpr_workgroup_id_z 0
		.amdhsa_system_sgpr_workgroup_info 0
		.amdhsa_system_vgpr_workitem_id 0
		.amdhsa_next_free_vgpr 1
		.amdhsa_next_free_sgpr 1
		.amdhsa_reserve_vcc 0
		.amdhsa_float_round_mode_32 0
		.amdhsa_float_round_mode_16_64 0
		.amdhsa_float_denorm_mode_32 3
		.amdhsa_float_denorm_mode_16_64 3
		.amdhsa_dx10_clamp 1
		.amdhsa_ieee_mode 1
		.amdhsa_fp16_overflow 0
		.amdhsa_workgroup_processor_mode 1
		.amdhsa_memory_ordered 1
		.amdhsa_forward_progress 0
		.amdhsa_shared_vgpr_count 0
		.amdhsa_exception_fp_ieee_invalid_op 0
		.amdhsa_exception_fp_denorm_src 0
		.amdhsa_exception_fp_ieee_div_zero 0
		.amdhsa_exception_fp_ieee_overflow 0
		.amdhsa_exception_fp_ieee_underflow 0
		.amdhsa_exception_fp_ieee_inexact 0
		.amdhsa_exception_int_div_zero 0
	.end_amdhsa_kernel
	.section	.text._ZN7rocprim17ROCPRIM_400000_NS6detail17trampoline_kernelINS0_14default_configENS1_25partition_config_selectorILNS1_17partition_subalgoE9EtjbEEZZNS1_14partition_implILS5_9ELb0ES3_jN6thrust23THRUST_200600_302600_NS6detail15normal_iteratorINS9_10device_ptrItEEEENSB_INSC_IjEEEEPNS0_10empty_typeENS0_5tupleIJSE_SH_EEENSJ_IJNS9_16discard_iteratorINS9_11use_defaultEEESI_EEENS0_18inequality_wrapperINS9_8equal_toItEEEEPmJSH_EEE10hipError_tPvRmT3_T4_T5_T6_T7_T9_mT8_P12ihipStream_tbDpT10_ENKUlT_T0_E_clISt17integral_constantIbLb0EES1D_EEDaS18_S19_EUlS18_E_NS1_11comp_targetILNS1_3genE4ELNS1_11target_archE910ELNS1_3gpuE8ELNS1_3repE0EEENS1_30default_config_static_selectorELNS0_4arch9wavefront6targetE0EEEvT1_,"axG",@progbits,_ZN7rocprim17ROCPRIM_400000_NS6detail17trampoline_kernelINS0_14default_configENS1_25partition_config_selectorILNS1_17partition_subalgoE9EtjbEEZZNS1_14partition_implILS5_9ELb0ES3_jN6thrust23THRUST_200600_302600_NS6detail15normal_iteratorINS9_10device_ptrItEEEENSB_INSC_IjEEEEPNS0_10empty_typeENS0_5tupleIJSE_SH_EEENSJ_IJNS9_16discard_iteratorINS9_11use_defaultEEESI_EEENS0_18inequality_wrapperINS9_8equal_toItEEEEPmJSH_EEE10hipError_tPvRmT3_T4_T5_T6_T7_T9_mT8_P12ihipStream_tbDpT10_ENKUlT_T0_E_clISt17integral_constantIbLb0EES1D_EEDaS18_S19_EUlS18_E_NS1_11comp_targetILNS1_3genE4ELNS1_11target_archE910ELNS1_3gpuE8ELNS1_3repE0EEENS1_30default_config_static_selectorELNS0_4arch9wavefront6targetE0EEEvT1_,comdat
.Lfunc_end919:
	.size	_ZN7rocprim17ROCPRIM_400000_NS6detail17trampoline_kernelINS0_14default_configENS1_25partition_config_selectorILNS1_17partition_subalgoE9EtjbEEZZNS1_14partition_implILS5_9ELb0ES3_jN6thrust23THRUST_200600_302600_NS6detail15normal_iteratorINS9_10device_ptrItEEEENSB_INSC_IjEEEEPNS0_10empty_typeENS0_5tupleIJSE_SH_EEENSJ_IJNS9_16discard_iteratorINS9_11use_defaultEEESI_EEENS0_18inequality_wrapperINS9_8equal_toItEEEEPmJSH_EEE10hipError_tPvRmT3_T4_T5_T6_T7_T9_mT8_P12ihipStream_tbDpT10_ENKUlT_T0_E_clISt17integral_constantIbLb0EES1D_EEDaS18_S19_EUlS18_E_NS1_11comp_targetILNS1_3genE4ELNS1_11target_archE910ELNS1_3gpuE8ELNS1_3repE0EEENS1_30default_config_static_selectorELNS0_4arch9wavefront6targetE0EEEvT1_, .Lfunc_end919-_ZN7rocprim17ROCPRIM_400000_NS6detail17trampoline_kernelINS0_14default_configENS1_25partition_config_selectorILNS1_17partition_subalgoE9EtjbEEZZNS1_14partition_implILS5_9ELb0ES3_jN6thrust23THRUST_200600_302600_NS6detail15normal_iteratorINS9_10device_ptrItEEEENSB_INSC_IjEEEEPNS0_10empty_typeENS0_5tupleIJSE_SH_EEENSJ_IJNS9_16discard_iteratorINS9_11use_defaultEEESI_EEENS0_18inequality_wrapperINS9_8equal_toItEEEEPmJSH_EEE10hipError_tPvRmT3_T4_T5_T6_T7_T9_mT8_P12ihipStream_tbDpT10_ENKUlT_T0_E_clISt17integral_constantIbLb0EES1D_EEDaS18_S19_EUlS18_E_NS1_11comp_targetILNS1_3genE4ELNS1_11target_archE910ELNS1_3gpuE8ELNS1_3repE0EEENS1_30default_config_static_selectorELNS0_4arch9wavefront6targetE0EEEvT1_
                                        ; -- End function
	.section	.AMDGPU.csdata,"",@progbits
; Kernel info:
; codeLenInByte = 0
; NumSgprs: 0
; NumVgprs: 0
; ScratchSize: 0
; MemoryBound: 0
; FloatMode: 240
; IeeeMode: 1
; LDSByteSize: 0 bytes/workgroup (compile time only)
; SGPRBlocks: 0
; VGPRBlocks: 0
; NumSGPRsForWavesPerEU: 1
; NumVGPRsForWavesPerEU: 1
; Occupancy: 15
; WaveLimiterHint : 0
; COMPUTE_PGM_RSRC2:SCRATCH_EN: 0
; COMPUTE_PGM_RSRC2:USER_SGPR: 15
; COMPUTE_PGM_RSRC2:TRAP_HANDLER: 0
; COMPUTE_PGM_RSRC2:TGID_X_EN: 1
; COMPUTE_PGM_RSRC2:TGID_Y_EN: 0
; COMPUTE_PGM_RSRC2:TGID_Z_EN: 0
; COMPUTE_PGM_RSRC2:TIDIG_COMP_CNT: 0
	.section	.text._ZN7rocprim17ROCPRIM_400000_NS6detail17trampoline_kernelINS0_14default_configENS1_25partition_config_selectorILNS1_17partition_subalgoE9EtjbEEZZNS1_14partition_implILS5_9ELb0ES3_jN6thrust23THRUST_200600_302600_NS6detail15normal_iteratorINS9_10device_ptrItEEEENSB_INSC_IjEEEEPNS0_10empty_typeENS0_5tupleIJSE_SH_EEENSJ_IJNS9_16discard_iteratorINS9_11use_defaultEEESI_EEENS0_18inequality_wrapperINS9_8equal_toItEEEEPmJSH_EEE10hipError_tPvRmT3_T4_T5_T6_T7_T9_mT8_P12ihipStream_tbDpT10_ENKUlT_T0_E_clISt17integral_constantIbLb0EES1D_EEDaS18_S19_EUlS18_E_NS1_11comp_targetILNS1_3genE3ELNS1_11target_archE908ELNS1_3gpuE7ELNS1_3repE0EEENS1_30default_config_static_selectorELNS0_4arch9wavefront6targetE0EEEvT1_,"axG",@progbits,_ZN7rocprim17ROCPRIM_400000_NS6detail17trampoline_kernelINS0_14default_configENS1_25partition_config_selectorILNS1_17partition_subalgoE9EtjbEEZZNS1_14partition_implILS5_9ELb0ES3_jN6thrust23THRUST_200600_302600_NS6detail15normal_iteratorINS9_10device_ptrItEEEENSB_INSC_IjEEEEPNS0_10empty_typeENS0_5tupleIJSE_SH_EEENSJ_IJNS9_16discard_iteratorINS9_11use_defaultEEESI_EEENS0_18inequality_wrapperINS9_8equal_toItEEEEPmJSH_EEE10hipError_tPvRmT3_T4_T5_T6_T7_T9_mT8_P12ihipStream_tbDpT10_ENKUlT_T0_E_clISt17integral_constantIbLb0EES1D_EEDaS18_S19_EUlS18_E_NS1_11comp_targetILNS1_3genE3ELNS1_11target_archE908ELNS1_3gpuE7ELNS1_3repE0EEENS1_30default_config_static_selectorELNS0_4arch9wavefront6targetE0EEEvT1_,comdat
	.protected	_ZN7rocprim17ROCPRIM_400000_NS6detail17trampoline_kernelINS0_14default_configENS1_25partition_config_selectorILNS1_17partition_subalgoE9EtjbEEZZNS1_14partition_implILS5_9ELb0ES3_jN6thrust23THRUST_200600_302600_NS6detail15normal_iteratorINS9_10device_ptrItEEEENSB_INSC_IjEEEEPNS0_10empty_typeENS0_5tupleIJSE_SH_EEENSJ_IJNS9_16discard_iteratorINS9_11use_defaultEEESI_EEENS0_18inequality_wrapperINS9_8equal_toItEEEEPmJSH_EEE10hipError_tPvRmT3_T4_T5_T6_T7_T9_mT8_P12ihipStream_tbDpT10_ENKUlT_T0_E_clISt17integral_constantIbLb0EES1D_EEDaS18_S19_EUlS18_E_NS1_11comp_targetILNS1_3genE3ELNS1_11target_archE908ELNS1_3gpuE7ELNS1_3repE0EEENS1_30default_config_static_selectorELNS0_4arch9wavefront6targetE0EEEvT1_ ; -- Begin function _ZN7rocprim17ROCPRIM_400000_NS6detail17trampoline_kernelINS0_14default_configENS1_25partition_config_selectorILNS1_17partition_subalgoE9EtjbEEZZNS1_14partition_implILS5_9ELb0ES3_jN6thrust23THRUST_200600_302600_NS6detail15normal_iteratorINS9_10device_ptrItEEEENSB_INSC_IjEEEEPNS0_10empty_typeENS0_5tupleIJSE_SH_EEENSJ_IJNS9_16discard_iteratorINS9_11use_defaultEEESI_EEENS0_18inequality_wrapperINS9_8equal_toItEEEEPmJSH_EEE10hipError_tPvRmT3_T4_T5_T6_T7_T9_mT8_P12ihipStream_tbDpT10_ENKUlT_T0_E_clISt17integral_constantIbLb0EES1D_EEDaS18_S19_EUlS18_E_NS1_11comp_targetILNS1_3genE3ELNS1_11target_archE908ELNS1_3gpuE7ELNS1_3repE0EEENS1_30default_config_static_selectorELNS0_4arch9wavefront6targetE0EEEvT1_
	.globl	_ZN7rocprim17ROCPRIM_400000_NS6detail17trampoline_kernelINS0_14default_configENS1_25partition_config_selectorILNS1_17partition_subalgoE9EtjbEEZZNS1_14partition_implILS5_9ELb0ES3_jN6thrust23THRUST_200600_302600_NS6detail15normal_iteratorINS9_10device_ptrItEEEENSB_INSC_IjEEEEPNS0_10empty_typeENS0_5tupleIJSE_SH_EEENSJ_IJNS9_16discard_iteratorINS9_11use_defaultEEESI_EEENS0_18inequality_wrapperINS9_8equal_toItEEEEPmJSH_EEE10hipError_tPvRmT3_T4_T5_T6_T7_T9_mT8_P12ihipStream_tbDpT10_ENKUlT_T0_E_clISt17integral_constantIbLb0EES1D_EEDaS18_S19_EUlS18_E_NS1_11comp_targetILNS1_3genE3ELNS1_11target_archE908ELNS1_3gpuE7ELNS1_3repE0EEENS1_30default_config_static_selectorELNS0_4arch9wavefront6targetE0EEEvT1_
	.p2align	8
	.type	_ZN7rocprim17ROCPRIM_400000_NS6detail17trampoline_kernelINS0_14default_configENS1_25partition_config_selectorILNS1_17partition_subalgoE9EtjbEEZZNS1_14partition_implILS5_9ELb0ES3_jN6thrust23THRUST_200600_302600_NS6detail15normal_iteratorINS9_10device_ptrItEEEENSB_INSC_IjEEEEPNS0_10empty_typeENS0_5tupleIJSE_SH_EEENSJ_IJNS9_16discard_iteratorINS9_11use_defaultEEESI_EEENS0_18inequality_wrapperINS9_8equal_toItEEEEPmJSH_EEE10hipError_tPvRmT3_T4_T5_T6_T7_T9_mT8_P12ihipStream_tbDpT10_ENKUlT_T0_E_clISt17integral_constantIbLb0EES1D_EEDaS18_S19_EUlS18_E_NS1_11comp_targetILNS1_3genE3ELNS1_11target_archE908ELNS1_3gpuE7ELNS1_3repE0EEENS1_30default_config_static_selectorELNS0_4arch9wavefront6targetE0EEEvT1_,@function
_ZN7rocprim17ROCPRIM_400000_NS6detail17trampoline_kernelINS0_14default_configENS1_25partition_config_selectorILNS1_17partition_subalgoE9EtjbEEZZNS1_14partition_implILS5_9ELb0ES3_jN6thrust23THRUST_200600_302600_NS6detail15normal_iteratorINS9_10device_ptrItEEEENSB_INSC_IjEEEEPNS0_10empty_typeENS0_5tupleIJSE_SH_EEENSJ_IJNS9_16discard_iteratorINS9_11use_defaultEEESI_EEENS0_18inequality_wrapperINS9_8equal_toItEEEEPmJSH_EEE10hipError_tPvRmT3_T4_T5_T6_T7_T9_mT8_P12ihipStream_tbDpT10_ENKUlT_T0_E_clISt17integral_constantIbLb0EES1D_EEDaS18_S19_EUlS18_E_NS1_11comp_targetILNS1_3genE3ELNS1_11target_archE908ELNS1_3gpuE7ELNS1_3repE0EEENS1_30default_config_static_selectorELNS0_4arch9wavefront6targetE0EEEvT1_: ; @_ZN7rocprim17ROCPRIM_400000_NS6detail17trampoline_kernelINS0_14default_configENS1_25partition_config_selectorILNS1_17partition_subalgoE9EtjbEEZZNS1_14partition_implILS5_9ELb0ES3_jN6thrust23THRUST_200600_302600_NS6detail15normal_iteratorINS9_10device_ptrItEEEENSB_INSC_IjEEEEPNS0_10empty_typeENS0_5tupleIJSE_SH_EEENSJ_IJNS9_16discard_iteratorINS9_11use_defaultEEESI_EEENS0_18inequality_wrapperINS9_8equal_toItEEEEPmJSH_EEE10hipError_tPvRmT3_T4_T5_T6_T7_T9_mT8_P12ihipStream_tbDpT10_ENKUlT_T0_E_clISt17integral_constantIbLb0EES1D_EEDaS18_S19_EUlS18_E_NS1_11comp_targetILNS1_3genE3ELNS1_11target_archE908ELNS1_3gpuE7ELNS1_3repE0EEENS1_30default_config_static_selectorELNS0_4arch9wavefront6targetE0EEEvT1_
; %bb.0:
	.section	.rodata,"a",@progbits
	.p2align	6, 0x0
	.amdhsa_kernel _ZN7rocprim17ROCPRIM_400000_NS6detail17trampoline_kernelINS0_14default_configENS1_25partition_config_selectorILNS1_17partition_subalgoE9EtjbEEZZNS1_14partition_implILS5_9ELb0ES3_jN6thrust23THRUST_200600_302600_NS6detail15normal_iteratorINS9_10device_ptrItEEEENSB_INSC_IjEEEEPNS0_10empty_typeENS0_5tupleIJSE_SH_EEENSJ_IJNS9_16discard_iteratorINS9_11use_defaultEEESI_EEENS0_18inequality_wrapperINS9_8equal_toItEEEEPmJSH_EEE10hipError_tPvRmT3_T4_T5_T6_T7_T9_mT8_P12ihipStream_tbDpT10_ENKUlT_T0_E_clISt17integral_constantIbLb0EES1D_EEDaS18_S19_EUlS18_E_NS1_11comp_targetILNS1_3genE3ELNS1_11target_archE908ELNS1_3gpuE7ELNS1_3repE0EEENS1_30default_config_static_selectorELNS0_4arch9wavefront6targetE0EEEvT1_
		.amdhsa_group_segment_fixed_size 0
		.amdhsa_private_segment_fixed_size 0
		.amdhsa_kernarg_size 120
		.amdhsa_user_sgpr_count 15
		.amdhsa_user_sgpr_dispatch_ptr 0
		.amdhsa_user_sgpr_queue_ptr 0
		.amdhsa_user_sgpr_kernarg_segment_ptr 1
		.amdhsa_user_sgpr_dispatch_id 0
		.amdhsa_user_sgpr_private_segment_size 0
		.amdhsa_wavefront_size32 1
		.amdhsa_uses_dynamic_stack 0
		.amdhsa_enable_private_segment 0
		.amdhsa_system_sgpr_workgroup_id_x 1
		.amdhsa_system_sgpr_workgroup_id_y 0
		.amdhsa_system_sgpr_workgroup_id_z 0
		.amdhsa_system_sgpr_workgroup_info 0
		.amdhsa_system_vgpr_workitem_id 0
		.amdhsa_next_free_vgpr 1
		.amdhsa_next_free_sgpr 1
		.amdhsa_reserve_vcc 0
		.amdhsa_float_round_mode_32 0
		.amdhsa_float_round_mode_16_64 0
		.amdhsa_float_denorm_mode_32 3
		.amdhsa_float_denorm_mode_16_64 3
		.amdhsa_dx10_clamp 1
		.amdhsa_ieee_mode 1
		.amdhsa_fp16_overflow 0
		.amdhsa_workgroup_processor_mode 1
		.amdhsa_memory_ordered 1
		.amdhsa_forward_progress 0
		.amdhsa_shared_vgpr_count 0
		.amdhsa_exception_fp_ieee_invalid_op 0
		.amdhsa_exception_fp_denorm_src 0
		.amdhsa_exception_fp_ieee_div_zero 0
		.amdhsa_exception_fp_ieee_overflow 0
		.amdhsa_exception_fp_ieee_underflow 0
		.amdhsa_exception_fp_ieee_inexact 0
		.amdhsa_exception_int_div_zero 0
	.end_amdhsa_kernel
	.section	.text._ZN7rocprim17ROCPRIM_400000_NS6detail17trampoline_kernelINS0_14default_configENS1_25partition_config_selectorILNS1_17partition_subalgoE9EtjbEEZZNS1_14partition_implILS5_9ELb0ES3_jN6thrust23THRUST_200600_302600_NS6detail15normal_iteratorINS9_10device_ptrItEEEENSB_INSC_IjEEEEPNS0_10empty_typeENS0_5tupleIJSE_SH_EEENSJ_IJNS9_16discard_iteratorINS9_11use_defaultEEESI_EEENS0_18inequality_wrapperINS9_8equal_toItEEEEPmJSH_EEE10hipError_tPvRmT3_T4_T5_T6_T7_T9_mT8_P12ihipStream_tbDpT10_ENKUlT_T0_E_clISt17integral_constantIbLb0EES1D_EEDaS18_S19_EUlS18_E_NS1_11comp_targetILNS1_3genE3ELNS1_11target_archE908ELNS1_3gpuE7ELNS1_3repE0EEENS1_30default_config_static_selectorELNS0_4arch9wavefront6targetE0EEEvT1_,"axG",@progbits,_ZN7rocprim17ROCPRIM_400000_NS6detail17trampoline_kernelINS0_14default_configENS1_25partition_config_selectorILNS1_17partition_subalgoE9EtjbEEZZNS1_14partition_implILS5_9ELb0ES3_jN6thrust23THRUST_200600_302600_NS6detail15normal_iteratorINS9_10device_ptrItEEEENSB_INSC_IjEEEEPNS0_10empty_typeENS0_5tupleIJSE_SH_EEENSJ_IJNS9_16discard_iteratorINS9_11use_defaultEEESI_EEENS0_18inequality_wrapperINS9_8equal_toItEEEEPmJSH_EEE10hipError_tPvRmT3_T4_T5_T6_T7_T9_mT8_P12ihipStream_tbDpT10_ENKUlT_T0_E_clISt17integral_constantIbLb0EES1D_EEDaS18_S19_EUlS18_E_NS1_11comp_targetILNS1_3genE3ELNS1_11target_archE908ELNS1_3gpuE7ELNS1_3repE0EEENS1_30default_config_static_selectorELNS0_4arch9wavefront6targetE0EEEvT1_,comdat
.Lfunc_end920:
	.size	_ZN7rocprim17ROCPRIM_400000_NS6detail17trampoline_kernelINS0_14default_configENS1_25partition_config_selectorILNS1_17partition_subalgoE9EtjbEEZZNS1_14partition_implILS5_9ELb0ES3_jN6thrust23THRUST_200600_302600_NS6detail15normal_iteratorINS9_10device_ptrItEEEENSB_INSC_IjEEEEPNS0_10empty_typeENS0_5tupleIJSE_SH_EEENSJ_IJNS9_16discard_iteratorINS9_11use_defaultEEESI_EEENS0_18inequality_wrapperINS9_8equal_toItEEEEPmJSH_EEE10hipError_tPvRmT3_T4_T5_T6_T7_T9_mT8_P12ihipStream_tbDpT10_ENKUlT_T0_E_clISt17integral_constantIbLb0EES1D_EEDaS18_S19_EUlS18_E_NS1_11comp_targetILNS1_3genE3ELNS1_11target_archE908ELNS1_3gpuE7ELNS1_3repE0EEENS1_30default_config_static_selectorELNS0_4arch9wavefront6targetE0EEEvT1_, .Lfunc_end920-_ZN7rocprim17ROCPRIM_400000_NS6detail17trampoline_kernelINS0_14default_configENS1_25partition_config_selectorILNS1_17partition_subalgoE9EtjbEEZZNS1_14partition_implILS5_9ELb0ES3_jN6thrust23THRUST_200600_302600_NS6detail15normal_iteratorINS9_10device_ptrItEEEENSB_INSC_IjEEEEPNS0_10empty_typeENS0_5tupleIJSE_SH_EEENSJ_IJNS9_16discard_iteratorINS9_11use_defaultEEESI_EEENS0_18inequality_wrapperINS9_8equal_toItEEEEPmJSH_EEE10hipError_tPvRmT3_T4_T5_T6_T7_T9_mT8_P12ihipStream_tbDpT10_ENKUlT_T0_E_clISt17integral_constantIbLb0EES1D_EEDaS18_S19_EUlS18_E_NS1_11comp_targetILNS1_3genE3ELNS1_11target_archE908ELNS1_3gpuE7ELNS1_3repE0EEENS1_30default_config_static_selectorELNS0_4arch9wavefront6targetE0EEEvT1_
                                        ; -- End function
	.section	.AMDGPU.csdata,"",@progbits
; Kernel info:
; codeLenInByte = 0
; NumSgprs: 0
; NumVgprs: 0
; ScratchSize: 0
; MemoryBound: 0
; FloatMode: 240
; IeeeMode: 1
; LDSByteSize: 0 bytes/workgroup (compile time only)
; SGPRBlocks: 0
; VGPRBlocks: 0
; NumSGPRsForWavesPerEU: 1
; NumVGPRsForWavesPerEU: 1
; Occupancy: 16
; WaveLimiterHint : 0
; COMPUTE_PGM_RSRC2:SCRATCH_EN: 0
; COMPUTE_PGM_RSRC2:USER_SGPR: 15
; COMPUTE_PGM_RSRC2:TRAP_HANDLER: 0
; COMPUTE_PGM_RSRC2:TGID_X_EN: 1
; COMPUTE_PGM_RSRC2:TGID_Y_EN: 0
; COMPUTE_PGM_RSRC2:TGID_Z_EN: 0
; COMPUTE_PGM_RSRC2:TIDIG_COMP_CNT: 0
	.section	.text._ZN7rocprim17ROCPRIM_400000_NS6detail17trampoline_kernelINS0_14default_configENS1_25partition_config_selectorILNS1_17partition_subalgoE9EtjbEEZZNS1_14partition_implILS5_9ELb0ES3_jN6thrust23THRUST_200600_302600_NS6detail15normal_iteratorINS9_10device_ptrItEEEENSB_INSC_IjEEEEPNS0_10empty_typeENS0_5tupleIJSE_SH_EEENSJ_IJNS9_16discard_iteratorINS9_11use_defaultEEESI_EEENS0_18inequality_wrapperINS9_8equal_toItEEEEPmJSH_EEE10hipError_tPvRmT3_T4_T5_T6_T7_T9_mT8_P12ihipStream_tbDpT10_ENKUlT_T0_E_clISt17integral_constantIbLb0EES1D_EEDaS18_S19_EUlS18_E_NS1_11comp_targetILNS1_3genE2ELNS1_11target_archE906ELNS1_3gpuE6ELNS1_3repE0EEENS1_30default_config_static_selectorELNS0_4arch9wavefront6targetE0EEEvT1_,"axG",@progbits,_ZN7rocprim17ROCPRIM_400000_NS6detail17trampoline_kernelINS0_14default_configENS1_25partition_config_selectorILNS1_17partition_subalgoE9EtjbEEZZNS1_14partition_implILS5_9ELb0ES3_jN6thrust23THRUST_200600_302600_NS6detail15normal_iteratorINS9_10device_ptrItEEEENSB_INSC_IjEEEEPNS0_10empty_typeENS0_5tupleIJSE_SH_EEENSJ_IJNS9_16discard_iteratorINS9_11use_defaultEEESI_EEENS0_18inequality_wrapperINS9_8equal_toItEEEEPmJSH_EEE10hipError_tPvRmT3_T4_T5_T6_T7_T9_mT8_P12ihipStream_tbDpT10_ENKUlT_T0_E_clISt17integral_constantIbLb0EES1D_EEDaS18_S19_EUlS18_E_NS1_11comp_targetILNS1_3genE2ELNS1_11target_archE906ELNS1_3gpuE6ELNS1_3repE0EEENS1_30default_config_static_selectorELNS0_4arch9wavefront6targetE0EEEvT1_,comdat
	.protected	_ZN7rocprim17ROCPRIM_400000_NS6detail17trampoline_kernelINS0_14default_configENS1_25partition_config_selectorILNS1_17partition_subalgoE9EtjbEEZZNS1_14partition_implILS5_9ELb0ES3_jN6thrust23THRUST_200600_302600_NS6detail15normal_iteratorINS9_10device_ptrItEEEENSB_INSC_IjEEEEPNS0_10empty_typeENS0_5tupleIJSE_SH_EEENSJ_IJNS9_16discard_iteratorINS9_11use_defaultEEESI_EEENS0_18inequality_wrapperINS9_8equal_toItEEEEPmJSH_EEE10hipError_tPvRmT3_T4_T5_T6_T7_T9_mT8_P12ihipStream_tbDpT10_ENKUlT_T0_E_clISt17integral_constantIbLb0EES1D_EEDaS18_S19_EUlS18_E_NS1_11comp_targetILNS1_3genE2ELNS1_11target_archE906ELNS1_3gpuE6ELNS1_3repE0EEENS1_30default_config_static_selectorELNS0_4arch9wavefront6targetE0EEEvT1_ ; -- Begin function _ZN7rocprim17ROCPRIM_400000_NS6detail17trampoline_kernelINS0_14default_configENS1_25partition_config_selectorILNS1_17partition_subalgoE9EtjbEEZZNS1_14partition_implILS5_9ELb0ES3_jN6thrust23THRUST_200600_302600_NS6detail15normal_iteratorINS9_10device_ptrItEEEENSB_INSC_IjEEEEPNS0_10empty_typeENS0_5tupleIJSE_SH_EEENSJ_IJNS9_16discard_iteratorINS9_11use_defaultEEESI_EEENS0_18inequality_wrapperINS9_8equal_toItEEEEPmJSH_EEE10hipError_tPvRmT3_T4_T5_T6_T7_T9_mT8_P12ihipStream_tbDpT10_ENKUlT_T0_E_clISt17integral_constantIbLb0EES1D_EEDaS18_S19_EUlS18_E_NS1_11comp_targetILNS1_3genE2ELNS1_11target_archE906ELNS1_3gpuE6ELNS1_3repE0EEENS1_30default_config_static_selectorELNS0_4arch9wavefront6targetE0EEEvT1_
	.globl	_ZN7rocprim17ROCPRIM_400000_NS6detail17trampoline_kernelINS0_14default_configENS1_25partition_config_selectorILNS1_17partition_subalgoE9EtjbEEZZNS1_14partition_implILS5_9ELb0ES3_jN6thrust23THRUST_200600_302600_NS6detail15normal_iteratorINS9_10device_ptrItEEEENSB_INSC_IjEEEEPNS0_10empty_typeENS0_5tupleIJSE_SH_EEENSJ_IJNS9_16discard_iteratorINS9_11use_defaultEEESI_EEENS0_18inequality_wrapperINS9_8equal_toItEEEEPmJSH_EEE10hipError_tPvRmT3_T4_T5_T6_T7_T9_mT8_P12ihipStream_tbDpT10_ENKUlT_T0_E_clISt17integral_constantIbLb0EES1D_EEDaS18_S19_EUlS18_E_NS1_11comp_targetILNS1_3genE2ELNS1_11target_archE906ELNS1_3gpuE6ELNS1_3repE0EEENS1_30default_config_static_selectorELNS0_4arch9wavefront6targetE0EEEvT1_
	.p2align	8
	.type	_ZN7rocprim17ROCPRIM_400000_NS6detail17trampoline_kernelINS0_14default_configENS1_25partition_config_selectorILNS1_17partition_subalgoE9EtjbEEZZNS1_14partition_implILS5_9ELb0ES3_jN6thrust23THRUST_200600_302600_NS6detail15normal_iteratorINS9_10device_ptrItEEEENSB_INSC_IjEEEEPNS0_10empty_typeENS0_5tupleIJSE_SH_EEENSJ_IJNS9_16discard_iteratorINS9_11use_defaultEEESI_EEENS0_18inequality_wrapperINS9_8equal_toItEEEEPmJSH_EEE10hipError_tPvRmT3_T4_T5_T6_T7_T9_mT8_P12ihipStream_tbDpT10_ENKUlT_T0_E_clISt17integral_constantIbLb0EES1D_EEDaS18_S19_EUlS18_E_NS1_11comp_targetILNS1_3genE2ELNS1_11target_archE906ELNS1_3gpuE6ELNS1_3repE0EEENS1_30default_config_static_selectorELNS0_4arch9wavefront6targetE0EEEvT1_,@function
_ZN7rocprim17ROCPRIM_400000_NS6detail17trampoline_kernelINS0_14default_configENS1_25partition_config_selectorILNS1_17partition_subalgoE9EtjbEEZZNS1_14partition_implILS5_9ELb0ES3_jN6thrust23THRUST_200600_302600_NS6detail15normal_iteratorINS9_10device_ptrItEEEENSB_INSC_IjEEEEPNS0_10empty_typeENS0_5tupleIJSE_SH_EEENSJ_IJNS9_16discard_iteratorINS9_11use_defaultEEESI_EEENS0_18inequality_wrapperINS9_8equal_toItEEEEPmJSH_EEE10hipError_tPvRmT3_T4_T5_T6_T7_T9_mT8_P12ihipStream_tbDpT10_ENKUlT_T0_E_clISt17integral_constantIbLb0EES1D_EEDaS18_S19_EUlS18_E_NS1_11comp_targetILNS1_3genE2ELNS1_11target_archE906ELNS1_3gpuE6ELNS1_3repE0EEENS1_30default_config_static_selectorELNS0_4arch9wavefront6targetE0EEEvT1_: ; @_ZN7rocprim17ROCPRIM_400000_NS6detail17trampoline_kernelINS0_14default_configENS1_25partition_config_selectorILNS1_17partition_subalgoE9EtjbEEZZNS1_14partition_implILS5_9ELb0ES3_jN6thrust23THRUST_200600_302600_NS6detail15normal_iteratorINS9_10device_ptrItEEEENSB_INSC_IjEEEEPNS0_10empty_typeENS0_5tupleIJSE_SH_EEENSJ_IJNS9_16discard_iteratorINS9_11use_defaultEEESI_EEENS0_18inequality_wrapperINS9_8equal_toItEEEEPmJSH_EEE10hipError_tPvRmT3_T4_T5_T6_T7_T9_mT8_P12ihipStream_tbDpT10_ENKUlT_T0_E_clISt17integral_constantIbLb0EES1D_EEDaS18_S19_EUlS18_E_NS1_11comp_targetILNS1_3genE2ELNS1_11target_archE906ELNS1_3gpuE6ELNS1_3repE0EEENS1_30default_config_static_selectorELNS0_4arch9wavefront6targetE0EEEvT1_
; %bb.0:
	.section	.rodata,"a",@progbits
	.p2align	6, 0x0
	.amdhsa_kernel _ZN7rocprim17ROCPRIM_400000_NS6detail17trampoline_kernelINS0_14default_configENS1_25partition_config_selectorILNS1_17partition_subalgoE9EtjbEEZZNS1_14partition_implILS5_9ELb0ES3_jN6thrust23THRUST_200600_302600_NS6detail15normal_iteratorINS9_10device_ptrItEEEENSB_INSC_IjEEEEPNS0_10empty_typeENS0_5tupleIJSE_SH_EEENSJ_IJNS9_16discard_iteratorINS9_11use_defaultEEESI_EEENS0_18inequality_wrapperINS9_8equal_toItEEEEPmJSH_EEE10hipError_tPvRmT3_T4_T5_T6_T7_T9_mT8_P12ihipStream_tbDpT10_ENKUlT_T0_E_clISt17integral_constantIbLb0EES1D_EEDaS18_S19_EUlS18_E_NS1_11comp_targetILNS1_3genE2ELNS1_11target_archE906ELNS1_3gpuE6ELNS1_3repE0EEENS1_30default_config_static_selectorELNS0_4arch9wavefront6targetE0EEEvT1_
		.amdhsa_group_segment_fixed_size 0
		.amdhsa_private_segment_fixed_size 0
		.amdhsa_kernarg_size 120
		.amdhsa_user_sgpr_count 15
		.amdhsa_user_sgpr_dispatch_ptr 0
		.amdhsa_user_sgpr_queue_ptr 0
		.amdhsa_user_sgpr_kernarg_segment_ptr 1
		.amdhsa_user_sgpr_dispatch_id 0
		.amdhsa_user_sgpr_private_segment_size 0
		.amdhsa_wavefront_size32 1
		.amdhsa_uses_dynamic_stack 0
		.amdhsa_enable_private_segment 0
		.amdhsa_system_sgpr_workgroup_id_x 1
		.amdhsa_system_sgpr_workgroup_id_y 0
		.amdhsa_system_sgpr_workgroup_id_z 0
		.amdhsa_system_sgpr_workgroup_info 0
		.amdhsa_system_vgpr_workitem_id 0
		.amdhsa_next_free_vgpr 1
		.amdhsa_next_free_sgpr 1
		.amdhsa_reserve_vcc 0
		.amdhsa_float_round_mode_32 0
		.amdhsa_float_round_mode_16_64 0
		.amdhsa_float_denorm_mode_32 3
		.amdhsa_float_denorm_mode_16_64 3
		.amdhsa_dx10_clamp 1
		.amdhsa_ieee_mode 1
		.amdhsa_fp16_overflow 0
		.amdhsa_workgroup_processor_mode 1
		.amdhsa_memory_ordered 1
		.amdhsa_forward_progress 0
		.amdhsa_shared_vgpr_count 0
		.amdhsa_exception_fp_ieee_invalid_op 0
		.amdhsa_exception_fp_denorm_src 0
		.amdhsa_exception_fp_ieee_div_zero 0
		.amdhsa_exception_fp_ieee_overflow 0
		.amdhsa_exception_fp_ieee_underflow 0
		.amdhsa_exception_fp_ieee_inexact 0
		.amdhsa_exception_int_div_zero 0
	.end_amdhsa_kernel
	.section	.text._ZN7rocprim17ROCPRIM_400000_NS6detail17trampoline_kernelINS0_14default_configENS1_25partition_config_selectorILNS1_17partition_subalgoE9EtjbEEZZNS1_14partition_implILS5_9ELb0ES3_jN6thrust23THRUST_200600_302600_NS6detail15normal_iteratorINS9_10device_ptrItEEEENSB_INSC_IjEEEEPNS0_10empty_typeENS0_5tupleIJSE_SH_EEENSJ_IJNS9_16discard_iteratorINS9_11use_defaultEEESI_EEENS0_18inequality_wrapperINS9_8equal_toItEEEEPmJSH_EEE10hipError_tPvRmT3_T4_T5_T6_T7_T9_mT8_P12ihipStream_tbDpT10_ENKUlT_T0_E_clISt17integral_constantIbLb0EES1D_EEDaS18_S19_EUlS18_E_NS1_11comp_targetILNS1_3genE2ELNS1_11target_archE906ELNS1_3gpuE6ELNS1_3repE0EEENS1_30default_config_static_selectorELNS0_4arch9wavefront6targetE0EEEvT1_,"axG",@progbits,_ZN7rocprim17ROCPRIM_400000_NS6detail17trampoline_kernelINS0_14default_configENS1_25partition_config_selectorILNS1_17partition_subalgoE9EtjbEEZZNS1_14partition_implILS5_9ELb0ES3_jN6thrust23THRUST_200600_302600_NS6detail15normal_iteratorINS9_10device_ptrItEEEENSB_INSC_IjEEEEPNS0_10empty_typeENS0_5tupleIJSE_SH_EEENSJ_IJNS9_16discard_iteratorINS9_11use_defaultEEESI_EEENS0_18inequality_wrapperINS9_8equal_toItEEEEPmJSH_EEE10hipError_tPvRmT3_T4_T5_T6_T7_T9_mT8_P12ihipStream_tbDpT10_ENKUlT_T0_E_clISt17integral_constantIbLb0EES1D_EEDaS18_S19_EUlS18_E_NS1_11comp_targetILNS1_3genE2ELNS1_11target_archE906ELNS1_3gpuE6ELNS1_3repE0EEENS1_30default_config_static_selectorELNS0_4arch9wavefront6targetE0EEEvT1_,comdat
.Lfunc_end921:
	.size	_ZN7rocprim17ROCPRIM_400000_NS6detail17trampoline_kernelINS0_14default_configENS1_25partition_config_selectorILNS1_17partition_subalgoE9EtjbEEZZNS1_14partition_implILS5_9ELb0ES3_jN6thrust23THRUST_200600_302600_NS6detail15normal_iteratorINS9_10device_ptrItEEEENSB_INSC_IjEEEEPNS0_10empty_typeENS0_5tupleIJSE_SH_EEENSJ_IJNS9_16discard_iteratorINS9_11use_defaultEEESI_EEENS0_18inequality_wrapperINS9_8equal_toItEEEEPmJSH_EEE10hipError_tPvRmT3_T4_T5_T6_T7_T9_mT8_P12ihipStream_tbDpT10_ENKUlT_T0_E_clISt17integral_constantIbLb0EES1D_EEDaS18_S19_EUlS18_E_NS1_11comp_targetILNS1_3genE2ELNS1_11target_archE906ELNS1_3gpuE6ELNS1_3repE0EEENS1_30default_config_static_selectorELNS0_4arch9wavefront6targetE0EEEvT1_, .Lfunc_end921-_ZN7rocprim17ROCPRIM_400000_NS6detail17trampoline_kernelINS0_14default_configENS1_25partition_config_selectorILNS1_17partition_subalgoE9EtjbEEZZNS1_14partition_implILS5_9ELb0ES3_jN6thrust23THRUST_200600_302600_NS6detail15normal_iteratorINS9_10device_ptrItEEEENSB_INSC_IjEEEEPNS0_10empty_typeENS0_5tupleIJSE_SH_EEENSJ_IJNS9_16discard_iteratorINS9_11use_defaultEEESI_EEENS0_18inequality_wrapperINS9_8equal_toItEEEEPmJSH_EEE10hipError_tPvRmT3_T4_T5_T6_T7_T9_mT8_P12ihipStream_tbDpT10_ENKUlT_T0_E_clISt17integral_constantIbLb0EES1D_EEDaS18_S19_EUlS18_E_NS1_11comp_targetILNS1_3genE2ELNS1_11target_archE906ELNS1_3gpuE6ELNS1_3repE0EEENS1_30default_config_static_selectorELNS0_4arch9wavefront6targetE0EEEvT1_
                                        ; -- End function
	.section	.AMDGPU.csdata,"",@progbits
; Kernel info:
; codeLenInByte = 0
; NumSgprs: 0
; NumVgprs: 0
; ScratchSize: 0
; MemoryBound: 0
; FloatMode: 240
; IeeeMode: 1
; LDSByteSize: 0 bytes/workgroup (compile time only)
; SGPRBlocks: 0
; VGPRBlocks: 0
; NumSGPRsForWavesPerEU: 1
; NumVGPRsForWavesPerEU: 1
; Occupancy: 16
; WaveLimiterHint : 0
; COMPUTE_PGM_RSRC2:SCRATCH_EN: 0
; COMPUTE_PGM_RSRC2:USER_SGPR: 15
; COMPUTE_PGM_RSRC2:TRAP_HANDLER: 0
; COMPUTE_PGM_RSRC2:TGID_X_EN: 1
; COMPUTE_PGM_RSRC2:TGID_Y_EN: 0
; COMPUTE_PGM_RSRC2:TGID_Z_EN: 0
; COMPUTE_PGM_RSRC2:TIDIG_COMP_CNT: 0
	.section	.text._ZN7rocprim17ROCPRIM_400000_NS6detail17trampoline_kernelINS0_14default_configENS1_25partition_config_selectorILNS1_17partition_subalgoE9EtjbEEZZNS1_14partition_implILS5_9ELb0ES3_jN6thrust23THRUST_200600_302600_NS6detail15normal_iteratorINS9_10device_ptrItEEEENSB_INSC_IjEEEEPNS0_10empty_typeENS0_5tupleIJSE_SH_EEENSJ_IJNS9_16discard_iteratorINS9_11use_defaultEEESI_EEENS0_18inequality_wrapperINS9_8equal_toItEEEEPmJSH_EEE10hipError_tPvRmT3_T4_T5_T6_T7_T9_mT8_P12ihipStream_tbDpT10_ENKUlT_T0_E_clISt17integral_constantIbLb0EES1D_EEDaS18_S19_EUlS18_E_NS1_11comp_targetILNS1_3genE10ELNS1_11target_archE1200ELNS1_3gpuE4ELNS1_3repE0EEENS1_30default_config_static_selectorELNS0_4arch9wavefront6targetE0EEEvT1_,"axG",@progbits,_ZN7rocprim17ROCPRIM_400000_NS6detail17trampoline_kernelINS0_14default_configENS1_25partition_config_selectorILNS1_17partition_subalgoE9EtjbEEZZNS1_14partition_implILS5_9ELb0ES3_jN6thrust23THRUST_200600_302600_NS6detail15normal_iteratorINS9_10device_ptrItEEEENSB_INSC_IjEEEEPNS0_10empty_typeENS0_5tupleIJSE_SH_EEENSJ_IJNS9_16discard_iteratorINS9_11use_defaultEEESI_EEENS0_18inequality_wrapperINS9_8equal_toItEEEEPmJSH_EEE10hipError_tPvRmT3_T4_T5_T6_T7_T9_mT8_P12ihipStream_tbDpT10_ENKUlT_T0_E_clISt17integral_constantIbLb0EES1D_EEDaS18_S19_EUlS18_E_NS1_11comp_targetILNS1_3genE10ELNS1_11target_archE1200ELNS1_3gpuE4ELNS1_3repE0EEENS1_30default_config_static_selectorELNS0_4arch9wavefront6targetE0EEEvT1_,comdat
	.protected	_ZN7rocprim17ROCPRIM_400000_NS6detail17trampoline_kernelINS0_14default_configENS1_25partition_config_selectorILNS1_17partition_subalgoE9EtjbEEZZNS1_14partition_implILS5_9ELb0ES3_jN6thrust23THRUST_200600_302600_NS6detail15normal_iteratorINS9_10device_ptrItEEEENSB_INSC_IjEEEEPNS0_10empty_typeENS0_5tupleIJSE_SH_EEENSJ_IJNS9_16discard_iteratorINS9_11use_defaultEEESI_EEENS0_18inequality_wrapperINS9_8equal_toItEEEEPmJSH_EEE10hipError_tPvRmT3_T4_T5_T6_T7_T9_mT8_P12ihipStream_tbDpT10_ENKUlT_T0_E_clISt17integral_constantIbLb0EES1D_EEDaS18_S19_EUlS18_E_NS1_11comp_targetILNS1_3genE10ELNS1_11target_archE1200ELNS1_3gpuE4ELNS1_3repE0EEENS1_30default_config_static_selectorELNS0_4arch9wavefront6targetE0EEEvT1_ ; -- Begin function _ZN7rocprim17ROCPRIM_400000_NS6detail17trampoline_kernelINS0_14default_configENS1_25partition_config_selectorILNS1_17partition_subalgoE9EtjbEEZZNS1_14partition_implILS5_9ELb0ES3_jN6thrust23THRUST_200600_302600_NS6detail15normal_iteratorINS9_10device_ptrItEEEENSB_INSC_IjEEEEPNS0_10empty_typeENS0_5tupleIJSE_SH_EEENSJ_IJNS9_16discard_iteratorINS9_11use_defaultEEESI_EEENS0_18inequality_wrapperINS9_8equal_toItEEEEPmJSH_EEE10hipError_tPvRmT3_T4_T5_T6_T7_T9_mT8_P12ihipStream_tbDpT10_ENKUlT_T0_E_clISt17integral_constantIbLb0EES1D_EEDaS18_S19_EUlS18_E_NS1_11comp_targetILNS1_3genE10ELNS1_11target_archE1200ELNS1_3gpuE4ELNS1_3repE0EEENS1_30default_config_static_selectorELNS0_4arch9wavefront6targetE0EEEvT1_
	.globl	_ZN7rocprim17ROCPRIM_400000_NS6detail17trampoline_kernelINS0_14default_configENS1_25partition_config_selectorILNS1_17partition_subalgoE9EtjbEEZZNS1_14partition_implILS5_9ELb0ES3_jN6thrust23THRUST_200600_302600_NS6detail15normal_iteratorINS9_10device_ptrItEEEENSB_INSC_IjEEEEPNS0_10empty_typeENS0_5tupleIJSE_SH_EEENSJ_IJNS9_16discard_iteratorINS9_11use_defaultEEESI_EEENS0_18inequality_wrapperINS9_8equal_toItEEEEPmJSH_EEE10hipError_tPvRmT3_T4_T5_T6_T7_T9_mT8_P12ihipStream_tbDpT10_ENKUlT_T0_E_clISt17integral_constantIbLb0EES1D_EEDaS18_S19_EUlS18_E_NS1_11comp_targetILNS1_3genE10ELNS1_11target_archE1200ELNS1_3gpuE4ELNS1_3repE0EEENS1_30default_config_static_selectorELNS0_4arch9wavefront6targetE0EEEvT1_
	.p2align	8
	.type	_ZN7rocprim17ROCPRIM_400000_NS6detail17trampoline_kernelINS0_14default_configENS1_25partition_config_selectorILNS1_17partition_subalgoE9EtjbEEZZNS1_14partition_implILS5_9ELb0ES3_jN6thrust23THRUST_200600_302600_NS6detail15normal_iteratorINS9_10device_ptrItEEEENSB_INSC_IjEEEEPNS0_10empty_typeENS0_5tupleIJSE_SH_EEENSJ_IJNS9_16discard_iteratorINS9_11use_defaultEEESI_EEENS0_18inequality_wrapperINS9_8equal_toItEEEEPmJSH_EEE10hipError_tPvRmT3_T4_T5_T6_T7_T9_mT8_P12ihipStream_tbDpT10_ENKUlT_T0_E_clISt17integral_constantIbLb0EES1D_EEDaS18_S19_EUlS18_E_NS1_11comp_targetILNS1_3genE10ELNS1_11target_archE1200ELNS1_3gpuE4ELNS1_3repE0EEENS1_30default_config_static_selectorELNS0_4arch9wavefront6targetE0EEEvT1_,@function
_ZN7rocprim17ROCPRIM_400000_NS6detail17trampoline_kernelINS0_14default_configENS1_25partition_config_selectorILNS1_17partition_subalgoE9EtjbEEZZNS1_14partition_implILS5_9ELb0ES3_jN6thrust23THRUST_200600_302600_NS6detail15normal_iteratorINS9_10device_ptrItEEEENSB_INSC_IjEEEEPNS0_10empty_typeENS0_5tupleIJSE_SH_EEENSJ_IJNS9_16discard_iteratorINS9_11use_defaultEEESI_EEENS0_18inequality_wrapperINS9_8equal_toItEEEEPmJSH_EEE10hipError_tPvRmT3_T4_T5_T6_T7_T9_mT8_P12ihipStream_tbDpT10_ENKUlT_T0_E_clISt17integral_constantIbLb0EES1D_EEDaS18_S19_EUlS18_E_NS1_11comp_targetILNS1_3genE10ELNS1_11target_archE1200ELNS1_3gpuE4ELNS1_3repE0EEENS1_30default_config_static_selectorELNS0_4arch9wavefront6targetE0EEEvT1_: ; @_ZN7rocprim17ROCPRIM_400000_NS6detail17trampoline_kernelINS0_14default_configENS1_25partition_config_selectorILNS1_17partition_subalgoE9EtjbEEZZNS1_14partition_implILS5_9ELb0ES3_jN6thrust23THRUST_200600_302600_NS6detail15normal_iteratorINS9_10device_ptrItEEEENSB_INSC_IjEEEEPNS0_10empty_typeENS0_5tupleIJSE_SH_EEENSJ_IJNS9_16discard_iteratorINS9_11use_defaultEEESI_EEENS0_18inequality_wrapperINS9_8equal_toItEEEEPmJSH_EEE10hipError_tPvRmT3_T4_T5_T6_T7_T9_mT8_P12ihipStream_tbDpT10_ENKUlT_T0_E_clISt17integral_constantIbLb0EES1D_EEDaS18_S19_EUlS18_E_NS1_11comp_targetILNS1_3genE10ELNS1_11target_archE1200ELNS1_3gpuE4ELNS1_3repE0EEENS1_30default_config_static_selectorELNS0_4arch9wavefront6targetE0EEEvT1_
; %bb.0:
	.section	.rodata,"a",@progbits
	.p2align	6, 0x0
	.amdhsa_kernel _ZN7rocprim17ROCPRIM_400000_NS6detail17trampoline_kernelINS0_14default_configENS1_25partition_config_selectorILNS1_17partition_subalgoE9EtjbEEZZNS1_14partition_implILS5_9ELb0ES3_jN6thrust23THRUST_200600_302600_NS6detail15normal_iteratorINS9_10device_ptrItEEEENSB_INSC_IjEEEEPNS0_10empty_typeENS0_5tupleIJSE_SH_EEENSJ_IJNS9_16discard_iteratorINS9_11use_defaultEEESI_EEENS0_18inequality_wrapperINS9_8equal_toItEEEEPmJSH_EEE10hipError_tPvRmT3_T4_T5_T6_T7_T9_mT8_P12ihipStream_tbDpT10_ENKUlT_T0_E_clISt17integral_constantIbLb0EES1D_EEDaS18_S19_EUlS18_E_NS1_11comp_targetILNS1_3genE10ELNS1_11target_archE1200ELNS1_3gpuE4ELNS1_3repE0EEENS1_30default_config_static_selectorELNS0_4arch9wavefront6targetE0EEEvT1_
		.amdhsa_group_segment_fixed_size 0
		.amdhsa_private_segment_fixed_size 0
		.amdhsa_kernarg_size 120
		.amdhsa_user_sgpr_count 15
		.amdhsa_user_sgpr_dispatch_ptr 0
		.amdhsa_user_sgpr_queue_ptr 0
		.amdhsa_user_sgpr_kernarg_segment_ptr 1
		.amdhsa_user_sgpr_dispatch_id 0
		.amdhsa_user_sgpr_private_segment_size 0
		.amdhsa_wavefront_size32 1
		.amdhsa_uses_dynamic_stack 0
		.amdhsa_enable_private_segment 0
		.amdhsa_system_sgpr_workgroup_id_x 1
		.amdhsa_system_sgpr_workgroup_id_y 0
		.amdhsa_system_sgpr_workgroup_id_z 0
		.amdhsa_system_sgpr_workgroup_info 0
		.amdhsa_system_vgpr_workitem_id 0
		.amdhsa_next_free_vgpr 1
		.amdhsa_next_free_sgpr 1
		.amdhsa_reserve_vcc 0
		.amdhsa_float_round_mode_32 0
		.amdhsa_float_round_mode_16_64 0
		.amdhsa_float_denorm_mode_32 3
		.amdhsa_float_denorm_mode_16_64 3
		.amdhsa_dx10_clamp 1
		.amdhsa_ieee_mode 1
		.amdhsa_fp16_overflow 0
		.amdhsa_workgroup_processor_mode 1
		.amdhsa_memory_ordered 1
		.amdhsa_forward_progress 0
		.amdhsa_shared_vgpr_count 0
		.amdhsa_exception_fp_ieee_invalid_op 0
		.amdhsa_exception_fp_denorm_src 0
		.amdhsa_exception_fp_ieee_div_zero 0
		.amdhsa_exception_fp_ieee_overflow 0
		.amdhsa_exception_fp_ieee_underflow 0
		.amdhsa_exception_fp_ieee_inexact 0
		.amdhsa_exception_int_div_zero 0
	.end_amdhsa_kernel
	.section	.text._ZN7rocprim17ROCPRIM_400000_NS6detail17trampoline_kernelINS0_14default_configENS1_25partition_config_selectorILNS1_17partition_subalgoE9EtjbEEZZNS1_14partition_implILS5_9ELb0ES3_jN6thrust23THRUST_200600_302600_NS6detail15normal_iteratorINS9_10device_ptrItEEEENSB_INSC_IjEEEEPNS0_10empty_typeENS0_5tupleIJSE_SH_EEENSJ_IJNS9_16discard_iteratorINS9_11use_defaultEEESI_EEENS0_18inequality_wrapperINS9_8equal_toItEEEEPmJSH_EEE10hipError_tPvRmT3_T4_T5_T6_T7_T9_mT8_P12ihipStream_tbDpT10_ENKUlT_T0_E_clISt17integral_constantIbLb0EES1D_EEDaS18_S19_EUlS18_E_NS1_11comp_targetILNS1_3genE10ELNS1_11target_archE1200ELNS1_3gpuE4ELNS1_3repE0EEENS1_30default_config_static_selectorELNS0_4arch9wavefront6targetE0EEEvT1_,"axG",@progbits,_ZN7rocprim17ROCPRIM_400000_NS6detail17trampoline_kernelINS0_14default_configENS1_25partition_config_selectorILNS1_17partition_subalgoE9EtjbEEZZNS1_14partition_implILS5_9ELb0ES3_jN6thrust23THRUST_200600_302600_NS6detail15normal_iteratorINS9_10device_ptrItEEEENSB_INSC_IjEEEEPNS0_10empty_typeENS0_5tupleIJSE_SH_EEENSJ_IJNS9_16discard_iteratorINS9_11use_defaultEEESI_EEENS0_18inequality_wrapperINS9_8equal_toItEEEEPmJSH_EEE10hipError_tPvRmT3_T4_T5_T6_T7_T9_mT8_P12ihipStream_tbDpT10_ENKUlT_T0_E_clISt17integral_constantIbLb0EES1D_EEDaS18_S19_EUlS18_E_NS1_11comp_targetILNS1_3genE10ELNS1_11target_archE1200ELNS1_3gpuE4ELNS1_3repE0EEENS1_30default_config_static_selectorELNS0_4arch9wavefront6targetE0EEEvT1_,comdat
.Lfunc_end922:
	.size	_ZN7rocprim17ROCPRIM_400000_NS6detail17trampoline_kernelINS0_14default_configENS1_25partition_config_selectorILNS1_17partition_subalgoE9EtjbEEZZNS1_14partition_implILS5_9ELb0ES3_jN6thrust23THRUST_200600_302600_NS6detail15normal_iteratorINS9_10device_ptrItEEEENSB_INSC_IjEEEEPNS0_10empty_typeENS0_5tupleIJSE_SH_EEENSJ_IJNS9_16discard_iteratorINS9_11use_defaultEEESI_EEENS0_18inequality_wrapperINS9_8equal_toItEEEEPmJSH_EEE10hipError_tPvRmT3_T4_T5_T6_T7_T9_mT8_P12ihipStream_tbDpT10_ENKUlT_T0_E_clISt17integral_constantIbLb0EES1D_EEDaS18_S19_EUlS18_E_NS1_11comp_targetILNS1_3genE10ELNS1_11target_archE1200ELNS1_3gpuE4ELNS1_3repE0EEENS1_30default_config_static_selectorELNS0_4arch9wavefront6targetE0EEEvT1_, .Lfunc_end922-_ZN7rocprim17ROCPRIM_400000_NS6detail17trampoline_kernelINS0_14default_configENS1_25partition_config_selectorILNS1_17partition_subalgoE9EtjbEEZZNS1_14partition_implILS5_9ELb0ES3_jN6thrust23THRUST_200600_302600_NS6detail15normal_iteratorINS9_10device_ptrItEEEENSB_INSC_IjEEEEPNS0_10empty_typeENS0_5tupleIJSE_SH_EEENSJ_IJNS9_16discard_iteratorINS9_11use_defaultEEESI_EEENS0_18inequality_wrapperINS9_8equal_toItEEEEPmJSH_EEE10hipError_tPvRmT3_T4_T5_T6_T7_T9_mT8_P12ihipStream_tbDpT10_ENKUlT_T0_E_clISt17integral_constantIbLb0EES1D_EEDaS18_S19_EUlS18_E_NS1_11comp_targetILNS1_3genE10ELNS1_11target_archE1200ELNS1_3gpuE4ELNS1_3repE0EEENS1_30default_config_static_selectorELNS0_4arch9wavefront6targetE0EEEvT1_
                                        ; -- End function
	.section	.AMDGPU.csdata,"",@progbits
; Kernel info:
; codeLenInByte = 0
; NumSgprs: 0
; NumVgprs: 0
; ScratchSize: 0
; MemoryBound: 0
; FloatMode: 240
; IeeeMode: 1
; LDSByteSize: 0 bytes/workgroup (compile time only)
; SGPRBlocks: 0
; VGPRBlocks: 0
; NumSGPRsForWavesPerEU: 1
; NumVGPRsForWavesPerEU: 1
; Occupancy: 16
; WaveLimiterHint : 0
; COMPUTE_PGM_RSRC2:SCRATCH_EN: 0
; COMPUTE_PGM_RSRC2:USER_SGPR: 15
; COMPUTE_PGM_RSRC2:TRAP_HANDLER: 0
; COMPUTE_PGM_RSRC2:TGID_X_EN: 1
; COMPUTE_PGM_RSRC2:TGID_Y_EN: 0
; COMPUTE_PGM_RSRC2:TGID_Z_EN: 0
; COMPUTE_PGM_RSRC2:TIDIG_COMP_CNT: 0
	.section	.text._ZN7rocprim17ROCPRIM_400000_NS6detail17trampoline_kernelINS0_14default_configENS1_25partition_config_selectorILNS1_17partition_subalgoE9EtjbEEZZNS1_14partition_implILS5_9ELb0ES3_jN6thrust23THRUST_200600_302600_NS6detail15normal_iteratorINS9_10device_ptrItEEEENSB_INSC_IjEEEEPNS0_10empty_typeENS0_5tupleIJSE_SH_EEENSJ_IJNS9_16discard_iteratorINS9_11use_defaultEEESI_EEENS0_18inequality_wrapperINS9_8equal_toItEEEEPmJSH_EEE10hipError_tPvRmT3_T4_T5_T6_T7_T9_mT8_P12ihipStream_tbDpT10_ENKUlT_T0_E_clISt17integral_constantIbLb0EES1D_EEDaS18_S19_EUlS18_E_NS1_11comp_targetILNS1_3genE9ELNS1_11target_archE1100ELNS1_3gpuE3ELNS1_3repE0EEENS1_30default_config_static_selectorELNS0_4arch9wavefront6targetE0EEEvT1_,"axG",@progbits,_ZN7rocprim17ROCPRIM_400000_NS6detail17trampoline_kernelINS0_14default_configENS1_25partition_config_selectorILNS1_17partition_subalgoE9EtjbEEZZNS1_14partition_implILS5_9ELb0ES3_jN6thrust23THRUST_200600_302600_NS6detail15normal_iteratorINS9_10device_ptrItEEEENSB_INSC_IjEEEEPNS0_10empty_typeENS0_5tupleIJSE_SH_EEENSJ_IJNS9_16discard_iteratorINS9_11use_defaultEEESI_EEENS0_18inequality_wrapperINS9_8equal_toItEEEEPmJSH_EEE10hipError_tPvRmT3_T4_T5_T6_T7_T9_mT8_P12ihipStream_tbDpT10_ENKUlT_T0_E_clISt17integral_constantIbLb0EES1D_EEDaS18_S19_EUlS18_E_NS1_11comp_targetILNS1_3genE9ELNS1_11target_archE1100ELNS1_3gpuE3ELNS1_3repE0EEENS1_30default_config_static_selectorELNS0_4arch9wavefront6targetE0EEEvT1_,comdat
	.protected	_ZN7rocprim17ROCPRIM_400000_NS6detail17trampoline_kernelINS0_14default_configENS1_25partition_config_selectorILNS1_17partition_subalgoE9EtjbEEZZNS1_14partition_implILS5_9ELb0ES3_jN6thrust23THRUST_200600_302600_NS6detail15normal_iteratorINS9_10device_ptrItEEEENSB_INSC_IjEEEEPNS0_10empty_typeENS0_5tupleIJSE_SH_EEENSJ_IJNS9_16discard_iteratorINS9_11use_defaultEEESI_EEENS0_18inequality_wrapperINS9_8equal_toItEEEEPmJSH_EEE10hipError_tPvRmT3_T4_T5_T6_T7_T9_mT8_P12ihipStream_tbDpT10_ENKUlT_T0_E_clISt17integral_constantIbLb0EES1D_EEDaS18_S19_EUlS18_E_NS1_11comp_targetILNS1_3genE9ELNS1_11target_archE1100ELNS1_3gpuE3ELNS1_3repE0EEENS1_30default_config_static_selectorELNS0_4arch9wavefront6targetE0EEEvT1_ ; -- Begin function _ZN7rocprim17ROCPRIM_400000_NS6detail17trampoline_kernelINS0_14default_configENS1_25partition_config_selectorILNS1_17partition_subalgoE9EtjbEEZZNS1_14partition_implILS5_9ELb0ES3_jN6thrust23THRUST_200600_302600_NS6detail15normal_iteratorINS9_10device_ptrItEEEENSB_INSC_IjEEEEPNS0_10empty_typeENS0_5tupleIJSE_SH_EEENSJ_IJNS9_16discard_iteratorINS9_11use_defaultEEESI_EEENS0_18inequality_wrapperINS9_8equal_toItEEEEPmJSH_EEE10hipError_tPvRmT3_T4_T5_T6_T7_T9_mT8_P12ihipStream_tbDpT10_ENKUlT_T0_E_clISt17integral_constantIbLb0EES1D_EEDaS18_S19_EUlS18_E_NS1_11comp_targetILNS1_3genE9ELNS1_11target_archE1100ELNS1_3gpuE3ELNS1_3repE0EEENS1_30default_config_static_selectorELNS0_4arch9wavefront6targetE0EEEvT1_
	.globl	_ZN7rocprim17ROCPRIM_400000_NS6detail17trampoline_kernelINS0_14default_configENS1_25partition_config_selectorILNS1_17partition_subalgoE9EtjbEEZZNS1_14partition_implILS5_9ELb0ES3_jN6thrust23THRUST_200600_302600_NS6detail15normal_iteratorINS9_10device_ptrItEEEENSB_INSC_IjEEEEPNS0_10empty_typeENS0_5tupleIJSE_SH_EEENSJ_IJNS9_16discard_iteratorINS9_11use_defaultEEESI_EEENS0_18inequality_wrapperINS9_8equal_toItEEEEPmJSH_EEE10hipError_tPvRmT3_T4_T5_T6_T7_T9_mT8_P12ihipStream_tbDpT10_ENKUlT_T0_E_clISt17integral_constantIbLb0EES1D_EEDaS18_S19_EUlS18_E_NS1_11comp_targetILNS1_3genE9ELNS1_11target_archE1100ELNS1_3gpuE3ELNS1_3repE0EEENS1_30default_config_static_selectorELNS0_4arch9wavefront6targetE0EEEvT1_
	.p2align	8
	.type	_ZN7rocprim17ROCPRIM_400000_NS6detail17trampoline_kernelINS0_14default_configENS1_25partition_config_selectorILNS1_17partition_subalgoE9EtjbEEZZNS1_14partition_implILS5_9ELb0ES3_jN6thrust23THRUST_200600_302600_NS6detail15normal_iteratorINS9_10device_ptrItEEEENSB_INSC_IjEEEEPNS0_10empty_typeENS0_5tupleIJSE_SH_EEENSJ_IJNS9_16discard_iteratorINS9_11use_defaultEEESI_EEENS0_18inequality_wrapperINS9_8equal_toItEEEEPmJSH_EEE10hipError_tPvRmT3_T4_T5_T6_T7_T9_mT8_P12ihipStream_tbDpT10_ENKUlT_T0_E_clISt17integral_constantIbLb0EES1D_EEDaS18_S19_EUlS18_E_NS1_11comp_targetILNS1_3genE9ELNS1_11target_archE1100ELNS1_3gpuE3ELNS1_3repE0EEENS1_30default_config_static_selectorELNS0_4arch9wavefront6targetE0EEEvT1_,@function
_ZN7rocprim17ROCPRIM_400000_NS6detail17trampoline_kernelINS0_14default_configENS1_25partition_config_selectorILNS1_17partition_subalgoE9EtjbEEZZNS1_14partition_implILS5_9ELb0ES3_jN6thrust23THRUST_200600_302600_NS6detail15normal_iteratorINS9_10device_ptrItEEEENSB_INSC_IjEEEEPNS0_10empty_typeENS0_5tupleIJSE_SH_EEENSJ_IJNS9_16discard_iteratorINS9_11use_defaultEEESI_EEENS0_18inequality_wrapperINS9_8equal_toItEEEEPmJSH_EEE10hipError_tPvRmT3_T4_T5_T6_T7_T9_mT8_P12ihipStream_tbDpT10_ENKUlT_T0_E_clISt17integral_constantIbLb0EES1D_EEDaS18_S19_EUlS18_E_NS1_11comp_targetILNS1_3genE9ELNS1_11target_archE1100ELNS1_3gpuE3ELNS1_3repE0EEENS1_30default_config_static_selectorELNS0_4arch9wavefront6targetE0EEEvT1_: ; @_ZN7rocprim17ROCPRIM_400000_NS6detail17trampoline_kernelINS0_14default_configENS1_25partition_config_selectorILNS1_17partition_subalgoE9EtjbEEZZNS1_14partition_implILS5_9ELb0ES3_jN6thrust23THRUST_200600_302600_NS6detail15normal_iteratorINS9_10device_ptrItEEEENSB_INSC_IjEEEEPNS0_10empty_typeENS0_5tupleIJSE_SH_EEENSJ_IJNS9_16discard_iteratorINS9_11use_defaultEEESI_EEENS0_18inequality_wrapperINS9_8equal_toItEEEEPmJSH_EEE10hipError_tPvRmT3_T4_T5_T6_T7_T9_mT8_P12ihipStream_tbDpT10_ENKUlT_T0_E_clISt17integral_constantIbLb0EES1D_EEDaS18_S19_EUlS18_E_NS1_11comp_targetILNS1_3genE9ELNS1_11target_archE1100ELNS1_3gpuE3ELNS1_3repE0EEENS1_30default_config_static_selectorELNS0_4arch9wavefront6targetE0EEEvT1_
; %bb.0:
	s_clause 0x4
	s_load_b128 s[4:7], s[0:1], 0x8
	s_load_b32 s14, s[0:1], 0x70
	s_load_b128 s[16:19], s[0:1], 0x48
	s_load_b64 s[2:3], s[0:1], 0x58
	s_load_b64 s[8:9], s[0:1], 0x18
	s_waitcnt lgkmcnt(0)
	s_lshl_b64 s[10:11], s[6:7], 1
	s_mul_i32 s20, s14, 0x580
	s_add_u32 s10, s4, s10
	s_addc_u32 s11, s5, s11
	s_add_i32 s4, s20, s6
	s_load_b64 s[12:13], s[18:19], 0x0
	s_sub_i32 s19, s2, s4
	s_add_i32 s14, s14, -1
	s_addk_i32 s19, 0x580
	s_add_u32 s4, s6, s20
	s_addc_u32 s5, s7, 0
	s_cmp_eq_u32 s15, s14
	v_cmp_ge_u64_e64 s2, s[4:5], s[2:3]
	s_cselect_b32 s14, -1, 0
	s_mov_b32 s5, 0
	s_mul_i32 s4, s15, 0x580
	s_delay_alu instid0(VALU_DEP_1)
	s_and_b32 s20, s14, s2
	s_lshl_b64 s[2:3], s[4:5], 1
	s_xor_b32 s18, s20, -1
	s_add_u32 s10, s10, s2
	s_addc_u32 s3, s11, s3
	s_and_b32 vcc_lo, exec_lo, s18
	s_mov_b32 s11, -1
	s_cbranch_vccz .LBB923_2
; %bb.1:
	v_lshlrev_b32_e32 v3, 1, v0
	s_mov_b32 s11, s5
	s_delay_alu instid0(VALU_DEP_1) | instskip(NEXT) | instid1(VALU_DEP_1)
	v_add_co_u32 v1, s2, s10, v3
	v_add_co_ci_u32_e64 v2, null, s3, 0, s2
	s_clause 0xa
	flat_load_u16 v4, v[1:2]
	flat_load_u16 v5, v[1:2] offset:256
	flat_load_u16 v6, v[1:2] offset:512
	;; [unrolled: 1-line block ×10, first 2 shown]
	s_waitcnt vmcnt(10) lgkmcnt(0)
	ds_store_b16 v3, v4
	s_waitcnt vmcnt(9)
	ds_store_b16 v3, v5 offset:256
	s_waitcnt vmcnt(8)
	ds_store_b16 v3, v6 offset:512
	;; [unrolled: 2-line block ×10, first 2 shown]
	s_waitcnt lgkmcnt(0)
	s_barrier
.LBB923_2:
	v_cmp_gt_u32_e64 s2, s19, v0
	s_and_not1_b32 vcc_lo, exec_lo, s11
	s_cbranch_vccnz .LBB923_26
; %bb.3:
                                        ; implicit-def: $vgpr1_vgpr2_vgpr3_vgpr4_vgpr5_vgpr6_vgpr7_vgpr8
	s_delay_alu instid0(VALU_DEP_1)
	s_and_saveexec_b32 s11, s2
	s_cbranch_execz .LBB923_5
; %bb.4:
	v_lshlrev_b32_e32 v1, 1, v0
	s_delay_alu instid0(VALU_DEP_1) | instskip(NEXT) | instid1(VALU_DEP_1)
	v_add_co_u32 v1, s2, s10, v1
	v_add_co_ci_u32_e64 v2, null, s3, 0, s2
	flat_load_d16_b16 v1, v[1:2]
.LBB923_5:
	s_or_b32 exec_lo, exec_lo, s11
	v_or_b32_e32 v7, 0x80, v0
	s_mov_b32 s2, exec_lo
	s_delay_alu instid0(VALU_DEP_1)
	v_cmpx_gt_u32_e64 s19, v7
	s_cbranch_execz .LBB923_7
; %bb.6:
	v_lshlrev_b32_e32 v7, 1, v0
	s_delay_alu instid0(VALU_DEP_1) | instskip(NEXT) | instid1(VALU_DEP_1)
	v_add_co_u32 v7, s11, s10, v7
	v_add_co_ci_u32_e64 v8, null, s3, 0, s11
	s_waitcnt vmcnt(0) lgkmcnt(0)
	flat_load_d16_hi_b16 v1, v[7:8] offset:256
.LBB923_7:
	s_or_b32 exec_lo, exec_lo, s2
	v_or_b32_e32 v7, 0x100, v0
	s_mov_b32 s2, exec_lo
	s_delay_alu instid0(VALU_DEP_1)
	v_cmpx_gt_u32_e64 s19, v7
	s_cbranch_execz .LBB923_9
; %bb.8:
	v_lshlrev_b32_e32 v7, 1, v0
	s_delay_alu instid0(VALU_DEP_1) | instskip(NEXT) | instid1(VALU_DEP_1)
	v_add_co_u32 v7, s11, s10, v7
	v_add_co_ci_u32_e64 v8, null, s3, 0, s11
	flat_load_d16_b16 v2, v[7:8] offset:512
.LBB923_9:
	s_or_b32 exec_lo, exec_lo, s2
	v_or_b32_e32 v7, 0x180, v0
	s_mov_b32 s2, exec_lo
	s_delay_alu instid0(VALU_DEP_1)
	v_cmpx_gt_u32_e64 s19, v7
	s_cbranch_execz .LBB923_11
; %bb.10:
	v_lshlrev_b32_e32 v7, 1, v0
	s_delay_alu instid0(VALU_DEP_1) | instskip(NEXT) | instid1(VALU_DEP_1)
	v_add_co_u32 v7, s11, s10, v7
	v_add_co_ci_u32_e64 v8, null, s3, 0, s11
	s_waitcnt vmcnt(0) lgkmcnt(0)
	flat_load_d16_hi_b16 v2, v[7:8] offset:768
.LBB923_11:
	s_or_b32 exec_lo, exec_lo, s2
	v_or_b32_e32 v7, 0x200, v0
	s_mov_b32 s2, exec_lo
	s_delay_alu instid0(VALU_DEP_1)
	v_cmpx_gt_u32_e64 s19, v7
	s_cbranch_execz .LBB923_13
; %bb.12:
	v_lshlrev_b32_e32 v7, 1, v0
	s_delay_alu instid0(VALU_DEP_1) | instskip(NEXT) | instid1(VALU_DEP_1)
	v_add_co_u32 v7, s11, s10, v7
	v_add_co_ci_u32_e64 v8, null, s3, 0, s11
	flat_load_d16_b16 v3, v[7:8] offset:1024
.LBB923_13:
	;; [unrolled: 27-line block ×5, first 2 shown]
	s_or_b32 exec_lo, exec_lo, s2
	v_lshlrev_b32_e32 v7, 1, v0
	s_waitcnt vmcnt(0) lgkmcnt(0)
	ds_store_b16 v7, v1
	ds_store_b16_d16_hi v7, v1 offset:256
	ds_store_b16 v7, v2 offset:512
	ds_store_b16_d16_hi v7, v2 offset:768
	ds_store_b16 v7, v3 offset:1024
	ds_store_b16_d16_hi v7, v3 offset:1280
	ds_store_b16 v7, v4 offset:1536
	ds_store_b16_d16_hi v7, v4 offset:1792
	ds_store_b16 v7, v5 offset:2048
	ds_store_b16_d16_hi v7, v5 offset:2304
	ds_store_b16 v7, v6 offset:2560
	s_waitcnt lgkmcnt(0)
	s_barrier
.LBB923_26:
	v_mul_u32_u24_e32 v1, 11, v0
	s_waitcnt lgkmcnt(0)
	buffer_gl0_inv
	s_lshl_b64 s[22:23], s[6:7], 2
	s_delay_alu instid0(SALU_CYCLE_1)
	s_add_u32 s2, s8, s22
	v_lshlrev_b32_e32 v2, 1, v1
	s_addc_u32 s8, s9, s23
	s_lshl_b64 s[4:5], s[4:5], 2
	ds_load_b128 v[13:16], v2
	ds_load_u16 v38, v2 offset:16
	ds_load_u16 v37, v2 offset:18
	;; [unrolled: 1-line block ×3, first 2 shown]
	s_add_u32 s2, s2, s4
	s_addc_u32 s4, s8, s5
	s_and_b32 vcc_lo, exec_lo, s18
	s_mov_b32 s5, -1
	s_waitcnt lgkmcnt(0)
	s_barrier
	buffer_gl0_inv
	s_cbranch_vccz .LBB923_28
; %bb.27:
	v_lshlrev_b32_e32 v7, 2, v0
	s_delay_alu instid0(VALU_DEP_1) | instskip(NEXT) | instid1(VALU_DEP_1)
	v_add_co_u32 v3, s5, s2, v7
	v_add_co_ci_u32_e64 v4, null, s4, 0, s5
	s_mov_b32 s5, 0
	s_delay_alu instid0(VALU_DEP_2) | instskip(NEXT) | instid1(VALU_DEP_2)
	v_add_co_u32 v5, vcc_lo, 0x1000, v3
	v_add_co_ci_u32_e32 v6, vcc_lo, 0, v4, vcc_lo
	s_clause 0xa
	flat_load_b32 v8, v[3:4]
	flat_load_b32 v9, v[3:4] offset:512
	flat_load_b32 v10, v[3:4] offset:1024
	flat_load_b32 v11, v[3:4] offset:1536
	flat_load_b32 v12, v[3:4] offset:2048
	flat_load_b32 v17, v[3:4] offset:2560
	flat_load_b32 v18, v[3:4] offset:3072
	flat_load_b32 v3, v[3:4] offset:3584
	flat_load_b32 v4, v[5:6]
	flat_load_b32 v19, v[5:6] offset:512
	flat_load_b32 v5, v[5:6] offset:1024
	s_waitcnt vmcnt(9) lgkmcnt(9)
	ds_store_2addr_stride64_b32 v7, v8, v9 offset1:2
	s_waitcnt vmcnt(7) lgkmcnt(8)
	ds_store_2addr_stride64_b32 v7, v10, v11 offset0:4 offset1:6
	s_waitcnt vmcnt(5) lgkmcnt(7)
	ds_store_2addr_stride64_b32 v7, v12, v17 offset0:8 offset1:10
	;; [unrolled: 2-line block ×4, first 2 shown]
	s_waitcnt vmcnt(0) lgkmcnt(5)
	ds_store_b32 v7, v5 offset:5120
	s_waitcnt lgkmcnt(0)
	s_barrier
.LBB923_28:
	s_and_not1_b32 vcc_lo, exec_lo, s5
	s_cbranch_vccnz .LBB923_52
; %bb.29:
	s_mov_b32 s5, exec_lo
                                        ; implicit-def: $vgpr3
	v_cmpx_gt_u32_e64 s19, v0
	s_cbranch_execz .LBB923_31
; %bb.30:
	v_lshlrev_b32_e32 v3, 2, v0
	s_delay_alu instid0(VALU_DEP_1) | instskip(NEXT) | instid1(VALU_DEP_1)
	v_add_co_u32 v3, s8, s2, v3
	v_add_co_ci_u32_e64 v4, null, s4, 0, s8
	flat_load_b32 v3, v[3:4]
.LBB923_31:
	s_or_b32 exec_lo, exec_lo, s5
	v_or_b32_e32 v4, 0x80, v0
	s_delay_alu instid0(VALU_DEP_1)
	v_cmp_gt_u32_e32 vcc_lo, s19, v4
                                        ; implicit-def: $vgpr4
	s_and_saveexec_b32 s5, vcc_lo
	s_cbranch_execz .LBB923_33
; %bb.32:
	v_lshlrev_b32_e32 v4, 2, v0
	s_delay_alu instid0(VALU_DEP_1) | instskip(NEXT) | instid1(VALU_DEP_1)
	v_add_co_u32 v4, s8, s2, v4
	v_add_co_ci_u32_e64 v5, null, s4, 0, s8
	flat_load_b32 v4, v[4:5] offset:512
.LBB923_33:
	s_or_b32 exec_lo, exec_lo, s5
	v_or_b32_e32 v5, 0x100, v0
	s_delay_alu instid0(VALU_DEP_1)
	v_cmp_gt_u32_e32 vcc_lo, s19, v5
                                        ; implicit-def: $vgpr5
	s_and_saveexec_b32 s5, vcc_lo
	s_cbranch_execz .LBB923_35
; %bb.34:
	v_lshlrev_b32_e32 v5, 2, v0
	s_delay_alu instid0(VALU_DEP_1) | instskip(NEXT) | instid1(VALU_DEP_1)
	v_add_co_u32 v5, s8, s2, v5
	v_add_co_ci_u32_e64 v6, null, s4, 0, s8
	flat_load_b32 v5, v[5:6] offset:1024
.LBB923_35:
	s_or_b32 exec_lo, exec_lo, s5
	v_or_b32_e32 v6, 0x180, v0
	s_delay_alu instid0(VALU_DEP_1)
	v_cmp_gt_u32_e32 vcc_lo, s19, v6
                                        ; implicit-def: $vgpr6
	s_and_saveexec_b32 s5, vcc_lo
	s_cbranch_execz .LBB923_37
; %bb.36:
	v_lshlrev_b32_e32 v6, 2, v0
	s_delay_alu instid0(VALU_DEP_1) | instskip(NEXT) | instid1(VALU_DEP_1)
	v_add_co_u32 v6, s8, s2, v6
	v_add_co_ci_u32_e64 v7, null, s4, 0, s8
	flat_load_b32 v6, v[6:7] offset:1536
.LBB923_37:
	s_or_b32 exec_lo, exec_lo, s5
	v_or_b32_e32 v7, 0x200, v0
	s_delay_alu instid0(VALU_DEP_1)
	v_cmp_gt_u32_e32 vcc_lo, s19, v7
                                        ; implicit-def: $vgpr7
	s_and_saveexec_b32 s5, vcc_lo
	s_cbranch_execz .LBB923_39
; %bb.38:
	v_lshlrev_b32_e32 v7, 2, v0
	s_delay_alu instid0(VALU_DEP_1) | instskip(NEXT) | instid1(VALU_DEP_1)
	v_add_co_u32 v7, s8, s2, v7
	v_add_co_ci_u32_e64 v8, null, s4, 0, s8
	flat_load_b32 v7, v[7:8] offset:2048
.LBB923_39:
	s_or_b32 exec_lo, exec_lo, s5
	v_or_b32_e32 v8, 0x280, v0
	s_delay_alu instid0(VALU_DEP_1)
	v_cmp_gt_u32_e32 vcc_lo, s19, v8
                                        ; implicit-def: $vgpr8
	s_and_saveexec_b32 s5, vcc_lo
	s_cbranch_execz .LBB923_41
; %bb.40:
	v_lshlrev_b32_e32 v8, 2, v0
	s_delay_alu instid0(VALU_DEP_1) | instskip(NEXT) | instid1(VALU_DEP_1)
	v_add_co_u32 v8, s8, s2, v8
	v_add_co_ci_u32_e64 v9, null, s4, 0, s8
	flat_load_b32 v8, v[8:9] offset:2560
.LBB923_41:
	s_or_b32 exec_lo, exec_lo, s5
	v_or_b32_e32 v9, 0x300, v0
	s_delay_alu instid0(VALU_DEP_1)
	v_cmp_gt_u32_e32 vcc_lo, s19, v9
                                        ; implicit-def: $vgpr9
	s_and_saveexec_b32 s5, vcc_lo
	s_cbranch_execz .LBB923_43
; %bb.42:
	v_lshlrev_b32_e32 v9, 2, v0
	s_delay_alu instid0(VALU_DEP_1) | instskip(NEXT) | instid1(VALU_DEP_1)
	v_add_co_u32 v9, s8, s2, v9
	v_add_co_ci_u32_e64 v10, null, s4, 0, s8
	flat_load_b32 v9, v[9:10] offset:3072
.LBB923_43:
	s_or_b32 exec_lo, exec_lo, s5
	v_or_b32_e32 v10, 0x380, v0
	s_delay_alu instid0(VALU_DEP_1)
	v_cmp_gt_u32_e32 vcc_lo, s19, v10
                                        ; implicit-def: $vgpr10
	s_and_saveexec_b32 s5, vcc_lo
	s_cbranch_execz .LBB923_45
; %bb.44:
	v_lshlrev_b32_e32 v10, 2, v0
	s_delay_alu instid0(VALU_DEP_1) | instskip(NEXT) | instid1(VALU_DEP_1)
	v_add_co_u32 v10, s8, s2, v10
	v_add_co_ci_u32_e64 v11, null, s4, 0, s8
	flat_load_b32 v10, v[10:11] offset:3584
.LBB923_45:
	s_or_b32 exec_lo, exec_lo, s5
	v_or_b32_e32 v12, 0x400, v0
	s_mov_b32 s5, exec_lo
                                        ; implicit-def: $vgpr11
	s_delay_alu instid0(VALU_DEP_1)
	v_cmpx_gt_u32_e64 s19, v12
	s_cbranch_execz .LBB923_47
; %bb.46:
	v_lshlrev_b32_e32 v11, 2, v12
	s_delay_alu instid0(VALU_DEP_1) | instskip(NEXT) | instid1(VALU_DEP_1)
	v_add_co_u32 v11, s8, s2, v11
	v_add_co_ci_u32_e64 v12, null, s4, 0, s8
	flat_load_b32 v11, v[11:12]
.LBB923_47:
	s_or_b32 exec_lo, exec_lo, s5
	v_or_b32_e32 v17, 0x480, v0
	s_mov_b32 s5, exec_lo
                                        ; implicit-def: $vgpr12
	s_delay_alu instid0(VALU_DEP_1)
	v_cmpx_gt_u32_e64 s19, v17
	s_cbranch_execz .LBB923_49
; %bb.48:
	v_lshlrev_b32_e32 v12, 2, v17
	s_delay_alu instid0(VALU_DEP_1) | instskip(NEXT) | instid1(VALU_DEP_1)
	v_add_co_u32 v17, s8, s2, v12
	v_add_co_ci_u32_e64 v18, null, s4, 0, s8
	flat_load_b32 v12, v[17:18]
.LBB923_49:
	s_or_b32 exec_lo, exec_lo, s5
	v_or_b32_e32 v18, 0x500, v0
	s_mov_b32 s5, exec_lo
                                        ; implicit-def: $vgpr17
	s_delay_alu instid0(VALU_DEP_1)
	v_cmpx_gt_u32_e64 s19, v18
	s_cbranch_execz .LBB923_51
; %bb.50:
	v_lshlrev_b32_e32 v17, 2, v18
	s_delay_alu instid0(VALU_DEP_1) | instskip(NEXT) | instid1(VALU_DEP_1)
	v_add_co_u32 v17, s2, s2, v17
	v_add_co_ci_u32_e64 v18, null, s4, 0, s2
	flat_load_b32 v17, v[17:18]
.LBB923_51:
	s_or_b32 exec_lo, exec_lo, s5
	v_mad_i32_i24 v2, 0xffffffee, v0, v2
	s_waitcnt vmcnt(0) lgkmcnt(0)
	ds_store_2addr_stride64_b32 v2, v3, v4 offset1:2
	ds_store_2addr_stride64_b32 v2, v5, v6 offset0:4 offset1:6
	ds_store_2addr_stride64_b32 v2, v7, v8 offset0:8 offset1:10
	;; [unrolled: 1-line block ×4, first 2 shown]
	ds_store_b32 v2, v17 offset:5120
	s_waitcnt lgkmcnt(0)
	s_barrier
.LBB923_52:
	v_lshlrev_b32_e32 v44, 2, v1
	buffer_gl0_inv
	s_cmp_lg_u32 s15, 0
	v_lshrrev_b32_e32 v42, 16, v13
	s_cselect_b32 s21, -1, 0
	ds_load_2addr_b32 v[28:29], v44 offset1:1
	ds_load_2addr_b32 v[26:27], v44 offset0:2 offset1:3
	ds_load_2addr_b32 v[24:25], v44 offset0:4 offset1:5
	;; [unrolled: 1-line block ×4, first 2 shown]
	ds_load_b32 v36, v44 offset:40
	s_cmp_lg_u64 s[6:7], 0
	v_lshrrev_b32_e32 v41, 16, v14
	s_cselect_b32 s2, -1, 0
	v_lshrrev_b32_e32 v40, 16, v15
	v_lshrrev_b32_e32 v39, 16, v16
	v_add_nc_u32_e32 v5, 1, v1
	v_add_nc_u32_e32 v6, 2, v1
	;; [unrolled: 1-line block ×10, first 2 shown]
	s_or_b32 s2, s21, s2
	s_mov_b32 s22, 0
	s_and_b32 vcc_lo, exec_lo, s2
	s_waitcnt lgkmcnt(0)
	s_barrier
	buffer_gl0_inv
	s_cbranch_vccz .LBB923_57
; %bb.53:
	v_add_co_u32 v17, s2, -2, s10
	s_delay_alu instid0(VALU_DEP_1)
	v_add_co_ci_u32_e64 v18, null, -1, s3, s2
	s_mov_b32 s3, -1
	s_and_b32 vcc_lo, exec_lo, s18
	flat_load_u16 v17, v[17:18]
	v_lshlrev_b32_e32 v18, 1, v0
	ds_store_b16 v18, v33
	s_cbranch_vccz .LBB923_59
; %bb.54:
	s_waitcnt vmcnt(0) lgkmcnt(1)
	v_mov_b32_e32 v19, v17
	s_mov_b32 s3, 0
	s_mov_b32 s2, exec_lo
	s_waitcnt lgkmcnt(0)
	s_barrier
	buffer_gl0_inv
	v_cmpx_ne_u32_e32 0, v0
	s_cbranch_execz .LBB923_56
; %bb.55:
	v_add_nc_u32_e32 v12, -2, v18
	ds_load_u16 v19, v12
.LBB923_56:
	s_or_b32 exec_lo, exec_lo, s2
	v_cmp_ne_u16_e32 vcc_lo, v16, v39
	s_waitcnt lgkmcnt(0)
	v_cmp_ne_u16_e64 s2, v19, v13
	v_cndmask_b32_e64 v12, 0, 1, vcc_lo
	v_cmp_ne_u16_e32 vcc_lo, v40, v16
	s_delay_alu instid0(VALU_DEP_2) | instskip(SKIP_2) | instid1(VALU_DEP_2)
	v_lshlrev_b16 v12, 8, v12
	v_cndmask_b32_e64 v30, 0, 1, vcc_lo
	v_cmp_ne_u16_e32 vcc_lo, v15, v40
	v_or_b32_e32 v30, v30, v12
	v_cndmask_b32_e64 v31, 0, 1, vcc_lo
	v_cmp_ne_u16_e32 vcc_lo, v41, v15
	s_delay_alu instid0(VALU_DEP_2) | instskip(SKIP_2) | instid1(VALU_DEP_2)
	v_lshlrev_b16 v31, 8, v31
	v_cndmask_b32_e64 v32, 0, 1, vcc_lo
	v_cmp_ne_u16_e32 vcc_lo, v14, v41
	v_or_b32_e32 v31, v32, v31
	v_cndmask_b32_e64 v34, 0, 1, vcc_lo
	v_cmp_ne_u16_e32 vcc_lo, v42, v14
	s_delay_alu instid0(VALU_DEP_3) | instskip(NEXT) | instid1(VALU_DEP_3)
	v_and_b32_e32 v31, 0xffff, v31
	v_lshlrev_b16 v45, 8, v34
	v_cndmask_b32_e64 v35, 0, 1, vcc_lo
	v_cmp_ne_u16_e32 vcc_lo, v13, v42
	s_delay_alu instid0(VALU_DEP_2) | instskip(SKIP_3) | instid1(VALU_DEP_4)
	v_or_b32_e32 v35, v35, v45
	v_cndmask_b32_e64 v43, 0, 1, vcc_lo
	v_cmp_ne_u16_e32 vcc_lo, v37, v33
	v_lshlrev_b32_e32 v45, 16, v30
	v_lshlrev_b32_e32 v35, 16, v35
	s_delay_alu instid0(VALU_DEP_4) | instskip(SKIP_3) | instid1(VALU_DEP_4)
	v_lshlrev_b16 v43, 8, v43
	v_cndmask_b32_e64 v34, 0, 1, vcc_lo
	v_cmp_ne_u16_e32 vcc_lo, v38, v37
	v_or_b32_e32 v31, v31, v45
	v_and_b32_e32 v43, 0xffff, v43
	v_cndmask_b32_e64 v12, 0, 1, vcc_lo
	v_cmp_ne_u16_e32 vcc_lo, v39, v38
	s_delay_alu instid0(VALU_DEP_3)
	v_or_b32_e32 v30, v43, v35
	v_cndmask_b32_e64 v32, 0, 1, vcc_lo
	s_and_b32 vcc_lo, exec_lo, s3
	s_cbranch_vccnz .LBB923_60
	s_branch .LBB923_63
.LBB923_57:
                                        ; implicit-def: $sgpr2
                                        ; implicit-def: $vgpr34
                                        ; implicit-def: $vgpr12
                                        ; implicit-def: $vgpr32
                                        ; implicit-def: $vgpr31
	s_branch .LBB923_64
.LBB923_58:
                                        ; implicit-def: $vgpr17_vgpr18_vgpr19
	s_and_saveexec_b32 s3, s22
	s_cbranch_execnz .LBB923_72
	s_branch .LBB923_73
.LBB923_59:
                                        ; implicit-def: $sgpr2
                                        ; implicit-def: $vgpr34
                                        ; implicit-def: $vgpr12
                                        ; implicit-def: $vgpr32
                                        ; implicit-def: $vgpr31
	s_and_b32 vcc_lo, exec_lo, s3
	s_cbranch_vccz .LBB923_63
.LBB923_60:
	s_mov_b32 s2, exec_lo
	s_waitcnt vmcnt(0) lgkmcnt(0)
	s_barrier
	buffer_gl0_inv
	v_cmpx_ne_u32_e32 0, v0
	s_cbranch_execz .LBB923_62
; %bb.61:
	v_add_nc_u32_e32 v12, -2, v18
	ds_load_u16 v17, v12
.LBB923_62:
	s_or_b32 exec_lo, exec_lo, s2
	v_cmp_gt_u32_e32 vcc_lo, s19, v9
	v_cmp_ne_u16_e64 s2, v37, v33
	v_cmp_gt_u32_e64 s3, s19, v10
	v_cmp_ne_u16_e64 s4, v38, v37
	v_cmp_gt_u32_e64 s5, s19, v5
	v_cmp_ne_u16_e64 s6, v13, v42
	s_and_b32 s2, vcc_lo, s2
	v_cmp_gt_u32_e32 vcc_lo, s19, v2
	v_cndmask_b32_e64 v34, 0, 1, s2
	v_cmp_ne_u16_e64 s2, v16, v39
	s_and_b32 s3, s3, s4
	v_cmp_ne_u16_e64 s4, v40, v16
	v_cndmask_b32_e64 v12, 0, 1, s3
	v_cmp_gt_u32_e64 s3, s19, v4
	s_and_b32 s2, vcc_lo, s2
	v_cmp_gt_u32_e32 vcc_lo, s19, v7
	v_cndmask_b32_e64 v18, 0, 1, s2
	v_cmp_ne_u16_e64 s2, v15, v40
	s_and_b32 s3, s3, s4
	v_cmp_ne_u16_e64 s4, v14, v41
	v_cndmask_b32_e64 v19, 0, 1, s3
	v_cmp_gt_u32_e64 s3, s19, v3
	;; [unrolled: 8-line block ×3, first 2 shown]
	s_and_b32 s2, vcc_lo, s2
	v_lshlrev_b16 v30, 8, v30
	v_cndmask_b32_e64 v32, 0, 1, s2
	v_lshlrev_b16 v31, 8, v31
	s_and_b32 s2, s3, s4
	v_lshlrev_b16 v18, 8, v18
	v_cndmask_b32_e64 v35, 0, 1, s2
	s_and_b32 s2, s5, s6
	v_or_b32_e32 v30, v32, v30
	v_cndmask_b32_e64 v43, 0, 1, s2
	v_or_b32_e32 v18, v19, v18
	v_or_b32_e32 v31, v35, v31
	v_cmp_gt_u32_e32 vcc_lo, s19, v11
	v_cmp_ne_u16_e64 s2, v39, v38
	v_lshlrev_b16 v35, 8, v43
	v_lshlrev_b32_e32 v18, 16, v18
	v_lshlrev_b32_e32 v19, 16, v31
	s_delay_alu instid0(VALU_DEP_4) | instskip(NEXT) | instid1(VALU_DEP_3)
	s_and_b32 s2, vcc_lo, s2
	v_and_b32_e32 v31, 0xffff, v35
	v_and_b32_e32 v35, 0xffff, v30
	v_cndmask_b32_e64 v32, 0, 1, s2
	v_cmp_gt_u32_e32 vcc_lo, s19, v1
	s_waitcnt lgkmcnt(0)
	v_cmp_ne_u16_e64 s2, v17, v13
	v_or_b32_e32 v30, v31, v19
	v_or_b32_e32 v31, v35, v18
	s_delay_alu instid0(VALU_DEP_3)
	s_and_b32 s2, vcc_lo, s2
.LBB923_63:
	s_mov_b32 s22, -1
	s_cbranch_execnz .LBB923_58
.LBB923_64:
	v_mad_i32_i24 v35, 0xffffffd6, v0, v44
	v_cmp_ne_u16_e64 s2, v37, v33
	v_cmp_ne_u16_e64 s9, v38, v37
	;; [unrolled: 1-line block ×10, first 2 shown]
	s_and_b32 vcc_lo, exec_lo, s18
	ds_store_b16 v35, v33
	s_cbranch_vccz .LBB923_68
; %bb.65:
	s_waitcnt vmcnt(0) lgkmcnt(2)
	v_cndmask_b32_e64 v17, 0, 1, s11
	v_cndmask_b32_e64 v12, 0, 1, s9
	;; [unrolled: 1-line block ×5, first 2 shown]
	v_lshlrev_b16 v17, 8, v17
	v_cndmask_b32_e64 v43, 0, 1, s4
	v_cndmask_b32_e64 v32, 0, 1, s10
	;; [unrolled: 1-line block ×4, first 2 shown]
	v_lshlrev_b16 v18, 8, v18
	v_lshlrev_b16 v45, 8, v12
	v_or_b32_e32 v17, v30, v17
	v_lshlrev_b16 v30, 8, v31
	v_lshlrev_b16 v31, 8, v43
	v_or_b32_e32 v18, v19, v18
	v_or_b32_e32 v19, v32, v45
	v_and_b32_e32 v17, 0xffff, v17
	v_or_b32_e32 v30, v34, v30
	v_or_b32_e32 v31, 1, v31
	v_lshlrev_b32_e32 v18, 16, v18
	v_and_b32_e32 v19, 0xffff, v19
	v_cndmask_b32_e64 v34, 0, 1, s2
	v_lshlrev_b32_e32 v30, 16, v30
	v_and_b32_e32 v43, 0xffff, v31
	v_or_b32_e32 v31, v17, v18
	s_mov_b32 s3, 0
	v_lshl_or_b32 v19, v34, 16, v19
	s_mov_b32 s4, exec_lo
	v_or_b32_e32 v30, v43, v30
	s_waitcnt lgkmcnt(0)
	s_barrier
	buffer_gl0_inv
                                        ; implicit-def: $sgpr2
	v_cmpx_ne_u32_e32 0, v0
	s_xor_b32 s4, exec_lo, s4
	s_cbranch_execz .LBB923_67
; %bb.66:
	v_add_nc_u32_e32 v17, -2, v35
	s_or_b32 s22, s22, exec_lo
	ds_load_u16 v17, v17
	s_waitcnt lgkmcnt(0)
	v_cmp_ne_u16_e32 vcc_lo, v17, v13
                                        ; implicit-def: $vgpr17_vgpr18_vgpr19
	s_and_b32 s2, vcc_lo, exec_lo
.LBB923_67:
	s_or_b32 exec_lo, exec_lo, s4
	s_delay_alu instid0(SALU_CYCLE_1)
	s_and_b32 vcc_lo, exec_lo, s3
	s_cbranch_vccnz .LBB923_69
	s_branch .LBB923_71
.LBB923_68:
                                        ; implicit-def: $sgpr2
                                        ; implicit-def: $vgpr34
                                        ; implicit-def: $vgpr12
                                        ; implicit-def: $vgpr32
                                        ; implicit-def: $vgpr31
                                        ; implicit-def: $vgpr17_vgpr18_vgpr19
	s_cbranch_execz .LBB923_71
.LBB923_69:
	v_cmp_gt_u32_e32 vcc_lo, s19, v10
	v_cmp_ne_u16_e64 s2, v38, v37
	v_cmp_gt_u32_e64 s5, s19, v11
	v_cmp_ne_u16_e64 s6, v39, v38
	v_cmp_gt_u32_e64 s3, s19, v9
	v_cmp_ne_u16_e64 s4, v37, v33
	s_and_b32 s2, vcc_lo, s2
	v_cmp_gt_u32_e32 vcc_lo, s19, v2
	v_cndmask_b32_e64 v12, 0, 1, s2
	v_cmp_ne_u16_e64 s2, v16, v39
	s_and_b32 s5, s5, s6
	v_cmp_ne_u16_e64 s6, v40, v16
	v_cndmask_b32_e64 v32, 0, 1, s5
	v_cmp_gt_u32_e64 s5, s19, v4
	s_and_b32 s2, vcc_lo, s2
	v_cmp_gt_u32_e32 vcc_lo, s19, v7
	s_waitcnt vmcnt(0) lgkmcnt(2)
	v_cndmask_b32_e64 v17, 0, 1, s2
	v_cmp_ne_u16_e64 s2, v15, v40
	s_and_b32 s5, s5, s6
	v_cmp_ne_u16_e64 s6, v41, v15
	v_cndmask_b32_e64 v18, 0, 1, s5
	v_cmp_gt_u32_e64 s5, s19, v8
	s_and_b32 s2, vcc_lo, s2
	v_cmp_gt_u32_e32 vcc_lo, s19, v3
	v_cndmask_b32_e64 v19, 0, 1, s2
	v_cmp_ne_u16_e64 s2, v14, v41
	s_and_b32 s5, s5, s6
	v_cmp_ne_u16_e64 s6, v42, v14
	v_cndmask_b32_e64 v30, 0, 1, s5
	v_cmp_gt_u32_e64 s5, s19, v6
	s_and_b32 s2, vcc_lo, s2
	v_cmp_gt_u32_e32 vcc_lo, s19, v5
	v_cndmask_b32_e64 v31, 0, 1, s2
	v_cmp_ne_u16_e64 s2, v13, v42
	v_lshlrev_b16 v19, 8, v19
	v_lshlrev_b16 v17, 8, v17
	s_and_b32 s5, s5, s6
	v_lshlrev_b16 v45, 8, v12
	s_and_b32 s2, vcc_lo, s2
	v_cndmask_b32_e64 v34, 0, 1, s5
	v_cndmask_b32_e64 v43, 0, 1, s2
	v_or_b32_e32 v19, v30, v19
	v_or_b32_e32 v17, v18, v17
	v_lshlrev_b16 v18, 8, v31
	v_or_b32_e32 v31, v32, v45
	v_lshlrev_b16 v30, 8, v43
	s_and_b32 s2, s3, s4
	v_and_b32_e32 v19, 0xffff, v19
	v_or_b32_e32 v18, v34, v18
	v_lshlrev_b32_e32 v17, 16, v17
	v_or_b32_e32 v30, 1, v30
	v_and_b32_e32 v43, 0xffff, v31
	v_cndmask_b32_e64 v34, 0, 1, s2
	v_lshlrev_b32_e32 v18, 16, v18
	v_or_b32_e32 v31, v19, v17
	v_and_b32_e32 v30, 0xffff, v30
	s_mov_b32 s3, exec_lo
	v_lshl_or_b32 v19, v34, 16, v43
	s_waitcnt lgkmcnt(0)
	s_barrier
	v_or_b32_e32 v30, v30, v18
	buffer_gl0_inv
                                        ; implicit-def: $sgpr2
	v_cmpx_ne_u32_e32 0, v0
	s_cbranch_execz .LBB923_212
; %bb.70:
	v_add_nc_u32_e32 v17, -2, v35
	v_cmp_gt_u32_e32 vcc_lo, s19, v1
	s_or_b32 s22, s22, exec_lo
	ds_load_u16 v17, v17
	s_waitcnt lgkmcnt(0)
	v_cmp_ne_u16_e64 s2, v17, v13
                                        ; implicit-def: $vgpr17_vgpr18_vgpr19
	s_delay_alu instid0(VALU_DEP_1) | instskip(NEXT) | instid1(SALU_CYCLE_1)
	s_and_b32 s2, vcc_lo, s2
	s_and_b32 s2, s2, exec_lo
	s_or_b32 exec_lo, exec_lo, s3
.LBB923_71:
	s_and_saveexec_b32 s3, s22
	s_cbranch_execz .LBB923_73
.LBB923_72:
	v_lshrrev_b32_e32 v18, 24, v30
	v_lshrrev_b32_e32 v19, 16, v30
	;; [unrolled: 1-line block ×3, first 2 shown]
	s_waitcnt vmcnt(0) lgkmcnt(1)
	v_cndmask_b32_e64 v17, 0, 1, s2
	v_lshlrev_b16 v12, 8, v12
	v_and_b32_e32 v32, 0xff, v32
	v_lshlrev_b16 v18, 8, v18
	v_and_b32_e32 v19, 0xff, v19
	;; [unrolled: 2-line block ×3, first 2 shown]
	v_or_b32_e32 v12, v32, v12
	s_delay_alu instid0(VALU_DEP_4) | instskip(NEXT) | instid1(VALU_DEP_4)
	v_or_b32_e32 v18, v19, v18
	v_or_b32_e32 v17, v17, v30
	s_delay_alu instid0(VALU_DEP_4) | instskip(NEXT) | instid1(VALU_DEP_4)
	v_lshlrev_b32_e32 v19, 16, v34
	v_and_b32_e32 v12, 0xffff, v12
	s_delay_alu instid0(VALU_DEP_4) | instskip(NEXT) | instid1(VALU_DEP_4)
	v_lshlrev_b32_e32 v18, 16, v18
	v_and_b32_e32 v17, 0xffff, v17
	s_delay_alu instid0(VALU_DEP_3) | instskip(NEXT) | instid1(VALU_DEP_2)
	v_or_b32_e32 v19, v12, v19
	v_or_b32_e32 v30, v17, v18
.LBB923_73:
	s_or_b32 exec_lo, exec_lo, s3
	s_load_b64 s[10:11], s[0:1], 0x68
	s_and_not1_b32 vcc_lo, exec_lo, s20
	s_cbranch_vccnz .LBB923_75
; %bb.74:
	v_cmp_gt_u32_e32 vcc_lo, s19, v1
	v_cmp_gt_u32_e64 s2, s19, v5
	v_cmp_gt_u32_e64 s4, s19, v6
	v_and_b32_e32 v5, 0xffffff00, v31
	v_cmp_gt_u32_e64 s3, s19, v10
	v_dual_cndmask_b32 v1, 0, v30 :: v_dual_and_b32 v12, 0xff000000, v19
	v_cmp_gt_u32_e32 vcc_lo, s19, v11
	v_cmp_gt_u32_e64 s6, s19, v3
	v_cmp_gt_u32_e64 s5, s19, v9
	s_delay_alu instid0(VALU_DEP_4) | instskip(SKIP_1) | instid1(VALU_DEP_2)
	v_and_b32_e32 v1, 0xff, v1
	v_cndmask_b32_e32 v11, v12, v19, vcc_lo
	v_cndmask_b32_e64 v1, v1, v30, s2
	v_cmp_gt_u32_e64 s2, s19, v8
	s_delay_alu instid0(VALU_DEP_3) | instskip(NEXT) | instid1(VALU_DEP_3)
	v_and_b32_e32 v11, 0xff0000ff, v11
	v_and_b32_e32 v1, 0xffff, v1
	s_delay_alu instid0(VALU_DEP_3) | instskip(NEXT) | instid1(VALU_DEP_3)
	v_cndmask_b32_e64 v5, v5, v31, s2
	v_cndmask_b32_e64 v8, v11, v19, s3
	s_or_b32 s3, s5, s3
	s_delay_alu instid0(VALU_DEP_3) | instskip(NEXT) | instid1(VALU_DEP_3)
	v_cndmask_b32_e64 v1, v1, v30, s4
	v_and_b32_e32 v5, 0xffff00ff, v5
	s_delay_alu instid0(VALU_DEP_3) | instskip(SKIP_1) | instid1(VALU_DEP_4)
	v_and_b32_e32 v6, 0xff00ffff, v8
	v_cmp_gt_u32_e64 s4, s19, v7
	v_and_b32_e32 v1, 0xffffff, v1
	s_delay_alu instid0(VALU_DEP_3) | instskip(NEXT) | instid1(VALU_DEP_3)
	v_cndmask_b32_e64 v6, v6, v19, s5
	v_cndmask_b32_e64 v5, v5, v31, s4
	s_delay_alu instid0(VALU_DEP_3) | instskip(NEXT) | instid1(VALU_DEP_2)
	v_cndmask_b32_e64 v1, v1, v30, s6
	v_and_b32_e32 v3, 0xff00ffff, v5
	s_delay_alu instid0(VALU_DEP_4) | instskip(NEXT) | instid1(VALU_DEP_3)
	v_lshrrev_b32_e32 v5, 8, v6
	v_cndmask_b32_e64 v1, v1, v30, s2
	v_cmp_gt_u32_e64 s2, s19, v4
	s_delay_alu instid0(VALU_DEP_3) | instskip(NEXT) | instid1(VALU_DEP_3)
	v_lshlrev_b16 v5, 8, v5
	v_cndmask_b32_e64 v1, v1, v30, s4
	v_cmp_gt_u32_e64 s4, s19, v2
	s_delay_alu instid0(VALU_DEP_4) | instskip(NEXT) | instid1(VALU_DEP_3)
	v_cndmask_b32_e64 v3, v3, v31, s2
	v_cndmask_b32_e64 v1, v1, v30, s2
	s_or_b32 s2, s3, vcc_lo
	s_delay_alu instid0(VALU_DEP_3) | instid1(SALU_CYCLE_1)
	s_or_b32 vcc_lo, s2, s4
	s_delay_alu instid0(VALU_DEP_1) | instskip(NEXT) | instid1(VALU_DEP_1)
	v_dual_cndmask_b32 v1, v1, v30 :: v_dual_and_b32 v2, 0xffffff, v3
	v_dual_cndmask_b32 v31, v2, v31 :: v_dual_and_b32 v4, 0xff, v6
	s_delay_alu instid0(VALU_DEP_2) | instskip(NEXT) | instid1(VALU_DEP_2)
	v_perm_b32 v30, v1, v1, 0x3020104
	v_or_b32_e32 v3, v4, v5
	s_delay_alu instid0(VALU_DEP_1) | instskip(NEXT) | instid1(VALU_DEP_1)
	v_and_b32_e32 v2, 0xffff, v3
	v_and_or_b32 v19, 0xff0000, v6, v2
.LBB923_75:
	s_delay_alu instid0(VALU_DEP_4)
	v_and_b32_e32 v45, 0xff, v30
	v_bfe_u32 v46, v30, 8, 8
	v_alignbit_b32 v1, v31, v30, 24
	v_bfe_u32 v47, v30, 16, 8
	v_and_b32_e32 v48, 0xff, v31
	v_bfe_u32 v50, v31, 8, 8
	v_bfe_u32 v51, v31, 16, 8
	v_and_b32_e32 v49, 0xff, v1
	v_add3_u32 v1, v46, v45, v47
	v_lshrrev_b32_e32 v43, 24, v31
	v_mbcnt_lo_u32_b32 v54, -1, 0
	v_and_b32_e32 v52, 0xff, v19
	v_bfe_u32 v53, v19, 8, 8
	v_add3_u32 v1, v1, v49, v48
	v_bfe_u32 v3, v19, 16, 8
	v_and_b32_e32 v2, 15, v54
	v_or_b32_e32 v4, 31, v0
	v_and_b32_e32 v5, 16, v54
	v_add3_u32 v1, v1, v50, v51
	v_lshrrev_b32_e32 v55, 5, v0
	v_cmp_eq_u32_e64 s7, 0, v2
	v_cmp_lt_u32_e64 s6, 1, v2
	v_cmp_lt_u32_e64 s5, 3, v2
	v_add3_u32 v1, v1, v43, v52
	v_cmp_lt_u32_e64 s4, 7, v2
	v_cmp_eq_u32_e64 s3, 0, v5
	v_cmp_eq_u32_e64 s2, v4, v0
	s_and_b32 vcc_lo, exec_lo, s21
	v_add3_u32 v56, v1, v53, v3
	s_mov_b32 s19, -1
	s_waitcnt vmcnt(0) lgkmcnt(0)
	s_barrier
	buffer_gl0_inv
	s_cbranch_vccz .LBB923_101
; %bb.76:
	v_mov_b32_dpp v1, v56 row_shr:1 row_mask:0xf bank_mask:0xf
	s_delay_alu instid0(VALU_DEP_1) | instskip(NEXT) | instid1(VALU_DEP_1)
	v_cndmask_b32_e64 v1, v1, 0, s7
	v_add_nc_u32_e32 v1, v1, v56
	s_delay_alu instid0(VALU_DEP_1) | instskip(NEXT) | instid1(VALU_DEP_1)
	v_mov_b32_dpp v2, v1 row_shr:2 row_mask:0xf bank_mask:0xf
	v_cndmask_b32_e64 v2, 0, v2, s6
	s_delay_alu instid0(VALU_DEP_1) | instskip(NEXT) | instid1(VALU_DEP_1)
	v_add_nc_u32_e32 v1, v1, v2
	v_mov_b32_dpp v2, v1 row_shr:4 row_mask:0xf bank_mask:0xf
	s_delay_alu instid0(VALU_DEP_1) | instskip(NEXT) | instid1(VALU_DEP_1)
	v_cndmask_b32_e64 v2, 0, v2, s5
	v_add_nc_u32_e32 v1, v1, v2
	s_delay_alu instid0(VALU_DEP_1) | instskip(NEXT) | instid1(VALU_DEP_1)
	v_mov_b32_dpp v2, v1 row_shr:8 row_mask:0xf bank_mask:0xf
	v_cndmask_b32_e64 v2, 0, v2, s4
	s_delay_alu instid0(VALU_DEP_1) | instskip(SKIP_3) | instid1(VALU_DEP_1)
	v_add_nc_u32_e32 v1, v1, v2
	ds_swizzle_b32 v2, v1 offset:swizzle(BROADCAST,32,15)
	s_waitcnt lgkmcnt(0)
	v_cndmask_b32_e64 v2, v2, 0, s3
	v_add_nc_u32_e32 v1, v1, v2
	s_and_saveexec_b32 s8, s2
	s_cbranch_execz .LBB923_78
; %bb.77:
	v_lshlrev_b32_e32 v2, 2, v55
	ds_store_b32 v2, v1
.LBB923_78:
	s_or_b32 exec_lo, exec_lo, s8
	s_delay_alu instid0(SALU_CYCLE_1)
	s_mov_b32 s8, exec_lo
	s_waitcnt lgkmcnt(0)
	s_barrier
	buffer_gl0_inv
	v_cmpx_gt_u32_e32 4, v0
	s_cbranch_execz .LBB923_80
; %bb.79:
	v_and_b32_e32 v4, 3, v54
	s_delay_alu instid0(VALU_DEP_1) | instskip(SKIP_4) | instid1(VALU_DEP_1)
	v_cmp_ne_u32_e32 vcc_lo, 0, v4
	v_lshlrev_b32_e32 v2, 2, v0
	ds_load_b32 v3, v2
	s_waitcnt lgkmcnt(0)
	v_mov_b32_dpp v5, v3 row_shr:1 row_mask:0xf bank_mask:0xf
	v_cndmask_b32_e32 v5, 0, v5, vcc_lo
	v_cmp_lt_u32_e32 vcc_lo, 1, v4
	s_delay_alu instid0(VALU_DEP_2) | instskip(NEXT) | instid1(VALU_DEP_1)
	v_add_nc_u32_e32 v3, v5, v3
	v_mov_b32_dpp v5, v3 row_shr:2 row_mask:0xf bank_mask:0xf
	s_delay_alu instid0(VALU_DEP_1) | instskip(NEXT) | instid1(VALU_DEP_1)
	v_cndmask_b32_e32 v4, 0, v5, vcc_lo
	v_add_nc_u32_e32 v3, v3, v4
	ds_store_b32 v2, v3
.LBB923_80:
	s_or_b32 exec_lo, exec_lo, s8
	v_cmp_gt_u32_e32 vcc_lo, 32, v0
	s_mov_b32 s9, exec_lo
	s_waitcnt lgkmcnt(0)
	s_barrier
	buffer_gl0_inv
                                        ; implicit-def: $vgpr9
	v_cmpx_lt_u32_e32 31, v0
	s_cbranch_execz .LBB923_82
; %bb.81:
	v_lshl_add_u32 v2, v55, 2, -4
	ds_load_b32 v9, v2
	s_waitcnt lgkmcnt(0)
	v_add_nc_u32_e32 v1, v9, v1
.LBB923_82:
	s_or_b32 exec_lo, exec_lo, s9
	v_add_nc_u32_e32 v2, -1, v54
	s_delay_alu instid0(VALU_DEP_1) | instskip(NEXT) | instid1(VALU_DEP_1)
	v_cmp_gt_i32_e64 s8, 0, v2
	v_cndmask_b32_e64 v2, v2, v54, s8
	v_cmp_eq_u32_e64 s8, 0, v54
	s_delay_alu instid0(VALU_DEP_2)
	v_lshlrev_b32_e32 v2, 2, v2
	ds_bpermute_b32 v10, v2, v1
	s_and_saveexec_b32 s9, vcc_lo
	s_cbranch_execz .LBB923_100
; %bb.83:
	v_mov_b32_e32 v5, 0
	ds_load_b32 v1, v5 offset:12
	s_and_saveexec_b32 s19, s8
	s_cbranch_execz .LBB923_85
; %bb.84:
	s_add_i32 s20, s15, 32
	s_mov_b32 s21, 0
	v_mov_b32_e32 v2, 1
	s_lshl_b64 s[20:21], s[20:21], 3
	s_delay_alu instid0(SALU_CYCLE_1)
	s_add_u32 s20, s10, s20
	s_addc_u32 s21, s11, s21
	s_waitcnt lgkmcnt(0)
	global_store_b64 v5, v[1:2], s[20:21]
.LBB923_85:
	s_or_b32 exec_lo, exec_lo, s19
	v_xad_u32 v3, v54, -1, s15
	s_mov_b32 s20, 0
	s_mov_b32 s19, exec_lo
	s_delay_alu instid0(VALU_DEP_1) | instskip(NEXT) | instid1(VALU_DEP_1)
	v_add_nc_u32_e32 v4, 32, v3
	v_lshlrev_b64 v[4:5], 3, v[4:5]
	s_delay_alu instid0(VALU_DEP_1) | instskip(NEXT) | instid1(VALU_DEP_2)
	v_add_co_u32 v7, vcc_lo, s10, v4
	v_add_co_ci_u32_e32 v8, vcc_lo, s11, v5, vcc_lo
	global_load_b64 v[5:6], v[7:8], off glc
	s_waitcnt vmcnt(0)
	v_and_b32_e32 v2, 0xff, v6
	s_delay_alu instid0(VALU_DEP_1)
	v_cmpx_eq_u16_e32 0, v2
	s_cbranch_execz .LBB923_88
.LBB923_86:                             ; =>This Inner Loop Header: Depth=1
	global_load_b64 v[5:6], v[7:8], off glc
	s_waitcnt vmcnt(0)
	v_and_b32_e32 v2, 0xff, v6
	s_delay_alu instid0(VALU_DEP_1) | instskip(SKIP_1) | instid1(SALU_CYCLE_1)
	v_cmp_ne_u16_e32 vcc_lo, 0, v2
	s_or_b32 s20, vcc_lo, s20
	s_and_not1_b32 exec_lo, exec_lo, s20
	s_cbranch_execnz .LBB923_86
; %bb.87:
	s_or_b32 exec_lo, exec_lo, s20
.LBB923_88:
	s_delay_alu instid0(SALU_CYCLE_1)
	s_or_b32 exec_lo, exec_lo, s19
	v_cmp_ne_u32_e32 vcc_lo, 31, v54
	v_lshlrev_b32_e64 v12, v54, -1
	v_add_nc_u32_e32 v18, 2, v54
	v_add_nc_u32_e32 v34, 4, v54
	;; [unrolled: 1-line block ×3, first 2 shown]
	v_add_co_ci_u32_e32 v2, vcc_lo, 0, v54, vcc_lo
	v_add_nc_u32_e32 v59, 16, v54
	s_delay_alu instid0(VALU_DEP_2)
	v_lshlrev_b32_e32 v11, 2, v2
	v_and_b32_e32 v2, 0xff, v6
	ds_bpermute_b32 v4, v11, v5
	v_cmp_eq_u16_e32 vcc_lo, 2, v2
	v_and_or_b32 v2, vcc_lo, v12, 0x80000000
	v_cmp_gt_u32_e32 vcc_lo, 30, v54
	s_delay_alu instid0(VALU_DEP_2) | instskip(SKIP_1) | instid1(VALU_DEP_2)
	v_ctz_i32_b32_e32 v2, v2
	v_cndmask_b32_e64 v7, 0, 1, vcc_lo
	v_cmp_lt_u32_e32 vcc_lo, v54, v2
	s_waitcnt lgkmcnt(0)
	s_delay_alu instid0(VALU_DEP_2) | instskip(NEXT) | instid1(VALU_DEP_1)
	v_dual_cndmask_b32 v4, 0, v4 :: v_dual_lshlrev_b32 v7, 1, v7
	v_add_lshl_u32 v17, v7, v54, 2
	v_cmp_gt_u32_e32 vcc_lo, 28, v54
	s_delay_alu instid0(VALU_DEP_3) | instskip(SKIP_4) | instid1(VALU_DEP_1)
	v_add_nc_u32_e32 v4, v4, v5
	v_cndmask_b32_e64 v7, 0, 1, vcc_lo
	v_cmp_le_u32_e32 vcc_lo, v18, v2
	ds_bpermute_b32 v5, v17, v4
	v_lshlrev_b32_e32 v7, 2, v7
	v_add_lshl_u32 v32, v7, v54, 2
	s_waitcnt lgkmcnt(0)
	v_cndmask_b32_e32 v5, 0, v5, vcc_lo
	v_cmp_gt_u32_e32 vcc_lo, 24, v54
	s_delay_alu instid0(VALU_DEP_2) | instskip(SKIP_4) | instid1(VALU_DEP_1)
	v_add_nc_u32_e32 v4, v4, v5
	v_cndmask_b32_e64 v7, 0, 1, vcc_lo
	v_cmp_le_u32_e32 vcc_lo, v34, v2
	ds_bpermute_b32 v5, v32, v4
	v_lshlrev_b32_e32 v7, 3, v7
	v_add_lshl_u32 v35, v7, v54, 2
	s_waitcnt lgkmcnt(0)
	v_cndmask_b32_e32 v5, 0, v5, vcc_lo
	v_cmp_gt_u32_e32 vcc_lo, 16, v54
	s_delay_alu instid0(VALU_DEP_2) | instskip(SKIP_4) | instid1(VALU_DEP_1)
	v_add_nc_u32_e32 v4, v4, v5
	v_cndmask_b32_e64 v7, 0, 1, vcc_lo
	v_cmp_le_u32_e32 vcc_lo, v57, v2
	ds_bpermute_b32 v5, v35, v4
	v_lshlrev_b32_e32 v7, 4, v7
	v_add_lshl_u32 v58, v7, v54, 2
	s_waitcnt lgkmcnt(0)
	v_cndmask_b32_e32 v5, 0, v5, vcc_lo
	v_cmp_le_u32_e32 vcc_lo, v59, v2
	s_delay_alu instid0(VALU_DEP_2) | instskip(SKIP_3) | instid1(VALU_DEP_1)
	v_add_nc_u32_e32 v4, v4, v5
	ds_bpermute_b32 v5, v58, v4
	s_waitcnt lgkmcnt(0)
	v_cndmask_b32_e32 v2, 0, v5, vcc_lo
	v_dual_mov_b32 v4, 0 :: v_dual_add_nc_u32 v5, v4, v2
	s_branch .LBB923_90
.LBB923_89:                             ;   in Loop: Header=BB923_90 Depth=1
	s_or_b32 exec_lo, exec_lo, s19
	ds_bpermute_b32 v8, v11, v5
	v_and_b32_e32 v7, 0xff, v6
	v_subrev_nc_u32_e32 v3, 32, v3
	s_delay_alu instid0(VALU_DEP_2) | instskip(SKIP_1) | instid1(VALU_DEP_1)
	v_cmp_eq_u16_e32 vcc_lo, 2, v7
	v_and_or_b32 v7, vcc_lo, v12, 0x80000000
	v_ctz_i32_b32_e32 v7, v7
	s_delay_alu instid0(VALU_DEP_1) | instskip(SKIP_3) | instid1(VALU_DEP_2)
	v_cmp_lt_u32_e32 vcc_lo, v54, v7
	s_waitcnt lgkmcnt(0)
	v_cndmask_b32_e32 v8, 0, v8, vcc_lo
	v_cmp_le_u32_e32 vcc_lo, v18, v7
	v_add_nc_u32_e32 v5, v8, v5
	ds_bpermute_b32 v8, v17, v5
	s_waitcnt lgkmcnt(0)
	v_cndmask_b32_e32 v8, 0, v8, vcc_lo
	v_cmp_le_u32_e32 vcc_lo, v34, v7
	s_delay_alu instid0(VALU_DEP_2) | instskip(SKIP_4) | instid1(VALU_DEP_2)
	v_add_nc_u32_e32 v5, v5, v8
	ds_bpermute_b32 v8, v32, v5
	s_waitcnt lgkmcnt(0)
	v_cndmask_b32_e32 v8, 0, v8, vcc_lo
	v_cmp_le_u32_e32 vcc_lo, v57, v7
	v_add_nc_u32_e32 v5, v5, v8
	ds_bpermute_b32 v8, v35, v5
	s_waitcnt lgkmcnt(0)
	v_cndmask_b32_e32 v8, 0, v8, vcc_lo
	v_cmp_le_u32_e32 vcc_lo, v59, v7
	s_delay_alu instid0(VALU_DEP_2) | instskip(SKIP_3) | instid1(VALU_DEP_1)
	v_add_nc_u32_e32 v5, v5, v8
	ds_bpermute_b32 v8, v58, v5
	s_waitcnt lgkmcnt(0)
	v_cndmask_b32_e32 v7, 0, v8, vcc_lo
	v_add3_u32 v5, v7, v2, v5
.LBB923_90:                             ; =>This Loop Header: Depth=1
                                        ;     Child Loop BB923_93 Depth 2
	v_and_b32_e32 v2, 0xff, v6
	s_delay_alu instid0(VALU_DEP_1) | instskip(SKIP_2) | instid1(VALU_DEP_1)
	v_cmp_ne_u16_e32 vcc_lo, 2, v2
	v_cndmask_b32_e64 v2, 0, 1, vcc_lo
	;;#ASMSTART
	;;#ASMEND
	v_cmp_ne_u32_e32 vcc_lo, 0, v2
	v_mov_b32_e32 v2, v5
	s_cmp_lg_u32 vcc_lo, exec_lo
	s_cbranch_scc1 .LBB923_95
; %bb.91:                               ;   in Loop: Header=BB923_90 Depth=1
	v_lshlrev_b64 v[5:6], 3, v[3:4]
	s_mov_b32 s19, exec_lo
	s_delay_alu instid0(VALU_DEP_1) | instskip(NEXT) | instid1(VALU_DEP_2)
	v_add_co_u32 v7, vcc_lo, s10, v5
	v_add_co_ci_u32_e32 v8, vcc_lo, s11, v6, vcc_lo
	global_load_b64 v[5:6], v[7:8], off glc
	s_waitcnt vmcnt(0)
	v_and_b32_e32 v60, 0xff, v6
	s_delay_alu instid0(VALU_DEP_1)
	v_cmpx_eq_u16_e32 0, v60
	s_cbranch_execz .LBB923_89
; %bb.92:                               ;   in Loop: Header=BB923_90 Depth=1
	s_mov_b32 s20, 0
.LBB923_93:                             ;   Parent Loop BB923_90 Depth=1
                                        ; =>  This Inner Loop Header: Depth=2
	global_load_b64 v[5:6], v[7:8], off glc
	s_waitcnt vmcnt(0)
	v_and_b32_e32 v60, 0xff, v6
	s_delay_alu instid0(VALU_DEP_1) | instskip(SKIP_1) | instid1(SALU_CYCLE_1)
	v_cmp_ne_u16_e32 vcc_lo, 0, v60
	s_or_b32 s20, vcc_lo, s20
	s_and_not1_b32 exec_lo, exec_lo, s20
	s_cbranch_execnz .LBB923_93
; %bb.94:                               ;   in Loop: Header=BB923_90 Depth=1
	s_or_b32 exec_lo, exec_lo, s20
	s_branch .LBB923_89
.LBB923_95:                             ;   in Loop: Header=BB923_90 Depth=1
                                        ; implicit-def: $vgpr5
                                        ; implicit-def: $vgpr6
	s_cbranch_execz .LBB923_90
; %bb.96:
	s_and_saveexec_b32 s19, s8
	s_cbranch_execz .LBB923_98
; %bb.97:
	s_add_i32 s20, s15, 32
	s_mov_b32 s21, 0
	v_dual_mov_b32 v4, 2 :: v_dual_add_nc_u32 v3, v2, v1
	s_lshl_b64 s[20:21], s[20:21], 3
	v_mov_b32_e32 v5, 0
	s_add_u32 s20, s10, s20
	s_addc_u32 s21, s11, s21
	global_store_b64 v5, v[3:4], s[20:21]
	ds_store_b64 v5, v[1:2] offset:5632
.LBB923_98:
	s_or_b32 exec_lo, exec_lo, s19
	v_cmp_eq_u32_e32 vcc_lo, 0, v0
	s_and_b32 exec_lo, exec_lo, vcc_lo
	s_cbranch_execz .LBB923_100
; %bb.99:
	v_mov_b32_e32 v1, 0
	ds_store_b32 v1, v2 offset:12
.LBB923_100:
	s_or_b32 exec_lo, exec_lo, s9
	s_waitcnt lgkmcnt(0)
	v_cndmask_b32_e64 v3, v10, v9, s8
	v_cmp_ne_u32_e32 vcc_lo, 0, v0
	s_waitcnt_vscnt null, 0x0
	s_barrier
	buffer_gl0_inv
	v_cndmask_b32_e32 v3, 0, v3, vcc_lo
	v_mov_b32_e32 v1, 0
	ds_load_b32 v2, v1 offset:12
	s_waitcnt lgkmcnt(0)
	s_barrier
	buffer_gl0_inv
	v_add_nc_u32_e32 v2, v2, v3
	ds_load_b64 v[17:18], v1 offset:5632
	v_add_nc_u32_e32 v3, v2, v45
	s_delay_alu instid0(VALU_DEP_1) | instskip(SKIP_1) | instid1(VALU_DEP_1)
	v_add_nc_u32_e32 v4, v3, v46
	s_waitcnt lgkmcnt(0)
	v_dual_mov_b32 v32, v18 :: v_dual_add_nc_u32 v5, v4, v47
	s_delay_alu instid0(VALU_DEP_1) | instskip(NEXT) | instid1(VALU_DEP_1)
	v_add_nc_u32_e32 v6, v5, v49
	v_add_nc_u32_e32 v7, v6, v48
	s_delay_alu instid0(VALU_DEP_1) | instskip(NEXT) | instid1(VALU_DEP_1)
	v_add_nc_u32_e32 v8, v7, v50
	v_add_nc_u32_e32 v9, v8, v51
	s_delay_alu instid0(VALU_DEP_1) | instskip(NEXT) | instid1(VALU_DEP_1)
	v_add_nc_u32_e32 v10, v9, v43
	v_add_nc_u32_e32 v11, v10, v52
	s_delay_alu instid0(VALU_DEP_1)
	v_add_nc_u32_e32 v12, v11, v53
	s_load_b64 s[8:9], s[0:1], 0x28
	v_lshrrev_b64 v[34:35], 24, v[30:31]
	s_branch .LBB923_111
.LBB923_101:
                                        ; implicit-def: $vgpr32
                                        ; implicit-def: $vgpr2_vgpr3_vgpr4_vgpr5_vgpr6_vgpr7_vgpr8_vgpr9_vgpr10_vgpr11_vgpr12
                                        ; implicit-def: $vgpr17
	s_load_b64 s[8:9], s[0:1], 0x28
	v_lshrrev_b64 v[34:35], 24, v[30:31]
	s_and_b32 vcc_lo, exec_lo, s19
	s_cbranch_vccz .LBB923_111
; %bb.102:
	v_mov_b32_dpp v1, v56 row_shr:1 row_mask:0xf bank_mask:0xf
	s_delay_alu instid0(VALU_DEP_1) | instskip(NEXT) | instid1(VALU_DEP_1)
	v_cndmask_b32_e64 v1, v1, 0, s7
	v_add_nc_u32_e32 v1, v1, v56
	s_delay_alu instid0(VALU_DEP_1) | instskip(NEXT) | instid1(VALU_DEP_1)
	v_mov_b32_dpp v2, v1 row_shr:2 row_mask:0xf bank_mask:0xf
	v_cndmask_b32_e64 v2, 0, v2, s6
	s_delay_alu instid0(VALU_DEP_1) | instskip(NEXT) | instid1(VALU_DEP_1)
	v_add_nc_u32_e32 v1, v1, v2
	v_mov_b32_dpp v2, v1 row_shr:4 row_mask:0xf bank_mask:0xf
	s_delay_alu instid0(VALU_DEP_1) | instskip(NEXT) | instid1(VALU_DEP_1)
	v_cndmask_b32_e64 v2, 0, v2, s5
	v_add_nc_u32_e32 v1, v1, v2
	s_delay_alu instid0(VALU_DEP_1) | instskip(NEXT) | instid1(VALU_DEP_1)
	v_mov_b32_dpp v2, v1 row_shr:8 row_mask:0xf bank_mask:0xf
	v_cndmask_b32_e64 v2, 0, v2, s4
	s_delay_alu instid0(VALU_DEP_1) | instskip(SKIP_3) | instid1(VALU_DEP_1)
	v_add_nc_u32_e32 v1, v1, v2
	ds_swizzle_b32 v2, v1 offset:swizzle(BROADCAST,32,15)
	s_waitcnt lgkmcnt(0)
	v_cndmask_b32_e64 v2, v2, 0, s3
	v_add_nc_u32_e32 v1, v1, v2
	s_and_saveexec_b32 s0, s2
	s_cbranch_execz .LBB923_104
; %bb.103:
	v_lshlrev_b32_e32 v2, 2, v55
	ds_store_b32 v2, v1
.LBB923_104:
	s_or_b32 exec_lo, exec_lo, s0
	s_delay_alu instid0(SALU_CYCLE_1)
	s_mov_b32 s0, exec_lo
	s_waitcnt lgkmcnt(0)
	s_barrier
	buffer_gl0_inv
	v_cmpx_gt_u32_e32 4, v0
	s_cbranch_execz .LBB923_106
; %bb.105:
	v_mad_i32_i24 v2, 0xffffffd8, v0, v44
	ds_load_b32 v3, v2
	s_waitcnt lgkmcnt(0)
	v_mov_b32_dpp v5, v3 row_shr:1 row_mask:0xf bank_mask:0xf
	v_and_b32_e32 v4, 3, v54
	s_delay_alu instid0(VALU_DEP_1) | instskip(NEXT) | instid1(VALU_DEP_3)
	v_cmp_ne_u32_e32 vcc_lo, 0, v4
	v_cndmask_b32_e32 v5, 0, v5, vcc_lo
	v_cmp_lt_u32_e32 vcc_lo, 1, v4
	s_delay_alu instid0(VALU_DEP_2) | instskip(NEXT) | instid1(VALU_DEP_1)
	v_add_nc_u32_e32 v3, v5, v3
	v_mov_b32_dpp v5, v3 row_shr:2 row_mask:0xf bank_mask:0xf
	s_delay_alu instid0(VALU_DEP_1) | instskip(NEXT) | instid1(VALU_DEP_1)
	v_cndmask_b32_e32 v4, 0, v5, vcc_lo
	v_add_nc_u32_e32 v3, v3, v4
	ds_store_b32 v2, v3
.LBB923_106:
	s_or_b32 exec_lo, exec_lo, s0
	v_dual_mov_b32 v3, 0 :: v_dual_mov_b32 v2, 0
	s_mov_b32 s0, exec_lo
	s_waitcnt lgkmcnt(0)
	s_barrier
	buffer_gl0_inv
	v_cmpx_lt_u32_e32 31, v0
	s_cbranch_execz .LBB923_108
; %bb.107:
	v_lshl_add_u32 v2, v55, 2, -4
	ds_load_b32 v2, v2
.LBB923_108:
	s_or_b32 exec_lo, exec_lo, s0
	v_add_nc_u32_e32 v4, -1, v54
	ds_load_b32 v17, v3 offset:12
	s_waitcnt lgkmcnt(1)
	v_add_nc_u32_e32 v1, v2, v1
	v_cmp_gt_i32_e32 vcc_lo, 0, v4
	v_cndmask_b32_e32 v4, v4, v54, vcc_lo
	v_cmp_eq_u32_e32 vcc_lo, 0, v0
	s_delay_alu instid0(VALU_DEP_2)
	v_lshlrev_b32_e32 v4, 2, v4
	ds_bpermute_b32 v1, v4, v1
	s_and_saveexec_b32 s0, vcc_lo
	s_cbranch_execz .LBB923_110
; %bb.109:
	v_dual_mov_b32 v3, 0 :: v_dual_mov_b32 v18, 2
	s_waitcnt lgkmcnt(1)
	global_store_b64 v3, v[17:18], s[10:11] offset:256
.LBB923_110:
	s_or_b32 exec_lo, exec_lo, s0
	v_cmp_eq_u32_e64 s0, 0, v54
	s_waitcnt lgkmcnt(0)
	s_waitcnt_vscnt null, 0x0
	s_barrier
	buffer_gl0_inv
	v_mov_b32_e32 v32, 0
	v_cndmask_b32_e64 v1, v1, v2, s0
	s_delay_alu instid0(VALU_DEP_1) | instskip(NEXT) | instid1(VALU_DEP_1)
	v_cndmask_b32_e64 v2, v1, 0, vcc_lo
	v_add_nc_u32_e32 v3, v2, v45
	s_delay_alu instid0(VALU_DEP_1) | instskip(NEXT) | instid1(VALU_DEP_1)
	v_add_nc_u32_e32 v4, v3, v46
	v_add_nc_u32_e32 v5, v4, v47
	s_delay_alu instid0(VALU_DEP_1) | instskip(NEXT) | instid1(VALU_DEP_1)
	v_add_nc_u32_e32 v6, v5, v49
	v_add_nc_u32_e32 v7, v6, v48
	s_delay_alu instid0(VALU_DEP_1) | instskip(NEXT) | instid1(VALU_DEP_1)
	v_add_nc_u32_e32 v8, v7, v50
	v_add_nc_u32_e32 v9, v8, v51
	s_delay_alu instid0(VALU_DEP_1) | instskip(NEXT) | instid1(VALU_DEP_1)
	v_add_nc_u32_e32 v10, v9, v43
	v_add_nc_u32_e32 v11, v10, v52
	s_delay_alu instid0(VALU_DEP_1)
	v_add_nc_u32_e32 v12, v11, v53
.LBB923_111:
	v_cmp_gt_u32_e32 vcc_lo, 0x81, v17
	v_lshrrev_b32_e32 v18, 16, v19
	v_lshrrev_b32_e32 v46, 16, v30
	;; [unrolled: 1-line block ×6, first 2 shown]
	v_cmp_lt_u32_e64 s0, 0x80, v17
	s_mov_b32 s1, -1
	s_cbranch_vccz .LBB923_146
; %bb.112:
	v_add_nc_u32_e32 v1, v32, v17
	s_lshl_b64 s[2:3], s[12:13], 1
	s_waitcnt lgkmcnt(0)
	s_add_u32 s1, s8, s2
	s_addc_u32 s2, s9, s3
	v_cmp_lt_u32_e32 vcc_lo, v2, v1
	s_or_b32 s4, s18, vcc_lo
	s_delay_alu instid0(SALU_CYCLE_1)
	s_and_saveexec_b32 s3, s4
	s_cbranch_execz .LBB923_115
; %bb.113:
	v_and_b32_e32 v48, 1, v30
	s_delay_alu instid0(VALU_DEP_1)
	v_cmp_eq_u32_e32 vcc_lo, 1, v48
	s_and_b32 exec_lo, exec_lo, vcc_lo
	s_cbranch_execz .LBB923_115
; %bb.114:
	v_dual_mov_b32 v49, 0 :: v_dual_mov_b32 v48, v2
	s_delay_alu instid0(VALU_DEP_1) | instskip(NEXT) | instid1(VALU_DEP_1)
	v_lshlrev_b64 v[48:49], 1, v[48:49]
	v_add_co_u32 v48, vcc_lo, s1, v48
	s_delay_alu instid0(VALU_DEP_2)
	v_add_co_ci_u32_e32 v49, vcc_lo, s2, v49, vcc_lo
	global_store_b16 v[48:49], v13, off
.LBB923_115:
	s_or_b32 exec_lo, exec_lo, s3
	v_cmp_lt_u32_e32 vcc_lo, v3, v1
	s_or_b32 s4, s18, vcc_lo
	s_delay_alu instid0(SALU_CYCLE_1)
	s_and_saveexec_b32 s3, s4
	s_cbranch_execz .LBB923_118
; %bb.116:
	v_and_b32_e32 v48, 1, v47
	s_delay_alu instid0(VALU_DEP_1)
	v_cmp_eq_u32_e32 vcc_lo, 1, v48
	s_and_b32 exec_lo, exec_lo, vcc_lo
	s_cbranch_execz .LBB923_118
; %bb.117:
	v_dual_mov_b32 v49, 0 :: v_dual_mov_b32 v48, v3
	s_delay_alu instid0(VALU_DEP_1) | instskip(NEXT) | instid1(VALU_DEP_1)
	v_lshlrev_b64 v[48:49], 1, v[48:49]
	v_add_co_u32 v48, vcc_lo, s1, v48
	s_delay_alu instid0(VALU_DEP_2)
	v_add_co_ci_u32_e32 v49, vcc_lo, s2, v49, vcc_lo
	global_store_b16 v[48:49], v42, off
.LBB923_118:
	s_or_b32 exec_lo, exec_lo, s3
	;; [unrolled: 21-line block ×11, first 2 shown]
	s_mov_b32 s1, 0
.LBB923_146:
	v_and_b32_e32 v30, 1, v30
	s_and_b32 vcc_lo, exec_lo, s1
	s_delay_alu instid0(VALU_DEP_1)
	v_cmp_eq_u32_e64 s1, 1, v30
	s_cbranch_vccz .LBB923_185
; %bb.147:
	s_delay_alu instid0(VALU_DEP_1)
	s_and_saveexec_b32 s2, s1
	s_cbranch_execz .LBB923_149
; %bb.148:
	v_sub_nc_u32_e32 v1, v2, v32
	s_delay_alu instid0(VALU_DEP_1)
	v_lshlrev_b32_e32 v1, 1, v1
	ds_store_b16 v1, v13
.LBB923_149:
	s_or_b32 exec_lo, exec_lo, s2
	v_and_b32_e32 v1, 1, v47
	s_mov_b32 s1, exec_lo
	s_delay_alu instid0(VALU_DEP_1)
	v_cmpx_eq_u32_e32 1, v1
	s_cbranch_execz .LBB923_151
; %bb.150:
	v_sub_nc_u32_e32 v1, v3, v32
	s_delay_alu instid0(VALU_DEP_1)
	v_lshlrev_b32_e32 v1, 1, v1
	ds_store_b16 v1, v42
.LBB923_151:
	s_or_b32 exec_lo, exec_lo, s1
	v_and_b32_e32 v1, 1, v46
	s_mov_b32 s1, exec_lo
	s_delay_alu instid0(VALU_DEP_1)
	v_cmpx_eq_u32_e32 1, v1
	;; [unrolled: 12-line block ×10, first 2 shown]
	s_cbranch_execz .LBB923_169
; %bb.168:
	v_sub_nc_u32_e32 v1, v12, v32
	s_delay_alu instid0(VALU_DEP_1)
	v_lshlrev_b32_e32 v1, 1, v1
	ds_store_b16 v1, v33
.LBB923_169:
	s_or_b32 exec_lo, exec_lo, s1
	s_delay_alu instid0(SALU_CYCLE_1)
	s_mov_b32 s3, exec_lo
	s_waitcnt lgkmcnt(0)
	s_waitcnt_vscnt null, 0x0
	s_barrier
	buffer_gl0_inv
	v_cmpx_lt_u32_e64 v0, v17
	s_cbranch_execz .LBB923_184
; %bb.170:
	v_mov_b32_e32 v33, 0
	s_lshl_b64 s[4:5], s[12:13], 1
	v_xad_u32 v1, v0, -1, v17
	s_add_u32 s2, s8, s4
	s_addc_u32 s4, s9, s5
	v_lshlrev_b64 v[13:14], 1, v[32:33]
	s_delay_alu instid0(VALU_DEP_2) | instskip(NEXT) | instid1(VALU_DEP_2)
	v_cmp_gt_u32_e32 vcc_lo, 0xc80, v1
	v_add_co_u32 v33, s2, s2, v13
	s_delay_alu instid0(VALU_DEP_1)
	v_add_co_ci_u32_e64 v37, s2, s4, v14, s2
	v_mov_b32_e32 v13, v0
	s_mov_b32 s2, -1
	s_mov_b32 s4, exec_lo
	v_cmpx_lt_u32_e32 0xc7f, v1
	s_cbranch_execz .LBB923_181
; %bb.171:
	v_sub_nc_u32_e32 v13, v0, v17
	s_delay_alu instid0(VALU_DEP_1) | instskip(NEXT) | instid1(VALU_DEP_1)
	v_or_b32_e32 v13, 0x7f, v13
	v_cmp_ge_u32_e64 s1, v13, v0
	v_mov_b32_e32 v13, v0
	s_delay_alu instid0(VALU_DEP_2)
	s_and_saveexec_b32 s5, s1
	s_cbranch_execz .LBB923_180
; %bb.172:
	v_lshrrev_b32_e32 v38, 7, v1
	v_or_b32_e32 v1, 0x80, v0
	v_dual_mov_b32 v48, 0 :: v_dual_lshlrev_b32 v39, 1, v0
	s_delay_alu instid0(VALU_DEP_3) | instskip(NEXT) | instid1(VALU_DEP_1)
	v_add_nc_u32_e32 v13, -1, v38
	v_lshrrev_b32_e32 v14, 1, v13
	v_cmp_lt_u32_e64 s1, 13, v13
	s_delay_alu instid0(VALU_DEP_2) | instskip(SKIP_1) | instid1(VALU_DEP_3)
	v_add_nc_u32_e32 v40, 1, v14
	v_dual_mov_b32 v14, v1 :: v_dual_mov_b32 v13, v0
	s_and_saveexec_b32 s2, s1
	s_cbranch_execz .LBB923_176
; %bb.173:
	s_delay_alu instid0(VALU_DEP_2)
	v_dual_mov_b32 v14, v1 :: v_dual_and_b32 v41, -8, v40
	v_mov_b32_e32 v16, 0
	v_dual_mov_b32 v42, v39 :: v_dual_mov_b32 v13, v0
	s_mov_b32 s6, 0
	s_mov_b32 s7, 0
.LBB923_174:                            ; =>This Inner Loop Header: Depth=1
	s_delay_alu instid0(VALU_DEP_1) | instskip(SKIP_2) | instid1(VALU_DEP_3)
	v_dual_mov_b32 v15, v13 :: v_dual_mov_b32 v50, v16
	v_add_nc_u32_e32 v41, -8, v41
	v_dual_mov_b32 v52, v16 :: v_dual_add_nc_u32 v49, 0x100, v14
	v_lshlrev_b64 v[63:64], 1, v[15:16]
	v_dual_mov_b32 v54, v16 :: v_dual_add_nc_u32 v51, 0x200, v14
	s_delay_alu instid0(VALU_DEP_4) | instskip(NEXT) | instid1(VALU_DEP_4)
	v_cmp_eq_u32_e64 s1, 0, v41
	v_lshlrev_b64 v[49:50], 1, v[49:50]
	v_dual_mov_b32 v56, v16 :: v_dual_add_nc_u32 v53, 0x300, v14
	s_add_i32 s7, s7, 16
	v_lshlrev_b64 v[51:52], 1, v[51:52]
	s_or_b32 s6, s1, s6
	v_add_co_u32 v63, s1, v33, v63
	v_dual_mov_b32 v58, v16 :: v_dual_add_nc_u32 v55, 0x400, v14
	v_add_co_ci_u32_e64 v64, s1, v37, v64, s1
	v_lshlrev_b64 v[53:54], 1, v[53:54]
	v_add_co_u32 v49, s1, v33, v49
	v_dual_mov_b32 v60, v16 :: v_dual_add_nc_u32 v57, 0x500, v14
	v_add_co_ci_u32_e64 v50, s1, v37, v50, s1
	v_lshlrev_b64 v[55:56], 1, v[55:56]
	;; [unrolled: 4-line block ×3, first 2 shown]
	v_add_co_u32 v53, s1, v33, v53
	v_dual_mov_b32 v48, s7 :: v_dual_add_nc_u32 v61, 0x700, v14
	ds_load_u16 v1, v42
	ds_load_u16 v69, v42 offset:256
	ds_load_u16 v70, v42 offset:512
	ds_load_u16 v71, v42 offset:768
	ds_load_u16 v72, v42 offset:1024
	ds_load_u16 v73, v42 offset:1280
	ds_load_u16 v74, v42 offset:1536
	ds_load_u16 v75, v42 offset:1792
	ds_load_u16 v76, v42 offset:2048
	ds_load_u16 v77, v42 offset:2304
	ds_load_u16 v78, v42 offset:2560
	ds_load_u16 v79, v42 offset:2816
	ds_load_u16 v80, v42 offset:3072
	ds_load_u16 v81, v42 offset:3328
	ds_load_u16 v82, v42 offset:3584
	ds_load_u16 v83, v42 offset:3840
	v_dual_mov_b32 v15, v14 :: v_dual_add_nc_u32 v42, 0x1000, v42
	v_add_co_ci_u32_e64 v54, s1, v37, v54, s1
	v_lshlrev_b64 v[59:60], 1, v[59:60]
	v_add_co_u32 v55, s1, v33, v55
	s_delay_alu instid0(VALU_DEP_1)
	v_add_co_ci_u32_e64 v56, s1, v37, v56, s1
	v_lshlrev_b64 v[61:62], 1, v[61:62]
	v_add_co_u32 v57, s1, v33, v57
	v_lshlrev_b64 v[65:66], 1, v[15:16]
	v_add_nc_u32_e32 v15, 0x100, v13
	v_add_co_ci_u32_e64 v58, s1, v37, v58, s1
	v_add_co_u32 v59, s1, v33, v59
	s_delay_alu instid0(VALU_DEP_1)
	v_add_co_ci_u32_e64 v60, s1, v37, v60, s1
	v_add_co_u32 v61, s1, v33, v61
	v_lshlrev_b64 v[67:68], 1, v[15:16]
	v_add_nc_u32_e32 v15, 0x200, v13
	v_add_co_ci_u32_e64 v62, s1, v37, v62, s1
	v_add_co_u32 v65, s1, v33, v65
	s_delay_alu instid0(VALU_DEP_1)
	v_add_co_ci_u32_e64 v66, s1, v37, v66, s1
	s_waitcnt lgkmcnt(15)
	global_store_b16 v[63:64], v1, off
	v_lshlrev_b64 v[63:64], 1, v[15:16]
	v_add_nc_u32_e32 v15, 0x300, v13
	v_add_co_u32 v67, s1, v33, v67
	s_delay_alu instid0(VALU_DEP_1)
	v_add_co_ci_u32_e64 v68, s1, v37, v68, s1
	s_waitcnt lgkmcnt(14)
	global_store_b16 v[65:66], v69, off
	v_lshlrev_b64 v[65:66], 1, v[15:16]
	v_add_nc_u32_e32 v15, 0x400, v13
	s_waitcnt lgkmcnt(13)
	global_store_b16 v[67:68], v70, off
	s_waitcnt lgkmcnt(12)
	global_store_b16 v[49:50], v71, off
	v_add_co_u32 v49, s1, v33, v63
	s_delay_alu instid0(VALU_DEP_1) | instskip(SKIP_3) | instid1(VALU_DEP_1)
	v_add_co_ci_u32_e64 v50, s1, v37, v64, s1
	v_lshlrev_b64 v[63:64], 1, v[15:16]
	v_add_nc_u32_e32 v15, 0x500, v13
	v_add_co_u32 v65, s1, v33, v65
	v_add_co_ci_u32_e64 v66, s1, v37, v66, s1
	s_waitcnt lgkmcnt(11)
	global_store_b16 v[49:50], v72, off
	s_waitcnt lgkmcnt(10)
	global_store_b16 v[51:52], v73, off
	v_lshlrev_b64 v[49:50], 1, v[15:16]
	v_add_nc_u32_e32 v15, 0x600, v13
	v_add_co_u32 v51, s1, v33, v63
	s_waitcnt lgkmcnt(9)
	global_store_b16 v[65:66], v74, off
	s_waitcnt lgkmcnt(8)
	global_store_b16 v[53:54], v75, off
	v_add_co_ci_u32_e64 v52, s1, v37, v64, s1
	v_lshlrev_b64 v[53:54], 1, v[15:16]
	v_add_nc_u32_e32 v15, 0x700, v13
	v_add_co_u32 v49, s1, v33, v49
	s_delay_alu instid0(VALU_DEP_1)
	v_add_co_ci_u32_e64 v50, s1, v37, v50, s1
	s_waitcnt lgkmcnt(7)
	global_store_b16 v[51:52], v76, off
	s_waitcnt lgkmcnt(6)
	global_store_b16 v[55:56], v77, off
	v_lshlrev_b64 v[51:52], 1, v[15:16]
	v_add_nc_u32_e32 v14, 0x800, v14
	s_waitcnt lgkmcnt(5)
	global_store_b16 v[49:50], v78, off
	v_add_co_u32 v49, s1, v33, v53
	v_add_nc_u32_e32 v13, 0x800, v13
	v_add_co_ci_u32_e64 v50, s1, v37, v54, s1
	v_add_co_u32 v51, s1, v33, v51
	s_delay_alu instid0(VALU_DEP_1)
	v_add_co_ci_u32_e64 v52, s1, v37, v52, s1
	s_waitcnt lgkmcnt(4)
	global_store_b16 v[57:58], v79, off
	s_waitcnt lgkmcnt(3)
	global_store_b16 v[49:50], v80, off
	;; [unrolled: 2-line block ×5, first 2 shown]
	s_and_not1_b32 exec_lo, exec_lo, s6
	s_cbranch_execnz .LBB923_174
; %bb.175:
	s_or_b32 exec_lo, exec_lo, s6
.LBB923_176:
	s_delay_alu instid0(SALU_CYCLE_1) | instskip(SKIP_3) | instid1(VALU_DEP_1)
	s_or_b32 exec_lo, exec_lo, s2
	v_and_b32_e32 v1, 7, v40
	s_mov_b32 s7, 0
	s_mov_b32 s6, exec_lo
	v_cmpx_ne_u32_e32 0, v1
	s_cbranch_execz .LBB923_179
; %bb.177:
	v_lshl_or_b32 v39, v48, 8, v39
	v_mov_b32_e32 v16, 0
	s_set_inst_prefetch_distance 0x1
	.p2align	6
.LBB923_178:                            ; =>This Inner Loop Header: Depth=1
	v_mov_b32_e32 v15, v13
	ds_load_u16 v42, v39
	ds_load_u16 v50, v39 offset:256
	v_add_nc_u32_e32 v1, -1, v1
	v_add_nc_u32_e32 v13, 0x100, v13
	v_add_nc_u32_e32 v39, 0x200, v39
	v_lshlrev_b64 v[40:41], 1, v[15:16]
	v_dual_mov_b32 v15, v14 :: v_dual_add_nc_u32 v14, 0x100, v14
	v_cmp_eq_u32_e64 s1, 0, v1
	s_delay_alu instid0(VALU_DEP_2) | instskip(NEXT) | instid1(VALU_DEP_4)
	v_lshlrev_b64 v[48:49], 1, v[15:16]
	v_add_co_u32 v40, s2, v33, v40
	s_delay_alu instid0(VALU_DEP_1) | instskip(NEXT) | instid1(VALU_DEP_4)
	v_add_co_ci_u32_e64 v41, s2, v37, v41, s2
	s_or_b32 s7, s1, s7
	s_delay_alu instid0(VALU_DEP_3) | instskip(NEXT) | instid1(VALU_DEP_1)
	v_add_co_u32 v48, s2, v33, v48
	v_add_co_ci_u32_e64 v49, s2, v37, v49, s2
	s_waitcnt lgkmcnt(1)
	global_store_b16 v[40:41], v42, off
	s_waitcnt lgkmcnt(0)
	global_store_b16 v[48:49], v50, off
	s_and_not1_b32 exec_lo, exec_lo, s7
	s_cbranch_execnz .LBB923_178
.LBB923_179:
	s_set_inst_prefetch_distance 0x2
	s_or_b32 exec_lo, exec_lo, s6
	v_add_nc_u32_e32 v1, 1, v38
	s_delay_alu instid0(VALU_DEP_1) | instskip(NEXT) | instid1(VALU_DEP_1)
	v_and_b32_e32 v13, 0x3fffffe, v1
	v_cmp_ne_u32_e64 s1, v1, v13
	v_lshl_or_b32 v13, v13, 7, v0
	s_delay_alu instid0(VALU_DEP_2)
	s_or_not1_b32 s2, s1, exec_lo
.LBB923_180:
	s_or_b32 exec_lo, exec_lo, s5
	s_delay_alu instid0(SALU_CYCLE_1) | instskip(SKIP_1) | instid1(SALU_CYCLE_1)
	s_and_not1_b32 s1, vcc_lo, exec_lo
	s_and_b32 s2, s2, exec_lo
	s_or_b32 vcc_lo, s1, s2
.LBB923_181:
	s_or_b32 exec_lo, exec_lo, s4
	s_delay_alu instid0(SALU_CYCLE_1)
	s_and_b32 exec_lo, exec_lo, vcc_lo
	s_cbranch_execz .LBB923_184
; %bb.182:
	v_dual_mov_b32 v14, 0 :: v_dual_lshlrev_b32 v1, 1, v13
	s_mov_b32 s2, 0
	.p2align	6
.LBB923_183:                            ; =>This Inner Loop Header: Depth=1
	ds_load_u16 v38, v1
	v_lshlrev_b64 v[15:16], 1, v[13:14]
	v_add_nc_u32_e32 v13, 0x80, v13
	v_add_nc_u32_e32 v1, 0x100, v1
	s_delay_alu instid0(VALU_DEP_2) | instskip(NEXT) | instid1(VALU_DEP_4)
	v_cmp_ge_u32_e32 vcc_lo, v13, v17
	v_add_co_u32 v15, s1, v33, v15
	s_delay_alu instid0(VALU_DEP_1)
	v_add_co_ci_u32_e64 v16, s1, v37, v16, s1
	s_or_b32 s2, vcc_lo, s2
	s_waitcnt lgkmcnt(0)
	global_store_b16 v[15:16], v38, off
	s_and_not1_b32 exec_lo, exec_lo, s2
	s_cbranch_execnz .LBB923_183
.LBB923_184:
	s_or_b32 exec_lo, exec_lo, s3
.LBB923_185:
	s_delay_alu instid0(SALU_CYCLE_1)
	s_and_not1_b32 vcc_lo, exec_lo, s0
	s_waitcnt lgkmcnt(0)
	s_waitcnt_vscnt null, 0x0
	s_barrier
	buffer_gl0_inv
	s_cbranch_vccz .LBB923_188
; %bb.186:
	v_cmp_eq_u32_e32 vcc_lo, 0, v0
	s_and_b32 s0, vcc_lo, s14
	s_delay_alu instid0(SALU_CYCLE_1)
	s_and_saveexec_b32 s1, s0
	s_cbranch_execnz .LBB923_211
.LBB923_187:
	s_endpgm
.LBB923_188:
	s_mov_b32 s0, exec_lo
	v_cmpx_eq_u32_e32 1, v30
	s_cbranch_execz .LBB923_190
; %bb.189:
	v_sub_nc_u32_e32 v1, v2, v32
	s_delay_alu instid0(VALU_DEP_1)
	v_lshlrev_b32_e32 v1, 2, v1
	ds_store_b32 v1, v28
.LBB923_190:
	s_or_b32 exec_lo, exec_lo, s0
	v_and_b32_e32 v1, 1, v47
	s_mov_b32 s0, exec_lo
	s_delay_alu instid0(VALU_DEP_1)
	v_cmpx_eq_u32_e32 1, v1
	s_cbranch_execz .LBB923_192
; %bb.191:
	v_sub_nc_u32_e32 v1, v3, v32
	s_delay_alu instid0(VALU_DEP_1)
	v_lshlrev_b32_e32 v1, 2, v1
	ds_store_b32 v1, v29
.LBB923_192:
	s_or_b32 exec_lo, exec_lo, s0
	v_and_b32_e32 v1, 1, v46
	s_mov_b32 s0, exec_lo
	s_delay_alu instid0(VALU_DEP_1)
	;; [unrolled: 12-line block ×10, first 2 shown]
	v_cmpx_eq_u32_e32 1, v1
	s_cbranch_execz .LBB923_210
; %bb.209:
	v_sub_nc_u32_e32 v1, v12, v32
	s_delay_alu instid0(VALU_DEP_1)
	v_lshlrev_b32_e32 v1, 2, v1
	ds_store_b32 v1, v36
.LBB923_210:
	s_or_b32 exec_lo, exec_lo, s0
	s_waitcnt lgkmcnt(0)
	s_barrier
	buffer_gl0_inv
	v_cmp_eq_u32_e32 vcc_lo, 0, v0
	s_and_b32 s0, vcc_lo, s14
	s_delay_alu instid0(SALU_CYCLE_1)
	s_and_saveexec_b32 s1, s0
	s_cbranch_execz .LBB923_187
.LBB923_211:
	v_add_co_u32 v0, s0, s12, v17
	s_delay_alu instid0(VALU_DEP_1) | instskip(SKIP_1) | instid1(VALU_DEP_3)
	v_add_co_ci_u32_e64 v1, null, s13, 0, s0
	v_mov_b32_e32 v2, 0
	v_add_co_u32 v0, vcc_lo, v0, v32
	s_delay_alu instid0(VALU_DEP_3)
	v_add_co_ci_u32_e32 v1, vcc_lo, 0, v1, vcc_lo
	global_store_b64 v2, v[0:1], s[16:17]
	s_nop 0
	s_sendmsg sendmsg(MSG_DEALLOC_VGPRS)
	s_endpgm
.LBB923_212:
	s_or_b32 exec_lo, exec_lo, s3
	s_and_saveexec_b32 s3, s22
	s_cbranch_execnz .LBB923_72
	s_branch .LBB923_73
	.section	.rodata,"a",@progbits
	.p2align	6, 0x0
	.amdhsa_kernel _ZN7rocprim17ROCPRIM_400000_NS6detail17trampoline_kernelINS0_14default_configENS1_25partition_config_selectorILNS1_17partition_subalgoE9EtjbEEZZNS1_14partition_implILS5_9ELb0ES3_jN6thrust23THRUST_200600_302600_NS6detail15normal_iteratorINS9_10device_ptrItEEEENSB_INSC_IjEEEEPNS0_10empty_typeENS0_5tupleIJSE_SH_EEENSJ_IJNS9_16discard_iteratorINS9_11use_defaultEEESI_EEENS0_18inequality_wrapperINS9_8equal_toItEEEEPmJSH_EEE10hipError_tPvRmT3_T4_T5_T6_T7_T9_mT8_P12ihipStream_tbDpT10_ENKUlT_T0_E_clISt17integral_constantIbLb0EES1D_EEDaS18_S19_EUlS18_E_NS1_11comp_targetILNS1_3genE9ELNS1_11target_archE1100ELNS1_3gpuE3ELNS1_3repE0EEENS1_30default_config_static_selectorELNS0_4arch9wavefront6targetE0EEEvT1_
		.amdhsa_group_segment_fixed_size 5640
		.amdhsa_private_segment_fixed_size 0
		.amdhsa_kernarg_size 120
		.amdhsa_user_sgpr_count 15
		.amdhsa_user_sgpr_dispatch_ptr 0
		.amdhsa_user_sgpr_queue_ptr 0
		.amdhsa_user_sgpr_kernarg_segment_ptr 1
		.amdhsa_user_sgpr_dispatch_id 0
		.amdhsa_user_sgpr_private_segment_size 0
		.amdhsa_wavefront_size32 1
		.amdhsa_uses_dynamic_stack 0
		.amdhsa_enable_private_segment 0
		.amdhsa_system_sgpr_workgroup_id_x 1
		.amdhsa_system_sgpr_workgroup_id_y 0
		.amdhsa_system_sgpr_workgroup_id_z 0
		.amdhsa_system_sgpr_workgroup_info 0
		.amdhsa_system_vgpr_workitem_id 0
		.amdhsa_next_free_vgpr 84
		.amdhsa_next_free_sgpr 24
		.amdhsa_reserve_vcc 1
		.amdhsa_float_round_mode_32 0
		.amdhsa_float_round_mode_16_64 0
		.amdhsa_float_denorm_mode_32 3
		.amdhsa_float_denorm_mode_16_64 3
		.amdhsa_dx10_clamp 1
		.amdhsa_ieee_mode 1
		.amdhsa_fp16_overflow 0
		.amdhsa_workgroup_processor_mode 1
		.amdhsa_memory_ordered 1
		.amdhsa_forward_progress 0
		.amdhsa_shared_vgpr_count 0
		.amdhsa_exception_fp_ieee_invalid_op 0
		.amdhsa_exception_fp_denorm_src 0
		.amdhsa_exception_fp_ieee_div_zero 0
		.amdhsa_exception_fp_ieee_overflow 0
		.amdhsa_exception_fp_ieee_underflow 0
		.amdhsa_exception_fp_ieee_inexact 0
		.amdhsa_exception_int_div_zero 0
	.end_amdhsa_kernel
	.section	.text._ZN7rocprim17ROCPRIM_400000_NS6detail17trampoline_kernelINS0_14default_configENS1_25partition_config_selectorILNS1_17partition_subalgoE9EtjbEEZZNS1_14partition_implILS5_9ELb0ES3_jN6thrust23THRUST_200600_302600_NS6detail15normal_iteratorINS9_10device_ptrItEEEENSB_INSC_IjEEEEPNS0_10empty_typeENS0_5tupleIJSE_SH_EEENSJ_IJNS9_16discard_iteratorINS9_11use_defaultEEESI_EEENS0_18inequality_wrapperINS9_8equal_toItEEEEPmJSH_EEE10hipError_tPvRmT3_T4_T5_T6_T7_T9_mT8_P12ihipStream_tbDpT10_ENKUlT_T0_E_clISt17integral_constantIbLb0EES1D_EEDaS18_S19_EUlS18_E_NS1_11comp_targetILNS1_3genE9ELNS1_11target_archE1100ELNS1_3gpuE3ELNS1_3repE0EEENS1_30default_config_static_selectorELNS0_4arch9wavefront6targetE0EEEvT1_,"axG",@progbits,_ZN7rocprim17ROCPRIM_400000_NS6detail17trampoline_kernelINS0_14default_configENS1_25partition_config_selectorILNS1_17partition_subalgoE9EtjbEEZZNS1_14partition_implILS5_9ELb0ES3_jN6thrust23THRUST_200600_302600_NS6detail15normal_iteratorINS9_10device_ptrItEEEENSB_INSC_IjEEEEPNS0_10empty_typeENS0_5tupleIJSE_SH_EEENSJ_IJNS9_16discard_iteratorINS9_11use_defaultEEESI_EEENS0_18inequality_wrapperINS9_8equal_toItEEEEPmJSH_EEE10hipError_tPvRmT3_T4_T5_T6_T7_T9_mT8_P12ihipStream_tbDpT10_ENKUlT_T0_E_clISt17integral_constantIbLb0EES1D_EEDaS18_S19_EUlS18_E_NS1_11comp_targetILNS1_3genE9ELNS1_11target_archE1100ELNS1_3gpuE3ELNS1_3repE0EEENS1_30default_config_static_selectorELNS0_4arch9wavefront6targetE0EEEvT1_,comdat
.Lfunc_end923:
	.size	_ZN7rocprim17ROCPRIM_400000_NS6detail17trampoline_kernelINS0_14default_configENS1_25partition_config_selectorILNS1_17partition_subalgoE9EtjbEEZZNS1_14partition_implILS5_9ELb0ES3_jN6thrust23THRUST_200600_302600_NS6detail15normal_iteratorINS9_10device_ptrItEEEENSB_INSC_IjEEEEPNS0_10empty_typeENS0_5tupleIJSE_SH_EEENSJ_IJNS9_16discard_iteratorINS9_11use_defaultEEESI_EEENS0_18inequality_wrapperINS9_8equal_toItEEEEPmJSH_EEE10hipError_tPvRmT3_T4_T5_T6_T7_T9_mT8_P12ihipStream_tbDpT10_ENKUlT_T0_E_clISt17integral_constantIbLb0EES1D_EEDaS18_S19_EUlS18_E_NS1_11comp_targetILNS1_3genE9ELNS1_11target_archE1100ELNS1_3gpuE3ELNS1_3repE0EEENS1_30default_config_static_selectorELNS0_4arch9wavefront6targetE0EEEvT1_, .Lfunc_end923-_ZN7rocprim17ROCPRIM_400000_NS6detail17trampoline_kernelINS0_14default_configENS1_25partition_config_selectorILNS1_17partition_subalgoE9EtjbEEZZNS1_14partition_implILS5_9ELb0ES3_jN6thrust23THRUST_200600_302600_NS6detail15normal_iteratorINS9_10device_ptrItEEEENSB_INSC_IjEEEEPNS0_10empty_typeENS0_5tupleIJSE_SH_EEENSJ_IJNS9_16discard_iteratorINS9_11use_defaultEEESI_EEENS0_18inequality_wrapperINS9_8equal_toItEEEEPmJSH_EEE10hipError_tPvRmT3_T4_T5_T6_T7_T9_mT8_P12ihipStream_tbDpT10_ENKUlT_T0_E_clISt17integral_constantIbLb0EES1D_EEDaS18_S19_EUlS18_E_NS1_11comp_targetILNS1_3genE9ELNS1_11target_archE1100ELNS1_3gpuE3ELNS1_3repE0EEENS1_30default_config_static_selectorELNS0_4arch9wavefront6targetE0EEEvT1_
                                        ; -- End function
	.section	.AMDGPU.csdata,"",@progbits
; Kernel info:
; codeLenInByte = 10712
; NumSgprs: 26
; NumVgprs: 84
; ScratchSize: 0
; MemoryBound: 0
; FloatMode: 240
; IeeeMode: 1
; LDSByteSize: 5640 bytes/workgroup (compile time only)
; SGPRBlocks: 3
; VGPRBlocks: 10
; NumSGPRsForWavesPerEU: 26
; NumVGPRsForWavesPerEU: 84
; Occupancy: 16
; WaveLimiterHint : 1
; COMPUTE_PGM_RSRC2:SCRATCH_EN: 0
; COMPUTE_PGM_RSRC2:USER_SGPR: 15
; COMPUTE_PGM_RSRC2:TRAP_HANDLER: 0
; COMPUTE_PGM_RSRC2:TGID_X_EN: 1
; COMPUTE_PGM_RSRC2:TGID_Y_EN: 0
; COMPUTE_PGM_RSRC2:TGID_Z_EN: 0
; COMPUTE_PGM_RSRC2:TIDIG_COMP_CNT: 0
	.section	.text._ZN7rocprim17ROCPRIM_400000_NS6detail17trampoline_kernelINS0_14default_configENS1_25partition_config_selectorILNS1_17partition_subalgoE9EtjbEEZZNS1_14partition_implILS5_9ELb0ES3_jN6thrust23THRUST_200600_302600_NS6detail15normal_iteratorINS9_10device_ptrItEEEENSB_INSC_IjEEEEPNS0_10empty_typeENS0_5tupleIJSE_SH_EEENSJ_IJNS9_16discard_iteratorINS9_11use_defaultEEESI_EEENS0_18inequality_wrapperINS9_8equal_toItEEEEPmJSH_EEE10hipError_tPvRmT3_T4_T5_T6_T7_T9_mT8_P12ihipStream_tbDpT10_ENKUlT_T0_E_clISt17integral_constantIbLb0EES1D_EEDaS18_S19_EUlS18_E_NS1_11comp_targetILNS1_3genE8ELNS1_11target_archE1030ELNS1_3gpuE2ELNS1_3repE0EEENS1_30default_config_static_selectorELNS0_4arch9wavefront6targetE0EEEvT1_,"axG",@progbits,_ZN7rocprim17ROCPRIM_400000_NS6detail17trampoline_kernelINS0_14default_configENS1_25partition_config_selectorILNS1_17partition_subalgoE9EtjbEEZZNS1_14partition_implILS5_9ELb0ES3_jN6thrust23THRUST_200600_302600_NS6detail15normal_iteratorINS9_10device_ptrItEEEENSB_INSC_IjEEEEPNS0_10empty_typeENS0_5tupleIJSE_SH_EEENSJ_IJNS9_16discard_iteratorINS9_11use_defaultEEESI_EEENS0_18inequality_wrapperINS9_8equal_toItEEEEPmJSH_EEE10hipError_tPvRmT3_T4_T5_T6_T7_T9_mT8_P12ihipStream_tbDpT10_ENKUlT_T0_E_clISt17integral_constantIbLb0EES1D_EEDaS18_S19_EUlS18_E_NS1_11comp_targetILNS1_3genE8ELNS1_11target_archE1030ELNS1_3gpuE2ELNS1_3repE0EEENS1_30default_config_static_selectorELNS0_4arch9wavefront6targetE0EEEvT1_,comdat
	.protected	_ZN7rocprim17ROCPRIM_400000_NS6detail17trampoline_kernelINS0_14default_configENS1_25partition_config_selectorILNS1_17partition_subalgoE9EtjbEEZZNS1_14partition_implILS5_9ELb0ES3_jN6thrust23THRUST_200600_302600_NS6detail15normal_iteratorINS9_10device_ptrItEEEENSB_INSC_IjEEEEPNS0_10empty_typeENS0_5tupleIJSE_SH_EEENSJ_IJNS9_16discard_iteratorINS9_11use_defaultEEESI_EEENS0_18inequality_wrapperINS9_8equal_toItEEEEPmJSH_EEE10hipError_tPvRmT3_T4_T5_T6_T7_T9_mT8_P12ihipStream_tbDpT10_ENKUlT_T0_E_clISt17integral_constantIbLb0EES1D_EEDaS18_S19_EUlS18_E_NS1_11comp_targetILNS1_3genE8ELNS1_11target_archE1030ELNS1_3gpuE2ELNS1_3repE0EEENS1_30default_config_static_selectorELNS0_4arch9wavefront6targetE0EEEvT1_ ; -- Begin function _ZN7rocprim17ROCPRIM_400000_NS6detail17trampoline_kernelINS0_14default_configENS1_25partition_config_selectorILNS1_17partition_subalgoE9EtjbEEZZNS1_14partition_implILS5_9ELb0ES3_jN6thrust23THRUST_200600_302600_NS6detail15normal_iteratorINS9_10device_ptrItEEEENSB_INSC_IjEEEEPNS0_10empty_typeENS0_5tupleIJSE_SH_EEENSJ_IJNS9_16discard_iteratorINS9_11use_defaultEEESI_EEENS0_18inequality_wrapperINS9_8equal_toItEEEEPmJSH_EEE10hipError_tPvRmT3_T4_T5_T6_T7_T9_mT8_P12ihipStream_tbDpT10_ENKUlT_T0_E_clISt17integral_constantIbLb0EES1D_EEDaS18_S19_EUlS18_E_NS1_11comp_targetILNS1_3genE8ELNS1_11target_archE1030ELNS1_3gpuE2ELNS1_3repE0EEENS1_30default_config_static_selectorELNS0_4arch9wavefront6targetE0EEEvT1_
	.globl	_ZN7rocprim17ROCPRIM_400000_NS6detail17trampoline_kernelINS0_14default_configENS1_25partition_config_selectorILNS1_17partition_subalgoE9EtjbEEZZNS1_14partition_implILS5_9ELb0ES3_jN6thrust23THRUST_200600_302600_NS6detail15normal_iteratorINS9_10device_ptrItEEEENSB_INSC_IjEEEEPNS0_10empty_typeENS0_5tupleIJSE_SH_EEENSJ_IJNS9_16discard_iteratorINS9_11use_defaultEEESI_EEENS0_18inequality_wrapperINS9_8equal_toItEEEEPmJSH_EEE10hipError_tPvRmT3_T4_T5_T6_T7_T9_mT8_P12ihipStream_tbDpT10_ENKUlT_T0_E_clISt17integral_constantIbLb0EES1D_EEDaS18_S19_EUlS18_E_NS1_11comp_targetILNS1_3genE8ELNS1_11target_archE1030ELNS1_3gpuE2ELNS1_3repE0EEENS1_30default_config_static_selectorELNS0_4arch9wavefront6targetE0EEEvT1_
	.p2align	8
	.type	_ZN7rocprim17ROCPRIM_400000_NS6detail17trampoline_kernelINS0_14default_configENS1_25partition_config_selectorILNS1_17partition_subalgoE9EtjbEEZZNS1_14partition_implILS5_9ELb0ES3_jN6thrust23THRUST_200600_302600_NS6detail15normal_iteratorINS9_10device_ptrItEEEENSB_INSC_IjEEEEPNS0_10empty_typeENS0_5tupleIJSE_SH_EEENSJ_IJNS9_16discard_iteratorINS9_11use_defaultEEESI_EEENS0_18inequality_wrapperINS9_8equal_toItEEEEPmJSH_EEE10hipError_tPvRmT3_T4_T5_T6_T7_T9_mT8_P12ihipStream_tbDpT10_ENKUlT_T0_E_clISt17integral_constantIbLb0EES1D_EEDaS18_S19_EUlS18_E_NS1_11comp_targetILNS1_3genE8ELNS1_11target_archE1030ELNS1_3gpuE2ELNS1_3repE0EEENS1_30default_config_static_selectorELNS0_4arch9wavefront6targetE0EEEvT1_,@function
_ZN7rocprim17ROCPRIM_400000_NS6detail17trampoline_kernelINS0_14default_configENS1_25partition_config_selectorILNS1_17partition_subalgoE9EtjbEEZZNS1_14partition_implILS5_9ELb0ES3_jN6thrust23THRUST_200600_302600_NS6detail15normal_iteratorINS9_10device_ptrItEEEENSB_INSC_IjEEEEPNS0_10empty_typeENS0_5tupleIJSE_SH_EEENSJ_IJNS9_16discard_iteratorINS9_11use_defaultEEESI_EEENS0_18inequality_wrapperINS9_8equal_toItEEEEPmJSH_EEE10hipError_tPvRmT3_T4_T5_T6_T7_T9_mT8_P12ihipStream_tbDpT10_ENKUlT_T0_E_clISt17integral_constantIbLb0EES1D_EEDaS18_S19_EUlS18_E_NS1_11comp_targetILNS1_3genE8ELNS1_11target_archE1030ELNS1_3gpuE2ELNS1_3repE0EEENS1_30default_config_static_selectorELNS0_4arch9wavefront6targetE0EEEvT1_: ; @_ZN7rocprim17ROCPRIM_400000_NS6detail17trampoline_kernelINS0_14default_configENS1_25partition_config_selectorILNS1_17partition_subalgoE9EtjbEEZZNS1_14partition_implILS5_9ELb0ES3_jN6thrust23THRUST_200600_302600_NS6detail15normal_iteratorINS9_10device_ptrItEEEENSB_INSC_IjEEEEPNS0_10empty_typeENS0_5tupleIJSE_SH_EEENSJ_IJNS9_16discard_iteratorINS9_11use_defaultEEESI_EEENS0_18inequality_wrapperINS9_8equal_toItEEEEPmJSH_EEE10hipError_tPvRmT3_T4_T5_T6_T7_T9_mT8_P12ihipStream_tbDpT10_ENKUlT_T0_E_clISt17integral_constantIbLb0EES1D_EEDaS18_S19_EUlS18_E_NS1_11comp_targetILNS1_3genE8ELNS1_11target_archE1030ELNS1_3gpuE2ELNS1_3repE0EEENS1_30default_config_static_selectorELNS0_4arch9wavefront6targetE0EEEvT1_
; %bb.0:
	.section	.rodata,"a",@progbits
	.p2align	6, 0x0
	.amdhsa_kernel _ZN7rocprim17ROCPRIM_400000_NS6detail17trampoline_kernelINS0_14default_configENS1_25partition_config_selectorILNS1_17partition_subalgoE9EtjbEEZZNS1_14partition_implILS5_9ELb0ES3_jN6thrust23THRUST_200600_302600_NS6detail15normal_iteratorINS9_10device_ptrItEEEENSB_INSC_IjEEEEPNS0_10empty_typeENS0_5tupleIJSE_SH_EEENSJ_IJNS9_16discard_iteratorINS9_11use_defaultEEESI_EEENS0_18inequality_wrapperINS9_8equal_toItEEEEPmJSH_EEE10hipError_tPvRmT3_T4_T5_T6_T7_T9_mT8_P12ihipStream_tbDpT10_ENKUlT_T0_E_clISt17integral_constantIbLb0EES1D_EEDaS18_S19_EUlS18_E_NS1_11comp_targetILNS1_3genE8ELNS1_11target_archE1030ELNS1_3gpuE2ELNS1_3repE0EEENS1_30default_config_static_selectorELNS0_4arch9wavefront6targetE0EEEvT1_
		.amdhsa_group_segment_fixed_size 0
		.amdhsa_private_segment_fixed_size 0
		.amdhsa_kernarg_size 120
		.amdhsa_user_sgpr_count 15
		.amdhsa_user_sgpr_dispatch_ptr 0
		.amdhsa_user_sgpr_queue_ptr 0
		.amdhsa_user_sgpr_kernarg_segment_ptr 1
		.amdhsa_user_sgpr_dispatch_id 0
		.amdhsa_user_sgpr_private_segment_size 0
		.amdhsa_wavefront_size32 1
		.amdhsa_uses_dynamic_stack 0
		.amdhsa_enable_private_segment 0
		.amdhsa_system_sgpr_workgroup_id_x 1
		.amdhsa_system_sgpr_workgroup_id_y 0
		.amdhsa_system_sgpr_workgroup_id_z 0
		.amdhsa_system_sgpr_workgroup_info 0
		.amdhsa_system_vgpr_workitem_id 0
		.amdhsa_next_free_vgpr 1
		.amdhsa_next_free_sgpr 1
		.amdhsa_reserve_vcc 0
		.amdhsa_float_round_mode_32 0
		.amdhsa_float_round_mode_16_64 0
		.amdhsa_float_denorm_mode_32 3
		.amdhsa_float_denorm_mode_16_64 3
		.amdhsa_dx10_clamp 1
		.amdhsa_ieee_mode 1
		.amdhsa_fp16_overflow 0
		.amdhsa_workgroup_processor_mode 1
		.amdhsa_memory_ordered 1
		.amdhsa_forward_progress 0
		.amdhsa_shared_vgpr_count 0
		.amdhsa_exception_fp_ieee_invalid_op 0
		.amdhsa_exception_fp_denorm_src 0
		.amdhsa_exception_fp_ieee_div_zero 0
		.amdhsa_exception_fp_ieee_overflow 0
		.amdhsa_exception_fp_ieee_underflow 0
		.amdhsa_exception_fp_ieee_inexact 0
		.amdhsa_exception_int_div_zero 0
	.end_amdhsa_kernel
	.section	.text._ZN7rocprim17ROCPRIM_400000_NS6detail17trampoline_kernelINS0_14default_configENS1_25partition_config_selectorILNS1_17partition_subalgoE9EtjbEEZZNS1_14partition_implILS5_9ELb0ES3_jN6thrust23THRUST_200600_302600_NS6detail15normal_iteratorINS9_10device_ptrItEEEENSB_INSC_IjEEEEPNS0_10empty_typeENS0_5tupleIJSE_SH_EEENSJ_IJNS9_16discard_iteratorINS9_11use_defaultEEESI_EEENS0_18inequality_wrapperINS9_8equal_toItEEEEPmJSH_EEE10hipError_tPvRmT3_T4_T5_T6_T7_T9_mT8_P12ihipStream_tbDpT10_ENKUlT_T0_E_clISt17integral_constantIbLb0EES1D_EEDaS18_S19_EUlS18_E_NS1_11comp_targetILNS1_3genE8ELNS1_11target_archE1030ELNS1_3gpuE2ELNS1_3repE0EEENS1_30default_config_static_selectorELNS0_4arch9wavefront6targetE0EEEvT1_,"axG",@progbits,_ZN7rocprim17ROCPRIM_400000_NS6detail17trampoline_kernelINS0_14default_configENS1_25partition_config_selectorILNS1_17partition_subalgoE9EtjbEEZZNS1_14partition_implILS5_9ELb0ES3_jN6thrust23THRUST_200600_302600_NS6detail15normal_iteratorINS9_10device_ptrItEEEENSB_INSC_IjEEEEPNS0_10empty_typeENS0_5tupleIJSE_SH_EEENSJ_IJNS9_16discard_iteratorINS9_11use_defaultEEESI_EEENS0_18inequality_wrapperINS9_8equal_toItEEEEPmJSH_EEE10hipError_tPvRmT3_T4_T5_T6_T7_T9_mT8_P12ihipStream_tbDpT10_ENKUlT_T0_E_clISt17integral_constantIbLb0EES1D_EEDaS18_S19_EUlS18_E_NS1_11comp_targetILNS1_3genE8ELNS1_11target_archE1030ELNS1_3gpuE2ELNS1_3repE0EEENS1_30default_config_static_selectorELNS0_4arch9wavefront6targetE0EEEvT1_,comdat
.Lfunc_end924:
	.size	_ZN7rocprim17ROCPRIM_400000_NS6detail17trampoline_kernelINS0_14default_configENS1_25partition_config_selectorILNS1_17partition_subalgoE9EtjbEEZZNS1_14partition_implILS5_9ELb0ES3_jN6thrust23THRUST_200600_302600_NS6detail15normal_iteratorINS9_10device_ptrItEEEENSB_INSC_IjEEEEPNS0_10empty_typeENS0_5tupleIJSE_SH_EEENSJ_IJNS9_16discard_iteratorINS9_11use_defaultEEESI_EEENS0_18inequality_wrapperINS9_8equal_toItEEEEPmJSH_EEE10hipError_tPvRmT3_T4_T5_T6_T7_T9_mT8_P12ihipStream_tbDpT10_ENKUlT_T0_E_clISt17integral_constantIbLb0EES1D_EEDaS18_S19_EUlS18_E_NS1_11comp_targetILNS1_3genE8ELNS1_11target_archE1030ELNS1_3gpuE2ELNS1_3repE0EEENS1_30default_config_static_selectorELNS0_4arch9wavefront6targetE0EEEvT1_, .Lfunc_end924-_ZN7rocprim17ROCPRIM_400000_NS6detail17trampoline_kernelINS0_14default_configENS1_25partition_config_selectorILNS1_17partition_subalgoE9EtjbEEZZNS1_14partition_implILS5_9ELb0ES3_jN6thrust23THRUST_200600_302600_NS6detail15normal_iteratorINS9_10device_ptrItEEEENSB_INSC_IjEEEEPNS0_10empty_typeENS0_5tupleIJSE_SH_EEENSJ_IJNS9_16discard_iteratorINS9_11use_defaultEEESI_EEENS0_18inequality_wrapperINS9_8equal_toItEEEEPmJSH_EEE10hipError_tPvRmT3_T4_T5_T6_T7_T9_mT8_P12ihipStream_tbDpT10_ENKUlT_T0_E_clISt17integral_constantIbLb0EES1D_EEDaS18_S19_EUlS18_E_NS1_11comp_targetILNS1_3genE8ELNS1_11target_archE1030ELNS1_3gpuE2ELNS1_3repE0EEENS1_30default_config_static_selectorELNS0_4arch9wavefront6targetE0EEEvT1_
                                        ; -- End function
	.section	.AMDGPU.csdata,"",@progbits
; Kernel info:
; codeLenInByte = 0
; NumSgprs: 0
; NumVgprs: 0
; ScratchSize: 0
; MemoryBound: 0
; FloatMode: 240
; IeeeMode: 1
; LDSByteSize: 0 bytes/workgroup (compile time only)
; SGPRBlocks: 0
; VGPRBlocks: 0
; NumSGPRsForWavesPerEU: 1
; NumVGPRsForWavesPerEU: 1
; Occupancy: 16
; WaveLimiterHint : 0
; COMPUTE_PGM_RSRC2:SCRATCH_EN: 0
; COMPUTE_PGM_RSRC2:USER_SGPR: 15
; COMPUTE_PGM_RSRC2:TRAP_HANDLER: 0
; COMPUTE_PGM_RSRC2:TGID_X_EN: 1
; COMPUTE_PGM_RSRC2:TGID_Y_EN: 0
; COMPUTE_PGM_RSRC2:TGID_Z_EN: 0
; COMPUTE_PGM_RSRC2:TIDIG_COMP_CNT: 0
	.section	.text._ZN7rocprim17ROCPRIM_400000_NS6detail17trampoline_kernelINS0_14default_configENS1_25partition_config_selectorILNS1_17partition_subalgoE9EtjbEEZZNS1_14partition_implILS5_9ELb0ES3_jN6thrust23THRUST_200600_302600_NS6detail15normal_iteratorINS9_10device_ptrItEEEENSB_INSC_IjEEEEPNS0_10empty_typeENS0_5tupleIJSE_SH_EEENSJ_IJNS9_16discard_iteratorINS9_11use_defaultEEESI_EEENS0_18inequality_wrapperINS9_8equal_toItEEEEPmJSH_EEE10hipError_tPvRmT3_T4_T5_T6_T7_T9_mT8_P12ihipStream_tbDpT10_ENKUlT_T0_E_clISt17integral_constantIbLb1EES1D_EEDaS18_S19_EUlS18_E_NS1_11comp_targetILNS1_3genE0ELNS1_11target_archE4294967295ELNS1_3gpuE0ELNS1_3repE0EEENS1_30default_config_static_selectorELNS0_4arch9wavefront6targetE0EEEvT1_,"axG",@progbits,_ZN7rocprim17ROCPRIM_400000_NS6detail17trampoline_kernelINS0_14default_configENS1_25partition_config_selectorILNS1_17partition_subalgoE9EtjbEEZZNS1_14partition_implILS5_9ELb0ES3_jN6thrust23THRUST_200600_302600_NS6detail15normal_iteratorINS9_10device_ptrItEEEENSB_INSC_IjEEEEPNS0_10empty_typeENS0_5tupleIJSE_SH_EEENSJ_IJNS9_16discard_iteratorINS9_11use_defaultEEESI_EEENS0_18inequality_wrapperINS9_8equal_toItEEEEPmJSH_EEE10hipError_tPvRmT3_T4_T5_T6_T7_T9_mT8_P12ihipStream_tbDpT10_ENKUlT_T0_E_clISt17integral_constantIbLb1EES1D_EEDaS18_S19_EUlS18_E_NS1_11comp_targetILNS1_3genE0ELNS1_11target_archE4294967295ELNS1_3gpuE0ELNS1_3repE0EEENS1_30default_config_static_selectorELNS0_4arch9wavefront6targetE0EEEvT1_,comdat
	.protected	_ZN7rocprim17ROCPRIM_400000_NS6detail17trampoline_kernelINS0_14default_configENS1_25partition_config_selectorILNS1_17partition_subalgoE9EtjbEEZZNS1_14partition_implILS5_9ELb0ES3_jN6thrust23THRUST_200600_302600_NS6detail15normal_iteratorINS9_10device_ptrItEEEENSB_INSC_IjEEEEPNS0_10empty_typeENS0_5tupleIJSE_SH_EEENSJ_IJNS9_16discard_iteratorINS9_11use_defaultEEESI_EEENS0_18inequality_wrapperINS9_8equal_toItEEEEPmJSH_EEE10hipError_tPvRmT3_T4_T5_T6_T7_T9_mT8_P12ihipStream_tbDpT10_ENKUlT_T0_E_clISt17integral_constantIbLb1EES1D_EEDaS18_S19_EUlS18_E_NS1_11comp_targetILNS1_3genE0ELNS1_11target_archE4294967295ELNS1_3gpuE0ELNS1_3repE0EEENS1_30default_config_static_selectorELNS0_4arch9wavefront6targetE0EEEvT1_ ; -- Begin function _ZN7rocprim17ROCPRIM_400000_NS6detail17trampoline_kernelINS0_14default_configENS1_25partition_config_selectorILNS1_17partition_subalgoE9EtjbEEZZNS1_14partition_implILS5_9ELb0ES3_jN6thrust23THRUST_200600_302600_NS6detail15normal_iteratorINS9_10device_ptrItEEEENSB_INSC_IjEEEEPNS0_10empty_typeENS0_5tupleIJSE_SH_EEENSJ_IJNS9_16discard_iteratorINS9_11use_defaultEEESI_EEENS0_18inequality_wrapperINS9_8equal_toItEEEEPmJSH_EEE10hipError_tPvRmT3_T4_T5_T6_T7_T9_mT8_P12ihipStream_tbDpT10_ENKUlT_T0_E_clISt17integral_constantIbLb1EES1D_EEDaS18_S19_EUlS18_E_NS1_11comp_targetILNS1_3genE0ELNS1_11target_archE4294967295ELNS1_3gpuE0ELNS1_3repE0EEENS1_30default_config_static_selectorELNS0_4arch9wavefront6targetE0EEEvT1_
	.globl	_ZN7rocprim17ROCPRIM_400000_NS6detail17trampoline_kernelINS0_14default_configENS1_25partition_config_selectorILNS1_17partition_subalgoE9EtjbEEZZNS1_14partition_implILS5_9ELb0ES3_jN6thrust23THRUST_200600_302600_NS6detail15normal_iteratorINS9_10device_ptrItEEEENSB_INSC_IjEEEEPNS0_10empty_typeENS0_5tupleIJSE_SH_EEENSJ_IJNS9_16discard_iteratorINS9_11use_defaultEEESI_EEENS0_18inequality_wrapperINS9_8equal_toItEEEEPmJSH_EEE10hipError_tPvRmT3_T4_T5_T6_T7_T9_mT8_P12ihipStream_tbDpT10_ENKUlT_T0_E_clISt17integral_constantIbLb1EES1D_EEDaS18_S19_EUlS18_E_NS1_11comp_targetILNS1_3genE0ELNS1_11target_archE4294967295ELNS1_3gpuE0ELNS1_3repE0EEENS1_30default_config_static_selectorELNS0_4arch9wavefront6targetE0EEEvT1_
	.p2align	8
	.type	_ZN7rocprim17ROCPRIM_400000_NS6detail17trampoline_kernelINS0_14default_configENS1_25partition_config_selectorILNS1_17partition_subalgoE9EtjbEEZZNS1_14partition_implILS5_9ELb0ES3_jN6thrust23THRUST_200600_302600_NS6detail15normal_iteratorINS9_10device_ptrItEEEENSB_INSC_IjEEEEPNS0_10empty_typeENS0_5tupleIJSE_SH_EEENSJ_IJNS9_16discard_iteratorINS9_11use_defaultEEESI_EEENS0_18inequality_wrapperINS9_8equal_toItEEEEPmJSH_EEE10hipError_tPvRmT3_T4_T5_T6_T7_T9_mT8_P12ihipStream_tbDpT10_ENKUlT_T0_E_clISt17integral_constantIbLb1EES1D_EEDaS18_S19_EUlS18_E_NS1_11comp_targetILNS1_3genE0ELNS1_11target_archE4294967295ELNS1_3gpuE0ELNS1_3repE0EEENS1_30default_config_static_selectorELNS0_4arch9wavefront6targetE0EEEvT1_,@function
_ZN7rocprim17ROCPRIM_400000_NS6detail17trampoline_kernelINS0_14default_configENS1_25partition_config_selectorILNS1_17partition_subalgoE9EtjbEEZZNS1_14partition_implILS5_9ELb0ES3_jN6thrust23THRUST_200600_302600_NS6detail15normal_iteratorINS9_10device_ptrItEEEENSB_INSC_IjEEEEPNS0_10empty_typeENS0_5tupleIJSE_SH_EEENSJ_IJNS9_16discard_iteratorINS9_11use_defaultEEESI_EEENS0_18inequality_wrapperINS9_8equal_toItEEEEPmJSH_EEE10hipError_tPvRmT3_T4_T5_T6_T7_T9_mT8_P12ihipStream_tbDpT10_ENKUlT_T0_E_clISt17integral_constantIbLb1EES1D_EEDaS18_S19_EUlS18_E_NS1_11comp_targetILNS1_3genE0ELNS1_11target_archE4294967295ELNS1_3gpuE0ELNS1_3repE0EEENS1_30default_config_static_selectorELNS0_4arch9wavefront6targetE0EEEvT1_: ; @_ZN7rocprim17ROCPRIM_400000_NS6detail17trampoline_kernelINS0_14default_configENS1_25partition_config_selectorILNS1_17partition_subalgoE9EtjbEEZZNS1_14partition_implILS5_9ELb0ES3_jN6thrust23THRUST_200600_302600_NS6detail15normal_iteratorINS9_10device_ptrItEEEENSB_INSC_IjEEEEPNS0_10empty_typeENS0_5tupleIJSE_SH_EEENSJ_IJNS9_16discard_iteratorINS9_11use_defaultEEESI_EEENS0_18inequality_wrapperINS9_8equal_toItEEEEPmJSH_EEE10hipError_tPvRmT3_T4_T5_T6_T7_T9_mT8_P12ihipStream_tbDpT10_ENKUlT_T0_E_clISt17integral_constantIbLb1EES1D_EEDaS18_S19_EUlS18_E_NS1_11comp_targetILNS1_3genE0ELNS1_11target_archE4294967295ELNS1_3gpuE0ELNS1_3repE0EEENS1_30default_config_static_selectorELNS0_4arch9wavefront6targetE0EEEvT1_
; %bb.0:
	.section	.rodata,"a",@progbits
	.p2align	6, 0x0
	.amdhsa_kernel _ZN7rocprim17ROCPRIM_400000_NS6detail17trampoline_kernelINS0_14default_configENS1_25partition_config_selectorILNS1_17partition_subalgoE9EtjbEEZZNS1_14partition_implILS5_9ELb0ES3_jN6thrust23THRUST_200600_302600_NS6detail15normal_iteratorINS9_10device_ptrItEEEENSB_INSC_IjEEEEPNS0_10empty_typeENS0_5tupleIJSE_SH_EEENSJ_IJNS9_16discard_iteratorINS9_11use_defaultEEESI_EEENS0_18inequality_wrapperINS9_8equal_toItEEEEPmJSH_EEE10hipError_tPvRmT3_T4_T5_T6_T7_T9_mT8_P12ihipStream_tbDpT10_ENKUlT_T0_E_clISt17integral_constantIbLb1EES1D_EEDaS18_S19_EUlS18_E_NS1_11comp_targetILNS1_3genE0ELNS1_11target_archE4294967295ELNS1_3gpuE0ELNS1_3repE0EEENS1_30default_config_static_selectorELNS0_4arch9wavefront6targetE0EEEvT1_
		.amdhsa_group_segment_fixed_size 0
		.amdhsa_private_segment_fixed_size 0
		.amdhsa_kernarg_size 136
		.amdhsa_user_sgpr_count 15
		.amdhsa_user_sgpr_dispatch_ptr 0
		.amdhsa_user_sgpr_queue_ptr 0
		.amdhsa_user_sgpr_kernarg_segment_ptr 1
		.amdhsa_user_sgpr_dispatch_id 0
		.amdhsa_user_sgpr_private_segment_size 0
		.amdhsa_wavefront_size32 1
		.amdhsa_uses_dynamic_stack 0
		.amdhsa_enable_private_segment 0
		.amdhsa_system_sgpr_workgroup_id_x 1
		.amdhsa_system_sgpr_workgroup_id_y 0
		.amdhsa_system_sgpr_workgroup_id_z 0
		.amdhsa_system_sgpr_workgroup_info 0
		.amdhsa_system_vgpr_workitem_id 0
		.amdhsa_next_free_vgpr 1
		.amdhsa_next_free_sgpr 1
		.amdhsa_reserve_vcc 0
		.amdhsa_float_round_mode_32 0
		.amdhsa_float_round_mode_16_64 0
		.amdhsa_float_denorm_mode_32 3
		.amdhsa_float_denorm_mode_16_64 3
		.amdhsa_dx10_clamp 1
		.amdhsa_ieee_mode 1
		.amdhsa_fp16_overflow 0
		.amdhsa_workgroup_processor_mode 1
		.amdhsa_memory_ordered 1
		.amdhsa_forward_progress 0
		.amdhsa_shared_vgpr_count 0
		.amdhsa_exception_fp_ieee_invalid_op 0
		.amdhsa_exception_fp_denorm_src 0
		.amdhsa_exception_fp_ieee_div_zero 0
		.amdhsa_exception_fp_ieee_overflow 0
		.amdhsa_exception_fp_ieee_underflow 0
		.amdhsa_exception_fp_ieee_inexact 0
		.amdhsa_exception_int_div_zero 0
	.end_amdhsa_kernel
	.section	.text._ZN7rocprim17ROCPRIM_400000_NS6detail17trampoline_kernelINS0_14default_configENS1_25partition_config_selectorILNS1_17partition_subalgoE9EtjbEEZZNS1_14partition_implILS5_9ELb0ES3_jN6thrust23THRUST_200600_302600_NS6detail15normal_iteratorINS9_10device_ptrItEEEENSB_INSC_IjEEEEPNS0_10empty_typeENS0_5tupleIJSE_SH_EEENSJ_IJNS9_16discard_iteratorINS9_11use_defaultEEESI_EEENS0_18inequality_wrapperINS9_8equal_toItEEEEPmJSH_EEE10hipError_tPvRmT3_T4_T5_T6_T7_T9_mT8_P12ihipStream_tbDpT10_ENKUlT_T0_E_clISt17integral_constantIbLb1EES1D_EEDaS18_S19_EUlS18_E_NS1_11comp_targetILNS1_3genE0ELNS1_11target_archE4294967295ELNS1_3gpuE0ELNS1_3repE0EEENS1_30default_config_static_selectorELNS0_4arch9wavefront6targetE0EEEvT1_,"axG",@progbits,_ZN7rocprim17ROCPRIM_400000_NS6detail17trampoline_kernelINS0_14default_configENS1_25partition_config_selectorILNS1_17partition_subalgoE9EtjbEEZZNS1_14partition_implILS5_9ELb0ES3_jN6thrust23THRUST_200600_302600_NS6detail15normal_iteratorINS9_10device_ptrItEEEENSB_INSC_IjEEEEPNS0_10empty_typeENS0_5tupleIJSE_SH_EEENSJ_IJNS9_16discard_iteratorINS9_11use_defaultEEESI_EEENS0_18inequality_wrapperINS9_8equal_toItEEEEPmJSH_EEE10hipError_tPvRmT3_T4_T5_T6_T7_T9_mT8_P12ihipStream_tbDpT10_ENKUlT_T0_E_clISt17integral_constantIbLb1EES1D_EEDaS18_S19_EUlS18_E_NS1_11comp_targetILNS1_3genE0ELNS1_11target_archE4294967295ELNS1_3gpuE0ELNS1_3repE0EEENS1_30default_config_static_selectorELNS0_4arch9wavefront6targetE0EEEvT1_,comdat
.Lfunc_end925:
	.size	_ZN7rocprim17ROCPRIM_400000_NS6detail17trampoline_kernelINS0_14default_configENS1_25partition_config_selectorILNS1_17partition_subalgoE9EtjbEEZZNS1_14partition_implILS5_9ELb0ES3_jN6thrust23THRUST_200600_302600_NS6detail15normal_iteratorINS9_10device_ptrItEEEENSB_INSC_IjEEEEPNS0_10empty_typeENS0_5tupleIJSE_SH_EEENSJ_IJNS9_16discard_iteratorINS9_11use_defaultEEESI_EEENS0_18inequality_wrapperINS9_8equal_toItEEEEPmJSH_EEE10hipError_tPvRmT3_T4_T5_T6_T7_T9_mT8_P12ihipStream_tbDpT10_ENKUlT_T0_E_clISt17integral_constantIbLb1EES1D_EEDaS18_S19_EUlS18_E_NS1_11comp_targetILNS1_3genE0ELNS1_11target_archE4294967295ELNS1_3gpuE0ELNS1_3repE0EEENS1_30default_config_static_selectorELNS0_4arch9wavefront6targetE0EEEvT1_, .Lfunc_end925-_ZN7rocprim17ROCPRIM_400000_NS6detail17trampoline_kernelINS0_14default_configENS1_25partition_config_selectorILNS1_17partition_subalgoE9EtjbEEZZNS1_14partition_implILS5_9ELb0ES3_jN6thrust23THRUST_200600_302600_NS6detail15normal_iteratorINS9_10device_ptrItEEEENSB_INSC_IjEEEEPNS0_10empty_typeENS0_5tupleIJSE_SH_EEENSJ_IJNS9_16discard_iteratorINS9_11use_defaultEEESI_EEENS0_18inequality_wrapperINS9_8equal_toItEEEEPmJSH_EEE10hipError_tPvRmT3_T4_T5_T6_T7_T9_mT8_P12ihipStream_tbDpT10_ENKUlT_T0_E_clISt17integral_constantIbLb1EES1D_EEDaS18_S19_EUlS18_E_NS1_11comp_targetILNS1_3genE0ELNS1_11target_archE4294967295ELNS1_3gpuE0ELNS1_3repE0EEENS1_30default_config_static_selectorELNS0_4arch9wavefront6targetE0EEEvT1_
                                        ; -- End function
	.section	.AMDGPU.csdata,"",@progbits
; Kernel info:
; codeLenInByte = 0
; NumSgprs: 0
; NumVgprs: 0
; ScratchSize: 0
; MemoryBound: 0
; FloatMode: 240
; IeeeMode: 1
; LDSByteSize: 0 bytes/workgroup (compile time only)
; SGPRBlocks: 0
; VGPRBlocks: 0
; NumSGPRsForWavesPerEU: 1
; NumVGPRsForWavesPerEU: 1
; Occupancy: 16
; WaveLimiterHint : 0
; COMPUTE_PGM_RSRC2:SCRATCH_EN: 0
; COMPUTE_PGM_RSRC2:USER_SGPR: 15
; COMPUTE_PGM_RSRC2:TRAP_HANDLER: 0
; COMPUTE_PGM_RSRC2:TGID_X_EN: 1
; COMPUTE_PGM_RSRC2:TGID_Y_EN: 0
; COMPUTE_PGM_RSRC2:TGID_Z_EN: 0
; COMPUTE_PGM_RSRC2:TIDIG_COMP_CNT: 0
	.section	.text._ZN7rocprim17ROCPRIM_400000_NS6detail17trampoline_kernelINS0_14default_configENS1_25partition_config_selectorILNS1_17partition_subalgoE9EtjbEEZZNS1_14partition_implILS5_9ELb0ES3_jN6thrust23THRUST_200600_302600_NS6detail15normal_iteratorINS9_10device_ptrItEEEENSB_INSC_IjEEEEPNS0_10empty_typeENS0_5tupleIJSE_SH_EEENSJ_IJNS9_16discard_iteratorINS9_11use_defaultEEESI_EEENS0_18inequality_wrapperINS9_8equal_toItEEEEPmJSH_EEE10hipError_tPvRmT3_T4_T5_T6_T7_T9_mT8_P12ihipStream_tbDpT10_ENKUlT_T0_E_clISt17integral_constantIbLb1EES1D_EEDaS18_S19_EUlS18_E_NS1_11comp_targetILNS1_3genE5ELNS1_11target_archE942ELNS1_3gpuE9ELNS1_3repE0EEENS1_30default_config_static_selectorELNS0_4arch9wavefront6targetE0EEEvT1_,"axG",@progbits,_ZN7rocprim17ROCPRIM_400000_NS6detail17trampoline_kernelINS0_14default_configENS1_25partition_config_selectorILNS1_17partition_subalgoE9EtjbEEZZNS1_14partition_implILS5_9ELb0ES3_jN6thrust23THRUST_200600_302600_NS6detail15normal_iteratorINS9_10device_ptrItEEEENSB_INSC_IjEEEEPNS0_10empty_typeENS0_5tupleIJSE_SH_EEENSJ_IJNS9_16discard_iteratorINS9_11use_defaultEEESI_EEENS0_18inequality_wrapperINS9_8equal_toItEEEEPmJSH_EEE10hipError_tPvRmT3_T4_T5_T6_T7_T9_mT8_P12ihipStream_tbDpT10_ENKUlT_T0_E_clISt17integral_constantIbLb1EES1D_EEDaS18_S19_EUlS18_E_NS1_11comp_targetILNS1_3genE5ELNS1_11target_archE942ELNS1_3gpuE9ELNS1_3repE0EEENS1_30default_config_static_selectorELNS0_4arch9wavefront6targetE0EEEvT1_,comdat
	.protected	_ZN7rocprim17ROCPRIM_400000_NS6detail17trampoline_kernelINS0_14default_configENS1_25partition_config_selectorILNS1_17partition_subalgoE9EtjbEEZZNS1_14partition_implILS5_9ELb0ES3_jN6thrust23THRUST_200600_302600_NS6detail15normal_iteratorINS9_10device_ptrItEEEENSB_INSC_IjEEEEPNS0_10empty_typeENS0_5tupleIJSE_SH_EEENSJ_IJNS9_16discard_iteratorINS9_11use_defaultEEESI_EEENS0_18inequality_wrapperINS9_8equal_toItEEEEPmJSH_EEE10hipError_tPvRmT3_T4_T5_T6_T7_T9_mT8_P12ihipStream_tbDpT10_ENKUlT_T0_E_clISt17integral_constantIbLb1EES1D_EEDaS18_S19_EUlS18_E_NS1_11comp_targetILNS1_3genE5ELNS1_11target_archE942ELNS1_3gpuE9ELNS1_3repE0EEENS1_30default_config_static_selectorELNS0_4arch9wavefront6targetE0EEEvT1_ ; -- Begin function _ZN7rocprim17ROCPRIM_400000_NS6detail17trampoline_kernelINS0_14default_configENS1_25partition_config_selectorILNS1_17partition_subalgoE9EtjbEEZZNS1_14partition_implILS5_9ELb0ES3_jN6thrust23THRUST_200600_302600_NS6detail15normal_iteratorINS9_10device_ptrItEEEENSB_INSC_IjEEEEPNS0_10empty_typeENS0_5tupleIJSE_SH_EEENSJ_IJNS9_16discard_iteratorINS9_11use_defaultEEESI_EEENS0_18inequality_wrapperINS9_8equal_toItEEEEPmJSH_EEE10hipError_tPvRmT3_T4_T5_T6_T7_T9_mT8_P12ihipStream_tbDpT10_ENKUlT_T0_E_clISt17integral_constantIbLb1EES1D_EEDaS18_S19_EUlS18_E_NS1_11comp_targetILNS1_3genE5ELNS1_11target_archE942ELNS1_3gpuE9ELNS1_3repE0EEENS1_30default_config_static_selectorELNS0_4arch9wavefront6targetE0EEEvT1_
	.globl	_ZN7rocprim17ROCPRIM_400000_NS6detail17trampoline_kernelINS0_14default_configENS1_25partition_config_selectorILNS1_17partition_subalgoE9EtjbEEZZNS1_14partition_implILS5_9ELb0ES3_jN6thrust23THRUST_200600_302600_NS6detail15normal_iteratorINS9_10device_ptrItEEEENSB_INSC_IjEEEEPNS0_10empty_typeENS0_5tupleIJSE_SH_EEENSJ_IJNS9_16discard_iteratorINS9_11use_defaultEEESI_EEENS0_18inequality_wrapperINS9_8equal_toItEEEEPmJSH_EEE10hipError_tPvRmT3_T4_T5_T6_T7_T9_mT8_P12ihipStream_tbDpT10_ENKUlT_T0_E_clISt17integral_constantIbLb1EES1D_EEDaS18_S19_EUlS18_E_NS1_11comp_targetILNS1_3genE5ELNS1_11target_archE942ELNS1_3gpuE9ELNS1_3repE0EEENS1_30default_config_static_selectorELNS0_4arch9wavefront6targetE0EEEvT1_
	.p2align	8
	.type	_ZN7rocprim17ROCPRIM_400000_NS6detail17trampoline_kernelINS0_14default_configENS1_25partition_config_selectorILNS1_17partition_subalgoE9EtjbEEZZNS1_14partition_implILS5_9ELb0ES3_jN6thrust23THRUST_200600_302600_NS6detail15normal_iteratorINS9_10device_ptrItEEEENSB_INSC_IjEEEEPNS0_10empty_typeENS0_5tupleIJSE_SH_EEENSJ_IJNS9_16discard_iteratorINS9_11use_defaultEEESI_EEENS0_18inequality_wrapperINS9_8equal_toItEEEEPmJSH_EEE10hipError_tPvRmT3_T4_T5_T6_T7_T9_mT8_P12ihipStream_tbDpT10_ENKUlT_T0_E_clISt17integral_constantIbLb1EES1D_EEDaS18_S19_EUlS18_E_NS1_11comp_targetILNS1_3genE5ELNS1_11target_archE942ELNS1_3gpuE9ELNS1_3repE0EEENS1_30default_config_static_selectorELNS0_4arch9wavefront6targetE0EEEvT1_,@function
_ZN7rocprim17ROCPRIM_400000_NS6detail17trampoline_kernelINS0_14default_configENS1_25partition_config_selectorILNS1_17partition_subalgoE9EtjbEEZZNS1_14partition_implILS5_9ELb0ES3_jN6thrust23THRUST_200600_302600_NS6detail15normal_iteratorINS9_10device_ptrItEEEENSB_INSC_IjEEEEPNS0_10empty_typeENS0_5tupleIJSE_SH_EEENSJ_IJNS9_16discard_iteratorINS9_11use_defaultEEESI_EEENS0_18inequality_wrapperINS9_8equal_toItEEEEPmJSH_EEE10hipError_tPvRmT3_T4_T5_T6_T7_T9_mT8_P12ihipStream_tbDpT10_ENKUlT_T0_E_clISt17integral_constantIbLb1EES1D_EEDaS18_S19_EUlS18_E_NS1_11comp_targetILNS1_3genE5ELNS1_11target_archE942ELNS1_3gpuE9ELNS1_3repE0EEENS1_30default_config_static_selectorELNS0_4arch9wavefront6targetE0EEEvT1_: ; @_ZN7rocprim17ROCPRIM_400000_NS6detail17trampoline_kernelINS0_14default_configENS1_25partition_config_selectorILNS1_17partition_subalgoE9EtjbEEZZNS1_14partition_implILS5_9ELb0ES3_jN6thrust23THRUST_200600_302600_NS6detail15normal_iteratorINS9_10device_ptrItEEEENSB_INSC_IjEEEEPNS0_10empty_typeENS0_5tupleIJSE_SH_EEENSJ_IJNS9_16discard_iteratorINS9_11use_defaultEEESI_EEENS0_18inequality_wrapperINS9_8equal_toItEEEEPmJSH_EEE10hipError_tPvRmT3_T4_T5_T6_T7_T9_mT8_P12ihipStream_tbDpT10_ENKUlT_T0_E_clISt17integral_constantIbLb1EES1D_EEDaS18_S19_EUlS18_E_NS1_11comp_targetILNS1_3genE5ELNS1_11target_archE942ELNS1_3gpuE9ELNS1_3repE0EEENS1_30default_config_static_selectorELNS0_4arch9wavefront6targetE0EEEvT1_
; %bb.0:
	.section	.rodata,"a",@progbits
	.p2align	6, 0x0
	.amdhsa_kernel _ZN7rocprim17ROCPRIM_400000_NS6detail17trampoline_kernelINS0_14default_configENS1_25partition_config_selectorILNS1_17partition_subalgoE9EtjbEEZZNS1_14partition_implILS5_9ELb0ES3_jN6thrust23THRUST_200600_302600_NS6detail15normal_iteratorINS9_10device_ptrItEEEENSB_INSC_IjEEEEPNS0_10empty_typeENS0_5tupleIJSE_SH_EEENSJ_IJNS9_16discard_iteratorINS9_11use_defaultEEESI_EEENS0_18inequality_wrapperINS9_8equal_toItEEEEPmJSH_EEE10hipError_tPvRmT3_T4_T5_T6_T7_T9_mT8_P12ihipStream_tbDpT10_ENKUlT_T0_E_clISt17integral_constantIbLb1EES1D_EEDaS18_S19_EUlS18_E_NS1_11comp_targetILNS1_3genE5ELNS1_11target_archE942ELNS1_3gpuE9ELNS1_3repE0EEENS1_30default_config_static_selectorELNS0_4arch9wavefront6targetE0EEEvT1_
		.amdhsa_group_segment_fixed_size 0
		.amdhsa_private_segment_fixed_size 0
		.amdhsa_kernarg_size 136
		.amdhsa_user_sgpr_count 15
		.amdhsa_user_sgpr_dispatch_ptr 0
		.amdhsa_user_sgpr_queue_ptr 0
		.amdhsa_user_sgpr_kernarg_segment_ptr 1
		.amdhsa_user_sgpr_dispatch_id 0
		.amdhsa_user_sgpr_private_segment_size 0
		.amdhsa_wavefront_size32 1
		.amdhsa_uses_dynamic_stack 0
		.amdhsa_enable_private_segment 0
		.amdhsa_system_sgpr_workgroup_id_x 1
		.amdhsa_system_sgpr_workgroup_id_y 0
		.amdhsa_system_sgpr_workgroup_id_z 0
		.amdhsa_system_sgpr_workgroup_info 0
		.amdhsa_system_vgpr_workitem_id 0
		.amdhsa_next_free_vgpr 1
		.amdhsa_next_free_sgpr 1
		.amdhsa_reserve_vcc 0
		.amdhsa_float_round_mode_32 0
		.amdhsa_float_round_mode_16_64 0
		.amdhsa_float_denorm_mode_32 3
		.amdhsa_float_denorm_mode_16_64 3
		.amdhsa_dx10_clamp 1
		.amdhsa_ieee_mode 1
		.amdhsa_fp16_overflow 0
		.amdhsa_workgroup_processor_mode 1
		.amdhsa_memory_ordered 1
		.amdhsa_forward_progress 0
		.amdhsa_shared_vgpr_count 0
		.amdhsa_exception_fp_ieee_invalid_op 0
		.amdhsa_exception_fp_denorm_src 0
		.amdhsa_exception_fp_ieee_div_zero 0
		.amdhsa_exception_fp_ieee_overflow 0
		.amdhsa_exception_fp_ieee_underflow 0
		.amdhsa_exception_fp_ieee_inexact 0
		.amdhsa_exception_int_div_zero 0
	.end_amdhsa_kernel
	.section	.text._ZN7rocprim17ROCPRIM_400000_NS6detail17trampoline_kernelINS0_14default_configENS1_25partition_config_selectorILNS1_17partition_subalgoE9EtjbEEZZNS1_14partition_implILS5_9ELb0ES3_jN6thrust23THRUST_200600_302600_NS6detail15normal_iteratorINS9_10device_ptrItEEEENSB_INSC_IjEEEEPNS0_10empty_typeENS0_5tupleIJSE_SH_EEENSJ_IJNS9_16discard_iteratorINS9_11use_defaultEEESI_EEENS0_18inequality_wrapperINS9_8equal_toItEEEEPmJSH_EEE10hipError_tPvRmT3_T4_T5_T6_T7_T9_mT8_P12ihipStream_tbDpT10_ENKUlT_T0_E_clISt17integral_constantIbLb1EES1D_EEDaS18_S19_EUlS18_E_NS1_11comp_targetILNS1_3genE5ELNS1_11target_archE942ELNS1_3gpuE9ELNS1_3repE0EEENS1_30default_config_static_selectorELNS0_4arch9wavefront6targetE0EEEvT1_,"axG",@progbits,_ZN7rocprim17ROCPRIM_400000_NS6detail17trampoline_kernelINS0_14default_configENS1_25partition_config_selectorILNS1_17partition_subalgoE9EtjbEEZZNS1_14partition_implILS5_9ELb0ES3_jN6thrust23THRUST_200600_302600_NS6detail15normal_iteratorINS9_10device_ptrItEEEENSB_INSC_IjEEEEPNS0_10empty_typeENS0_5tupleIJSE_SH_EEENSJ_IJNS9_16discard_iteratorINS9_11use_defaultEEESI_EEENS0_18inequality_wrapperINS9_8equal_toItEEEEPmJSH_EEE10hipError_tPvRmT3_T4_T5_T6_T7_T9_mT8_P12ihipStream_tbDpT10_ENKUlT_T0_E_clISt17integral_constantIbLb1EES1D_EEDaS18_S19_EUlS18_E_NS1_11comp_targetILNS1_3genE5ELNS1_11target_archE942ELNS1_3gpuE9ELNS1_3repE0EEENS1_30default_config_static_selectorELNS0_4arch9wavefront6targetE0EEEvT1_,comdat
.Lfunc_end926:
	.size	_ZN7rocprim17ROCPRIM_400000_NS6detail17trampoline_kernelINS0_14default_configENS1_25partition_config_selectorILNS1_17partition_subalgoE9EtjbEEZZNS1_14partition_implILS5_9ELb0ES3_jN6thrust23THRUST_200600_302600_NS6detail15normal_iteratorINS9_10device_ptrItEEEENSB_INSC_IjEEEEPNS0_10empty_typeENS0_5tupleIJSE_SH_EEENSJ_IJNS9_16discard_iteratorINS9_11use_defaultEEESI_EEENS0_18inequality_wrapperINS9_8equal_toItEEEEPmJSH_EEE10hipError_tPvRmT3_T4_T5_T6_T7_T9_mT8_P12ihipStream_tbDpT10_ENKUlT_T0_E_clISt17integral_constantIbLb1EES1D_EEDaS18_S19_EUlS18_E_NS1_11comp_targetILNS1_3genE5ELNS1_11target_archE942ELNS1_3gpuE9ELNS1_3repE0EEENS1_30default_config_static_selectorELNS0_4arch9wavefront6targetE0EEEvT1_, .Lfunc_end926-_ZN7rocprim17ROCPRIM_400000_NS6detail17trampoline_kernelINS0_14default_configENS1_25partition_config_selectorILNS1_17partition_subalgoE9EtjbEEZZNS1_14partition_implILS5_9ELb0ES3_jN6thrust23THRUST_200600_302600_NS6detail15normal_iteratorINS9_10device_ptrItEEEENSB_INSC_IjEEEEPNS0_10empty_typeENS0_5tupleIJSE_SH_EEENSJ_IJNS9_16discard_iteratorINS9_11use_defaultEEESI_EEENS0_18inequality_wrapperINS9_8equal_toItEEEEPmJSH_EEE10hipError_tPvRmT3_T4_T5_T6_T7_T9_mT8_P12ihipStream_tbDpT10_ENKUlT_T0_E_clISt17integral_constantIbLb1EES1D_EEDaS18_S19_EUlS18_E_NS1_11comp_targetILNS1_3genE5ELNS1_11target_archE942ELNS1_3gpuE9ELNS1_3repE0EEENS1_30default_config_static_selectorELNS0_4arch9wavefront6targetE0EEEvT1_
                                        ; -- End function
	.section	.AMDGPU.csdata,"",@progbits
; Kernel info:
; codeLenInByte = 0
; NumSgprs: 0
; NumVgprs: 0
; ScratchSize: 0
; MemoryBound: 0
; FloatMode: 240
; IeeeMode: 1
; LDSByteSize: 0 bytes/workgroup (compile time only)
; SGPRBlocks: 0
; VGPRBlocks: 0
; NumSGPRsForWavesPerEU: 1
; NumVGPRsForWavesPerEU: 1
; Occupancy: 16
; WaveLimiterHint : 0
; COMPUTE_PGM_RSRC2:SCRATCH_EN: 0
; COMPUTE_PGM_RSRC2:USER_SGPR: 15
; COMPUTE_PGM_RSRC2:TRAP_HANDLER: 0
; COMPUTE_PGM_RSRC2:TGID_X_EN: 1
; COMPUTE_PGM_RSRC2:TGID_Y_EN: 0
; COMPUTE_PGM_RSRC2:TGID_Z_EN: 0
; COMPUTE_PGM_RSRC2:TIDIG_COMP_CNT: 0
	.section	.text._ZN7rocprim17ROCPRIM_400000_NS6detail17trampoline_kernelINS0_14default_configENS1_25partition_config_selectorILNS1_17partition_subalgoE9EtjbEEZZNS1_14partition_implILS5_9ELb0ES3_jN6thrust23THRUST_200600_302600_NS6detail15normal_iteratorINS9_10device_ptrItEEEENSB_INSC_IjEEEEPNS0_10empty_typeENS0_5tupleIJSE_SH_EEENSJ_IJNS9_16discard_iteratorINS9_11use_defaultEEESI_EEENS0_18inequality_wrapperINS9_8equal_toItEEEEPmJSH_EEE10hipError_tPvRmT3_T4_T5_T6_T7_T9_mT8_P12ihipStream_tbDpT10_ENKUlT_T0_E_clISt17integral_constantIbLb1EES1D_EEDaS18_S19_EUlS18_E_NS1_11comp_targetILNS1_3genE4ELNS1_11target_archE910ELNS1_3gpuE8ELNS1_3repE0EEENS1_30default_config_static_selectorELNS0_4arch9wavefront6targetE0EEEvT1_,"axG",@progbits,_ZN7rocprim17ROCPRIM_400000_NS6detail17trampoline_kernelINS0_14default_configENS1_25partition_config_selectorILNS1_17partition_subalgoE9EtjbEEZZNS1_14partition_implILS5_9ELb0ES3_jN6thrust23THRUST_200600_302600_NS6detail15normal_iteratorINS9_10device_ptrItEEEENSB_INSC_IjEEEEPNS0_10empty_typeENS0_5tupleIJSE_SH_EEENSJ_IJNS9_16discard_iteratorINS9_11use_defaultEEESI_EEENS0_18inequality_wrapperINS9_8equal_toItEEEEPmJSH_EEE10hipError_tPvRmT3_T4_T5_T6_T7_T9_mT8_P12ihipStream_tbDpT10_ENKUlT_T0_E_clISt17integral_constantIbLb1EES1D_EEDaS18_S19_EUlS18_E_NS1_11comp_targetILNS1_3genE4ELNS1_11target_archE910ELNS1_3gpuE8ELNS1_3repE0EEENS1_30default_config_static_selectorELNS0_4arch9wavefront6targetE0EEEvT1_,comdat
	.protected	_ZN7rocprim17ROCPRIM_400000_NS6detail17trampoline_kernelINS0_14default_configENS1_25partition_config_selectorILNS1_17partition_subalgoE9EtjbEEZZNS1_14partition_implILS5_9ELb0ES3_jN6thrust23THRUST_200600_302600_NS6detail15normal_iteratorINS9_10device_ptrItEEEENSB_INSC_IjEEEEPNS0_10empty_typeENS0_5tupleIJSE_SH_EEENSJ_IJNS9_16discard_iteratorINS9_11use_defaultEEESI_EEENS0_18inequality_wrapperINS9_8equal_toItEEEEPmJSH_EEE10hipError_tPvRmT3_T4_T5_T6_T7_T9_mT8_P12ihipStream_tbDpT10_ENKUlT_T0_E_clISt17integral_constantIbLb1EES1D_EEDaS18_S19_EUlS18_E_NS1_11comp_targetILNS1_3genE4ELNS1_11target_archE910ELNS1_3gpuE8ELNS1_3repE0EEENS1_30default_config_static_selectorELNS0_4arch9wavefront6targetE0EEEvT1_ ; -- Begin function _ZN7rocprim17ROCPRIM_400000_NS6detail17trampoline_kernelINS0_14default_configENS1_25partition_config_selectorILNS1_17partition_subalgoE9EtjbEEZZNS1_14partition_implILS5_9ELb0ES3_jN6thrust23THRUST_200600_302600_NS6detail15normal_iteratorINS9_10device_ptrItEEEENSB_INSC_IjEEEEPNS0_10empty_typeENS0_5tupleIJSE_SH_EEENSJ_IJNS9_16discard_iteratorINS9_11use_defaultEEESI_EEENS0_18inequality_wrapperINS9_8equal_toItEEEEPmJSH_EEE10hipError_tPvRmT3_T4_T5_T6_T7_T9_mT8_P12ihipStream_tbDpT10_ENKUlT_T0_E_clISt17integral_constantIbLb1EES1D_EEDaS18_S19_EUlS18_E_NS1_11comp_targetILNS1_3genE4ELNS1_11target_archE910ELNS1_3gpuE8ELNS1_3repE0EEENS1_30default_config_static_selectorELNS0_4arch9wavefront6targetE0EEEvT1_
	.globl	_ZN7rocprim17ROCPRIM_400000_NS6detail17trampoline_kernelINS0_14default_configENS1_25partition_config_selectorILNS1_17partition_subalgoE9EtjbEEZZNS1_14partition_implILS5_9ELb0ES3_jN6thrust23THRUST_200600_302600_NS6detail15normal_iteratorINS9_10device_ptrItEEEENSB_INSC_IjEEEEPNS0_10empty_typeENS0_5tupleIJSE_SH_EEENSJ_IJNS9_16discard_iteratorINS9_11use_defaultEEESI_EEENS0_18inequality_wrapperINS9_8equal_toItEEEEPmJSH_EEE10hipError_tPvRmT3_T4_T5_T6_T7_T9_mT8_P12ihipStream_tbDpT10_ENKUlT_T0_E_clISt17integral_constantIbLb1EES1D_EEDaS18_S19_EUlS18_E_NS1_11comp_targetILNS1_3genE4ELNS1_11target_archE910ELNS1_3gpuE8ELNS1_3repE0EEENS1_30default_config_static_selectorELNS0_4arch9wavefront6targetE0EEEvT1_
	.p2align	8
	.type	_ZN7rocprim17ROCPRIM_400000_NS6detail17trampoline_kernelINS0_14default_configENS1_25partition_config_selectorILNS1_17partition_subalgoE9EtjbEEZZNS1_14partition_implILS5_9ELb0ES3_jN6thrust23THRUST_200600_302600_NS6detail15normal_iteratorINS9_10device_ptrItEEEENSB_INSC_IjEEEEPNS0_10empty_typeENS0_5tupleIJSE_SH_EEENSJ_IJNS9_16discard_iteratorINS9_11use_defaultEEESI_EEENS0_18inequality_wrapperINS9_8equal_toItEEEEPmJSH_EEE10hipError_tPvRmT3_T4_T5_T6_T7_T9_mT8_P12ihipStream_tbDpT10_ENKUlT_T0_E_clISt17integral_constantIbLb1EES1D_EEDaS18_S19_EUlS18_E_NS1_11comp_targetILNS1_3genE4ELNS1_11target_archE910ELNS1_3gpuE8ELNS1_3repE0EEENS1_30default_config_static_selectorELNS0_4arch9wavefront6targetE0EEEvT1_,@function
_ZN7rocprim17ROCPRIM_400000_NS6detail17trampoline_kernelINS0_14default_configENS1_25partition_config_selectorILNS1_17partition_subalgoE9EtjbEEZZNS1_14partition_implILS5_9ELb0ES3_jN6thrust23THRUST_200600_302600_NS6detail15normal_iteratorINS9_10device_ptrItEEEENSB_INSC_IjEEEEPNS0_10empty_typeENS0_5tupleIJSE_SH_EEENSJ_IJNS9_16discard_iteratorINS9_11use_defaultEEESI_EEENS0_18inequality_wrapperINS9_8equal_toItEEEEPmJSH_EEE10hipError_tPvRmT3_T4_T5_T6_T7_T9_mT8_P12ihipStream_tbDpT10_ENKUlT_T0_E_clISt17integral_constantIbLb1EES1D_EEDaS18_S19_EUlS18_E_NS1_11comp_targetILNS1_3genE4ELNS1_11target_archE910ELNS1_3gpuE8ELNS1_3repE0EEENS1_30default_config_static_selectorELNS0_4arch9wavefront6targetE0EEEvT1_: ; @_ZN7rocprim17ROCPRIM_400000_NS6detail17trampoline_kernelINS0_14default_configENS1_25partition_config_selectorILNS1_17partition_subalgoE9EtjbEEZZNS1_14partition_implILS5_9ELb0ES3_jN6thrust23THRUST_200600_302600_NS6detail15normal_iteratorINS9_10device_ptrItEEEENSB_INSC_IjEEEEPNS0_10empty_typeENS0_5tupleIJSE_SH_EEENSJ_IJNS9_16discard_iteratorINS9_11use_defaultEEESI_EEENS0_18inequality_wrapperINS9_8equal_toItEEEEPmJSH_EEE10hipError_tPvRmT3_T4_T5_T6_T7_T9_mT8_P12ihipStream_tbDpT10_ENKUlT_T0_E_clISt17integral_constantIbLb1EES1D_EEDaS18_S19_EUlS18_E_NS1_11comp_targetILNS1_3genE4ELNS1_11target_archE910ELNS1_3gpuE8ELNS1_3repE0EEENS1_30default_config_static_selectorELNS0_4arch9wavefront6targetE0EEEvT1_
; %bb.0:
	.section	.rodata,"a",@progbits
	.p2align	6, 0x0
	.amdhsa_kernel _ZN7rocprim17ROCPRIM_400000_NS6detail17trampoline_kernelINS0_14default_configENS1_25partition_config_selectorILNS1_17partition_subalgoE9EtjbEEZZNS1_14partition_implILS5_9ELb0ES3_jN6thrust23THRUST_200600_302600_NS6detail15normal_iteratorINS9_10device_ptrItEEEENSB_INSC_IjEEEEPNS0_10empty_typeENS0_5tupleIJSE_SH_EEENSJ_IJNS9_16discard_iteratorINS9_11use_defaultEEESI_EEENS0_18inequality_wrapperINS9_8equal_toItEEEEPmJSH_EEE10hipError_tPvRmT3_T4_T5_T6_T7_T9_mT8_P12ihipStream_tbDpT10_ENKUlT_T0_E_clISt17integral_constantIbLb1EES1D_EEDaS18_S19_EUlS18_E_NS1_11comp_targetILNS1_3genE4ELNS1_11target_archE910ELNS1_3gpuE8ELNS1_3repE0EEENS1_30default_config_static_selectorELNS0_4arch9wavefront6targetE0EEEvT1_
		.amdhsa_group_segment_fixed_size 0
		.amdhsa_private_segment_fixed_size 0
		.amdhsa_kernarg_size 136
		.amdhsa_user_sgpr_count 15
		.amdhsa_user_sgpr_dispatch_ptr 0
		.amdhsa_user_sgpr_queue_ptr 0
		.amdhsa_user_sgpr_kernarg_segment_ptr 1
		.amdhsa_user_sgpr_dispatch_id 0
		.amdhsa_user_sgpr_private_segment_size 0
		.amdhsa_wavefront_size32 1
		.amdhsa_uses_dynamic_stack 0
		.amdhsa_enable_private_segment 0
		.amdhsa_system_sgpr_workgroup_id_x 1
		.amdhsa_system_sgpr_workgroup_id_y 0
		.amdhsa_system_sgpr_workgroup_id_z 0
		.amdhsa_system_sgpr_workgroup_info 0
		.amdhsa_system_vgpr_workitem_id 0
		.amdhsa_next_free_vgpr 1
		.amdhsa_next_free_sgpr 1
		.amdhsa_reserve_vcc 0
		.amdhsa_float_round_mode_32 0
		.amdhsa_float_round_mode_16_64 0
		.amdhsa_float_denorm_mode_32 3
		.amdhsa_float_denorm_mode_16_64 3
		.amdhsa_dx10_clamp 1
		.amdhsa_ieee_mode 1
		.amdhsa_fp16_overflow 0
		.amdhsa_workgroup_processor_mode 1
		.amdhsa_memory_ordered 1
		.amdhsa_forward_progress 0
		.amdhsa_shared_vgpr_count 0
		.amdhsa_exception_fp_ieee_invalid_op 0
		.amdhsa_exception_fp_denorm_src 0
		.amdhsa_exception_fp_ieee_div_zero 0
		.amdhsa_exception_fp_ieee_overflow 0
		.amdhsa_exception_fp_ieee_underflow 0
		.amdhsa_exception_fp_ieee_inexact 0
		.amdhsa_exception_int_div_zero 0
	.end_amdhsa_kernel
	.section	.text._ZN7rocprim17ROCPRIM_400000_NS6detail17trampoline_kernelINS0_14default_configENS1_25partition_config_selectorILNS1_17partition_subalgoE9EtjbEEZZNS1_14partition_implILS5_9ELb0ES3_jN6thrust23THRUST_200600_302600_NS6detail15normal_iteratorINS9_10device_ptrItEEEENSB_INSC_IjEEEEPNS0_10empty_typeENS0_5tupleIJSE_SH_EEENSJ_IJNS9_16discard_iteratorINS9_11use_defaultEEESI_EEENS0_18inequality_wrapperINS9_8equal_toItEEEEPmJSH_EEE10hipError_tPvRmT3_T4_T5_T6_T7_T9_mT8_P12ihipStream_tbDpT10_ENKUlT_T0_E_clISt17integral_constantIbLb1EES1D_EEDaS18_S19_EUlS18_E_NS1_11comp_targetILNS1_3genE4ELNS1_11target_archE910ELNS1_3gpuE8ELNS1_3repE0EEENS1_30default_config_static_selectorELNS0_4arch9wavefront6targetE0EEEvT1_,"axG",@progbits,_ZN7rocprim17ROCPRIM_400000_NS6detail17trampoline_kernelINS0_14default_configENS1_25partition_config_selectorILNS1_17partition_subalgoE9EtjbEEZZNS1_14partition_implILS5_9ELb0ES3_jN6thrust23THRUST_200600_302600_NS6detail15normal_iteratorINS9_10device_ptrItEEEENSB_INSC_IjEEEEPNS0_10empty_typeENS0_5tupleIJSE_SH_EEENSJ_IJNS9_16discard_iteratorINS9_11use_defaultEEESI_EEENS0_18inequality_wrapperINS9_8equal_toItEEEEPmJSH_EEE10hipError_tPvRmT3_T4_T5_T6_T7_T9_mT8_P12ihipStream_tbDpT10_ENKUlT_T0_E_clISt17integral_constantIbLb1EES1D_EEDaS18_S19_EUlS18_E_NS1_11comp_targetILNS1_3genE4ELNS1_11target_archE910ELNS1_3gpuE8ELNS1_3repE0EEENS1_30default_config_static_selectorELNS0_4arch9wavefront6targetE0EEEvT1_,comdat
.Lfunc_end927:
	.size	_ZN7rocprim17ROCPRIM_400000_NS6detail17trampoline_kernelINS0_14default_configENS1_25partition_config_selectorILNS1_17partition_subalgoE9EtjbEEZZNS1_14partition_implILS5_9ELb0ES3_jN6thrust23THRUST_200600_302600_NS6detail15normal_iteratorINS9_10device_ptrItEEEENSB_INSC_IjEEEEPNS0_10empty_typeENS0_5tupleIJSE_SH_EEENSJ_IJNS9_16discard_iteratorINS9_11use_defaultEEESI_EEENS0_18inequality_wrapperINS9_8equal_toItEEEEPmJSH_EEE10hipError_tPvRmT3_T4_T5_T6_T7_T9_mT8_P12ihipStream_tbDpT10_ENKUlT_T0_E_clISt17integral_constantIbLb1EES1D_EEDaS18_S19_EUlS18_E_NS1_11comp_targetILNS1_3genE4ELNS1_11target_archE910ELNS1_3gpuE8ELNS1_3repE0EEENS1_30default_config_static_selectorELNS0_4arch9wavefront6targetE0EEEvT1_, .Lfunc_end927-_ZN7rocprim17ROCPRIM_400000_NS6detail17trampoline_kernelINS0_14default_configENS1_25partition_config_selectorILNS1_17partition_subalgoE9EtjbEEZZNS1_14partition_implILS5_9ELb0ES3_jN6thrust23THRUST_200600_302600_NS6detail15normal_iteratorINS9_10device_ptrItEEEENSB_INSC_IjEEEEPNS0_10empty_typeENS0_5tupleIJSE_SH_EEENSJ_IJNS9_16discard_iteratorINS9_11use_defaultEEESI_EEENS0_18inequality_wrapperINS9_8equal_toItEEEEPmJSH_EEE10hipError_tPvRmT3_T4_T5_T6_T7_T9_mT8_P12ihipStream_tbDpT10_ENKUlT_T0_E_clISt17integral_constantIbLb1EES1D_EEDaS18_S19_EUlS18_E_NS1_11comp_targetILNS1_3genE4ELNS1_11target_archE910ELNS1_3gpuE8ELNS1_3repE0EEENS1_30default_config_static_selectorELNS0_4arch9wavefront6targetE0EEEvT1_
                                        ; -- End function
	.section	.AMDGPU.csdata,"",@progbits
; Kernel info:
; codeLenInByte = 0
; NumSgprs: 0
; NumVgprs: 0
; ScratchSize: 0
; MemoryBound: 0
; FloatMode: 240
; IeeeMode: 1
; LDSByteSize: 0 bytes/workgroup (compile time only)
; SGPRBlocks: 0
; VGPRBlocks: 0
; NumSGPRsForWavesPerEU: 1
; NumVGPRsForWavesPerEU: 1
; Occupancy: 15
; WaveLimiterHint : 0
; COMPUTE_PGM_RSRC2:SCRATCH_EN: 0
; COMPUTE_PGM_RSRC2:USER_SGPR: 15
; COMPUTE_PGM_RSRC2:TRAP_HANDLER: 0
; COMPUTE_PGM_RSRC2:TGID_X_EN: 1
; COMPUTE_PGM_RSRC2:TGID_Y_EN: 0
; COMPUTE_PGM_RSRC2:TGID_Z_EN: 0
; COMPUTE_PGM_RSRC2:TIDIG_COMP_CNT: 0
	.section	.text._ZN7rocprim17ROCPRIM_400000_NS6detail17trampoline_kernelINS0_14default_configENS1_25partition_config_selectorILNS1_17partition_subalgoE9EtjbEEZZNS1_14partition_implILS5_9ELb0ES3_jN6thrust23THRUST_200600_302600_NS6detail15normal_iteratorINS9_10device_ptrItEEEENSB_INSC_IjEEEEPNS0_10empty_typeENS0_5tupleIJSE_SH_EEENSJ_IJNS9_16discard_iteratorINS9_11use_defaultEEESI_EEENS0_18inequality_wrapperINS9_8equal_toItEEEEPmJSH_EEE10hipError_tPvRmT3_T4_T5_T6_T7_T9_mT8_P12ihipStream_tbDpT10_ENKUlT_T0_E_clISt17integral_constantIbLb1EES1D_EEDaS18_S19_EUlS18_E_NS1_11comp_targetILNS1_3genE3ELNS1_11target_archE908ELNS1_3gpuE7ELNS1_3repE0EEENS1_30default_config_static_selectorELNS0_4arch9wavefront6targetE0EEEvT1_,"axG",@progbits,_ZN7rocprim17ROCPRIM_400000_NS6detail17trampoline_kernelINS0_14default_configENS1_25partition_config_selectorILNS1_17partition_subalgoE9EtjbEEZZNS1_14partition_implILS5_9ELb0ES3_jN6thrust23THRUST_200600_302600_NS6detail15normal_iteratorINS9_10device_ptrItEEEENSB_INSC_IjEEEEPNS0_10empty_typeENS0_5tupleIJSE_SH_EEENSJ_IJNS9_16discard_iteratorINS9_11use_defaultEEESI_EEENS0_18inequality_wrapperINS9_8equal_toItEEEEPmJSH_EEE10hipError_tPvRmT3_T4_T5_T6_T7_T9_mT8_P12ihipStream_tbDpT10_ENKUlT_T0_E_clISt17integral_constantIbLb1EES1D_EEDaS18_S19_EUlS18_E_NS1_11comp_targetILNS1_3genE3ELNS1_11target_archE908ELNS1_3gpuE7ELNS1_3repE0EEENS1_30default_config_static_selectorELNS0_4arch9wavefront6targetE0EEEvT1_,comdat
	.protected	_ZN7rocprim17ROCPRIM_400000_NS6detail17trampoline_kernelINS0_14default_configENS1_25partition_config_selectorILNS1_17partition_subalgoE9EtjbEEZZNS1_14partition_implILS5_9ELb0ES3_jN6thrust23THRUST_200600_302600_NS6detail15normal_iteratorINS9_10device_ptrItEEEENSB_INSC_IjEEEEPNS0_10empty_typeENS0_5tupleIJSE_SH_EEENSJ_IJNS9_16discard_iteratorINS9_11use_defaultEEESI_EEENS0_18inequality_wrapperINS9_8equal_toItEEEEPmJSH_EEE10hipError_tPvRmT3_T4_T5_T6_T7_T9_mT8_P12ihipStream_tbDpT10_ENKUlT_T0_E_clISt17integral_constantIbLb1EES1D_EEDaS18_S19_EUlS18_E_NS1_11comp_targetILNS1_3genE3ELNS1_11target_archE908ELNS1_3gpuE7ELNS1_3repE0EEENS1_30default_config_static_selectorELNS0_4arch9wavefront6targetE0EEEvT1_ ; -- Begin function _ZN7rocprim17ROCPRIM_400000_NS6detail17trampoline_kernelINS0_14default_configENS1_25partition_config_selectorILNS1_17partition_subalgoE9EtjbEEZZNS1_14partition_implILS5_9ELb0ES3_jN6thrust23THRUST_200600_302600_NS6detail15normal_iteratorINS9_10device_ptrItEEEENSB_INSC_IjEEEEPNS0_10empty_typeENS0_5tupleIJSE_SH_EEENSJ_IJNS9_16discard_iteratorINS9_11use_defaultEEESI_EEENS0_18inequality_wrapperINS9_8equal_toItEEEEPmJSH_EEE10hipError_tPvRmT3_T4_T5_T6_T7_T9_mT8_P12ihipStream_tbDpT10_ENKUlT_T0_E_clISt17integral_constantIbLb1EES1D_EEDaS18_S19_EUlS18_E_NS1_11comp_targetILNS1_3genE3ELNS1_11target_archE908ELNS1_3gpuE7ELNS1_3repE0EEENS1_30default_config_static_selectorELNS0_4arch9wavefront6targetE0EEEvT1_
	.globl	_ZN7rocprim17ROCPRIM_400000_NS6detail17trampoline_kernelINS0_14default_configENS1_25partition_config_selectorILNS1_17partition_subalgoE9EtjbEEZZNS1_14partition_implILS5_9ELb0ES3_jN6thrust23THRUST_200600_302600_NS6detail15normal_iteratorINS9_10device_ptrItEEEENSB_INSC_IjEEEEPNS0_10empty_typeENS0_5tupleIJSE_SH_EEENSJ_IJNS9_16discard_iteratorINS9_11use_defaultEEESI_EEENS0_18inequality_wrapperINS9_8equal_toItEEEEPmJSH_EEE10hipError_tPvRmT3_T4_T5_T6_T7_T9_mT8_P12ihipStream_tbDpT10_ENKUlT_T0_E_clISt17integral_constantIbLb1EES1D_EEDaS18_S19_EUlS18_E_NS1_11comp_targetILNS1_3genE3ELNS1_11target_archE908ELNS1_3gpuE7ELNS1_3repE0EEENS1_30default_config_static_selectorELNS0_4arch9wavefront6targetE0EEEvT1_
	.p2align	8
	.type	_ZN7rocprim17ROCPRIM_400000_NS6detail17trampoline_kernelINS0_14default_configENS1_25partition_config_selectorILNS1_17partition_subalgoE9EtjbEEZZNS1_14partition_implILS5_9ELb0ES3_jN6thrust23THRUST_200600_302600_NS6detail15normal_iteratorINS9_10device_ptrItEEEENSB_INSC_IjEEEEPNS0_10empty_typeENS0_5tupleIJSE_SH_EEENSJ_IJNS9_16discard_iteratorINS9_11use_defaultEEESI_EEENS0_18inequality_wrapperINS9_8equal_toItEEEEPmJSH_EEE10hipError_tPvRmT3_T4_T5_T6_T7_T9_mT8_P12ihipStream_tbDpT10_ENKUlT_T0_E_clISt17integral_constantIbLb1EES1D_EEDaS18_S19_EUlS18_E_NS1_11comp_targetILNS1_3genE3ELNS1_11target_archE908ELNS1_3gpuE7ELNS1_3repE0EEENS1_30default_config_static_selectorELNS0_4arch9wavefront6targetE0EEEvT1_,@function
_ZN7rocprim17ROCPRIM_400000_NS6detail17trampoline_kernelINS0_14default_configENS1_25partition_config_selectorILNS1_17partition_subalgoE9EtjbEEZZNS1_14partition_implILS5_9ELb0ES3_jN6thrust23THRUST_200600_302600_NS6detail15normal_iteratorINS9_10device_ptrItEEEENSB_INSC_IjEEEEPNS0_10empty_typeENS0_5tupleIJSE_SH_EEENSJ_IJNS9_16discard_iteratorINS9_11use_defaultEEESI_EEENS0_18inequality_wrapperINS9_8equal_toItEEEEPmJSH_EEE10hipError_tPvRmT3_T4_T5_T6_T7_T9_mT8_P12ihipStream_tbDpT10_ENKUlT_T0_E_clISt17integral_constantIbLb1EES1D_EEDaS18_S19_EUlS18_E_NS1_11comp_targetILNS1_3genE3ELNS1_11target_archE908ELNS1_3gpuE7ELNS1_3repE0EEENS1_30default_config_static_selectorELNS0_4arch9wavefront6targetE0EEEvT1_: ; @_ZN7rocprim17ROCPRIM_400000_NS6detail17trampoline_kernelINS0_14default_configENS1_25partition_config_selectorILNS1_17partition_subalgoE9EtjbEEZZNS1_14partition_implILS5_9ELb0ES3_jN6thrust23THRUST_200600_302600_NS6detail15normal_iteratorINS9_10device_ptrItEEEENSB_INSC_IjEEEEPNS0_10empty_typeENS0_5tupleIJSE_SH_EEENSJ_IJNS9_16discard_iteratorINS9_11use_defaultEEESI_EEENS0_18inequality_wrapperINS9_8equal_toItEEEEPmJSH_EEE10hipError_tPvRmT3_T4_T5_T6_T7_T9_mT8_P12ihipStream_tbDpT10_ENKUlT_T0_E_clISt17integral_constantIbLb1EES1D_EEDaS18_S19_EUlS18_E_NS1_11comp_targetILNS1_3genE3ELNS1_11target_archE908ELNS1_3gpuE7ELNS1_3repE0EEENS1_30default_config_static_selectorELNS0_4arch9wavefront6targetE0EEEvT1_
; %bb.0:
	.section	.rodata,"a",@progbits
	.p2align	6, 0x0
	.amdhsa_kernel _ZN7rocprim17ROCPRIM_400000_NS6detail17trampoline_kernelINS0_14default_configENS1_25partition_config_selectorILNS1_17partition_subalgoE9EtjbEEZZNS1_14partition_implILS5_9ELb0ES3_jN6thrust23THRUST_200600_302600_NS6detail15normal_iteratorINS9_10device_ptrItEEEENSB_INSC_IjEEEEPNS0_10empty_typeENS0_5tupleIJSE_SH_EEENSJ_IJNS9_16discard_iteratorINS9_11use_defaultEEESI_EEENS0_18inequality_wrapperINS9_8equal_toItEEEEPmJSH_EEE10hipError_tPvRmT3_T4_T5_T6_T7_T9_mT8_P12ihipStream_tbDpT10_ENKUlT_T0_E_clISt17integral_constantIbLb1EES1D_EEDaS18_S19_EUlS18_E_NS1_11comp_targetILNS1_3genE3ELNS1_11target_archE908ELNS1_3gpuE7ELNS1_3repE0EEENS1_30default_config_static_selectorELNS0_4arch9wavefront6targetE0EEEvT1_
		.amdhsa_group_segment_fixed_size 0
		.amdhsa_private_segment_fixed_size 0
		.amdhsa_kernarg_size 136
		.amdhsa_user_sgpr_count 15
		.amdhsa_user_sgpr_dispatch_ptr 0
		.amdhsa_user_sgpr_queue_ptr 0
		.amdhsa_user_sgpr_kernarg_segment_ptr 1
		.amdhsa_user_sgpr_dispatch_id 0
		.amdhsa_user_sgpr_private_segment_size 0
		.amdhsa_wavefront_size32 1
		.amdhsa_uses_dynamic_stack 0
		.amdhsa_enable_private_segment 0
		.amdhsa_system_sgpr_workgroup_id_x 1
		.amdhsa_system_sgpr_workgroup_id_y 0
		.amdhsa_system_sgpr_workgroup_id_z 0
		.amdhsa_system_sgpr_workgroup_info 0
		.amdhsa_system_vgpr_workitem_id 0
		.amdhsa_next_free_vgpr 1
		.amdhsa_next_free_sgpr 1
		.amdhsa_reserve_vcc 0
		.amdhsa_float_round_mode_32 0
		.amdhsa_float_round_mode_16_64 0
		.amdhsa_float_denorm_mode_32 3
		.amdhsa_float_denorm_mode_16_64 3
		.amdhsa_dx10_clamp 1
		.amdhsa_ieee_mode 1
		.amdhsa_fp16_overflow 0
		.amdhsa_workgroup_processor_mode 1
		.amdhsa_memory_ordered 1
		.amdhsa_forward_progress 0
		.amdhsa_shared_vgpr_count 0
		.amdhsa_exception_fp_ieee_invalid_op 0
		.amdhsa_exception_fp_denorm_src 0
		.amdhsa_exception_fp_ieee_div_zero 0
		.amdhsa_exception_fp_ieee_overflow 0
		.amdhsa_exception_fp_ieee_underflow 0
		.amdhsa_exception_fp_ieee_inexact 0
		.amdhsa_exception_int_div_zero 0
	.end_amdhsa_kernel
	.section	.text._ZN7rocprim17ROCPRIM_400000_NS6detail17trampoline_kernelINS0_14default_configENS1_25partition_config_selectorILNS1_17partition_subalgoE9EtjbEEZZNS1_14partition_implILS5_9ELb0ES3_jN6thrust23THRUST_200600_302600_NS6detail15normal_iteratorINS9_10device_ptrItEEEENSB_INSC_IjEEEEPNS0_10empty_typeENS0_5tupleIJSE_SH_EEENSJ_IJNS9_16discard_iteratorINS9_11use_defaultEEESI_EEENS0_18inequality_wrapperINS9_8equal_toItEEEEPmJSH_EEE10hipError_tPvRmT3_T4_T5_T6_T7_T9_mT8_P12ihipStream_tbDpT10_ENKUlT_T0_E_clISt17integral_constantIbLb1EES1D_EEDaS18_S19_EUlS18_E_NS1_11comp_targetILNS1_3genE3ELNS1_11target_archE908ELNS1_3gpuE7ELNS1_3repE0EEENS1_30default_config_static_selectorELNS0_4arch9wavefront6targetE0EEEvT1_,"axG",@progbits,_ZN7rocprim17ROCPRIM_400000_NS6detail17trampoline_kernelINS0_14default_configENS1_25partition_config_selectorILNS1_17partition_subalgoE9EtjbEEZZNS1_14partition_implILS5_9ELb0ES3_jN6thrust23THRUST_200600_302600_NS6detail15normal_iteratorINS9_10device_ptrItEEEENSB_INSC_IjEEEEPNS0_10empty_typeENS0_5tupleIJSE_SH_EEENSJ_IJNS9_16discard_iteratorINS9_11use_defaultEEESI_EEENS0_18inequality_wrapperINS9_8equal_toItEEEEPmJSH_EEE10hipError_tPvRmT3_T4_T5_T6_T7_T9_mT8_P12ihipStream_tbDpT10_ENKUlT_T0_E_clISt17integral_constantIbLb1EES1D_EEDaS18_S19_EUlS18_E_NS1_11comp_targetILNS1_3genE3ELNS1_11target_archE908ELNS1_3gpuE7ELNS1_3repE0EEENS1_30default_config_static_selectorELNS0_4arch9wavefront6targetE0EEEvT1_,comdat
.Lfunc_end928:
	.size	_ZN7rocprim17ROCPRIM_400000_NS6detail17trampoline_kernelINS0_14default_configENS1_25partition_config_selectorILNS1_17partition_subalgoE9EtjbEEZZNS1_14partition_implILS5_9ELb0ES3_jN6thrust23THRUST_200600_302600_NS6detail15normal_iteratorINS9_10device_ptrItEEEENSB_INSC_IjEEEEPNS0_10empty_typeENS0_5tupleIJSE_SH_EEENSJ_IJNS9_16discard_iteratorINS9_11use_defaultEEESI_EEENS0_18inequality_wrapperINS9_8equal_toItEEEEPmJSH_EEE10hipError_tPvRmT3_T4_T5_T6_T7_T9_mT8_P12ihipStream_tbDpT10_ENKUlT_T0_E_clISt17integral_constantIbLb1EES1D_EEDaS18_S19_EUlS18_E_NS1_11comp_targetILNS1_3genE3ELNS1_11target_archE908ELNS1_3gpuE7ELNS1_3repE0EEENS1_30default_config_static_selectorELNS0_4arch9wavefront6targetE0EEEvT1_, .Lfunc_end928-_ZN7rocprim17ROCPRIM_400000_NS6detail17trampoline_kernelINS0_14default_configENS1_25partition_config_selectorILNS1_17partition_subalgoE9EtjbEEZZNS1_14partition_implILS5_9ELb0ES3_jN6thrust23THRUST_200600_302600_NS6detail15normal_iteratorINS9_10device_ptrItEEEENSB_INSC_IjEEEEPNS0_10empty_typeENS0_5tupleIJSE_SH_EEENSJ_IJNS9_16discard_iteratorINS9_11use_defaultEEESI_EEENS0_18inequality_wrapperINS9_8equal_toItEEEEPmJSH_EEE10hipError_tPvRmT3_T4_T5_T6_T7_T9_mT8_P12ihipStream_tbDpT10_ENKUlT_T0_E_clISt17integral_constantIbLb1EES1D_EEDaS18_S19_EUlS18_E_NS1_11comp_targetILNS1_3genE3ELNS1_11target_archE908ELNS1_3gpuE7ELNS1_3repE0EEENS1_30default_config_static_selectorELNS0_4arch9wavefront6targetE0EEEvT1_
                                        ; -- End function
	.section	.AMDGPU.csdata,"",@progbits
; Kernel info:
; codeLenInByte = 0
; NumSgprs: 0
; NumVgprs: 0
; ScratchSize: 0
; MemoryBound: 0
; FloatMode: 240
; IeeeMode: 1
; LDSByteSize: 0 bytes/workgroup (compile time only)
; SGPRBlocks: 0
; VGPRBlocks: 0
; NumSGPRsForWavesPerEU: 1
; NumVGPRsForWavesPerEU: 1
; Occupancy: 16
; WaveLimiterHint : 0
; COMPUTE_PGM_RSRC2:SCRATCH_EN: 0
; COMPUTE_PGM_RSRC2:USER_SGPR: 15
; COMPUTE_PGM_RSRC2:TRAP_HANDLER: 0
; COMPUTE_PGM_RSRC2:TGID_X_EN: 1
; COMPUTE_PGM_RSRC2:TGID_Y_EN: 0
; COMPUTE_PGM_RSRC2:TGID_Z_EN: 0
; COMPUTE_PGM_RSRC2:TIDIG_COMP_CNT: 0
	.section	.text._ZN7rocprim17ROCPRIM_400000_NS6detail17trampoline_kernelINS0_14default_configENS1_25partition_config_selectorILNS1_17partition_subalgoE9EtjbEEZZNS1_14partition_implILS5_9ELb0ES3_jN6thrust23THRUST_200600_302600_NS6detail15normal_iteratorINS9_10device_ptrItEEEENSB_INSC_IjEEEEPNS0_10empty_typeENS0_5tupleIJSE_SH_EEENSJ_IJNS9_16discard_iteratorINS9_11use_defaultEEESI_EEENS0_18inequality_wrapperINS9_8equal_toItEEEEPmJSH_EEE10hipError_tPvRmT3_T4_T5_T6_T7_T9_mT8_P12ihipStream_tbDpT10_ENKUlT_T0_E_clISt17integral_constantIbLb1EES1D_EEDaS18_S19_EUlS18_E_NS1_11comp_targetILNS1_3genE2ELNS1_11target_archE906ELNS1_3gpuE6ELNS1_3repE0EEENS1_30default_config_static_selectorELNS0_4arch9wavefront6targetE0EEEvT1_,"axG",@progbits,_ZN7rocprim17ROCPRIM_400000_NS6detail17trampoline_kernelINS0_14default_configENS1_25partition_config_selectorILNS1_17partition_subalgoE9EtjbEEZZNS1_14partition_implILS5_9ELb0ES3_jN6thrust23THRUST_200600_302600_NS6detail15normal_iteratorINS9_10device_ptrItEEEENSB_INSC_IjEEEEPNS0_10empty_typeENS0_5tupleIJSE_SH_EEENSJ_IJNS9_16discard_iteratorINS9_11use_defaultEEESI_EEENS0_18inequality_wrapperINS9_8equal_toItEEEEPmJSH_EEE10hipError_tPvRmT3_T4_T5_T6_T7_T9_mT8_P12ihipStream_tbDpT10_ENKUlT_T0_E_clISt17integral_constantIbLb1EES1D_EEDaS18_S19_EUlS18_E_NS1_11comp_targetILNS1_3genE2ELNS1_11target_archE906ELNS1_3gpuE6ELNS1_3repE0EEENS1_30default_config_static_selectorELNS0_4arch9wavefront6targetE0EEEvT1_,comdat
	.protected	_ZN7rocprim17ROCPRIM_400000_NS6detail17trampoline_kernelINS0_14default_configENS1_25partition_config_selectorILNS1_17partition_subalgoE9EtjbEEZZNS1_14partition_implILS5_9ELb0ES3_jN6thrust23THRUST_200600_302600_NS6detail15normal_iteratorINS9_10device_ptrItEEEENSB_INSC_IjEEEEPNS0_10empty_typeENS0_5tupleIJSE_SH_EEENSJ_IJNS9_16discard_iteratorINS9_11use_defaultEEESI_EEENS0_18inequality_wrapperINS9_8equal_toItEEEEPmJSH_EEE10hipError_tPvRmT3_T4_T5_T6_T7_T9_mT8_P12ihipStream_tbDpT10_ENKUlT_T0_E_clISt17integral_constantIbLb1EES1D_EEDaS18_S19_EUlS18_E_NS1_11comp_targetILNS1_3genE2ELNS1_11target_archE906ELNS1_3gpuE6ELNS1_3repE0EEENS1_30default_config_static_selectorELNS0_4arch9wavefront6targetE0EEEvT1_ ; -- Begin function _ZN7rocprim17ROCPRIM_400000_NS6detail17trampoline_kernelINS0_14default_configENS1_25partition_config_selectorILNS1_17partition_subalgoE9EtjbEEZZNS1_14partition_implILS5_9ELb0ES3_jN6thrust23THRUST_200600_302600_NS6detail15normal_iteratorINS9_10device_ptrItEEEENSB_INSC_IjEEEEPNS0_10empty_typeENS0_5tupleIJSE_SH_EEENSJ_IJNS9_16discard_iteratorINS9_11use_defaultEEESI_EEENS0_18inequality_wrapperINS9_8equal_toItEEEEPmJSH_EEE10hipError_tPvRmT3_T4_T5_T6_T7_T9_mT8_P12ihipStream_tbDpT10_ENKUlT_T0_E_clISt17integral_constantIbLb1EES1D_EEDaS18_S19_EUlS18_E_NS1_11comp_targetILNS1_3genE2ELNS1_11target_archE906ELNS1_3gpuE6ELNS1_3repE0EEENS1_30default_config_static_selectorELNS0_4arch9wavefront6targetE0EEEvT1_
	.globl	_ZN7rocprim17ROCPRIM_400000_NS6detail17trampoline_kernelINS0_14default_configENS1_25partition_config_selectorILNS1_17partition_subalgoE9EtjbEEZZNS1_14partition_implILS5_9ELb0ES3_jN6thrust23THRUST_200600_302600_NS6detail15normal_iteratorINS9_10device_ptrItEEEENSB_INSC_IjEEEEPNS0_10empty_typeENS0_5tupleIJSE_SH_EEENSJ_IJNS9_16discard_iteratorINS9_11use_defaultEEESI_EEENS0_18inequality_wrapperINS9_8equal_toItEEEEPmJSH_EEE10hipError_tPvRmT3_T4_T5_T6_T7_T9_mT8_P12ihipStream_tbDpT10_ENKUlT_T0_E_clISt17integral_constantIbLb1EES1D_EEDaS18_S19_EUlS18_E_NS1_11comp_targetILNS1_3genE2ELNS1_11target_archE906ELNS1_3gpuE6ELNS1_3repE0EEENS1_30default_config_static_selectorELNS0_4arch9wavefront6targetE0EEEvT1_
	.p2align	8
	.type	_ZN7rocprim17ROCPRIM_400000_NS6detail17trampoline_kernelINS0_14default_configENS1_25partition_config_selectorILNS1_17partition_subalgoE9EtjbEEZZNS1_14partition_implILS5_9ELb0ES3_jN6thrust23THRUST_200600_302600_NS6detail15normal_iteratorINS9_10device_ptrItEEEENSB_INSC_IjEEEEPNS0_10empty_typeENS0_5tupleIJSE_SH_EEENSJ_IJNS9_16discard_iteratorINS9_11use_defaultEEESI_EEENS0_18inequality_wrapperINS9_8equal_toItEEEEPmJSH_EEE10hipError_tPvRmT3_T4_T5_T6_T7_T9_mT8_P12ihipStream_tbDpT10_ENKUlT_T0_E_clISt17integral_constantIbLb1EES1D_EEDaS18_S19_EUlS18_E_NS1_11comp_targetILNS1_3genE2ELNS1_11target_archE906ELNS1_3gpuE6ELNS1_3repE0EEENS1_30default_config_static_selectorELNS0_4arch9wavefront6targetE0EEEvT1_,@function
_ZN7rocprim17ROCPRIM_400000_NS6detail17trampoline_kernelINS0_14default_configENS1_25partition_config_selectorILNS1_17partition_subalgoE9EtjbEEZZNS1_14partition_implILS5_9ELb0ES3_jN6thrust23THRUST_200600_302600_NS6detail15normal_iteratorINS9_10device_ptrItEEEENSB_INSC_IjEEEEPNS0_10empty_typeENS0_5tupleIJSE_SH_EEENSJ_IJNS9_16discard_iteratorINS9_11use_defaultEEESI_EEENS0_18inequality_wrapperINS9_8equal_toItEEEEPmJSH_EEE10hipError_tPvRmT3_T4_T5_T6_T7_T9_mT8_P12ihipStream_tbDpT10_ENKUlT_T0_E_clISt17integral_constantIbLb1EES1D_EEDaS18_S19_EUlS18_E_NS1_11comp_targetILNS1_3genE2ELNS1_11target_archE906ELNS1_3gpuE6ELNS1_3repE0EEENS1_30default_config_static_selectorELNS0_4arch9wavefront6targetE0EEEvT1_: ; @_ZN7rocprim17ROCPRIM_400000_NS6detail17trampoline_kernelINS0_14default_configENS1_25partition_config_selectorILNS1_17partition_subalgoE9EtjbEEZZNS1_14partition_implILS5_9ELb0ES3_jN6thrust23THRUST_200600_302600_NS6detail15normal_iteratorINS9_10device_ptrItEEEENSB_INSC_IjEEEEPNS0_10empty_typeENS0_5tupleIJSE_SH_EEENSJ_IJNS9_16discard_iteratorINS9_11use_defaultEEESI_EEENS0_18inequality_wrapperINS9_8equal_toItEEEEPmJSH_EEE10hipError_tPvRmT3_T4_T5_T6_T7_T9_mT8_P12ihipStream_tbDpT10_ENKUlT_T0_E_clISt17integral_constantIbLb1EES1D_EEDaS18_S19_EUlS18_E_NS1_11comp_targetILNS1_3genE2ELNS1_11target_archE906ELNS1_3gpuE6ELNS1_3repE0EEENS1_30default_config_static_selectorELNS0_4arch9wavefront6targetE0EEEvT1_
; %bb.0:
	.section	.rodata,"a",@progbits
	.p2align	6, 0x0
	.amdhsa_kernel _ZN7rocprim17ROCPRIM_400000_NS6detail17trampoline_kernelINS0_14default_configENS1_25partition_config_selectorILNS1_17partition_subalgoE9EtjbEEZZNS1_14partition_implILS5_9ELb0ES3_jN6thrust23THRUST_200600_302600_NS6detail15normal_iteratorINS9_10device_ptrItEEEENSB_INSC_IjEEEEPNS0_10empty_typeENS0_5tupleIJSE_SH_EEENSJ_IJNS9_16discard_iteratorINS9_11use_defaultEEESI_EEENS0_18inequality_wrapperINS9_8equal_toItEEEEPmJSH_EEE10hipError_tPvRmT3_T4_T5_T6_T7_T9_mT8_P12ihipStream_tbDpT10_ENKUlT_T0_E_clISt17integral_constantIbLb1EES1D_EEDaS18_S19_EUlS18_E_NS1_11comp_targetILNS1_3genE2ELNS1_11target_archE906ELNS1_3gpuE6ELNS1_3repE0EEENS1_30default_config_static_selectorELNS0_4arch9wavefront6targetE0EEEvT1_
		.amdhsa_group_segment_fixed_size 0
		.amdhsa_private_segment_fixed_size 0
		.amdhsa_kernarg_size 136
		.amdhsa_user_sgpr_count 15
		.amdhsa_user_sgpr_dispatch_ptr 0
		.amdhsa_user_sgpr_queue_ptr 0
		.amdhsa_user_sgpr_kernarg_segment_ptr 1
		.amdhsa_user_sgpr_dispatch_id 0
		.amdhsa_user_sgpr_private_segment_size 0
		.amdhsa_wavefront_size32 1
		.amdhsa_uses_dynamic_stack 0
		.amdhsa_enable_private_segment 0
		.amdhsa_system_sgpr_workgroup_id_x 1
		.amdhsa_system_sgpr_workgroup_id_y 0
		.amdhsa_system_sgpr_workgroup_id_z 0
		.amdhsa_system_sgpr_workgroup_info 0
		.amdhsa_system_vgpr_workitem_id 0
		.amdhsa_next_free_vgpr 1
		.amdhsa_next_free_sgpr 1
		.amdhsa_reserve_vcc 0
		.amdhsa_float_round_mode_32 0
		.amdhsa_float_round_mode_16_64 0
		.amdhsa_float_denorm_mode_32 3
		.amdhsa_float_denorm_mode_16_64 3
		.amdhsa_dx10_clamp 1
		.amdhsa_ieee_mode 1
		.amdhsa_fp16_overflow 0
		.amdhsa_workgroup_processor_mode 1
		.amdhsa_memory_ordered 1
		.amdhsa_forward_progress 0
		.amdhsa_shared_vgpr_count 0
		.amdhsa_exception_fp_ieee_invalid_op 0
		.amdhsa_exception_fp_denorm_src 0
		.amdhsa_exception_fp_ieee_div_zero 0
		.amdhsa_exception_fp_ieee_overflow 0
		.amdhsa_exception_fp_ieee_underflow 0
		.amdhsa_exception_fp_ieee_inexact 0
		.amdhsa_exception_int_div_zero 0
	.end_amdhsa_kernel
	.section	.text._ZN7rocprim17ROCPRIM_400000_NS6detail17trampoline_kernelINS0_14default_configENS1_25partition_config_selectorILNS1_17partition_subalgoE9EtjbEEZZNS1_14partition_implILS5_9ELb0ES3_jN6thrust23THRUST_200600_302600_NS6detail15normal_iteratorINS9_10device_ptrItEEEENSB_INSC_IjEEEEPNS0_10empty_typeENS0_5tupleIJSE_SH_EEENSJ_IJNS9_16discard_iteratorINS9_11use_defaultEEESI_EEENS0_18inequality_wrapperINS9_8equal_toItEEEEPmJSH_EEE10hipError_tPvRmT3_T4_T5_T6_T7_T9_mT8_P12ihipStream_tbDpT10_ENKUlT_T0_E_clISt17integral_constantIbLb1EES1D_EEDaS18_S19_EUlS18_E_NS1_11comp_targetILNS1_3genE2ELNS1_11target_archE906ELNS1_3gpuE6ELNS1_3repE0EEENS1_30default_config_static_selectorELNS0_4arch9wavefront6targetE0EEEvT1_,"axG",@progbits,_ZN7rocprim17ROCPRIM_400000_NS6detail17trampoline_kernelINS0_14default_configENS1_25partition_config_selectorILNS1_17partition_subalgoE9EtjbEEZZNS1_14partition_implILS5_9ELb0ES3_jN6thrust23THRUST_200600_302600_NS6detail15normal_iteratorINS9_10device_ptrItEEEENSB_INSC_IjEEEEPNS0_10empty_typeENS0_5tupleIJSE_SH_EEENSJ_IJNS9_16discard_iteratorINS9_11use_defaultEEESI_EEENS0_18inequality_wrapperINS9_8equal_toItEEEEPmJSH_EEE10hipError_tPvRmT3_T4_T5_T6_T7_T9_mT8_P12ihipStream_tbDpT10_ENKUlT_T0_E_clISt17integral_constantIbLb1EES1D_EEDaS18_S19_EUlS18_E_NS1_11comp_targetILNS1_3genE2ELNS1_11target_archE906ELNS1_3gpuE6ELNS1_3repE0EEENS1_30default_config_static_selectorELNS0_4arch9wavefront6targetE0EEEvT1_,comdat
.Lfunc_end929:
	.size	_ZN7rocprim17ROCPRIM_400000_NS6detail17trampoline_kernelINS0_14default_configENS1_25partition_config_selectorILNS1_17partition_subalgoE9EtjbEEZZNS1_14partition_implILS5_9ELb0ES3_jN6thrust23THRUST_200600_302600_NS6detail15normal_iteratorINS9_10device_ptrItEEEENSB_INSC_IjEEEEPNS0_10empty_typeENS0_5tupleIJSE_SH_EEENSJ_IJNS9_16discard_iteratorINS9_11use_defaultEEESI_EEENS0_18inequality_wrapperINS9_8equal_toItEEEEPmJSH_EEE10hipError_tPvRmT3_T4_T5_T6_T7_T9_mT8_P12ihipStream_tbDpT10_ENKUlT_T0_E_clISt17integral_constantIbLb1EES1D_EEDaS18_S19_EUlS18_E_NS1_11comp_targetILNS1_3genE2ELNS1_11target_archE906ELNS1_3gpuE6ELNS1_3repE0EEENS1_30default_config_static_selectorELNS0_4arch9wavefront6targetE0EEEvT1_, .Lfunc_end929-_ZN7rocprim17ROCPRIM_400000_NS6detail17trampoline_kernelINS0_14default_configENS1_25partition_config_selectorILNS1_17partition_subalgoE9EtjbEEZZNS1_14partition_implILS5_9ELb0ES3_jN6thrust23THRUST_200600_302600_NS6detail15normal_iteratorINS9_10device_ptrItEEEENSB_INSC_IjEEEEPNS0_10empty_typeENS0_5tupleIJSE_SH_EEENSJ_IJNS9_16discard_iteratorINS9_11use_defaultEEESI_EEENS0_18inequality_wrapperINS9_8equal_toItEEEEPmJSH_EEE10hipError_tPvRmT3_T4_T5_T6_T7_T9_mT8_P12ihipStream_tbDpT10_ENKUlT_T0_E_clISt17integral_constantIbLb1EES1D_EEDaS18_S19_EUlS18_E_NS1_11comp_targetILNS1_3genE2ELNS1_11target_archE906ELNS1_3gpuE6ELNS1_3repE0EEENS1_30default_config_static_selectorELNS0_4arch9wavefront6targetE0EEEvT1_
                                        ; -- End function
	.section	.AMDGPU.csdata,"",@progbits
; Kernel info:
; codeLenInByte = 0
; NumSgprs: 0
; NumVgprs: 0
; ScratchSize: 0
; MemoryBound: 0
; FloatMode: 240
; IeeeMode: 1
; LDSByteSize: 0 bytes/workgroup (compile time only)
; SGPRBlocks: 0
; VGPRBlocks: 0
; NumSGPRsForWavesPerEU: 1
; NumVGPRsForWavesPerEU: 1
; Occupancy: 16
; WaveLimiterHint : 0
; COMPUTE_PGM_RSRC2:SCRATCH_EN: 0
; COMPUTE_PGM_RSRC2:USER_SGPR: 15
; COMPUTE_PGM_RSRC2:TRAP_HANDLER: 0
; COMPUTE_PGM_RSRC2:TGID_X_EN: 1
; COMPUTE_PGM_RSRC2:TGID_Y_EN: 0
; COMPUTE_PGM_RSRC2:TGID_Z_EN: 0
; COMPUTE_PGM_RSRC2:TIDIG_COMP_CNT: 0
	.section	.text._ZN7rocprim17ROCPRIM_400000_NS6detail17trampoline_kernelINS0_14default_configENS1_25partition_config_selectorILNS1_17partition_subalgoE9EtjbEEZZNS1_14partition_implILS5_9ELb0ES3_jN6thrust23THRUST_200600_302600_NS6detail15normal_iteratorINS9_10device_ptrItEEEENSB_INSC_IjEEEEPNS0_10empty_typeENS0_5tupleIJSE_SH_EEENSJ_IJNS9_16discard_iteratorINS9_11use_defaultEEESI_EEENS0_18inequality_wrapperINS9_8equal_toItEEEEPmJSH_EEE10hipError_tPvRmT3_T4_T5_T6_T7_T9_mT8_P12ihipStream_tbDpT10_ENKUlT_T0_E_clISt17integral_constantIbLb1EES1D_EEDaS18_S19_EUlS18_E_NS1_11comp_targetILNS1_3genE10ELNS1_11target_archE1200ELNS1_3gpuE4ELNS1_3repE0EEENS1_30default_config_static_selectorELNS0_4arch9wavefront6targetE0EEEvT1_,"axG",@progbits,_ZN7rocprim17ROCPRIM_400000_NS6detail17trampoline_kernelINS0_14default_configENS1_25partition_config_selectorILNS1_17partition_subalgoE9EtjbEEZZNS1_14partition_implILS5_9ELb0ES3_jN6thrust23THRUST_200600_302600_NS6detail15normal_iteratorINS9_10device_ptrItEEEENSB_INSC_IjEEEEPNS0_10empty_typeENS0_5tupleIJSE_SH_EEENSJ_IJNS9_16discard_iteratorINS9_11use_defaultEEESI_EEENS0_18inequality_wrapperINS9_8equal_toItEEEEPmJSH_EEE10hipError_tPvRmT3_T4_T5_T6_T7_T9_mT8_P12ihipStream_tbDpT10_ENKUlT_T0_E_clISt17integral_constantIbLb1EES1D_EEDaS18_S19_EUlS18_E_NS1_11comp_targetILNS1_3genE10ELNS1_11target_archE1200ELNS1_3gpuE4ELNS1_3repE0EEENS1_30default_config_static_selectorELNS0_4arch9wavefront6targetE0EEEvT1_,comdat
	.protected	_ZN7rocprim17ROCPRIM_400000_NS6detail17trampoline_kernelINS0_14default_configENS1_25partition_config_selectorILNS1_17partition_subalgoE9EtjbEEZZNS1_14partition_implILS5_9ELb0ES3_jN6thrust23THRUST_200600_302600_NS6detail15normal_iteratorINS9_10device_ptrItEEEENSB_INSC_IjEEEEPNS0_10empty_typeENS0_5tupleIJSE_SH_EEENSJ_IJNS9_16discard_iteratorINS9_11use_defaultEEESI_EEENS0_18inequality_wrapperINS9_8equal_toItEEEEPmJSH_EEE10hipError_tPvRmT3_T4_T5_T6_T7_T9_mT8_P12ihipStream_tbDpT10_ENKUlT_T0_E_clISt17integral_constantIbLb1EES1D_EEDaS18_S19_EUlS18_E_NS1_11comp_targetILNS1_3genE10ELNS1_11target_archE1200ELNS1_3gpuE4ELNS1_3repE0EEENS1_30default_config_static_selectorELNS0_4arch9wavefront6targetE0EEEvT1_ ; -- Begin function _ZN7rocprim17ROCPRIM_400000_NS6detail17trampoline_kernelINS0_14default_configENS1_25partition_config_selectorILNS1_17partition_subalgoE9EtjbEEZZNS1_14partition_implILS5_9ELb0ES3_jN6thrust23THRUST_200600_302600_NS6detail15normal_iteratorINS9_10device_ptrItEEEENSB_INSC_IjEEEEPNS0_10empty_typeENS0_5tupleIJSE_SH_EEENSJ_IJNS9_16discard_iteratorINS9_11use_defaultEEESI_EEENS0_18inequality_wrapperINS9_8equal_toItEEEEPmJSH_EEE10hipError_tPvRmT3_T4_T5_T6_T7_T9_mT8_P12ihipStream_tbDpT10_ENKUlT_T0_E_clISt17integral_constantIbLb1EES1D_EEDaS18_S19_EUlS18_E_NS1_11comp_targetILNS1_3genE10ELNS1_11target_archE1200ELNS1_3gpuE4ELNS1_3repE0EEENS1_30default_config_static_selectorELNS0_4arch9wavefront6targetE0EEEvT1_
	.globl	_ZN7rocprim17ROCPRIM_400000_NS6detail17trampoline_kernelINS0_14default_configENS1_25partition_config_selectorILNS1_17partition_subalgoE9EtjbEEZZNS1_14partition_implILS5_9ELb0ES3_jN6thrust23THRUST_200600_302600_NS6detail15normal_iteratorINS9_10device_ptrItEEEENSB_INSC_IjEEEEPNS0_10empty_typeENS0_5tupleIJSE_SH_EEENSJ_IJNS9_16discard_iteratorINS9_11use_defaultEEESI_EEENS0_18inequality_wrapperINS9_8equal_toItEEEEPmJSH_EEE10hipError_tPvRmT3_T4_T5_T6_T7_T9_mT8_P12ihipStream_tbDpT10_ENKUlT_T0_E_clISt17integral_constantIbLb1EES1D_EEDaS18_S19_EUlS18_E_NS1_11comp_targetILNS1_3genE10ELNS1_11target_archE1200ELNS1_3gpuE4ELNS1_3repE0EEENS1_30default_config_static_selectorELNS0_4arch9wavefront6targetE0EEEvT1_
	.p2align	8
	.type	_ZN7rocprim17ROCPRIM_400000_NS6detail17trampoline_kernelINS0_14default_configENS1_25partition_config_selectorILNS1_17partition_subalgoE9EtjbEEZZNS1_14partition_implILS5_9ELb0ES3_jN6thrust23THRUST_200600_302600_NS6detail15normal_iteratorINS9_10device_ptrItEEEENSB_INSC_IjEEEEPNS0_10empty_typeENS0_5tupleIJSE_SH_EEENSJ_IJNS9_16discard_iteratorINS9_11use_defaultEEESI_EEENS0_18inequality_wrapperINS9_8equal_toItEEEEPmJSH_EEE10hipError_tPvRmT3_T4_T5_T6_T7_T9_mT8_P12ihipStream_tbDpT10_ENKUlT_T0_E_clISt17integral_constantIbLb1EES1D_EEDaS18_S19_EUlS18_E_NS1_11comp_targetILNS1_3genE10ELNS1_11target_archE1200ELNS1_3gpuE4ELNS1_3repE0EEENS1_30default_config_static_selectorELNS0_4arch9wavefront6targetE0EEEvT1_,@function
_ZN7rocprim17ROCPRIM_400000_NS6detail17trampoline_kernelINS0_14default_configENS1_25partition_config_selectorILNS1_17partition_subalgoE9EtjbEEZZNS1_14partition_implILS5_9ELb0ES3_jN6thrust23THRUST_200600_302600_NS6detail15normal_iteratorINS9_10device_ptrItEEEENSB_INSC_IjEEEEPNS0_10empty_typeENS0_5tupleIJSE_SH_EEENSJ_IJNS9_16discard_iteratorINS9_11use_defaultEEESI_EEENS0_18inequality_wrapperINS9_8equal_toItEEEEPmJSH_EEE10hipError_tPvRmT3_T4_T5_T6_T7_T9_mT8_P12ihipStream_tbDpT10_ENKUlT_T0_E_clISt17integral_constantIbLb1EES1D_EEDaS18_S19_EUlS18_E_NS1_11comp_targetILNS1_3genE10ELNS1_11target_archE1200ELNS1_3gpuE4ELNS1_3repE0EEENS1_30default_config_static_selectorELNS0_4arch9wavefront6targetE0EEEvT1_: ; @_ZN7rocprim17ROCPRIM_400000_NS6detail17trampoline_kernelINS0_14default_configENS1_25partition_config_selectorILNS1_17partition_subalgoE9EtjbEEZZNS1_14partition_implILS5_9ELb0ES3_jN6thrust23THRUST_200600_302600_NS6detail15normal_iteratorINS9_10device_ptrItEEEENSB_INSC_IjEEEEPNS0_10empty_typeENS0_5tupleIJSE_SH_EEENSJ_IJNS9_16discard_iteratorINS9_11use_defaultEEESI_EEENS0_18inequality_wrapperINS9_8equal_toItEEEEPmJSH_EEE10hipError_tPvRmT3_T4_T5_T6_T7_T9_mT8_P12ihipStream_tbDpT10_ENKUlT_T0_E_clISt17integral_constantIbLb1EES1D_EEDaS18_S19_EUlS18_E_NS1_11comp_targetILNS1_3genE10ELNS1_11target_archE1200ELNS1_3gpuE4ELNS1_3repE0EEENS1_30default_config_static_selectorELNS0_4arch9wavefront6targetE0EEEvT1_
; %bb.0:
	.section	.rodata,"a",@progbits
	.p2align	6, 0x0
	.amdhsa_kernel _ZN7rocprim17ROCPRIM_400000_NS6detail17trampoline_kernelINS0_14default_configENS1_25partition_config_selectorILNS1_17partition_subalgoE9EtjbEEZZNS1_14partition_implILS5_9ELb0ES3_jN6thrust23THRUST_200600_302600_NS6detail15normal_iteratorINS9_10device_ptrItEEEENSB_INSC_IjEEEEPNS0_10empty_typeENS0_5tupleIJSE_SH_EEENSJ_IJNS9_16discard_iteratorINS9_11use_defaultEEESI_EEENS0_18inequality_wrapperINS9_8equal_toItEEEEPmJSH_EEE10hipError_tPvRmT3_T4_T5_T6_T7_T9_mT8_P12ihipStream_tbDpT10_ENKUlT_T0_E_clISt17integral_constantIbLb1EES1D_EEDaS18_S19_EUlS18_E_NS1_11comp_targetILNS1_3genE10ELNS1_11target_archE1200ELNS1_3gpuE4ELNS1_3repE0EEENS1_30default_config_static_selectorELNS0_4arch9wavefront6targetE0EEEvT1_
		.amdhsa_group_segment_fixed_size 0
		.amdhsa_private_segment_fixed_size 0
		.amdhsa_kernarg_size 136
		.amdhsa_user_sgpr_count 15
		.amdhsa_user_sgpr_dispatch_ptr 0
		.amdhsa_user_sgpr_queue_ptr 0
		.amdhsa_user_sgpr_kernarg_segment_ptr 1
		.amdhsa_user_sgpr_dispatch_id 0
		.amdhsa_user_sgpr_private_segment_size 0
		.amdhsa_wavefront_size32 1
		.amdhsa_uses_dynamic_stack 0
		.amdhsa_enable_private_segment 0
		.amdhsa_system_sgpr_workgroup_id_x 1
		.amdhsa_system_sgpr_workgroup_id_y 0
		.amdhsa_system_sgpr_workgroup_id_z 0
		.amdhsa_system_sgpr_workgroup_info 0
		.amdhsa_system_vgpr_workitem_id 0
		.amdhsa_next_free_vgpr 1
		.amdhsa_next_free_sgpr 1
		.amdhsa_reserve_vcc 0
		.amdhsa_float_round_mode_32 0
		.amdhsa_float_round_mode_16_64 0
		.amdhsa_float_denorm_mode_32 3
		.amdhsa_float_denorm_mode_16_64 3
		.amdhsa_dx10_clamp 1
		.amdhsa_ieee_mode 1
		.amdhsa_fp16_overflow 0
		.amdhsa_workgroup_processor_mode 1
		.amdhsa_memory_ordered 1
		.amdhsa_forward_progress 0
		.amdhsa_shared_vgpr_count 0
		.amdhsa_exception_fp_ieee_invalid_op 0
		.amdhsa_exception_fp_denorm_src 0
		.amdhsa_exception_fp_ieee_div_zero 0
		.amdhsa_exception_fp_ieee_overflow 0
		.amdhsa_exception_fp_ieee_underflow 0
		.amdhsa_exception_fp_ieee_inexact 0
		.amdhsa_exception_int_div_zero 0
	.end_amdhsa_kernel
	.section	.text._ZN7rocprim17ROCPRIM_400000_NS6detail17trampoline_kernelINS0_14default_configENS1_25partition_config_selectorILNS1_17partition_subalgoE9EtjbEEZZNS1_14partition_implILS5_9ELb0ES3_jN6thrust23THRUST_200600_302600_NS6detail15normal_iteratorINS9_10device_ptrItEEEENSB_INSC_IjEEEEPNS0_10empty_typeENS0_5tupleIJSE_SH_EEENSJ_IJNS9_16discard_iteratorINS9_11use_defaultEEESI_EEENS0_18inequality_wrapperINS9_8equal_toItEEEEPmJSH_EEE10hipError_tPvRmT3_T4_T5_T6_T7_T9_mT8_P12ihipStream_tbDpT10_ENKUlT_T0_E_clISt17integral_constantIbLb1EES1D_EEDaS18_S19_EUlS18_E_NS1_11comp_targetILNS1_3genE10ELNS1_11target_archE1200ELNS1_3gpuE4ELNS1_3repE0EEENS1_30default_config_static_selectorELNS0_4arch9wavefront6targetE0EEEvT1_,"axG",@progbits,_ZN7rocprim17ROCPRIM_400000_NS6detail17trampoline_kernelINS0_14default_configENS1_25partition_config_selectorILNS1_17partition_subalgoE9EtjbEEZZNS1_14partition_implILS5_9ELb0ES3_jN6thrust23THRUST_200600_302600_NS6detail15normal_iteratorINS9_10device_ptrItEEEENSB_INSC_IjEEEEPNS0_10empty_typeENS0_5tupleIJSE_SH_EEENSJ_IJNS9_16discard_iteratorINS9_11use_defaultEEESI_EEENS0_18inequality_wrapperINS9_8equal_toItEEEEPmJSH_EEE10hipError_tPvRmT3_T4_T5_T6_T7_T9_mT8_P12ihipStream_tbDpT10_ENKUlT_T0_E_clISt17integral_constantIbLb1EES1D_EEDaS18_S19_EUlS18_E_NS1_11comp_targetILNS1_3genE10ELNS1_11target_archE1200ELNS1_3gpuE4ELNS1_3repE0EEENS1_30default_config_static_selectorELNS0_4arch9wavefront6targetE0EEEvT1_,comdat
.Lfunc_end930:
	.size	_ZN7rocprim17ROCPRIM_400000_NS6detail17trampoline_kernelINS0_14default_configENS1_25partition_config_selectorILNS1_17partition_subalgoE9EtjbEEZZNS1_14partition_implILS5_9ELb0ES3_jN6thrust23THRUST_200600_302600_NS6detail15normal_iteratorINS9_10device_ptrItEEEENSB_INSC_IjEEEEPNS0_10empty_typeENS0_5tupleIJSE_SH_EEENSJ_IJNS9_16discard_iteratorINS9_11use_defaultEEESI_EEENS0_18inequality_wrapperINS9_8equal_toItEEEEPmJSH_EEE10hipError_tPvRmT3_T4_T5_T6_T7_T9_mT8_P12ihipStream_tbDpT10_ENKUlT_T0_E_clISt17integral_constantIbLb1EES1D_EEDaS18_S19_EUlS18_E_NS1_11comp_targetILNS1_3genE10ELNS1_11target_archE1200ELNS1_3gpuE4ELNS1_3repE0EEENS1_30default_config_static_selectorELNS0_4arch9wavefront6targetE0EEEvT1_, .Lfunc_end930-_ZN7rocprim17ROCPRIM_400000_NS6detail17trampoline_kernelINS0_14default_configENS1_25partition_config_selectorILNS1_17partition_subalgoE9EtjbEEZZNS1_14partition_implILS5_9ELb0ES3_jN6thrust23THRUST_200600_302600_NS6detail15normal_iteratorINS9_10device_ptrItEEEENSB_INSC_IjEEEEPNS0_10empty_typeENS0_5tupleIJSE_SH_EEENSJ_IJNS9_16discard_iteratorINS9_11use_defaultEEESI_EEENS0_18inequality_wrapperINS9_8equal_toItEEEEPmJSH_EEE10hipError_tPvRmT3_T4_T5_T6_T7_T9_mT8_P12ihipStream_tbDpT10_ENKUlT_T0_E_clISt17integral_constantIbLb1EES1D_EEDaS18_S19_EUlS18_E_NS1_11comp_targetILNS1_3genE10ELNS1_11target_archE1200ELNS1_3gpuE4ELNS1_3repE0EEENS1_30default_config_static_selectorELNS0_4arch9wavefront6targetE0EEEvT1_
                                        ; -- End function
	.section	.AMDGPU.csdata,"",@progbits
; Kernel info:
; codeLenInByte = 0
; NumSgprs: 0
; NumVgprs: 0
; ScratchSize: 0
; MemoryBound: 0
; FloatMode: 240
; IeeeMode: 1
; LDSByteSize: 0 bytes/workgroup (compile time only)
; SGPRBlocks: 0
; VGPRBlocks: 0
; NumSGPRsForWavesPerEU: 1
; NumVGPRsForWavesPerEU: 1
; Occupancy: 16
; WaveLimiterHint : 0
; COMPUTE_PGM_RSRC2:SCRATCH_EN: 0
; COMPUTE_PGM_RSRC2:USER_SGPR: 15
; COMPUTE_PGM_RSRC2:TRAP_HANDLER: 0
; COMPUTE_PGM_RSRC2:TGID_X_EN: 1
; COMPUTE_PGM_RSRC2:TGID_Y_EN: 0
; COMPUTE_PGM_RSRC2:TGID_Z_EN: 0
; COMPUTE_PGM_RSRC2:TIDIG_COMP_CNT: 0
	.section	.text._ZN7rocprim17ROCPRIM_400000_NS6detail17trampoline_kernelINS0_14default_configENS1_25partition_config_selectorILNS1_17partition_subalgoE9EtjbEEZZNS1_14partition_implILS5_9ELb0ES3_jN6thrust23THRUST_200600_302600_NS6detail15normal_iteratorINS9_10device_ptrItEEEENSB_INSC_IjEEEEPNS0_10empty_typeENS0_5tupleIJSE_SH_EEENSJ_IJNS9_16discard_iteratorINS9_11use_defaultEEESI_EEENS0_18inequality_wrapperINS9_8equal_toItEEEEPmJSH_EEE10hipError_tPvRmT3_T4_T5_T6_T7_T9_mT8_P12ihipStream_tbDpT10_ENKUlT_T0_E_clISt17integral_constantIbLb1EES1D_EEDaS18_S19_EUlS18_E_NS1_11comp_targetILNS1_3genE9ELNS1_11target_archE1100ELNS1_3gpuE3ELNS1_3repE0EEENS1_30default_config_static_selectorELNS0_4arch9wavefront6targetE0EEEvT1_,"axG",@progbits,_ZN7rocprim17ROCPRIM_400000_NS6detail17trampoline_kernelINS0_14default_configENS1_25partition_config_selectorILNS1_17partition_subalgoE9EtjbEEZZNS1_14partition_implILS5_9ELb0ES3_jN6thrust23THRUST_200600_302600_NS6detail15normal_iteratorINS9_10device_ptrItEEEENSB_INSC_IjEEEEPNS0_10empty_typeENS0_5tupleIJSE_SH_EEENSJ_IJNS9_16discard_iteratorINS9_11use_defaultEEESI_EEENS0_18inequality_wrapperINS9_8equal_toItEEEEPmJSH_EEE10hipError_tPvRmT3_T4_T5_T6_T7_T9_mT8_P12ihipStream_tbDpT10_ENKUlT_T0_E_clISt17integral_constantIbLb1EES1D_EEDaS18_S19_EUlS18_E_NS1_11comp_targetILNS1_3genE9ELNS1_11target_archE1100ELNS1_3gpuE3ELNS1_3repE0EEENS1_30default_config_static_selectorELNS0_4arch9wavefront6targetE0EEEvT1_,comdat
	.protected	_ZN7rocprim17ROCPRIM_400000_NS6detail17trampoline_kernelINS0_14default_configENS1_25partition_config_selectorILNS1_17partition_subalgoE9EtjbEEZZNS1_14partition_implILS5_9ELb0ES3_jN6thrust23THRUST_200600_302600_NS6detail15normal_iteratorINS9_10device_ptrItEEEENSB_INSC_IjEEEEPNS0_10empty_typeENS0_5tupleIJSE_SH_EEENSJ_IJNS9_16discard_iteratorINS9_11use_defaultEEESI_EEENS0_18inequality_wrapperINS9_8equal_toItEEEEPmJSH_EEE10hipError_tPvRmT3_T4_T5_T6_T7_T9_mT8_P12ihipStream_tbDpT10_ENKUlT_T0_E_clISt17integral_constantIbLb1EES1D_EEDaS18_S19_EUlS18_E_NS1_11comp_targetILNS1_3genE9ELNS1_11target_archE1100ELNS1_3gpuE3ELNS1_3repE0EEENS1_30default_config_static_selectorELNS0_4arch9wavefront6targetE0EEEvT1_ ; -- Begin function _ZN7rocprim17ROCPRIM_400000_NS6detail17trampoline_kernelINS0_14default_configENS1_25partition_config_selectorILNS1_17partition_subalgoE9EtjbEEZZNS1_14partition_implILS5_9ELb0ES3_jN6thrust23THRUST_200600_302600_NS6detail15normal_iteratorINS9_10device_ptrItEEEENSB_INSC_IjEEEEPNS0_10empty_typeENS0_5tupleIJSE_SH_EEENSJ_IJNS9_16discard_iteratorINS9_11use_defaultEEESI_EEENS0_18inequality_wrapperINS9_8equal_toItEEEEPmJSH_EEE10hipError_tPvRmT3_T4_T5_T6_T7_T9_mT8_P12ihipStream_tbDpT10_ENKUlT_T0_E_clISt17integral_constantIbLb1EES1D_EEDaS18_S19_EUlS18_E_NS1_11comp_targetILNS1_3genE9ELNS1_11target_archE1100ELNS1_3gpuE3ELNS1_3repE0EEENS1_30default_config_static_selectorELNS0_4arch9wavefront6targetE0EEEvT1_
	.globl	_ZN7rocprim17ROCPRIM_400000_NS6detail17trampoline_kernelINS0_14default_configENS1_25partition_config_selectorILNS1_17partition_subalgoE9EtjbEEZZNS1_14partition_implILS5_9ELb0ES3_jN6thrust23THRUST_200600_302600_NS6detail15normal_iteratorINS9_10device_ptrItEEEENSB_INSC_IjEEEEPNS0_10empty_typeENS0_5tupleIJSE_SH_EEENSJ_IJNS9_16discard_iteratorINS9_11use_defaultEEESI_EEENS0_18inequality_wrapperINS9_8equal_toItEEEEPmJSH_EEE10hipError_tPvRmT3_T4_T5_T6_T7_T9_mT8_P12ihipStream_tbDpT10_ENKUlT_T0_E_clISt17integral_constantIbLb1EES1D_EEDaS18_S19_EUlS18_E_NS1_11comp_targetILNS1_3genE9ELNS1_11target_archE1100ELNS1_3gpuE3ELNS1_3repE0EEENS1_30default_config_static_selectorELNS0_4arch9wavefront6targetE0EEEvT1_
	.p2align	8
	.type	_ZN7rocprim17ROCPRIM_400000_NS6detail17trampoline_kernelINS0_14default_configENS1_25partition_config_selectorILNS1_17partition_subalgoE9EtjbEEZZNS1_14partition_implILS5_9ELb0ES3_jN6thrust23THRUST_200600_302600_NS6detail15normal_iteratorINS9_10device_ptrItEEEENSB_INSC_IjEEEEPNS0_10empty_typeENS0_5tupleIJSE_SH_EEENSJ_IJNS9_16discard_iteratorINS9_11use_defaultEEESI_EEENS0_18inequality_wrapperINS9_8equal_toItEEEEPmJSH_EEE10hipError_tPvRmT3_T4_T5_T6_T7_T9_mT8_P12ihipStream_tbDpT10_ENKUlT_T0_E_clISt17integral_constantIbLb1EES1D_EEDaS18_S19_EUlS18_E_NS1_11comp_targetILNS1_3genE9ELNS1_11target_archE1100ELNS1_3gpuE3ELNS1_3repE0EEENS1_30default_config_static_selectorELNS0_4arch9wavefront6targetE0EEEvT1_,@function
_ZN7rocprim17ROCPRIM_400000_NS6detail17trampoline_kernelINS0_14default_configENS1_25partition_config_selectorILNS1_17partition_subalgoE9EtjbEEZZNS1_14partition_implILS5_9ELb0ES3_jN6thrust23THRUST_200600_302600_NS6detail15normal_iteratorINS9_10device_ptrItEEEENSB_INSC_IjEEEEPNS0_10empty_typeENS0_5tupleIJSE_SH_EEENSJ_IJNS9_16discard_iteratorINS9_11use_defaultEEESI_EEENS0_18inequality_wrapperINS9_8equal_toItEEEEPmJSH_EEE10hipError_tPvRmT3_T4_T5_T6_T7_T9_mT8_P12ihipStream_tbDpT10_ENKUlT_T0_E_clISt17integral_constantIbLb1EES1D_EEDaS18_S19_EUlS18_E_NS1_11comp_targetILNS1_3genE9ELNS1_11target_archE1100ELNS1_3gpuE3ELNS1_3repE0EEENS1_30default_config_static_selectorELNS0_4arch9wavefront6targetE0EEEvT1_: ; @_ZN7rocprim17ROCPRIM_400000_NS6detail17trampoline_kernelINS0_14default_configENS1_25partition_config_selectorILNS1_17partition_subalgoE9EtjbEEZZNS1_14partition_implILS5_9ELb0ES3_jN6thrust23THRUST_200600_302600_NS6detail15normal_iteratorINS9_10device_ptrItEEEENSB_INSC_IjEEEEPNS0_10empty_typeENS0_5tupleIJSE_SH_EEENSJ_IJNS9_16discard_iteratorINS9_11use_defaultEEESI_EEENS0_18inequality_wrapperINS9_8equal_toItEEEEPmJSH_EEE10hipError_tPvRmT3_T4_T5_T6_T7_T9_mT8_P12ihipStream_tbDpT10_ENKUlT_T0_E_clISt17integral_constantIbLb1EES1D_EEDaS18_S19_EUlS18_E_NS1_11comp_targetILNS1_3genE9ELNS1_11target_archE1100ELNS1_3gpuE3ELNS1_3repE0EEENS1_30default_config_static_selectorELNS0_4arch9wavefront6targetE0EEEvT1_
; %bb.0:
	s_clause 0x5
	s_load_b128 s[4:7], s[0:1], 0x8
	s_load_b64 s[8:9], s[0:1], 0x18
	s_load_b64 s[16:17], s[0:1], 0x28
	s_load_b128 s[12:15], s[0:1], 0x48
	s_load_b64 s[10:11], s[0:1], 0x58
	s_load_b64 s[18:19], s[0:1], 0x68
	v_cmp_ne_u32_e64 s3, 0, v0
	v_cmp_eq_u32_e64 s2, 0, v0
	s_delay_alu instid0(VALU_DEP_1)
	s_and_saveexec_b32 s20, s2
	s_cbranch_execz .LBB931_4
; %bb.1:
	s_mov_b32 s22, exec_lo
	s_mov_b32 s21, exec_lo
	v_mbcnt_lo_u32_b32 v1, s22, 0
                                        ; implicit-def: $vgpr2
	s_delay_alu instid0(VALU_DEP_1)
	v_cmpx_eq_u32_e32 0, v1
	s_cbranch_execz .LBB931_3
; %bb.2:
	s_load_b64 s[24:25], s[0:1], 0x78
	s_bcnt1_i32_b32 s22, s22
	s_delay_alu instid0(SALU_CYCLE_1)
	v_dual_mov_b32 v2, 0 :: v_dual_mov_b32 v3, s22
	s_waitcnt lgkmcnt(0)
	global_atomic_add_u32 v2, v2, v3, s[24:25] glc
.LBB931_3:
	s_or_b32 exec_lo, exec_lo, s21
	s_waitcnt vmcnt(0)
	v_readfirstlane_b32 s21, v2
	s_delay_alu instid0(VALU_DEP_1)
	v_dual_mov_b32 v2, 0 :: v_dual_add_nc_u32 v1, s21, v1
	ds_store_b32 v2, v1
.LBB931_4:
	s_or_b32 exec_lo, exec_lo, s20
	v_mov_b32_e32 v1, 0
	s_waitcnt lgkmcnt(0)
	s_barrier
	buffer_gl0_inv
	s_load_b32 s0, s[0:1], 0x70
	ds_load_b32 v2, v1
	s_waitcnt lgkmcnt(0)
	s_barrier
	buffer_gl0_inv
	global_load_b64 v[20:21], v1, s[14:15]
	s_lshl_b64 s[14:15], s[6:7], 1
	s_delay_alu instid0(SALU_CYCLE_1)
	s_add_u32 s23, s4, s14
	s_addc_u32 s24, s5, s15
	s_mov_b32 s5, 0
	s_mul_i32 s1, s0, 0x580
	v_readfirstlane_b32 s20, v2
	s_add_i32 s4, s1, s6
	s_delay_alu instid0(SALU_CYCLE_1)
	s_sub_i32 s21, s10, s4
	s_add_i32 s4, s0, -1
	s_addk_i32 s21, 0x580
	s_add_u32 s0, s6, s1
	s_addc_u32 s1, s7, 0
	s_cmp_eq_u32 s20, s4
	v_cmp_ge_u64_e64 s0, s[0:1], s[10:11]
	s_cselect_b32 s14, -1, 0
	s_mul_i32 s4, s20, 0x580
	s_mov_b32 s11, -1
	s_delay_alu instid0(VALU_DEP_1)
	s_and_b32 s22, s0, s14
	s_lshl_b64 s[0:1], s[4:5], 1
	s_xor_b32 s15, s22, -1
	s_add_u32 s10, s23, s0
	s_addc_u32 s1, s24, s1
	s_and_b32 vcc_lo, exec_lo, s15
	s_cbranch_vccz .LBB931_6
; %bb.5:
	v_lshlrev_b32_e32 v3, 1, v0
	s_mov_b32 s11, s5
	s_delay_alu instid0(VALU_DEP_1) | instskip(NEXT) | instid1(VALU_DEP_1)
	v_add_co_u32 v1, s0, s10, v3
	v_add_co_ci_u32_e64 v2, null, s1, 0, s0
	s_clause 0xa
	flat_load_u16 v4, v[1:2]
	flat_load_u16 v5, v[1:2] offset:256
	flat_load_u16 v6, v[1:2] offset:512
	;; [unrolled: 1-line block ×10, first 2 shown]
	s_waitcnt vmcnt(10) lgkmcnt(10)
	ds_store_b16 v3, v4
	s_waitcnt vmcnt(9) lgkmcnt(10)
	ds_store_b16 v3, v5 offset:256
	s_waitcnt vmcnt(8) lgkmcnt(10)
	ds_store_b16 v3, v6 offset:512
	;; [unrolled: 2-line block ×10, first 2 shown]
	s_waitcnt lgkmcnt(0)
	s_barrier
.LBB931_6:
	v_cmp_gt_u32_e64 s0, s21, v0
	s_and_not1_b32 vcc_lo, exec_lo, s11
	s_cbranch_vccnz .LBB931_30
; %bb.7:
                                        ; implicit-def: $vgpr1_vgpr2_vgpr3_vgpr4_vgpr5_vgpr6_vgpr7_vgpr8
	s_delay_alu instid0(VALU_DEP_1)
	s_and_saveexec_b32 s11, s0
	s_cbranch_execz .LBB931_9
; %bb.8:
	v_lshlrev_b32_e32 v1, 1, v0
	s_delay_alu instid0(VALU_DEP_1) | instskip(NEXT) | instid1(VALU_DEP_1)
	v_add_co_u32 v1, s0, s10, v1
	v_add_co_ci_u32_e64 v2, null, s1, 0, s0
	flat_load_d16_b16 v1, v[1:2]
.LBB931_9:
	s_or_b32 exec_lo, exec_lo, s11
	v_or_b32_e32 v7, 0x80, v0
	s_mov_b32 s0, exec_lo
	s_delay_alu instid0(VALU_DEP_1)
	v_cmpx_gt_u32_e64 s21, v7
	s_cbranch_execz .LBB931_11
; %bb.10:
	v_lshlrev_b32_e32 v7, 1, v0
	s_delay_alu instid0(VALU_DEP_1) | instskip(NEXT) | instid1(VALU_DEP_1)
	v_add_co_u32 v7, s11, s10, v7
	v_add_co_ci_u32_e64 v8, null, s1, 0, s11
	s_waitcnt vmcnt(0) lgkmcnt(0)
	flat_load_d16_hi_b16 v1, v[7:8] offset:256
.LBB931_11:
	s_or_b32 exec_lo, exec_lo, s0
	v_or_b32_e32 v7, 0x100, v0
	s_mov_b32 s0, exec_lo
	s_delay_alu instid0(VALU_DEP_1)
	v_cmpx_gt_u32_e64 s21, v7
	s_cbranch_execz .LBB931_13
; %bb.12:
	v_lshlrev_b32_e32 v7, 1, v0
	s_delay_alu instid0(VALU_DEP_1) | instskip(NEXT) | instid1(VALU_DEP_1)
	v_add_co_u32 v7, s11, s10, v7
	v_add_co_ci_u32_e64 v8, null, s1, 0, s11
	flat_load_d16_b16 v2, v[7:8] offset:512
.LBB931_13:
	s_or_b32 exec_lo, exec_lo, s0
	v_or_b32_e32 v7, 0x180, v0
	s_mov_b32 s0, exec_lo
	s_delay_alu instid0(VALU_DEP_1)
	v_cmpx_gt_u32_e64 s21, v7
	s_cbranch_execz .LBB931_15
; %bb.14:
	v_lshlrev_b32_e32 v7, 1, v0
	s_delay_alu instid0(VALU_DEP_1) | instskip(NEXT) | instid1(VALU_DEP_1)
	v_add_co_u32 v7, s11, s10, v7
	v_add_co_ci_u32_e64 v8, null, s1, 0, s11
	s_waitcnt vmcnt(0) lgkmcnt(0)
	flat_load_d16_hi_b16 v2, v[7:8] offset:768
.LBB931_15:
	s_or_b32 exec_lo, exec_lo, s0
	v_or_b32_e32 v7, 0x200, v0
	s_mov_b32 s0, exec_lo
	s_delay_alu instid0(VALU_DEP_1)
	v_cmpx_gt_u32_e64 s21, v7
	s_cbranch_execz .LBB931_17
; %bb.16:
	v_lshlrev_b32_e32 v7, 1, v0
	s_delay_alu instid0(VALU_DEP_1) | instskip(NEXT) | instid1(VALU_DEP_1)
	v_add_co_u32 v7, s11, s10, v7
	v_add_co_ci_u32_e64 v8, null, s1, 0, s11
	flat_load_d16_b16 v3, v[7:8] offset:1024
.LBB931_17:
	s_or_b32 exec_lo, exec_lo, s0
	v_or_b32_e32 v7, 0x280, v0
	s_mov_b32 s0, exec_lo
	s_delay_alu instid0(VALU_DEP_1)
	v_cmpx_gt_u32_e64 s21, v7
	s_cbranch_execz .LBB931_19
; %bb.18:
	v_lshlrev_b32_e32 v7, 1, v0
	s_delay_alu instid0(VALU_DEP_1) | instskip(NEXT) | instid1(VALU_DEP_1)
	v_add_co_u32 v7, s11, s10, v7
	v_add_co_ci_u32_e64 v8, null, s1, 0, s11
	s_waitcnt vmcnt(0) lgkmcnt(0)
	flat_load_d16_hi_b16 v3, v[7:8] offset:1280
.LBB931_19:
	s_or_b32 exec_lo, exec_lo, s0
	v_or_b32_e32 v7, 0x300, v0
	s_mov_b32 s0, exec_lo
	s_delay_alu instid0(VALU_DEP_1)
	v_cmpx_gt_u32_e64 s21, v7
	s_cbranch_execz .LBB931_21
; %bb.20:
	v_lshlrev_b32_e32 v7, 1, v0
	s_delay_alu instid0(VALU_DEP_1) | instskip(NEXT) | instid1(VALU_DEP_1)
	v_add_co_u32 v7, s11, s10, v7
	v_add_co_ci_u32_e64 v8, null, s1, 0, s11
	flat_load_d16_b16 v4, v[7:8] offset:1536
.LBB931_21:
	s_or_b32 exec_lo, exec_lo, s0
	v_or_b32_e32 v7, 0x380, v0
	s_mov_b32 s0, exec_lo
	s_delay_alu instid0(VALU_DEP_1)
	v_cmpx_gt_u32_e64 s21, v7
	s_cbranch_execz .LBB931_23
; %bb.22:
	v_lshlrev_b32_e32 v7, 1, v0
	s_delay_alu instid0(VALU_DEP_1) | instskip(NEXT) | instid1(VALU_DEP_1)
	v_add_co_u32 v7, s11, s10, v7
	v_add_co_ci_u32_e64 v8, null, s1, 0, s11
	s_waitcnt vmcnt(0) lgkmcnt(0)
	flat_load_d16_hi_b16 v4, v[7:8] offset:1792
.LBB931_23:
	s_or_b32 exec_lo, exec_lo, s0
	v_or_b32_e32 v7, 0x400, v0
	s_mov_b32 s0, exec_lo
	s_delay_alu instid0(VALU_DEP_1)
	v_cmpx_gt_u32_e64 s21, v7
	s_cbranch_execz .LBB931_25
; %bb.24:
	v_lshlrev_b32_e32 v7, 1, v0
	s_delay_alu instid0(VALU_DEP_1) | instskip(NEXT) | instid1(VALU_DEP_1)
	v_add_co_u32 v7, s11, s10, v7
	v_add_co_ci_u32_e64 v8, null, s1, 0, s11
	flat_load_d16_b16 v5, v[7:8] offset:2048
.LBB931_25:
	s_or_b32 exec_lo, exec_lo, s0
	v_or_b32_e32 v7, 0x480, v0
	s_mov_b32 s0, exec_lo
	s_delay_alu instid0(VALU_DEP_1)
	v_cmpx_gt_u32_e64 s21, v7
	s_cbranch_execz .LBB931_27
; %bb.26:
	v_lshlrev_b32_e32 v7, 1, v0
	s_delay_alu instid0(VALU_DEP_1) | instskip(NEXT) | instid1(VALU_DEP_1)
	v_add_co_u32 v7, s11, s10, v7
	v_add_co_ci_u32_e64 v8, null, s1, 0, s11
	s_waitcnt vmcnt(0) lgkmcnt(0)
	flat_load_d16_hi_b16 v5, v[7:8] offset:2304
.LBB931_27:
	s_or_b32 exec_lo, exec_lo, s0
	v_or_b32_e32 v7, 0x500, v0
	s_mov_b32 s0, exec_lo
	s_delay_alu instid0(VALU_DEP_1)
	v_cmpx_gt_u32_e64 s21, v7
	s_cbranch_execz .LBB931_29
; %bb.28:
	v_lshlrev_b32_e32 v6, 1, v0
	s_delay_alu instid0(VALU_DEP_1) | instskip(NEXT) | instid1(VALU_DEP_1)
	v_add_co_u32 v6, s11, s10, v6
	v_add_co_ci_u32_e64 v7, null, s1, 0, s11
	flat_load_d16_b16 v6, v[6:7] offset:2560
.LBB931_29:
	s_or_b32 exec_lo, exec_lo, s0
	v_lshlrev_b32_e32 v7, 1, v0
	s_waitcnt vmcnt(0) lgkmcnt(0)
	ds_store_b16 v7, v1
	ds_store_b16_d16_hi v7, v1 offset:256
	ds_store_b16 v7, v2 offset:512
	ds_store_b16_d16_hi v7, v2 offset:768
	ds_store_b16 v7, v3 offset:1024
	;; [unrolled: 2-line block ×5, first 2 shown]
	s_waitcnt lgkmcnt(0)
	s_barrier
.LBB931_30:
	v_mul_u32_u24_e32 v1, 11, v0
	s_waitcnt vmcnt(0)
	buffer_gl0_inv
	s_lshl_b64 s[24:25], s[6:7], 2
	s_delay_alu instid0(SALU_CYCLE_1)
	s_add_u32 s0, s8, s24
	v_lshlrev_b32_e32 v2, 1, v1
	s_addc_u32 s8, s9, s25
	s_lshl_b64 s[4:5], s[4:5], 2
	ds_load_b128 v[13:16], v2
	ds_load_u16 v40, v2 offset:16
	ds_load_u16 v39, v2 offset:18
	ds_load_u16 v35, v2 offset:20
	s_add_u32 s0, s0, s4
	s_addc_u32 s4, s8, s5
	s_and_b32 vcc_lo, exec_lo, s15
	s_mov_b32 s5, -1
	s_waitcnt lgkmcnt(0)
	s_barrier
	buffer_gl0_inv
	s_cbranch_vccz .LBB931_32
; %bb.31:
	v_lshlrev_b32_e32 v7, 2, v0
	s_delay_alu instid0(VALU_DEP_1) | instskip(NEXT) | instid1(VALU_DEP_1)
	v_add_co_u32 v3, s5, s0, v7
	v_add_co_ci_u32_e64 v4, null, s4, 0, s5
	s_mov_b32 s5, 0
	s_delay_alu instid0(VALU_DEP_2) | instskip(NEXT) | instid1(VALU_DEP_2)
	v_add_co_u32 v5, vcc_lo, 0x1000, v3
	v_add_co_ci_u32_e32 v6, vcc_lo, 0, v4, vcc_lo
	s_clause 0xa
	flat_load_b32 v8, v[3:4]
	flat_load_b32 v9, v[3:4] offset:512
	flat_load_b32 v10, v[3:4] offset:1024
	;; [unrolled: 1-line block ×7, first 2 shown]
	flat_load_b32 v4, v[5:6]
	flat_load_b32 v19, v[5:6] offset:512
	flat_load_b32 v5, v[5:6] offset:1024
	s_waitcnt vmcnt(9) lgkmcnt(9)
	ds_store_2addr_stride64_b32 v7, v8, v9 offset1:2
	s_waitcnt vmcnt(7) lgkmcnt(8)
	ds_store_2addr_stride64_b32 v7, v10, v11 offset0:4 offset1:6
	s_waitcnt vmcnt(5) lgkmcnt(7)
	ds_store_2addr_stride64_b32 v7, v12, v17 offset0:8 offset1:10
	;; [unrolled: 2-line block ×4, first 2 shown]
	s_waitcnt vmcnt(0) lgkmcnt(5)
	ds_store_b32 v7, v5 offset:5120
	s_waitcnt lgkmcnt(0)
	s_barrier
.LBB931_32:
	s_and_not1_b32 vcc_lo, exec_lo, s5
	s_cbranch_vccnz .LBB931_56
; %bb.33:
	s_mov_b32 s5, exec_lo
                                        ; implicit-def: $vgpr3
	v_cmpx_gt_u32_e64 s21, v0
	s_cbranch_execz .LBB931_35
; %bb.34:
	v_lshlrev_b32_e32 v3, 2, v0
	s_delay_alu instid0(VALU_DEP_1) | instskip(NEXT) | instid1(VALU_DEP_1)
	v_add_co_u32 v3, s8, s0, v3
	v_add_co_ci_u32_e64 v4, null, s4, 0, s8
	flat_load_b32 v3, v[3:4]
.LBB931_35:
	s_or_b32 exec_lo, exec_lo, s5
	v_or_b32_e32 v4, 0x80, v0
	s_delay_alu instid0(VALU_DEP_1)
	v_cmp_gt_u32_e32 vcc_lo, s21, v4
                                        ; implicit-def: $vgpr4
	s_and_saveexec_b32 s5, vcc_lo
	s_cbranch_execz .LBB931_37
; %bb.36:
	v_lshlrev_b32_e32 v4, 2, v0
	s_delay_alu instid0(VALU_DEP_1) | instskip(NEXT) | instid1(VALU_DEP_1)
	v_add_co_u32 v4, s8, s0, v4
	v_add_co_ci_u32_e64 v5, null, s4, 0, s8
	flat_load_b32 v4, v[4:5] offset:512
.LBB931_37:
	s_or_b32 exec_lo, exec_lo, s5
	v_or_b32_e32 v5, 0x100, v0
	s_delay_alu instid0(VALU_DEP_1)
	v_cmp_gt_u32_e32 vcc_lo, s21, v5
                                        ; implicit-def: $vgpr5
	s_and_saveexec_b32 s5, vcc_lo
	s_cbranch_execz .LBB931_39
; %bb.38:
	v_lshlrev_b32_e32 v5, 2, v0
	s_delay_alu instid0(VALU_DEP_1) | instskip(NEXT) | instid1(VALU_DEP_1)
	v_add_co_u32 v5, s8, s0, v5
	v_add_co_ci_u32_e64 v6, null, s4, 0, s8
	flat_load_b32 v5, v[5:6] offset:1024
.LBB931_39:
	s_or_b32 exec_lo, exec_lo, s5
	v_or_b32_e32 v6, 0x180, v0
	s_delay_alu instid0(VALU_DEP_1)
	v_cmp_gt_u32_e32 vcc_lo, s21, v6
                                        ; implicit-def: $vgpr6
	s_and_saveexec_b32 s5, vcc_lo
	s_cbranch_execz .LBB931_41
; %bb.40:
	v_lshlrev_b32_e32 v6, 2, v0
	s_delay_alu instid0(VALU_DEP_1) | instskip(NEXT) | instid1(VALU_DEP_1)
	v_add_co_u32 v6, s8, s0, v6
	v_add_co_ci_u32_e64 v7, null, s4, 0, s8
	flat_load_b32 v6, v[6:7] offset:1536
.LBB931_41:
	s_or_b32 exec_lo, exec_lo, s5
	v_or_b32_e32 v7, 0x200, v0
	s_delay_alu instid0(VALU_DEP_1)
	v_cmp_gt_u32_e32 vcc_lo, s21, v7
                                        ; implicit-def: $vgpr7
	s_and_saveexec_b32 s5, vcc_lo
	s_cbranch_execz .LBB931_43
; %bb.42:
	v_lshlrev_b32_e32 v7, 2, v0
	s_delay_alu instid0(VALU_DEP_1) | instskip(NEXT) | instid1(VALU_DEP_1)
	v_add_co_u32 v7, s8, s0, v7
	v_add_co_ci_u32_e64 v8, null, s4, 0, s8
	flat_load_b32 v7, v[7:8] offset:2048
.LBB931_43:
	s_or_b32 exec_lo, exec_lo, s5
	v_or_b32_e32 v8, 0x280, v0
	s_delay_alu instid0(VALU_DEP_1)
	v_cmp_gt_u32_e32 vcc_lo, s21, v8
                                        ; implicit-def: $vgpr8
	s_and_saveexec_b32 s5, vcc_lo
	s_cbranch_execz .LBB931_45
; %bb.44:
	v_lshlrev_b32_e32 v8, 2, v0
	s_delay_alu instid0(VALU_DEP_1) | instskip(NEXT) | instid1(VALU_DEP_1)
	v_add_co_u32 v8, s8, s0, v8
	v_add_co_ci_u32_e64 v9, null, s4, 0, s8
	flat_load_b32 v8, v[8:9] offset:2560
.LBB931_45:
	s_or_b32 exec_lo, exec_lo, s5
	v_or_b32_e32 v9, 0x300, v0
	s_delay_alu instid0(VALU_DEP_1)
	v_cmp_gt_u32_e32 vcc_lo, s21, v9
                                        ; implicit-def: $vgpr9
	s_and_saveexec_b32 s5, vcc_lo
	s_cbranch_execz .LBB931_47
; %bb.46:
	v_lshlrev_b32_e32 v9, 2, v0
	s_delay_alu instid0(VALU_DEP_1) | instskip(NEXT) | instid1(VALU_DEP_1)
	v_add_co_u32 v9, s8, s0, v9
	v_add_co_ci_u32_e64 v10, null, s4, 0, s8
	flat_load_b32 v9, v[9:10] offset:3072
.LBB931_47:
	s_or_b32 exec_lo, exec_lo, s5
	v_or_b32_e32 v10, 0x380, v0
	s_delay_alu instid0(VALU_DEP_1)
	v_cmp_gt_u32_e32 vcc_lo, s21, v10
                                        ; implicit-def: $vgpr10
	s_and_saveexec_b32 s5, vcc_lo
	s_cbranch_execz .LBB931_49
; %bb.48:
	v_lshlrev_b32_e32 v10, 2, v0
	s_delay_alu instid0(VALU_DEP_1) | instskip(NEXT) | instid1(VALU_DEP_1)
	v_add_co_u32 v10, s8, s0, v10
	v_add_co_ci_u32_e64 v11, null, s4, 0, s8
	flat_load_b32 v10, v[10:11] offset:3584
.LBB931_49:
	s_or_b32 exec_lo, exec_lo, s5
	v_or_b32_e32 v12, 0x400, v0
	s_mov_b32 s5, exec_lo
                                        ; implicit-def: $vgpr11
	s_delay_alu instid0(VALU_DEP_1)
	v_cmpx_gt_u32_e64 s21, v12
	s_cbranch_execz .LBB931_51
; %bb.50:
	v_lshlrev_b32_e32 v11, 2, v12
	s_delay_alu instid0(VALU_DEP_1) | instskip(NEXT) | instid1(VALU_DEP_1)
	v_add_co_u32 v11, s8, s0, v11
	v_add_co_ci_u32_e64 v12, null, s4, 0, s8
	flat_load_b32 v11, v[11:12]
.LBB931_51:
	s_or_b32 exec_lo, exec_lo, s5
	v_or_b32_e32 v17, 0x480, v0
	s_mov_b32 s5, exec_lo
                                        ; implicit-def: $vgpr12
	s_delay_alu instid0(VALU_DEP_1)
	v_cmpx_gt_u32_e64 s21, v17
	s_cbranch_execz .LBB931_53
; %bb.52:
	v_lshlrev_b32_e32 v12, 2, v17
	s_delay_alu instid0(VALU_DEP_1) | instskip(NEXT) | instid1(VALU_DEP_1)
	v_add_co_u32 v17, s8, s0, v12
	v_add_co_ci_u32_e64 v18, null, s4, 0, s8
	flat_load_b32 v12, v[17:18]
.LBB931_53:
	s_or_b32 exec_lo, exec_lo, s5
	v_or_b32_e32 v18, 0x500, v0
	s_mov_b32 s5, exec_lo
                                        ; implicit-def: $vgpr17
	s_delay_alu instid0(VALU_DEP_1)
	v_cmpx_gt_u32_e64 s21, v18
	s_cbranch_execz .LBB931_55
; %bb.54:
	v_lshlrev_b32_e32 v17, 2, v18
	s_delay_alu instid0(VALU_DEP_1) | instskip(NEXT) | instid1(VALU_DEP_1)
	v_add_co_u32 v17, s0, s0, v17
	v_add_co_ci_u32_e64 v18, null, s4, 0, s0
	flat_load_b32 v17, v[17:18]
.LBB931_55:
	s_or_b32 exec_lo, exec_lo, s5
	v_mad_i32_i24 v2, 0xffffffee, v0, v2
	s_waitcnt vmcnt(0) lgkmcnt(0)
	ds_store_2addr_stride64_b32 v2, v3, v4 offset1:2
	ds_store_2addr_stride64_b32 v2, v5, v6 offset0:4 offset1:6
	ds_store_2addr_stride64_b32 v2, v7, v8 offset0:8 offset1:10
	;; [unrolled: 1-line block ×4, first 2 shown]
	ds_store_b32 v2, v17 offset:5120
	s_waitcnt lgkmcnt(0)
	s_barrier
.LBB931_56:
	v_lshlrev_b32_e32 v46, 2, v1
	buffer_gl0_inv
	s_cmp_lg_u32 s20, 0
	v_lshrrev_b32_e32 v44, 16, v13
	s_cselect_b32 s23, -1, 0
	ds_load_2addr_b32 v[30:31], v46 offset1:1
	ds_load_2addr_b32 v[28:29], v46 offset0:2 offset1:3
	ds_load_2addr_b32 v[26:27], v46 offset0:4 offset1:5
	;; [unrolled: 1-line block ×4, first 2 shown]
	ds_load_b32 v38, v46 offset:40
	s_cmp_lg_u64 s[6:7], 0
	v_lshrrev_b32_e32 v43, 16, v14
	s_cselect_b32 s0, -1, 0
	v_lshrrev_b32_e32 v42, 16, v15
	v_lshrrev_b32_e32 v41, 16, v16
	v_add_nc_u32_e32 v5, 1, v1
	v_add_nc_u32_e32 v6, 2, v1
	;; [unrolled: 1-line block ×10, first 2 shown]
	s_or_b32 s0, s0, s23
	s_mov_b32 s24, 0
	s_and_b32 vcc_lo, exec_lo, s0
	s_waitcnt lgkmcnt(0)
	s_barrier
	buffer_gl0_inv
	s_cbranch_vccz .LBB931_61
; %bb.57:
	v_add_co_u32 v17, s0, -2, s10
	s_delay_alu instid0(VALU_DEP_1)
	v_add_co_ci_u32_e64 v18, null, -1, s1, s0
	s_mov_b32 s1, -1
	s_and_b32 vcc_lo, exec_lo, s15
	flat_load_u16 v17, v[17:18]
	v_lshlrev_b32_e32 v18, 1, v0
	ds_store_b16 v18, v35
	s_cbranch_vccz .LBB931_63
; %bb.58:
	s_waitcnt vmcnt(0) lgkmcnt(1)
	v_mov_b32_e32 v19, v17
	s_waitcnt lgkmcnt(0)
	s_barrier
	buffer_gl0_inv
	s_and_saveexec_b32 s0, s3
	s_cbranch_execz .LBB931_60
; %bb.59:
	v_add_nc_u32_e32 v12, -2, v18
	ds_load_u16 v19, v12
.LBB931_60:
	s_or_b32 exec_lo, exec_lo, s0
	v_cmp_ne_u16_e32 vcc_lo, v16, v41
	s_waitcnt lgkmcnt(0)
	v_cmp_ne_u16_e64 s0, v19, v13
	v_cndmask_b32_e64 v12, 0, 1, vcc_lo
	v_cmp_ne_u16_e32 vcc_lo, v42, v16
	s_delay_alu instid0(VALU_DEP_2) | instskip(SKIP_2) | instid1(VALU_DEP_2)
	v_lshlrev_b16 v12, 8, v12
	v_cndmask_b32_e64 v32, 0, 1, vcc_lo
	v_cmp_ne_u16_e32 vcc_lo, v15, v42
	v_or_b32_e32 v32, v32, v12
	v_cndmask_b32_e64 v33, 0, 1, vcc_lo
	v_cmp_ne_u16_e32 vcc_lo, v43, v15
	s_delay_alu instid0(VALU_DEP_2) | instskip(SKIP_2) | instid1(VALU_DEP_2)
	v_lshlrev_b16 v33, 8, v33
	v_cndmask_b32_e64 v34, 0, 1, vcc_lo
	v_cmp_ne_u16_e32 vcc_lo, v14, v43
	v_or_b32_e32 v33, v34, v33
	v_cndmask_b32_e64 v36, 0, 1, vcc_lo
	v_cmp_ne_u16_e32 vcc_lo, v44, v14
	s_delay_alu instid0(VALU_DEP_3) | instskip(NEXT) | instid1(VALU_DEP_3)
	v_and_b32_e32 v33, 0xffff, v33
	v_lshlrev_b16 v47, 8, v36
	v_cndmask_b32_e64 v37, 0, 1, vcc_lo
	v_cmp_ne_u16_e32 vcc_lo, v13, v44
	s_delay_alu instid0(VALU_DEP_2) | instskip(SKIP_3) | instid1(VALU_DEP_4)
	v_or_b32_e32 v37, v37, v47
	v_cndmask_b32_e64 v45, 0, 1, vcc_lo
	v_cmp_ne_u16_e32 vcc_lo, v39, v35
	v_lshlrev_b32_e32 v47, 16, v32
	v_lshlrev_b32_e32 v37, 16, v37
	s_delay_alu instid0(VALU_DEP_4) | instskip(SKIP_3) | instid1(VALU_DEP_4)
	v_lshlrev_b16 v45, 8, v45
	v_cndmask_b32_e64 v36, 0, 1, vcc_lo
	v_cmp_ne_u16_e32 vcc_lo, v40, v39
	v_or_b32_e32 v33, v33, v47
	v_and_b32_e32 v45, 0xffff, v45
	v_cndmask_b32_e64 v12, 0, 1, vcc_lo
	v_cmp_ne_u16_e32 vcc_lo, v41, v40
	s_delay_alu instid0(VALU_DEP_3)
	v_or_b32_e32 v32, v45, v37
	v_cndmask_b32_e64 v34, 0, 1, vcc_lo
	s_branch .LBB931_67
.LBB931_61:
                                        ; implicit-def: $sgpr0
                                        ; implicit-def: $vgpr36
                                        ; implicit-def: $vgpr12
                                        ; implicit-def: $vgpr34
                                        ; implicit-def: $vgpr33
	s_branch .LBB931_68
.LBB931_62:
                                        ; implicit-def: $vgpr17_vgpr18_vgpr19
	s_and_saveexec_b32 s1, s24
	s_cbranch_execnz .LBB931_76
	s_branch .LBB931_77
.LBB931_63:
                                        ; implicit-def: $sgpr0
                                        ; implicit-def: $vgpr36
                                        ; implicit-def: $vgpr12
                                        ; implicit-def: $vgpr34
                                        ; implicit-def: $vgpr33
	s_and_b32 vcc_lo, exec_lo, s1
	s_cbranch_vccz .LBB931_67
; %bb.64:
	s_waitcnt vmcnt(0) lgkmcnt(0)
	s_barrier
	buffer_gl0_inv
	s_and_saveexec_b32 s0, s3
	s_cbranch_execz .LBB931_66
; %bb.65:
	v_add_nc_u32_e32 v12, -2, v18
	ds_load_u16 v17, v12
.LBB931_66:
	s_or_b32 exec_lo, exec_lo, s0
	v_cmp_gt_u32_e32 vcc_lo, s21, v9
	v_cmp_ne_u16_e64 s0, v39, v35
	v_cmp_gt_u32_e64 s1, s21, v10
	v_cmp_ne_u16_e64 s4, v40, v39
	v_cmp_gt_u32_e64 s5, s21, v5
	v_cmp_ne_u16_e64 s6, v13, v44
	s_and_b32 s0, vcc_lo, s0
	v_cmp_gt_u32_e32 vcc_lo, s21, v2
	v_cndmask_b32_e64 v36, 0, 1, s0
	v_cmp_ne_u16_e64 s0, v16, v41
	s_and_b32 s1, s1, s4
	v_cmp_ne_u16_e64 s4, v42, v16
	v_cndmask_b32_e64 v12, 0, 1, s1
	v_cmp_gt_u32_e64 s1, s21, v4
	s_and_b32 s0, vcc_lo, s0
	v_cmp_gt_u32_e32 vcc_lo, s21, v7
	v_cndmask_b32_e64 v18, 0, 1, s0
	v_cmp_ne_u16_e64 s0, v15, v42
	s_and_b32 s1, s1, s4
	v_cmp_ne_u16_e64 s4, v14, v43
	v_cndmask_b32_e64 v19, 0, 1, s1
	v_cmp_gt_u32_e64 s1, s21, v3
	;; [unrolled: 8-line block ×3, first 2 shown]
	s_and_b32 s0, vcc_lo, s0
	v_lshlrev_b16 v32, 8, v32
	v_cndmask_b32_e64 v34, 0, 1, s0
	v_lshlrev_b16 v33, 8, v33
	s_and_b32 s0, s1, s4
	v_lshlrev_b16 v18, 8, v18
	v_cndmask_b32_e64 v37, 0, 1, s0
	s_and_b32 s0, s5, s6
	v_or_b32_e32 v32, v34, v32
	v_cndmask_b32_e64 v45, 0, 1, s0
	v_or_b32_e32 v18, v19, v18
	v_or_b32_e32 v33, v37, v33
	v_cmp_gt_u32_e32 vcc_lo, s21, v11
	v_cmp_ne_u16_e64 s0, v41, v40
	v_lshlrev_b16 v37, 8, v45
	v_lshlrev_b32_e32 v18, 16, v18
	v_lshlrev_b32_e32 v19, 16, v33
	s_delay_alu instid0(VALU_DEP_4) | instskip(NEXT) | instid1(VALU_DEP_3)
	s_and_b32 s0, vcc_lo, s0
	v_and_b32_e32 v33, 0xffff, v37
	v_and_b32_e32 v37, 0xffff, v32
	v_cndmask_b32_e64 v34, 0, 1, s0
	v_cmp_gt_u32_e32 vcc_lo, s21, v1
	s_waitcnt lgkmcnt(0)
	v_cmp_ne_u16_e64 s0, v17, v13
	v_or_b32_e32 v32, v33, v19
	v_or_b32_e32 v33, v37, v18
	s_delay_alu instid0(VALU_DEP_3)
	s_and_b32 s0, vcc_lo, s0
.LBB931_67:
	s_mov_b32 s24, -1
	s_cbranch_execnz .LBB931_62
.LBB931_68:
	v_mad_i32_i24 v37, 0xffffffd6, v0, v46
	v_cmp_ne_u16_e64 s0, v39, v35
	v_cmp_ne_u16_e64 s9, v40, v39
	v_cmp_ne_u16_e64 s10, v41, v40
	v_cmp_ne_u16_e64 s5, v16, v41
	v_cmp_ne_u16_e64 s6, v42, v16
	v_cmp_ne_u16_e64 s11, v15, v42
	v_cmp_ne_u16_e64 s7, v43, v15
	v_cmp_ne_u16_e64 s8, v14, v43
	v_cmp_ne_u16_e64 s1, v44, v14
	v_cmp_ne_u16_e64 s4, v13, v44
	s_and_b32 vcc_lo, exec_lo, s15
	ds_store_b16 v37, v35
	s_cbranch_vccz .LBB931_72
; %bb.69:
	s_waitcnt vmcnt(0) lgkmcnt(2)
	v_cndmask_b32_e64 v17, 0, 1, s11
	v_cndmask_b32_e64 v12, 0, 1, s9
	;; [unrolled: 1-line block ×5, first 2 shown]
	v_lshlrev_b16 v17, 8, v17
	v_cndmask_b32_e64 v45, 0, 1, s4
	v_cndmask_b32_e64 v34, 0, 1, s10
	;; [unrolled: 1-line block ×4, first 2 shown]
	v_lshlrev_b16 v18, 8, v18
	v_lshlrev_b16 v47, 8, v12
	v_or_b32_e32 v17, v32, v17
	v_lshlrev_b16 v32, 8, v33
	v_lshlrev_b16 v33, 8, v45
	v_or_b32_e32 v18, v19, v18
	v_or_b32_e32 v19, v34, v47
	v_and_b32_e32 v17, 0xffff, v17
	v_or_b32_e32 v32, v36, v32
	v_or_b32_e32 v33, 1, v33
	v_lshlrev_b32_e32 v18, 16, v18
	v_and_b32_e32 v19, 0xffff, v19
	v_cndmask_b32_e64 v36, 0, 1, s0
	v_lshlrev_b32_e32 v32, 16, v32
	v_and_b32_e32 v45, 0xffff, v33
	v_or_b32_e32 v33, v17, v18
	s_waitcnt lgkmcnt(0)
	v_lshl_or_b32 v19, v36, 16, v19
	s_barrier
	v_or_b32_e32 v32, v45, v32
	buffer_gl0_inv
                                        ; implicit-def: $sgpr0
	s_and_saveexec_b32 s1, s3
	s_delay_alu instid0(SALU_CYCLE_1)
	s_xor_b32 s1, exec_lo, s1
	s_cbranch_execz .LBB931_71
; %bb.70:
	v_add_nc_u32_e32 v17, -2, v37
	s_or_b32 s24, s24, exec_lo
	ds_load_u16 v17, v17
	s_waitcnt lgkmcnt(0)
	v_cmp_ne_u16_e32 vcc_lo, v17, v13
                                        ; implicit-def: $vgpr17_vgpr18_vgpr19
	s_and_b32 s0, vcc_lo, exec_lo
.LBB931_71:
	s_or_b32 exec_lo, exec_lo, s1
	s_branch .LBB931_75
.LBB931_72:
                                        ; implicit-def: $sgpr0
                                        ; implicit-def: $vgpr36
                                        ; implicit-def: $vgpr12
                                        ; implicit-def: $vgpr34
                                        ; implicit-def: $vgpr33
                                        ; implicit-def: $vgpr17_vgpr18_vgpr19
	s_cbranch_execz .LBB931_75
; %bb.73:
	v_cmp_gt_u32_e32 vcc_lo, s21, v10
	v_cmp_ne_u16_e64 s0, v40, v39
	v_cmp_gt_u32_e64 s5, s21, v11
	v_cmp_ne_u16_e64 s6, v41, v40
	v_cmp_gt_u32_e64 s1, s21, v9
	v_cmp_ne_u16_e64 s4, v39, v35
	s_and_b32 s0, vcc_lo, s0
	v_cmp_gt_u32_e32 vcc_lo, s21, v2
	v_cndmask_b32_e64 v12, 0, 1, s0
	v_cmp_ne_u16_e64 s0, v16, v41
	s_and_b32 s5, s5, s6
	v_cmp_ne_u16_e64 s6, v42, v16
	v_cndmask_b32_e64 v34, 0, 1, s5
	v_cmp_gt_u32_e64 s5, s21, v4
	s_and_b32 s0, vcc_lo, s0
	v_cmp_gt_u32_e32 vcc_lo, s21, v7
	s_waitcnt vmcnt(0) lgkmcnt(2)
	v_cndmask_b32_e64 v17, 0, 1, s0
	v_cmp_ne_u16_e64 s0, v15, v42
	s_and_b32 s5, s5, s6
	v_cmp_ne_u16_e64 s6, v43, v15
	v_cndmask_b32_e64 v18, 0, 1, s5
	v_cmp_gt_u32_e64 s5, s21, v8
	s_and_b32 s0, vcc_lo, s0
	v_cmp_gt_u32_e32 vcc_lo, s21, v3
	v_cndmask_b32_e64 v19, 0, 1, s0
	v_cmp_ne_u16_e64 s0, v14, v43
	s_and_b32 s5, s5, s6
	v_cmp_ne_u16_e64 s6, v44, v14
	v_cndmask_b32_e64 v32, 0, 1, s5
	v_cmp_gt_u32_e64 s5, s21, v6
	s_and_b32 s0, vcc_lo, s0
	v_cmp_gt_u32_e32 vcc_lo, s21, v5
	v_cndmask_b32_e64 v33, 0, 1, s0
	v_cmp_ne_u16_e64 s0, v13, v44
	v_lshlrev_b16 v19, 8, v19
	v_lshlrev_b16 v17, 8, v17
	s_and_b32 s5, s5, s6
	v_lshlrev_b16 v47, 8, v12
	s_and_b32 s0, vcc_lo, s0
	v_cndmask_b32_e64 v36, 0, 1, s5
	v_cndmask_b32_e64 v45, 0, 1, s0
	v_or_b32_e32 v19, v32, v19
	v_or_b32_e32 v17, v18, v17
	v_lshlrev_b16 v18, 8, v33
	v_or_b32_e32 v33, v34, v47
	v_lshlrev_b16 v32, 8, v45
	s_and_b32 s0, s1, s4
	v_and_b32_e32 v19, 0xffff, v19
	v_or_b32_e32 v18, v36, v18
	v_lshlrev_b32_e32 v17, 16, v17
	v_or_b32_e32 v32, 1, v32
	v_and_b32_e32 v45, 0xffff, v33
	v_cndmask_b32_e64 v36, 0, 1, s0
	v_lshlrev_b32_e32 v18, 16, v18
	v_or_b32_e32 v33, v19, v17
	v_and_b32_e32 v32, 0xffff, v32
	s_waitcnt lgkmcnt(0)
	v_lshl_or_b32 v19, v36, 16, v45
	s_barrier
	buffer_gl0_inv
	v_or_b32_e32 v32, v32, v18
                                        ; implicit-def: $sgpr0
	s_and_saveexec_b32 s1, s3
	s_cbranch_execz .LBB931_221
; %bb.74:
	v_add_nc_u32_e32 v17, -2, v37
	v_cmp_gt_u32_e32 vcc_lo, s21, v1
	s_or_b32 s24, s24, exec_lo
	ds_load_u16 v17, v17
	s_waitcnt lgkmcnt(0)
	v_cmp_ne_u16_e64 s0, v17, v13
                                        ; implicit-def: $vgpr17_vgpr18_vgpr19
	s_delay_alu instid0(VALU_DEP_1) | instskip(NEXT) | instid1(SALU_CYCLE_1)
	s_and_b32 s0, vcc_lo, s0
	s_and_b32 s0, s0, exec_lo
	s_or_b32 exec_lo, exec_lo, s1
.LBB931_75:
	s_and_saveexec_b32 s1, s24
	s_cbranch_execz .LBB931_77
.LBB931_76:
	v_lshrrev_b32_e32 v18, 24, v32
	v_lshrrev_b32_e32 v19, 16, v32
	;; [unrolled: 1-line block ×3, first 2 shown]
	s_waitcnt vmcnt(0) lgkmcnt(1)
	v_cndmask_b32_e64 v17, 0, 1, s0
	v_lshlrev_b16 v12, 8, v12
	v_and_b32_e32 v34, 0xff, v34
	v_lshlrev_b16 v18, 8, v18
	v_and_b32_e32 v19, 0xff, v19
	;; [unrolled: 2-line block ×3, first 2 shown]
	v_or_b32_e32 v12, v34, v12
	s_delay_alu instid0(VALU_DEP_4) | instskip(NEXT) | instid1(VALU_DEP_4)
	v_or_b32_e32 v18, v19, v18
	v_or_b32_e32 v17, v17, v32
	s_delay_alu instid0(VALU_DEP_4) | instskip(NEXT) | instid1(VALU_DEP_4)
	v_lshlrev_b32_e32 v19, 16, v36
	v_and_b32_e32 v12, 0xffff, v12
	s_delay_alu instid0(VALU_DEP_4) | instskip(NEXT) | instid1(VALU_DEP_4)
	v_lshlrev_b32_e32 v18, 16, v18
	v_and_b32_e32 v17, 0xffff, v17
	s_delay_alu instid0(VALU_DEP_3) | instskip(NEXT) | instid1(VALU_DEP_2)
	v_or_b32_e32 v19, v12, v19
	v_or_b32_e32 v32, v17, v18
.LBB931_77:
	s_or_b32 exec_lo, exec_lo, s1
	s_delay_alu instid0(SALU_CYCLE_1)
	s_and_not1_b32 vcc_lo, exec_lo, s22
	s_cbranch_vccnz .LBB931_79
; %bb.78:
	v_cmp_gt_u32_e32 vcc_lo, s21, v1
	v_cmp_gt_u32_e64 s0, s21, v5
	v_cmp_gt_u32_e64 s3, s21, v6
	v_and_b32_e32 v5, 0xffffff00, v33
	v_cmp_gt_u32_e64 s1, s21, v10
	v_dual_cndmask_b32 v1, 0, v32 :: v_dual_and_b32 v12, 0xff000000, v19
	v_cmp_gt_u32_e32 vcc_lo, s21, v11
	v_cmp_gt_u32_e64 s5, s21, v3
	v_cmp_gt_u32_e64 s4, s21, v9
	s_delay_alu instid0(VALU_DEP_4) | instskip(SKIP_1) | instid1(VALU_DEP_2)
	v_and_b32_e32 v1, 0xff, v1
	v_cndmask_b32_e32 v11, v12, v19, vcc_lo
	v_cndmask_b32_e64 v1, v1, v32, s0
	v_cmp_gt_u32_e64 s0, s21, v8
	s_delay_alu instid0(VALU_DEP_3) | instskip(NEXT) | instid1(VALU_DEP_3)
	v_and_b32_e32 v11, 0xff0000ff, v11
	v_and_b32_e32 v1, 0xffff, v1
	s_delay_alu instid0(VALU_DEP_3) | instskip(NEXT) | instid1(VALU_DEP_3)
	v_cndmask_b32_e64 v5, v5, v33, s0
	v_cndmask_b32_e64 v8, v11, v19, s1
	s_or_b32 s1, s4, s1
	s_delay_alu instid0(VALU_DEP_3) | instskip(NEXT) | instid1(VALU_DEP_3)
	v_cndmask_b32_e64 v1, v1, v32, s3
	v_and_b32_e32 v5, 0xffff00ff, v5
	s_delay_alu instid0(VALU_DEP_3) | instskip(SKIP_1) | instid1(VALU_DEP_4)
	v_and_b32_e32 v6, 0xff00ffff, v8
	v_cmp_gt_u32_e64 s3, s21, v7
	v_and_b32_e32 v1, 0xffffff, v1
	s_delay_alu instid0(VALU_DEP_3) | instskip(NEXT) | instid1(VALU_DEP_3)
	v_cndmask_b32_e64 v6, v6, v19, s4
	v_cndmask_b32_e64 v5, v5, v33, s3
	s_delay_alu instid0(VALU_DEP_3) | instskip(NEXT) | instid1(VALU_DEP_2)
	v_cndmask_b32_e64 v1, v1, v32, s5
	v_and_b32_e32 v3, 0xff00ffff, v5
	s_delay_alu instid0(VALU_DEP_4) | instskip(NEXT) | instid1(VALU_DEP_3)
	v_lshrrev_b32_e32 v5, 8, v6
	v_cndmask_b32_e64 v1, v1, v32, s0
	v_cmp_gt_u32_e64 s0, s21, v4
	s_delay_alu instid0(VALU_DEP_3) | instskip(NEXT) | instid1(VALU_DEP_3)
	v_lshlrev_b16 v5, 8, v5
	v_cndmask_b32_e64 v1, v1, v32, s3
	v_cmp_gt_u32_e64 s3, s21, v2
	s_delay_alu instid0(VALU_DEP_4) | instskip(NEXT) | instid1(VALU_DEP_3)
	v_cndmask_b32_e64 v3, v3, v33, s0
	v_cndmask_b32_e64 v1, v1, v32, s0
	s_or_b32 s0, s1, vcc_lo
	s_delay_alu instid0(VALU_DEP_3) | instid1(SALU_CYCLE_1)
	s_or_b32 vcc_lo, s0, s3
	s_delay_alu instid0(VALU_DEP_1) | instskip(NEXT) | instid1(VALU_DEP_1)
	v_dual_cndmask_b32 v1, v1, v32 :: v_dual_and_b32 v2, 0xffffff, v3
	v_dual_cndmask_b32 v33, v2, v33 :: v_dual_and_b32 v4, 0xff, v6
	s_delay_alu instid0(VALU_DEP_2) | instskip(NEXT) | instid1(VALU_DEP_2)
	v_perm_b32 v32, v1, v1, 0x3020104
	v_or_b32_e32 v3, v4, v5
	s_delay_alu instid0(VALU_DEP_1) | instskip(NEXT) | instid1(VALU_DEP_1)
	v_and_b32_e32 v2, 0xffff, v3
	v_and_or_b32 v19, 0xff0000, v6, v2
.LBB931_79:
	s_delay_alu instid0(VALU_DEP_1)
	v_and_b32_e32 v47, 0xff, v32
	v_bfe_u32 v48, v32, 8, 8
	v_alignbit_b32 v1, v33, v32, 24
	v_bfe_u32 v49, v32, 16, 8
	v_and_b32_e32 v50, 0xff, v33
	v_bfe_u32 v52, v33, 8, 8
	v_bfe_u32 v53, v33, 16, 8
	v_and_b32_e32 v51, 0xff, v1
	v_add3_u32 v1, v48, v47, v49
	v_lshrrev_b32_e32 v45, 24, v33
	v_mbcnt_lo_u32_b32 v56, -1, 0
	v_and_b32_e32 v54, 0xff, v19
	v_bfe_u32 v55, v19, 8, 8
	v_add3_u32 v1, v1, v51, v50
	v_bfe_u32 v3, v19, 16, 8
	v_and_b32_e32 v2, 15, v56
	v_or_b32_e32 v4, 31, v0
	v_and_b32_e32 v5, 16, v56
	v_add3_u32 v1, v1, v52, v53
	v_lshrrev_b32_e32 v57, 5, v0
	v_cmp_eq_u32_e64 s6, 0, v2
	v_cmp_lt_u32_e64 s5, 1, v2
	v_cmp_lt_u32_e64 s4, 3, v2
	v_add3_u32 v1, v1, v45, v54
	v_cmp_lt_u32_e64 s3, 7, v2
	v_cmp_eq_u32_e64 s1, 0, v5
	v_cmp_eq_u32_e64 s0, v4, v0
	s_and_b32 vcc_lo, exec_lo, s23
	v_add3_u32 v58, v1, v55, v3
	s_mov_b32 s7, -1
	s_waitcnt vmcnt(0) lgkmcnt(0)
	s_barrier
	buffer_gl0_inv
	s_cbranch_vccz .LBB931_110
; %bb.80:
	v_mov_b32_dpp v1, v58 row_shr:1 row_mask:0xf bank_mask:0xf
	s_delay_alu instid0(VALU_DEP_1) | instskip(NEXT) | instid1(VALU_DEP_1)
	v_cndmask_b32_e64 v1, v1, 0, s6
	v_add_nc_u32_e32 v1, v1, v58
	s_delay_alu instid0(VALU_DEP_1) | instskip(NEXT) | instid1(VALU_DEP_1)
	v_mov_b32_dpp v2, v1 row_shr:2 row_mask:0xf bank_mask:0xf
	v_cndmask_b32_e64 v2, 0, v2, s5
	s_delay_alu instid0(VALU_DEP_1) | instskip(NEXT) | instid1(VALU_DEP_1)
	v_add_nc_u32_e32 v1, v1, v2
	v_mov_b32_dpp v2, v1 row_shr:4 row_mask:0xf bank_mask:0xf
	s_delay_alu instid0(VALU_DEP_1) | instskip(NEXT) | instid1(VALU_DEP_1)
	v_cndmask_b32_e64 v2, 0, v2, s4
	v_add_nc_u32_e32 v1, v1, v2
	s_delay_alu instid0(VALU_DEP_1) | instskip(NEXT) | instid1(VALU_DEP_1)
	v_mov_b32_dpp v2, v1 row_shr:8 row_mask:0xf bank_mask:0xf
	v_cndmask_b32_e64 v2, 0, v2, s3
	s_delay_alu instid0(VALU_DEP_1) | instskip(SKIP_3) | instid1(VALU_DEP_1)
	v_add_nc_u32_e32 v1, v1, v2
	ds_swizzle_b32 v2, v1 offset:swizzle(BROADCAST,32,15)
	s_waitcnt lgkmcnt(0)
	v_cndmask_b32_e64 v2, v2, 0, s1
	v_add_nc_u32_e32 v1, v1, v2
	s_and_saveexec_b32 s7, s0
	s_cbranch_execz .LBB931_82
; %bb.81:
	v_lshlrev_b32_e32 v2, 2, v57
	ds_store_b32 v2, v1
.LBB931_82:
	s_or_b32 exec_lo, exec_lo, s7
	s_delay_alu instid0(SALU_CYCLE_1)
	s_mov_b32 s7, exec_lo
	s_waitcnt lgkmcnt(0)
	s_barrier
	buffer_gl0_inv
	v_cmpx_gt_u32_e32 4, v0
	s_cbranch_execz .LBB931_84
; %bb.83:
	v_and_b32_e32 v4, 3, v56
	s_delay_alu instid0(VALU_DEP_1) | instskip(SKIP_4) | instid1(VALU_DEP_1)
	v_cmp_ne_u32_e32 vcc_lo, 0, v4
	v_lshlrev_b32_e32 v2, 2, v0
	ds_load_b32 v3, v2
	s_waitcnt lgkmcnt(0)
	v_mov_b32_dpp v5, v3 row_shr:1 row_mask:0xf bank_mask:0xf
	v_cndmask_b32_e32 v5, 0, v5, vcc_lo
	v_cmp_lt_u32_e32 vcc_lo, 1, v4
	s_delay_alu instid0(VALU_DEP_2) | instskip(NEXT) | instid1(VALU_DEP_1)
	v_add_nc_u32_e32 v3, v5, v3
	v_mov_b32_dpp v5, v3 row_shr:2 row_mask:0xf bank_mask:0xf
	s_delay_alu instid0(VALU_DEP_1) | instskip(NEXT) | instid1(VALU_DEP_1)
	v_cndmask_b32_e32 v4, 0, v5, vcc_lo
	v_add_nc_u32_e32 v3, v3, v4
	ds_store_b32 v2, v3
.LBB931_84:
	s_or_b32 exec_lo, exec_lo, s7
	v_cmp_gt_u32_e32 vcc_lo, 32, v0
	s_mov_b32 s8, exec_lo
	s_waitcnt lgkmcnt(0)
	s_barrier
	buffer_gl0_inv
                                        ; implicit-def: $vgpr9
	v_cmpx_lt_u32_e32 31, v0
	s_cbranch_execz .LBB931_86
; %bb.85:
	v_lshl_add_u32 v2, v57, 2, -4
	ds_load_b32 v9, v2
	s_waitcnt lgkmcnt(0)
	v_add_nc_u32_e32 v1, v9, v1
.LBB931_86:
	s_or_b32 exec_lo, exec_lo, s8
	v_add_nc_u32_e32 v2, -1, v56
	s_delay_alu instid0(VALU_DEP_1) | instskip(NEXT) | instid1(VALU_DEP_1)
	v_cmp_gt_i32_e64 s7, 0, v2
	v_cndmask_b32_e64 v2, v2, v56, s7
	v_cmp_eq_u32_e64 s7, 0, v56
	s_delay_alu instid0(VALU_DEP_2)
	v_lshlrev_b32_e32 v2, 2, v2
	ds_bpermute_b32 v10, v2, v1
	s_and_saveexec_b32 s8, vcc_lo
	s_cbranch_execz .LBB931_109
; %bb.87:
	v_mov_b32_e32 v5, 0
	ds_load_b32 v1, v5 offset:12
	s_and_saveexec_b32 s9, s7
	s_cbranch_execz .LBB931_89
; %bb.88:
	s_add_i32 s10, s20, 32
	s_mov_b32 s11, 0
	v_mov_b32_e32 v2, 1
	s_lshl_b64 s[10:11], s[10:11], 3
	s_delay_alu instid0(SALU_CYCLE_1)
	s_add_u32 s10, s18, s10
	s_addc_u32 s11, s19, s11
	s_waitcnt lgkmcnt(0)
	global_store_b64 v5, v[1:2], s[10:11]
.LBB931_89:
	s_or_b32 exec_lo, exec_lo, s9
	v_xad_u32 v3, v56, -1, s20
	s_mov_b32 s10, 0
	s_mov_b32 s9, exec_lo
	s_delay_alu instid0(VALU_DEP_1) | instskip(NEXT) | instid1(VALU_DEP_1)
	v_add_nc_u32_e32 v4, 32, v3
	v_lshlrev_b64 v[4:5], 3, v[4:5]
	s_delay_alu instid0(VALU_DEP_1) | instskip(NEXT) | instid1(VALU_DEP_2)
	v_add_co_u32 v7, vcc_lo, s18, v4
	v_add_co_ci_u32_e32 v8, vcc_lo, s19, v5, vcc_lo
	global_load_b64 v[5:6], v[7:8], off glc
	s_waitcnt vmcnt(0)
	v_and_b32_e32 v2, 0xff, v6
	s_delay_alu instid0(VALU_DEP_1)
	v_cmpx_eq_u16_e32 0, v2
	s_cbranch_execz .LBB931_95
; %bb.90:
	s_mov_b32 s11, 1
	.p2align	6
.LBB931_91:                             ; =>This Loop Header: Depth=1
                                        ;     Child Loop BB931_92 Depth 2
	s_delay_alu instid0(SALU_CYCLE_1)
	s_max_u32 s21, s11, 1
.LBB931_92:                             ;   Parent Loop BB931_91 Depth=1
                                        ; =>  This Inner Loop Header: Depth=2
	s_delay_alu instid0(SALU_CYCLE_1)
	s_add_i32 s21, s21, -1
	s_sleep 1
	s_cmp_eq_u32 s21, 0
	s_cbranch_scc0 .LBB931_92
; %bb.93:                               ;   in Loop: Header=BB931_91 Depth=1
	global_load_b64 v[5:6], v[7:8], off glc
	s_cmp_lt_u32 s11, 32
	s_cselect_b32 s21, -1, 0
	s_delay_alu instid0(SALU_CYCLE_1) | instskip(SKIP_3) | instid1(VALU_DEP_1)
	s_cmp_lg_u32 s21, 0
	s_addc_u32 s11, s11, 0
	s_waitcnt vmcnt(0)
	v_and_b32_e32 v2, 0xff, v6
	v_cmp_ne_u16_e32 vcc_lo, 0, v2
	s_or_b32 s10, vcc_lo, s10
	s_delay_alu instid0(SALU_CYCLE_1)
	s_and_not1_b32 exec_lo, exec_lo, s10
	s_cbranch_execnz .LBB931_91
; %bb.94:
	s_or_b32 exec_lo, exec_lo, s10
.LBB931_95:
	s_delay_alu instid0(SALU_CYCLE_1)
	s_or_b32 exec_lo, exec_lo, s9
	v_cmp_ne_u32_e32 vcc_lo, 31, v56
	v_lshlrev_b32_e64 v12, v56, -1
	v_add_nc_u32_e32 v18, 2, v56
	v_add_nc_u32_e32 v36, 4, v56
	;; [unrolled: 1-line block ×3, first 2 shown]
	v_add_co_ci_u32_e32 v2, vcc_lo, 0, v56, vcc_lo
	v_add_nc_u32_e32 v61, 16, v56
	s_delay_alu instid0(VALU_DEP_2)
	v_lshlrev_b32_e32 v11, 2, v2
	v_and_b32_e32 v2, 0xff, v6
	ds_bpermute_b32 v4, v11, v5
	v_cmp_eq_u16_e32 vcc_lo, 2, v2
	v_and_or_b32 v2, vcc_lo, v12, 0x80000000
	v_cmp_gt_u32_e32 vcc_lo, 30, v56
	s_delay_alu instid0(VALU_DEP_2) | instskip(SKIP_1) | instid1(VALU_DEP_2)
	v_ctz_i32_b32_e32 v2, v2
	v_cndmask_b32_e64 v7, 0, 1, vcc_lo
	v_cmp_lt_u32_e32 vcc_lo, v56, v2
	s_waitcnt lgkmcnt(0)
	s_delay_alu instid0(VALU_DEP_2) | instskip(NEXT) | instid1(VALU_DEP_1)
	v_dual_cndmask_b32 v4, 0, v4 :: v_dual_lshlrev_b32 v7, 1, v7
	v_add_lshl_u32 v17, v7, v56, 2
	v_cmp_gt_u32_e32 vcc_lo, 28, v56
	s_delay_alu instid0(VALU_DEP_3) | instskip(SKIP_4) | instid1(VALU_DEP_1)
	v_add_nc_u32_e32 v4, v4, v5
	v_cndmask_b32_e64 v7, 0, 1, vcc_lo
	v_cmp_le_u32_e32 vcc_lo, v18, v2
	ds_bpermute_b32 v5, v17, v4
	v_lshlrev_b32_e32 v7, 2, v7
	v_add_lshl_u32 v34, v7, v56, 2
	s_waitcnt lgkmcnt(0)
	v_cndmask_b32_e32 v5, 0, v5, vcc_lo
	v_cmp_gt_u32_e32 vcc_lo, 24, v56
	s_delay_alu instid0(VALU_DEP_2) | instskip(SKIP_4) | instid1(VALU_DEP_1)
	v_add_nc_u32_e32 v4, v4, v5
	v_cndmask_b32_e64 v7, 0, 1, vcc_lo
	v_cmp_le_u32_e32 vcc_lo, v36, v2
	ds_bpermute_b32 v5, v34, v4
	v_lshlrev_b32_e32 v7, 3, v7
	v_add_lshl_u32 v37, v7, v56, 2
	s_waitcnt lgkmcnt(0)
	v_cndmask_b32_e32 v5, 0, v5, vcc_lo
	v_cmp_gt_u32_e32 vcc_lo, 16, v56
	s_delay_alu instid0(VALU_DEP_2) | instskip(SKIP_4) | instid1(VALU_DEP_1)
	v_add_nc_u32_e32 v4, v4, v5
	v_cndmask_b32_e64 v7, 0, 1, vcc_lo
	v_cmp_le_u32_e32 vcc_lo, v59, v2
	ds_bpermute_b32 v5, v37, v4
	v_lshlrev_b32_e32 v7, 4, v7
	v_add_lshl_u32 v60, v7, v56, 2
	s_waitcnt lgkmcnt(0)
	v_cndmask_b32_e32 v5, 0, v5, vcc_lo
	v_cmp_le_u32_e32 vcc_lo, v61, v2
	s_delay_alu instid0(VALU_DEP_2) | instskip(SKIP_3) | instid1(VALU_DEP_1)
	v_add_nc_u32_e32 v4, v4, v5
	ds_bpermute_b32 v5, v60, v4
	s_waitcnt lgkmcnt(0)
	v_cndmask_b32_e32 v2, 0, v5, vcc_lo
	v_dual_mov_b32 v4, 0 :: v_dual_add_nc_u32 v5, v4, v2
	s_branch .LBB931_97
.LBB931_96:                             ;   in Loop: Header=BB931_97 Depth=1
	s_or_b32 exec_lo, exec_lo, s9
	ds_bpermute_b32 v8, v11, v5
	v_and_b32_e32 v7, 0xff, v6
	v_subrev_nc_u32_e32 v3, 32, v3
	s_delay_alu instid0(VALU_DEP_2) | instskip(SKIP_1) | instid1(VALU_DEP_1)
	v_cmp_eq_u16_e32 vcc_lo, 2, v7
	v_and_or_b32 v7, vcc_lo, v12, 0x80000000
	v_ctz_i32_b32_e32 v7, v7
	s_delay_alu instid0(VALU_DEP_1) | instskip(SKIP_3) | instid1(VALU_DEP_2)
	v_cmp_lt_u32_e32 vcc_lo, v56, v7
	s_waitcnt lgkmcnt(0)
	v_cndmask_b32_e32 v8, 0, v8, vcc_lo
	v_cmp_le_u32_e32 vcc_lo, v18, v7
	v_add_nc_u32_e32 v5, v8, v5
	ds_bpermute_b32 v8, v17, v5
	s_waitcnt lgkmcnt(0)
	v_cndmask_b32_e32 v8, 0, v8, vcc_lo
	v_cmp_le_u32_e32 vcc_lo, v36, v7
	s_delay_alu instid0(VALU_DEP_2) | instskip(SKIP_4) | instid1(VALU_DEP_2)
	v_add_nc_u32_e32 v5, v5, v8
	ds_bpermute_b32 v8, v34, v5
	s_waitcnt lgkmcnt(0)
	v_cndmask_b32_e32 v8, 0, v8, vcc_lo
	v_cmp_le_u32_e32 vcc_lo, v59, v7
	v_add_nc_u32_e32 v5, v5, v8
	ds_bpermute_b32 v8, v37, v5
	s_waitcnt lgkmcnt(0)
	v_cndmask_b32_e32 v8, 0, v8, vcc_lo
	v_cmp_le_u32_e32 vcc_lo, v61, v7
	s_delay_alu instid0(VALU_DEP_2) | instskip(SKIP_3) | instid1(VALU_DEP_1)
	v_add_nc_u32_e32 v5, v5, v8
	ds_bpermute_b32 v8, v60, v5
	s_waitcnt lgkmcnt(0)
	v_cndmask_b32_e32 v7, 0, v8, vcc_lo
	v_add3_u32 v5, v7, v2, v5
.LBB931_97:                             ; =>This Loop Header: Depth=1
                                        ;     Child Loop BB931_100 Depth 2
                                        ;       Child Loop BB931_101 Depth 3
	v_and_b32_e32 v2, 0xff, v6
	s_delay_alu instid0(VALU_DEP_1) | instskip(SKIP_2) | instid1(VALU_DEP_1)
	v_cmp_ne_u16_e32 vcc_lo, 2, v2
	v_cndmask_b32_e64 v2, 0, 1, vcc_lo
	;;#ASMSTART
	;;#ASMEND
	v_cmp_ne_u32_e32 vcc_lo, 0, v2
	v_mov_b32_e32 v2, v5
	s_cmp_lg_u32 vcc_lo, exec_lo
	s_cbranch_scc1 .LBB931_104
; %bb.98:                               ;   in Loop: Header=BB931_97 Depth=1
	v_lshlrev_b64 v[5:6], 3, v[3:4]
	s_mov_b32 s9, exec_lo
	s_delay_alu instid0(VALU_DEP_1) | instskip(NEXT) | instid1(VALU_DEP_2)
	v_add_co_u32 v7, vcc_lo, s18, v5
	v_add_co_ci_u32_e32 v8, vcc_lo, s19, v6, vcc_lo
	global_load_b64 v[5:6], v[7:8], off glc
	s_waitcnt vmcnt(0)
	v_and_b32_e32 v62, 0xff, v6
	s_delay_alu instid0(VALU_DEP_1)
	v_cmpx_eq_u16_e32 0, v62
	s_cbranch_execz .LBB931_96
; %bb.99:                               ;   in Loop: Header=BB931_97 Depth=1
	s_mov_b32 s11, 1
	s_mov_b32 s10, 0
	.p2align	6
.LBB931_100:                            ;   Parent Loop BB931_97 Depth=1
                                        ; =>  This Loop Header: Depth=2
                                        ;       Child Loop BB931_101 Depth 3
	s_max_u32 s21, s11, 1
.LBB931_101:                            ;   Parent Loop BB931_97 Depth=1
                                        ;     Parent Loop BB931_100 Depth=2
                                        ; =>    This Inner Loop Header: Depth=3
	s_delay_alu instid0(SALU_CYCLE_1)
	s_add_i32 s21, s21, -1
	s_sleep 1
	s_cmp_eq_u32 s21, 0
	s_cbranch_scc0 .LBB931_101
; %bb.102:                              ;   in Loop: Header=BB931_100 Depth=2
	global_load_b64 v[5:6], v[7:8], off glc
	s_cmp_lt_u32 s11, 32
	s_cselect_b32 s21, -1, 0
	s_delay_alu instid0(SALU_CYCLE_1) | instskip(SKIP_3) | instid1(VALU_DEP_1)
	s_cmp_lg_u32 s21, 0
	s_addc_u32 s11, s11, 0
	s_waitcnt vmcnt(0)
	v_and_b32_e32 v62, 0xff, v6
	v_cmp_ne_u16_e32 vcc_lo, 0, v62
	s_or_b32 s10, vcc_lo, s10
	s_delay_alu instid0(SALU_CYCLE_1)
	s_and_not1_b32 exec_lo, exec_lo, s10
	s_cbranch_execnz .LBB931_100
; %bb.103:                              ;   in Loop: Header=BB931_97 Depth=1
	s_or_b32 exec_lo, exec_lo, s10
	s_branch .LBB931_96
.LBB931_104:                            ;   in Loop: Header=BB931_97 Depth=1
                                        ; implicit-def: $vgpr5
                                        ; implicit-def: $vgpr6
	s_cbranch_execz .LBB931_97
; %bb.105:
	s_and_saveexec_b32 s9, s7
	s_cbranch_execz .LBB931_107
; %bb.106:
	s_add_i32 s10, s20, 32
	s_mov_b32 s11, 0
	v_dual_mov_b32 v4, 2 :: v_dual_add_nc_u32 v3, v2, v1
	s_lshl_b64 s[10:11], s[10:11], 3
	v_mov_b32_e32 v5, 0
	s_add_u32 s10, s18, s10
	s_addc_u32 s11, s19, s11
	global_store_b64 v5, v[3:4], s[10:11]
	ds_store_b64 v5, v[1:2] offset:5632
.LBB931_107:
	s_or_b32 exec_lo, exec_lo, s9
	s_delay_alu instid0(SALU_CYCLE_1)
	s_and_b32 exec_lo, exec_lo, s2
	s_cbranch_execz .LBB931_109
; %bb.108:
	v_mov_b32_e32 v1, 0
	ds_store_b32 v1, v2 offset:12
.LBB931_109:
	s_or_b32 exec_lo, exec_lo, s8
	s_waitcnt lgkmcnt(0)
	v_cndmask_b32_e64 v3, v10, v9, s7
	s_waitcnt_vscnt null, 0x0
	s_barrier
	buffer_gl0_inv
	v_cndmask_b32_e64 v3, v3, 0, s2
	v_mov_b32_e32 v1, 0
	ds_load_b32 v2, v1 offset:12
	s_waitcnt lgkmcnt(0)
	s_barrier
	buffer_gl0_inv
	v_add_nc_u32_e32 v2, v2, v3
	ds_load_b64 v[17:18], v1 offset:5632
	v_add_nc_u32_e32 v3, v2, v47
	s_delay_alu instid0(VALU_DEP_1) | instskip(SKIP_1) | instid1(VALU_DEP_1)
	v_add_nc_u32_e32 v4, v3, v48
	s_waitcnt lgkmcnt(0)
	v_dual_mov_b32 v34, v18 :: v_dual_add_nc_u32 v5, v4, v49
	s_delay_alu instid0(VALU_DEP_1) | instskip(NEXT) | instid1(VALU_DEP_1)
	v_add_nc_u32_e32 v6, v5, v51
	v_add_nc_u32_e32 v7, v6, v50
	s_delay_alu instid0(VALU_DEP_1) | instskip(NEXT) | instid1(VALU_DEP_1)
	v_add_nc_u32_e32 v8, v7, v52
	v_add_nc_u32_e32 v9, v8, v53
	;; [unrolled: 3-line block ×3, first 2 shown]
	s_delay_alu instid0(VALU_DEP_1)
	v_add_nc_u32_e32 v12, v11, v55
	v_lshrrev_b64 v[36:37], 24, v[32:33]
	s_branch .LBB931_120
.LBB931_110:
                                        ; implicit-def: $vgpr34
                                        ; implicit-def: $vgpr2_vgpr3_vgpr4_vgpr5_vgpr6_vgpr7_vgpr8_vgpr9_vgpr10_vgpr11_vgpr12
                                        ; implicit-def: $vgpr17
	v_lshrrev_b64 v[36:37], 24, v[32:33]
	s_and_b32 vcc_lo, exec_lo, s7
	s_cbranch_vccz .LBB931_120
; %bb.111:
	v_mov_b32_dpp v1, v58 row_shr:1 row_mask:0xf bank_mask:0xf
	s_delay_alu instid0(VALU_DEP_1) | instskip(NEXT) | instid1(VALU_DEP_1)
	v_cndmask_b32_e64 v1, v1, 0, s6
	v_add_nc_u32_e32 v1, v1, v58
	s_delay_alu instid0(VALU_DEP_1) | instskip(NEXT) | instid1(VALU_DEP_1)
	v_mov_b32_dpp v2, v1 row_shr:2 row_mask:0xf bank_mask:0xf
	v_cndmask_b32_e64 v2, 0, v2, s5
	s_delay_alu instid0(VALU_DEP_1) | instskip(NEXT) | instid1(VALU_DEP_1)
	v_add_nc_u32_e32 v1, v1, v2
	v_mov_b32_dpp v2, v1 row_shr:4 row_mask:0xf bank_mask:0xf
	s_delay_alu instid0(VALU_DEP_1) | instskip(NEXT) | instid1(VALU_DEP_1)
	v_cndmask_b32_e64 v2, 0, v2, s4
	v_add_nc_u32_e32 v1, v1, v2
	s_delay_alu instid0(VALU_DEP_1) | instskip(NEXT) | instid1(VALU_DEP_1)
	v_mov_b32_dpp v2, v1 row_shr:8 row_mask:0xf bank_mask:0xf
	v_cndmask_b32_e64 v2, 0, v2, s3
	s_delay_alu instid0(VALU_DEP_1) | instskip(SKIP_3) | instid1(VALU_DEP_1)
	v_add_nc_u32_e32 v1, v1, v2
	ds_swizzle_b32 v2, v1 offset:swizzle(BROADCAST,32,15)
	s_waitcnt lgkmcnt(0)
	v_cndmask_b32_e64 v2, v2, 0, s1
	v_add_nc_u32_e32 v1, v1, v2
	s_and_saveexec_b32 s1, s0
	s_cbranch_execz .LBB931_113
; %bb.112:
	v_lshlrev_b32_e32 v2, 2, v57
	ds_store_b32 v2, v1
.LBB931_113:
	s_or_b32 exec_lo, exec_lo, s1
	s_delay_alu instid0(SALU_CYCLE_1)
	s_mov_b32 s0, exec_lo
	s_waitcnt lgkmcnt(0)
	s_barrier
	buffer_gl0_inv
	v_cmpx_gt_u32_e32 4, v0
	s_cbranch_execz .LBB931_115
; %bb.114:
	v_mad_i32_i24 v2, 0xffffffd8, v0, v46
	ds_load_b32 v3, v2
	s_waitcnt lgkmcnt(0)
	v_mov_b32_dpp v5, v3 row_shr:1 row_mask:0xf bank_mask:0xf
	v_and_b32_e32 v4, 3, v56
	s_delay_alu instid0(VALU_DEP_1) | instskip(NEXT) | instid1(VALU_DEP_3)
	v_cmp_ne_u32_e32 vcc_lo, 0, v4
	v_cndmask_b32_e32 v5, 0, v5, vcc_lo
	v_cmp_lt_u32_e32 vcc_lo, 1, v4
	s_delay_alu instid0(VALU_DEP_2) | instskip(NEXT) | instid1(VALU_DEP_1)
	v_add_nc_u32_e32 v3, v5, v3
	v_mov_b32_dpp v5, v3 row_shr:2 row_mask:0xf bank_mask:0xf
	s_delay_alu instid0(VALU_DEP_1) | instskip(NEXT) | instid1(VALU_DEP_1)
	v_cndmask_b32_e32 v4, 0, v5, vcc_lo
	v_add_nc_u32_e32 v3, v3, v4
	ds_store_b32 v2, v3
.LBB931_115:
	s_or_b32 exec_lo, exec_lo, s0
	v_dual_mov_b32 v3, 0 :: v_dual_mov_b32 v2, 0
	s_mov_b32 s0, exec_lo
	s_waitcnt lgkmcnt(0)
	s_barrier
	buffer_gl0_inv
	v_cmpx_lt_u32_e32 31, v0
	s_cbranch_execz .LBB931_117
; %bb.116:
	v_lshl_add_u32 v2, v57, 2, -4
	ds_load_b32 v2, v2
.LBB931_117:
	s_or_b32 exec_lo, exec_lo, s0
	v_add_nc_u32_e32 v4, -1, v56
	ds_load_b32 v17, v3 offset:12
	s_waitcnt lgkmcnt(1)
	v_add_nc_u32_e32 v1, v2, v1
	v_cmp_gt_i32_e32 vcc_lo, 0, v4
	v_cndmask_b32_e32 v4, v4, v56, vcc_lo
	s_delay_alu instid0(VALU_DEP_1)
	v_lshlrev_b32_e32 v4, 2, v4
	ds_bpermute_b32 v1, v4, v1
	s_and_saveexec_b32 s0, s2
	s_cbranch_execz .LBB931_119
; %bb.118:
	v_dual_mov_b32 v3, 0 :: v_dual_mov_b32 v18, 2
	s_waitcnt lgkmcnt(1)
	global_store_b64 v3, v[17:18], s[18:19] offset:256
.LBB931_119:
	s_or_b32 exec_lo, exec_lo, s0
	v_cmp_eq_u32_e32 vcc_lo, 0, v56
	s_waitcnt lgkmcnt(0)
	s_waitcnt_vscnt null, 0x0
	s_barrier
	buffer_gl0_inv
	v_dual_mov_b32 v34, 0 :: v_dual_cndmask_b32 v1, v1, v2
	s_delay_alu instid0(VALU_DEP_1) | instskip(NEXT) | instid1(VALU_DEP_1)
	v_cndmask_b32_e64 v2, v1, 0, s2
	v_add_nc_u32_e32 v3, v2, v47
	s_delay_alu instid0(VALU_DEP_1) | instskip(NEXT) | instid1(VALU_DEP_1)
	v_add_nc_u32_e32 v4, v3, v48
	v_add_nc_u32_e32 v5, v4, v49
	s_delay_alu instid0(VALU_DEP_1) | instskip(NEXT) | instid1(VALU_DEP_1)
	v_add_nc_u32_e32 v6, v5, v51
	;; [unrolled: 3-line block ×4, first 2 shown]
	v_add_nc_u32_e32 v11, v10, v54
	s_delay_alu instid0(VALU_DEP_1)
	v_add_nc_u32_e32 v12, v11, v55
.LBB931_120:
	v_cmp_gt_u32_e32 vcc_lo, 0x81, v17
	v_lshrrev_b32_e32 v18, 16, v19
	v_lshrrev_b32_e32 v48, 16, v32
	;; [unrolled: 1-line block ×6, first 2 shown]
	v_cmp_lt_u32_e64 s0, 0x80, v17
	s_mov_b32 s1, -1
	s_cbranch_vccz .LBB931_155
; %bb.121:
	v_lshlrev_b64 v[52:53], 1, v[20:21]
	v_add_nc_u32_e32 v51, v34, v17
	s_delay_alu instid0(VALU_DEP_1) | instskip(NEXT) | instid1(VALU_DEP_3)
	v_cmp_lt_u32_e32 vcc_lo, v2, v51
	v_add_co_u32 v1, s1, s16, v52
	s_delay_alu instid0(VALU_DEP_1) | instskip(SKIP_1) | instid1(SALU_CYCLE_1)
	v_add_co_ci_u32_e64 v50, s1, s17, v53, s1
	s_or_b32 s3, s15, vcc_lo
	s_and_saveexec_b32 s1, s3
	s_cbranch_execz .LBB931_124
; %bb.122:
	v_and_b32_e32 v52, 1, v32
	s_delay_alu instid0(VALU_DEP_1)
	v_cmp_eq_u32_e32 vcc_lo, 1, v52
	s_and_b32 exec_lo, exec_lo, vcc_lo
	s_cbranch_execz .LBB931_124
; %bb.123:
	v_dual_mov_b32 v53, 0 :: v_dual_mov_b32 v52, v2
	s_delay_alu instid0(VALU_DEP_1) | instskip(NEXT) | instid1(VALU_DEP_1)
	v_lshlrev_b64 v[52:53], 1, v[52:53]
	v_add_co_u32 v52, vcc_lo, v1, v52
	s_delay_alu instid0(VALU_DEP_2)
	v_add_co_ci_u32_e32 v53, vcc_lo, v50, v53, vcc_lo
	global_store_b16 v[52:53], v13, off
.LBB931_124:
	s_or_b32 exec_lo, exec_lo, s1
	v_cmp_lt_u32_e32 vcc_lo, v3, v51
	s_or_b32 s3, s15, vcc_lo
	s_delay_alu instid0(SALU_CYCLE_1)
	s_and_saveexec_b32 s1, s3
	s_cbranch_execz .LBB931_127
; %bb.125:
	v_and_b32_e32 v52, 1, v49
	s_delay_alu instid0(VALU_DEP_1)
	v_cmp_eq_u32_e32 vcc_lo, 1, v52
	s_and_b32 exec_lo, exec_lo, vcc_lo
	s_cbranch_execz .LBB931_127
; %bb.126:
	v_dual_mov_b32 v53, 0 :: v_dual_mov_b32 v52, v3
	s_delay_alu instid0(VALU_DEP_1) | instskip(NEXT) | instid1(VALU_DEP_1)
	v_lshlrev_b64 v[52:53], 1, v[52:53]
	v_add_co_u32 v52, vcc_lo, v1, v52
	s_delay_alu instid0(VALU_DEP_2)
	v_add_co_ci_u32_e32 v53, vcc_lo, v50, v53, vcc_lo
	global_store_b16 v[52:53], v44, off
.LBB931_127:
	s_or_b32 exec_lo, exec_lo, s1
	v_cmp_lt_u32_e32 vcc_lo, v4, v51
	s_or_b32 s3, s15, vcc_lo
	s_delay_alu instid0(SALU_CYCLE_1)
	;; [unrolled: 21-line block ×10, first 2 shown]
	s_and_saveexec_b32 s1, s3
	s_cbranch_execz .LBB931_154
; %bb.152:
	v_and_b32_e32 v51, 1, v18
	s_delay_alu instid0(VALU_DEP_1)
	v_cmp_eq_u32_e32 vcc_lo, 1, v51
	s_and_b32 exec_lo, exec_lo, vcc_lo
	s_cbranch_execz .LBB931_154
; %bb.153:
	v_dual_mov_b32 v52, 0 :: v_dual_mov_b32 v51, v12
	s_delay_alu instid0(VALU_DEP_1) | instskip(NEXT) | instid1(VALU_DEP_1)
	v_lshlrev_b64 v[51:52], 1, v[51:52]
	v_add_co_u32 v51, vcc_lo, v1, v51
	s_delay_alu instid0(VALU_DEP_2)
	v_add_co_ci_u32_e32 v52, vcc_lo, v50, v52, vcc_lo
	global_store_b16 v[51:52], v35, off
.LBB931_154:
	s_or_b32 exec_lo, exec_lo, s1
	s_mov_b32 s1, 0
.LBB931_155:
	v_and_b32_e32 v32, 1, v32
	s_and_b32 vcc_lo, exec_lo, s1
	s_delay_alu instid0(VALU_DEP_1)
	v_cmp_eq_u32_e64 s1, 1, v32
	s_cbranch_vccz .LBB931_194
; %bb.156:
	s_delay_alu instid0(VALU_DEP_1)
	s_and_saveexec_b32 s3, s1
	s_cbranch_execz .LBB931_158
; %bb.157:
	v_sub_nc_u32_e32 v1, v2, v34
	s_delay_alu instid0(VALU_DEP_1)
	v_lshlrev_b32_e32 v1, 1, v1
	ds_store_b16 v1, v13
.LBB931_158:
	s_or_b32 exec_lo, exec_lo, s3
	v_and_b32_e32 v1, 1, v49
	s_mov_b32 s1, exec_lo
	s_delay_alu instid0(VALU_DEP_1)
	v_cmpx_eq_u32_e32 1, v1
	s_cbranch_execz .LBB931_160
; %bb.159:
	v_sub_nc_u32_e32 v1, v3, v34
	s_delay_alu instid0(VALU_DEP_1)
	v_lshlrev_b32_e32 v1, 1, v1
	ds_store_b16 v1, v44
.LBB931_160:
	s_or_b32 exec_lo, exec_lo, s1
	v_and_b32_e32 v1, 1, v48
	s_mov_b32 s1, exec_lo
	s_delay_alu instid0(VALU_DEP_1)
	v_cmpx_eq_u32_e32 1, v1
	s_cbranch_execz .LBB931_162
; %bb.161:
	v_sub_nc_u32_e32 v1, v4, v34
	s_delay_alu instid0(VALU_DEP_1)
	v_lshlrev_b32_e32 v1, 1, v1
	ds_store_b16 v1, v14
.LBB931_162:
	s_or_b32 exec_lo, exec_lo, s1
	v_and_b32_e32 v1, 1, v36
	s_mov_b32 s1, exec_lo
	s_delay_alu instid0(VALU_DEP_1)
	v_cmpx_eq_u32_e32 1, v1
	s_cbranch_execz .LBB931_164
; %bb.163:
	v_sub_nc_u32_e32 v1, v5, v34
	s_delay_alu instid0(VALU_DEP_1)
	v_lshlrev_b32_e32 v1, 1, v1
	ds_store_b16 v1, v43
.LBB931_164:
	s_or_b32 exec_lo, exec_lo, s1
	v_and_b32_e32 v1, 1, v33
	s_mov_b32 s1, exec_lo
	s_delay_alu instid0(VALU_DEP_1)
	v_cmpx_eq_u32_e32 1, v1
	s_cbranch_execz .LBB931_166
; %bb.165:
	v_sub_nc_u32_e32 v1, v6, v34
	s_delay_alu instid0(VALU_DEP_1)
	v_lshlrev_b32_e32 v1, 1, v1
	ds_store_b16 v1, v15
.LBB931_166:
	s_or_b32 exec_lo, exec_lo, s1
	v_and_b32_e32 v1, 1, v47
	s_mov_b32 s1, exec_lo
	s_delay_alu instid0(VALU_DEP_1)
	v_cmpx_eq_u32_e32 1, v1
	s_cbranch_execz .LBB931_168
; %bb.167:
	v_sub_nc_u32_e32 v1, v7, v34
	s_delay_alu instid0(VALU_DEP_1)
	v_lshlrev_b32_e32 v1, 1, v1
	ds_store_b16 v1, v42
.LBB931_168:
	s_or_b32 exec_lo, exec_lo, s1
	v_and_b32_e32 v1, 1, v46
	s_mov_b32 s1, exec_lo
	s_delay_alu instid0(VALU_DEP_1)
	v_cmpx_eq_u32_e32 1, v1
	s_cbranch_execz .LBB931_170
; %bb.169:
	v_sub_nc_u32_e32 v1, v8, v34
	s_delay_alu instid0(VALU_DEP_1)
	v_lshlrev_b32_e32 v1, 1, v1
	ds_store_b16 v1, v16
.LBB931_170:
	s_or_b32 exec_lo, exec_lo, s1
	v_and_b32_e32 v1, 1, v45
	s_mov_b32 s1, exec_lo
	s_delay_alu instid0(VALU_DEP_1)
	v_cmpx_eq_u32_e32 1, v1
	s_cbranch_execz .LBB931_172
; %bb.171:
	v_sub_nc_u32_e32 v1, v9, v34
	s_delay_alu instid0(VALU_DEP_1)
	v_lshlrev_b32_e32 v1, 1, v1
	ds_store_b16 v1, v41
.LBB931_172:
	s_or_b32 exec_lo, exec_lo, s1
	v_and_b32_e32 v1, 1, v19
	s_mov_b32 s1, exec_lo
	s_delay_alu instid0(VALU_DEP_1)
	v_cmpx_eq_u32_e32 1, v1
	s_cbranch_execz .LBB931_174
; %bb.173:
	v_sub_nc_u32_e32 v1, v10, v34
	s_delay_alu instid0(VALU_DEP_1)
	v_lshlrev_b32_e32 v1, 1, v1
	ds_store_b16 v1, v40
.LBB931_174:
	s_or_b32 exec_lo, exec_lo, s1
	v_and_b32_e32 v1, 1, v37
	s_mov_b32 s1, exec_lo
	s_delay_alu instid0(VALU_DEP_1)
	v_cmpx_eq_u32_e32 1, v1
	s_cbranch_execz .LBB931_176
; %bb.175:
	v_sub_nc_u32_e32 v1, v11, v34
	s_delay_alu instid0(VALU_DEP_1)
	v_lshlrev_b32_e32 v1, 1, v1
	ds_store_b16 v1, v39
.LBB931_176:
	s_or_b32 exec_lo, exec_lo, s1
	v_and_b32_e32 v1, 1, v18
	s_mov_b32 s1, exec_lo
	s_delay_alu instid0(VALU_DEP_1)
	v_cmpx_eq_u32_e32 1, v1
	s_cbranch_execz .LBB931_178
; %bb.177:
	v_sub_nc_u32_e32 v1, v12, v34
	s_delay_alu instid0(VALU_DEP_1)
	v_lshlrev_b32_e32 v1, 1, v1
	ds_store_b16 v1, v35
.LBB931_178:
	s_or_b32 exec_lo, exec_lo, s1
	s_delay_alu instid0(SALU_CYCLE_1)
	s_mov_b32 s4, exec_lo
	s_waitcnt lgkmcnt(0)
	s_waitcnt_vscnt null, 0x0
	s_barrier
	buffer_gl0_inv
	v_cmpx_lt_u32_e64 v0, v17
	s_cbranch_execz .LBB931_193
; %bb.179:
	v_mov_b32_e32 v35, 0
	v_lshlrev_b64 v[13:14], 1, v[20:21]
	v_xad_u32 v1, v0, -1, v17
	s_mov_b32 s3, -1
	s_mov_b32 s5, exec_lo
	v_lshlrev_b64 v[15:16], 1, v[34:35]
	s_delay_alu instid0(VALU_DEP_3) | instskip(SKIP_1) | instid1(VALU_DEP_2)
	v_add_co_u32 v13, vcc_lo, s16, v13
	v_add_co_ci_u32_e32 v14, vcc_lo, s17, v14, vcc_lo
	v_add_co_u32 v35, vcc_lo, v13, v15
	s_delay_alu instid0(VALU_DEP_2)
	v_add_co_ci_u32_e32 v39, vcc_lo, v14, v16, vcc_lo
	v_cmp_gt_u32_e32 vcc_lo, 0xc80, v1
	v_cmpx_lt_u32_e32 0xc7f, v1
	s_cbranch_execz .LBB931_190
; %bb.180:
	v_sub_nc_u32_e32 v13, v0, v17
	s_mov_b32 s6, exec_lo
	s_delay_alu instid0(VALU_DEP_1) | instskip(NEXT) | instid1(VALU_DEP_1)
	v_or_b32_e32 v13, 0x7f, v13
	v_cmpx_ge_u32_e64 v13, v0
	s_cbranch_execz .LBB931_189
; %bb.181:
	v_lshrrev_b32_e32 v40, 7, v1
	v_or_b32_e32 v1, 0x80, v0
	v_dual_mov_b32 v50, 0 :: v_dual_lshlrev_b32 v41, 1, v0
	s_delay_alu instid0(VALU_DEP_3) | instskip(NEXT) | instid1(VALU_DEP_1)
	v_add_nc_u32_e32 v13, -1, v40
	v_lshrrev_b32_e32 v14, 1, v13
	v_cmp_lt_u32_e64 s1, 13, v13
	s_delay_alu instid0(VALU_DEP_2) | instskip(SKIP_1) | instid1(VALU_DEP_3)
	v_add_nc_u32_e32 v42, 1, v14
	v_dual_mov_b32 v14, v1 :: v_dual_mov_b32 v13, v0
	s_and_saveexec_b32 s3, s1
	s_cbranch_execz .LBB931_185
; %bb.182:
	s_delay_alu instid0(VALU_DEP_2)
	v_dual_mov_b32 v14, v1 :: v_dual_and_b32 v43, -8, v42
	v_mov_b32_e32 v16, 0
	v_dual_mov_b32 v44, v41 :: v_dual_mov_b32 v13, v0
	s_mov_b32 s7, 0
	s_mov_b32 s8, 0
.LBB931_183:                            ; =>This Inner Loop Header: Depth=1
	s_delay_alu instid0(VALU_DEP_1) | instskip(SKIP_2) | instid1(VALU_DEP_3)
	v_dual_mov_b32 v15, v13 :: v_dual_mov_b32 v52, v16
	v_add_nc_u32_e32 v43, -8, v43
	v_dual_mov_b32 v54, v16 :: v_dual_add_nc_u32 v51, 0x100, v14
	v_lshlrev_b64 v[65:66], 1, v[15:16]
	v_dual_mov_b32 v56, v16 :: v_dual_add_nc_u32 v53, 0x200, v14
	s_delay_alu instid0(VALU_DEP_4) | instskip(NEXT) | instid1(VALU_DEP_4)
	v_cmp_eq_u32_e64 s1, 0, v43
	v_lshlrev_b64 v[51:52], 1, v[51:52]
	v_dual_mov_b32 v58, v16 :: v_dual_add_nc_u32 v55, 0x300, v14
	s_add_i32 s8, s8, 16
	v_lshlrev_b64 v[53:54], 1, v[53:54]
	s_or_b32 s7, s1, s7
	v_add_co_u32 v65, s1, v35, v65
	v_dual_mov_b32 v60, v16 :: v_dual_add_nc_u32 v57, 0x400, v14
	v_add_co_ci_u32_e64 v66, s1, v39, v66, s1
	v_lshlrev_b64 v[55:56], 1, v[55:56]
	v_add_co_u32 v51, s1, v35, v51
	v_dual_mov_b32 v62, v16 :: v_dual_add_nc_u32 v59, 0x500, v14
	v_add_co_ci_u32_e64 v52, s1, v39, v52, s1
	v_lshlrev_b64 v[57:58], 1, v[57:58]
	;; [unrolled: 4-line block ×3, first 2 shown]
	v_add_co_u32 v55, s1, v35, v55
	v_dual_mov_b32 v50, s8 :: v_dual_add_nc_u32 v63, 0x700, v14
	ds_load_u16 v1, v44
	ds_load_u16 v71, v44 offset:256
	ds_load_u16 v72, v44 offset:512
	;; [unrolled: 1-line block ×15, first 2 shown]
	v_dual_mov_b32 v15, v14 :: v_dual_add_nc_u32 v44, 0x1000, v44
	v_add_co_ci_u32_e64 v56, s1, v39, v56, s1
	v_lshlrev_b64 v[61:62], 1, v[61:62]
	v_add_co_u32 v57, s1, v35, v57
	s_delay_alu instid0(VALU_DEP_1)
	v_add_co_ci_u32_e64 v58, s1, v39, v58, s1
	v_lshlrev_b64 v[63:64], 1, v[63:64]
	v_add_co_u32 v59, s1, v35, v59
	v_lshlrev_b64 v[67:68], 1, v[15:16]
	v_add_nc_u32_e32 v15, 0x100, v13
	v_add_co_ci_u32_e64 v60, s1, v39, v60, s1
	v_add_co_u32 v61, s1, v35, v61
	s_delay_alu instid0(VALU_DEP_1)
	v_add_co_ci_u32_e64 v62, s1, v39, v62, s1
	v_add_co_u32 v63, s1, v35, v63
	v_lshlrev_b64 v[69:70], 1, v[15:16]
	v_add_nc_u32_e32 v15, 0x200, v13
	v_add_co_ci_u32_e64 v64, s1, v39, v64, s1
	v_add_co_u32 v67, s1, v35, v67
	s_delay_alu instid0(VALU_DEP_1)
	v_add_co_ci_u32_e64 v68, s1, v39, v68, s1
	s_waitcnt lgkmcnt(15)
	global_store_b16 v[65:66], v1, off
	v_lshlrev_b64 v[65:66], 1, v[15:16]
	v_add_nc_u32_e32 v15, 0x300, v13
	v_add_co_u32 v69, s1, v35, v69
	s_delay_alu instid0(VALU_DEP_1)
	v_add_co_ci_u32_e64 v70, s1, v39, v70, s1
	s_waitcnt lgkmcnt(14)
	global_store_b16 v[67:68], v71, off
	v_lshlrev_b64 v[67:68], 1, v[15:16]
	v_add_nc_u32_e32 v15, 0x400, v13
	s_waitcnt lgkmcnt(13)
	global_store_b16 v[69:70], v72, off
	s_waitcnt lgkmcnt(12)
	global_store_b16 v[51:52], v73, off
	v_add_co_u32 v51, s1, v35, v65
	s_delay_alu instid0(VALU_DEP_1) | instskip(SKIP_3) | instid1(VALU_DEP_1)
	v_add_co_ci_u32_e64 v52, s1, v39, v66, s1
	v_lshlrev_b64 v[65:66], 1, v[15:16]
	v_add_nc_u32_e32 v15, 0x500, v13
	v_add_co_u32 v67, s1, v35, v67
	v_add_co_ci_u32_e64 v68, s1, v39, v68, s1
	s_waitcnt lgkmcnt(11)
	global_store_b16 v[51:52], v74, off
	s_waitcnt lgkmcnt(10)
	global_store_b16 v[53:54], v75, off
	v_lshlrev_b64 v[51:52], 1, v[15:16]
	v_add_nc_u32_e32 v15, 0x600, v13
	v_add_co_u32 v53, s1, v35, v65
	s_waitcnt lgkmcnt(9)
	global_store_b16 v[67:68], v76, off
	s_waitcnt lgkmcnt(8)
	global_store_b16 v[55:56], v77, off
	v_add_co_ci_u32_e64 v54, s1, v39, v66, s1
	v_lshlrev_b64 v[55:56], 1, v[15:16]
	v_add_nc_u32_e32 v15, 0x700, v13
	v_add_co_u32 v51, s1, v35, v51
	s_delay_alu instid0(VALU_DEP_1)
	v_add_co_ci_u32_e64 v52, s1, v39, v52, s1
	s_waitcnt lgkmcnt(7)
	global_store_b16 v[53:54], v78, off
	s_waitcnt lgkmcnt(6)
	global_store_b16 v[57:58], v79, off
	v_lshlrev_b64 v[53:54], 1, v[15:16]
	v_add_nc_u32_e32 v14, 0x800, v14
	s_waitcnt lgkmcnt(5)
	global_store_b16 v[51:52], v80, off
	v_add_co_u32 v51, s1, v35, v55
	v_add_nc_u32_e32 v13, 0x800, v13
	v_add_co_ci_u32_e64 v52, s1, v39, v56, s1
	v_add_co_u32 v53, s1, v35, v53
	s_delay_alu instid0(VALU_DEP_1)
	v_add_co_ci_u32_e64 v54, s1, v39, v54, s1
	s_waitcnt lgkmcnt(4)
	global_store_b16 v[59:60], v81, off
	s_waitcnt lgkmcnt(3)
	global_store_b16 v[51:52], v82, off
	;; [unrolled: 2-line block ×5, first 2 shown]
	s_and_not1_b32 exec_lo, exec_lo, s7
	s_cbranch_execnz .LBB931_183
; %bb.184:
	s_or_b32 exec_lo, exec_lo, s7
.LBB931_185:
	s_delay_alu instid0(SALU_CYCLE_1) | instskip(SKIP_3) | instid1(VALU_DEP_1)
	s_or_b32 exec_lo, exec_lo, s3
	v_and_b32_e32 v1, 7, v42
	s_mov_b32 s8, 0
	s_mov_b32 s7, exec_lo
	v_cmpx_ne_u32_e32 0, v1
	s_cbranch_execz .LBB931_188
; %bb.186:
	v_lshl_or_b32 v41, v50, 8, v41
	v_mov_b32_e32 v16, 0
	s_set_inst_prefetch_distance 0x1
	.p2align	6
.LBB931_187:                            ; =>This Inner Loop Header: Depth=1
	v_mov_b32_e32 v15, v13
	ds_load_u16 v44, v41
	ds_load_u16 v52, v41 offset:256
	v_add_nc_u32_e32 v1, -1, v1
	v_add_nc_u32_e32 v13, 0x100, v13
	v_add_nc_u32_e32 v41, 0x200, v41
	v_lshlrev_b64 v[42:43], 1, v[15:16]
	v_dual_mov_b32 v15, v14 :: v_dual_add_nc_u32 v14, 0x100, v14
	v_cmp_eq_u32_e64 s1, 0, v1
	s_delay_alu instid0(VALU_DEP_2) | instskip(NEXT) | instid1(VALU_DEP_4)
	v_lshlrev_b64 v[50:51], 1, v[15:16]
	v_add_co_u32 v42, s3, v35, v42
	s_delay_alu instid0(VALU_DEP_1) | instskip(NEXT) | instid1(VALU_DEP_4)
	v_add_co_ci_u32_e64 v43, s3, v39, v43, s3
	s_or_b32 s8, s1, s8
	s_delay_alu instid0(VALU_DEP_3) | instskip(NEXT) | instid1(VALU_DEP_1)
	v_add_co_u32 v50, s3, v35, v50
	v_add_co_ci_u32_e64 v51, s3, v39, v51, s3
	s_waitcnt lgkmcnt(1)
	global_store_b16 v[42:43], v44, off
	s_waitcnt lgkmcnt(0)
	global_store_b16 v[50:51], v52, off
	s_and_not1_b32 exec_lo, exec_lo, s8
	s_cbranch_execnz .LBB931_187
.LBB931_188:
	s_set_inst_prefetch_distance 0x2
	s_or_b32 exec_lo, exec_lo, s7
	v_add_nc_u32_e32 v1, 1, v40
	s_delay_alu instid0(VALU_DEP_1) | instskip(NEXT) | instid1(VALU_DEP_1)
	v_and_b32_e32 v13, 0x3fffffe, v1
	v_cmp_ne_u32_e64 s1, v1, v13
	v_lshl_or_b32 v0, v13, 7, v0
	s_delay_alu instid0(VALU_DEP_2)
	s_or_not1_b32 s3, s1, exec_lo
.LBB931_189:
	s_or_b32 exec_lo, exec_lo, s6
	s_delay_alu instid0(SALU_CYCLE_1) | instskip(SKIP_1) | instid1(SALU_CYCLE_1)
	s_and_not1_b32 s1, vcc_lo, exec_lo
	s_and_b32 s3, s3, exec_lo
	s_or_b32 vcc_lo, s1, s3
.LBB931_190:
	s_or_b32 exec_lo, exec_lo, s5
	s_delay_alu instid0(SALU_CYCLE_1)
	s_and_b32 exec_lo, exec_lo, vcc_lo
	s_cbranch_execz .LBB931_193
; %bb.191:
	v_lshlrev_b32_e32 v13, 1, v0
	v_mov_b32_e32 v1, 0
	s_mov_b32 s3, 0
	.p2align	6
.LBB931_192:                            ; =>This Inner Loop Header: Depth=1
	ds_load_u16 v16, v13
	v_lshlrev_b64 v[14:15], 1, v[0:1]
	v_add_nc_u32_e32 v0, 0x80, v0
	v_add_nc_u32_e32 v13, 0x100, v13
	s_delay_alu instid0(VALU_DEP_2) | instskip(NEXT) | instid1(VALU_DEP_4)
	v_cmp_ge_u32_e32 vcc_lo, v0, v17
	v_add_co_u32 v14, s1, v35, v14
	s_delay_alu instid0(VALU_DEP_1)
	v_add_co_ci_u32_e64 v15, s1, v39, v15, s1
	s_or_b32 s3, vcc_lo, s3
	s_waitcnt lgkmcnt(0)
	global_store_b16 v[14:15], v16, off
	s_and_not1_b32 exec_lo, exec_lo, s3
	s_cbranch_execnz .LBB931_192
.LBB931_193:
	s_or_b32 exec_lo, exec_lo, s4
.LBB931_194:
	s_delay_alu instid0(SALU_CYCLE_1)
	s_and_not1_b32 vcc_lo, exec_lo, s0
	s_waitcnt_vscnt null, 0x0
	s_barrier
	buffer_gl0_inv
	s_cbranch_vccz .LBB931_197
; %bb.195:
	s_and_b32 s0, s2, s14
	s_delay_alu instid0(SALU_CYCLE_1)
	s_and_saveexec_b32 s1, s0
	s_cbranch_execnz .LBB931_220
.LBB931_196:
	s_endpgm
.LBB931_197:
	s_mov_b32 s0, exec_lo
	v_cmpx_eq_u32_e32 1, v32
	s_cbranch_execz .LBB931_199
; %bb.198:
	v_sub_nc_u32_e32 v0, v2, v34
	s_delay_alu instid0(VALU_DEP_1)
	v_lshlrev_b32_e32 v0, 2, v0
	ds_store_b32 v0, v30
.LBB931_199:
	s_or_b32 exec_lo, exec_lo, s0
	v_and_b32_e32 v0, 1, v49
	s_mov_b32 s0, exec_lo
	s_delay_alu instid0(VALU_DEP_1)
	v_cmpx_eq_u32_e32 1, v0
	s_cbranch_execz .LBB931_201
; %bb.200:
	v_sub_nc_u32_e32 v0, v3, v34
	s_delay_alu instid0(VALU_DEP_1)
	v_lshlrev_b32_e32 v0, 2, v0
	ds_store_b32 v0, v31
.LBB931_201:
	s_or_b32 exec_lo, exec_lo, s0
	v_and_b32_e32 v0, 1, v48
	s_mov_b32 s0, exec_lo
	s_delay_alu instid0(VALU_DEP_1)
	v_cmpx_eq_u32_e32 1, v0
	s_cbranch_execz .LBB931_203
; %bb.202:
	v_sub_nc_u32_e32 v0, v4, v34
	s_delay_alu instid0(VALU_DEP_1)
	v_lshlrev_b32_e32 v0, 2, v0
	ds_store_b32 v0, v28
.LBB931_203:
	s_or_b32 exec_lo, exec_lo, s0
	v_and_b32_e32 v0, 1, v36
	s_mov_b32 s0, exec_lo
	s_delay_alu instid0(VALU_DEP_1)
	v_cmpx_eq_u32_e32 1, v0
	s_cbranch_execz .LBB931_205
; %bb.204:
	v_sub_nc_u32_e32 v0, v5, v34
	s_delay_alu instid0(VALU_DEP_1)
	v_lshlrev_b32_e32 v0, 2, v0
	ds_store_b32 v0, v29
.LBB931_205:
	s_or_b32 exec_lo, exec_lo, s0
	v_and_b32_e32 v0, 1, v33
	s_mov_b32 s0, exec_lo
	s_delay_alu instid0(VALU_DEP_1)
	v_cmpx_eq_u32_e32 1, v0
	s_cbranch_execz .LBB931_207
; %bb.206:
	v_sub_nc_u32_e32 v0, v6, v34
	s_delay_alu instid0(VALU_DEP_1)
	v_lshlrev_b32_e32 v0, 2, v0
	ds_store_b32 v0, v26
.LBB931_207:
	s_or_b32 exec_lo, exec_lo, s0
	v_and_b32_e32 v0, 1, v47
	s_mov_b32 s0, exec_lo
	s_delay_alu instid0(VALU_DEP_1)
	v_cmpx_eq_u32_e32 1, v0
	s_cbranch_execz .LBB931_209
; %bb.208:
	v_sub_nc_u32_e32 v0, v7, v34
	s_delay_alu instid0(VALU_DEP_1)
	v_lshlrev_b32_e32 v0, 2, v0
	ds_store_b32 v0, v27
.LBB931_209:
	s_or_b32 exec_lo, exec_lo, s0
	v_and_b32_e32 v0, 1, v46
	s_mov_b32 s0, exec_lo
	s_delay_alu instid0(VALU_DEP_1)
	v_cmpx_eq_u32_e32 1, v0
	s_cbranch_execz .LBB931_211
; %bb.210:
	v_sub_nc_u32_e32 v0, v8, v34
	s_delay_alu instid0(VALU_DEP_1)
	v_lshlrev_b32_e32 v0, 2, v0
	ds_store_b32 v0, v24
.LBB931_211:
	s_or_b32 exec_lo, exec_lo, s0
	v_and_b32_e32 v0, 1, v45
	s_mov_b32 s0, exec_lo
	s_delay_alu instid0(VALU_DEP_1)
	v_cmpx_eq_u32_e32 1, v0
	s_cbranch_execz .LBB931_213
; %bb.212:
	v_sub_nc_u32_e32 v0, v9, v34
	s_delay_alu instid0(VALU_DEP_1)
	v_lshlrev_b32_e32 v0, 2, v0
	ds_store_b32 v0, v25
.LBB931_213:
	s_or_b32 exec_lo, exec_lo, s0
	v_and_b32_e32 v0, 1, v19
	s_mov_b32 s0, exec_lo
	s_delay_alu instid0(VALU_DEP_1)
	v_cmpx_eq_u32_e32 1, v0
	s_cbranch_execz .LBB931_215
; %bb.214:
	v_sub_nc_u32_e32 v0, v10, v34
	s_delay_alu instid0(VALU_DEP_1)
	v_lshlrev_b32_e32 v0, 2, v0
	ds_store_b32 v0, v22
.LBB931_215:
	s_or_b32 exec_lo, exec_lo, s0
	v_and_b32_e32 v0, 1, v37
	s_mov_b32 s0, exec_lo
	s_delay_alu instid0(VALU_DEP_1)
	v_cmpx_eq_u32_e32 1, v0
	s_cbranch_execz .LBB931_217
; %bb.216:
	v_sub_nc_u32_e32 v0, v11, v34
	s_delay_alu instid0(VALU_DEP_1)
	v_lshlrev_b32_e32 v0, 2, v0
	ds_store_b32 v0, v23
.LBB931_217:
	s_or_b32 exec_lo, exec_lo, s0
	v_and_b32_e32 v0, 1, v18
	s_mov_b32 s0, exec_lo
	s_delay_alu instid0(VALU_DEP_1)
	v_cmpx_eq_u32_e32 1, v0
	s_cbranch_execz .LBB931_219
; %bb.218:
	v_sub_nc_u32_e32 v0, v12, v34
	s_delay_alu instid0(VALU_DEP_1)
	v_lshlrev_b32_e32 v0, 2, v0
	ds_store_b32 v0, v38
.LBB931_219:
	s_or_b32 exec_lo, exec_lo, s0
	s_waitcnt lgkmcnt(0)
	s_barrier
	buffer_gl0_inv
	s_and_b32 s0, s2, s14
	s_delay_alu instid0(SALU_CYCLE_1)
	s_and_saveexec_b32 s1, s0
	s_cbranch_execz .LBB931_196
.LBB931_220:
	v_add_co_u32 v0, vcc_lo, v20, v17
	v_add_co_ci_u32_e32 v1, vcc_lo, 0, v21, vcc_lo
	v_mov_b32_e32 v2, 0
	s_delay_alu instid0(VALU_DEP_3) | instskip(NEXT) | instid1(VALU_DEP_3)
	v_add_co_u32 v0, vcc_lo, v0, v34
	v_add_co_ci_u32_e32 v1, vcc_lo, 0, v1, vcc_lo
	global_store_b64 v2, v[0:1], s[12:13]
	s_nop 0
	s_sendmsg sendmsg(MSG_DEALLOC_VGPRS)
	s_endpgm
.LBB931_221:
	s_or_b32 exec_lo, exec_lo, s1
	s_and_saveexec_b32 s1, s24
	s_cbranch_execnz .LBB931_76
	s_branch .LBB931_77
	.section	.rodata,"a",@progbits
	.p2align	6, 0x0
	.amdhsa_kernel _ZN7rocprim17ROCPRIM_400000_NS6detail17trampoline_kernelINS0_14default_configENS1_25partition_config_selectorILNS1_17partition_subalgoE9EtjbEEZZNS1_14partition_implILS5_9ELb0ES3_jN6thrust23THRUST_200600_302600_NS6detail15normal_iteratorINS9_10device_ptrItEEEENSB_INSC_IjEEEEPNS0_10empty_typeENS0_5tupleIJSE_SH_EEENSJ_IJNS9_16discard_iteratorINS9_11use_defaultEEESI_EEENS0_18inequality_wrapperINS9_8equal_toItEEEEPmJSH_EEE10hipError_tPvRmT3_T4_T5_T6_T7_T9_mT8_P12ihipStream_tbDpT10_ENKUlT_T0_E_clISt17integral_constantIbLb1EES1D_EEDaS18_S19_EUlS18_E_NS1_11comp_targetILNS1_3genE9ELNS1_11target_archE1100ELNS1_3gpuE3ELNS1_3repE0EEENS1_30default_config_static_selectorELNS0_4arch9wavefront6targetE0EEEvT1_
		.amdhsa_group_segment_fixed_size 5640
		.amdhsa_private_segment_fixed_size 0
		.amdhsa_kernarg_size 136
		.amdhsa_user_sgpr_count 15
		.amdhsa_user_sgpr_dispatch_ptr 0
		.amdhsa_user_sgpr_queue_ptr 0
		.amdhsa_user_sgpr_kernarg_segment_ptr 1
		.amdhsa_user_sgpr_dispatch_id 0
		.amdhsa_user_sgpr_private_segment_size 0
		.amdhsa_wavefront_size32 1
		.amdhsa_uses_dynamic_stack 0
		.amdhsa_enable_private_segment 0
		.amdhsa_system_sgpr_workgroup_id_x 1
		.amdhsa_system_sgpr_workgroup_id_y 0
		.amdhsa_system_sgpr_workgroup_id_z 0
		.amdhsa_system_sgpr_workgroup_info 0
		.amdhsa_system_vgpr_workitem_id 0
		.amdhsa_next_free_vgpr 86
		.amdhsa_next_free_sgpr 26
		.amdhsa_reserve_vcc 1
		.amdhsa_float_round_mode_32 0
		.amdhsa_float_round_mode_16_64 0
		.amdhsa_float_denorm_mode_32 3
		.amdhsa_float_denorm_mode_16_64 3
		.amdhsa_dx10_clamp 1
		.amdhsa_ieee_mode 1
		.amdhsa_fp16_overflow 0
		.amdhsa_workgroup_processor_mode 1
		.amdhsa_memory_ordered 1
		.amdhsa_forward_progress 0
		.amdhsa_shared_vgpr_count 0
		.amdhsa_exception_fp_ieee_invalid_op 0
		.amdhsa_exception_fp_denorm_src 0
		.amdhsa_exception_fp_ieee_div_zero 0
		.amdhsa_exception_fp_ieee_overflow 0
		.amdhsa_exception_fp_ieee_underflow 0
		.amdhsa_exception_fp_ieee_inexact 0
		.amdhsa_exception_int_div_zero 0
	.end_amdhsa_kernel
	.section	.text._ZN7rocprim17ROCPRIM_400000_NS6detail17trampoline_kernelINS0_14default_configENS1_25partition_config_selectorILNS1_17partition_subalgoE9EtjbEEZZNS1_14partition_implILS5_9ELb0ES3_jN6thrust23THRUST_200600_302600_NS6detail15normal_iteratorINS9_10device_ptrItEEEENSB_INSC_IjEEEEPNS0_10empty_typeENS0_5tupleIJSE_SH_EEENSJ_IJNS9_16discard_iteratorINS9_11use_defaultEEESI_EEENS0_18inequality_wrapperINS9_8equal_toItEEEEPmJSH_EEE10hipError_tPvRmT3_T4_T5_T6_T7_T9_mT8_P12ihipStream_tbDpT10_ENKUlT_T0_E_clISt17integral_constantIbLb1EES1D_EEDaS18_S19_EUlS18_E_NS1_11comp_targetILNS1_3genE9ELNS1_11target_archE1100ELNS1_3gpuE3ELNS1_3repE0EEENS1_30default_config_static_selectorELNS0_4arch9wavefront6targetE0EEEvT1_,"axG",@progbits,_ZN7rocprim17ROCPRIM_400000_NS6detail17trampoline_kernelINS0_14default_configENS1_25partition_config_selectorILNS1_17partition_subalgoE9EtjbEEZZNS1_14partition_implILS5_9ELb0ES3_jN6thrust23THRUST_200600_302600_NS6detail15normal_iteratorINS9_10device_ptrItEEEENSB_INSC_IjEEEEPNS0_10empty_typeENS0_5tupleIJSE_SH_EEENSJ_IJNS9_16discard_iteratorINS9_11use_defaultEEESI_EEENS0_18inequality_wrapperINS9_8equal_toItEEEEPmJSH_EEE10hipError_tPvRmT3_T4_T5_T6_T7_T9_mT8_P12ihipStream_tbDpT10_ENKUlT_T0_E_clISt17integral_constantIbLb1EES1D_EEDaS18_S19_EUlS18_E_NS1_11comp_targetILNS1_3genE9ELNS1_11target_archE1100ELNS1_3gpuE3ELNS1_3repE0EEENS1_30default_config_static_selectorELNS0_4arch9wavefront6targetE0EEEvT1_,comdat
.Lfunc_end931:
	.size	_ZN7rocprim17ROCPRIM_400000_NS6detail17trampoline_kernelINS0_14default_configENS1_25partition_config_selectorILNS1_17partition_subalgoE9EtjbEEZZNS1_14partition_implILS5_9ELb0ES3_jN6thrust23THRUST_200600_302600_NS6detail15normal_iteratorINS9_10device_ptrItEEEENSB_INSC_IjEEEEPNS0_10empty_typeENS0_5tupleIJSE_SH_EEENSJ_IJNS9_16discard_iteratorINS9_11use_defaultEEESI_EEENS0_18inequality_wrapperINS9_8equal_toItEEEEPmJSH_EEE10hipError_tPvRmT3_T4_T5_T6_T7_T9_mT8_P12ihipStream_tbDpT10_ENKUlT_T0_E_clISt17integral_constantIbLb1EES1D_EEDaS18_S19_EUlS18_E_NS1_11comp_targetILNS1_3genE9ELNS1_11target_archE1100ELNS1_3gpuE3ELNS1_3repE0EEENS1_30default_config_static_selectorELNS0_4arch9wavefront6targetE0EEEvT1_, .Lfunc_end931-_ZN7rocprim17ROCPRIM_400000_NS6detail17trampoline_kernelINS0_14default_configENS1_25partition_config_selectorILNS1_17partition_subalgoE9EtjbEEZZNS1_14partition_implILS5_9ELb0ES3_jN6thrust23THRUST_200600_302600_NS6detail15normal_iteratorINS9_10device_ptrItEEEENSB_INSC_IjEEEEPNS0_10empty_typeENS0_5tupleIJSE_SH_EEENSJ_IJNS9_16discard_iteratorINS9_11use_defaultEEESI_EEENS0_18inequality_wrapperINS9_8equal_toItEEEEPmJSH_EEE10hipError_tPvRmT3_T4_T5_T6_T7_T9_mT8_P12ihipStream_tbDpT10_ENKUlT_T0_E_clISt17integral_constantIbLb1EES1D_EEDaS18_S19_EUlS18_E_NS1_11comp_targetILNS1_3genE9ELNS1_11target_archE1100ELNS1_3gpuE3ELNS1_3repE0EEENS1_30default_config_static_selectorELNS0_4arch9wavefront6targetE0EEEvT1_
                                        ; -- End function
	.section	.AMDGPU.csdata,"",@progbits
; Kernel info:
; codeLenInByte = 10920
; NumSgprs: 28
; NumVgprs: 86
; ScratchSize: 0
; MemoryBound: 0
; FloatMode: 240
; IeeeMode: 1
; LDSByteSize: 5640 bytes/workgroup (compile time only)
; SGPRBlocks: 3
; VGPRBlocks: 10
; NumSGPRsForWavesPerEU: 28
; NumVGPRsForWavesPerEU: 86
; Occupancy: 16
; WaveLimiterHint : 1
; COMPUTE_PGM_RSRC2:SCRATCH_EN: 0
; COMPUTE_PGM_RSRC2:USER_SGPR: 15
; COMPUTE_PGM_RSRC2:TRAP_HANDLER: 0
; COMPUTE_PGM_RSRC2:TGID_X_EN: 1
; COMPUTE_PGM_RSRC2:TGID_Y_EN: 0
; COMPUTE_PGM_RSRC2:TGID_Z_EN: 0
; COMPUTE_PGM_RSRC2:TIDIG_COMP_CNT: 0
	.section	.text._ZN7rocprim17ROCPRIM_400000_NS6detail17trampoline_kernelINS0_14default_configENS1_25partition_config_selectorILNS1_17partition_subalgoE9EtjbEEZZNS1_14partition_implILS5_9ELb0ES3_jN6thrust23THRUST_200600_302600_NS6detail15normal_iteratorINS9_10device_ptrItEEEENSB_INSC_IjEEEEPNS0_10empty_typeENS0_5tupleIJSE_SH_EEENSJ_IJNS9_16discard_iteratorINS9_11use_defaultEEESI_EEENS0_18inequality_wrapperINS9_8equal_toItEEEEPmJSH_EEE10hipError_tPvRmT3_T4_T5_T6_T7_T9_mT8_P12ihipStream_tbDpT10_ENKUlT_T0_E_clISt17integral_constantIbLb1EES1D_EEDaS18_S19_EUlS18_E_NS1_11comp_targetILNS1_3genE8ELNS1_11target_archE1030ELNS1_3gpuE2ELNS1_3repE0EEENS1_30default_config_static_selectorELNS0_4arch9wavefront6targetE0EEEvT1_,"axG",@progbits,_ZN7rocprim17ROCPRIM_400000_NS6detail17trampoline_kernelINS0_14default_configENS1_25partition_config_selectorILNS1_17partition_subalgoE9EtjbEEZZNS1_14partition_implILS5_9ELb0ES3_jN6thrust23THRUST_200600_302600_NS6detail15normal_iteratorINS9_10device_ptrItEEEENSB_INSC_IjEEEEPNS0_10empty_typeENS0_5tupleIJSE_SH_EEENSJ_IJNS9_16discard_iteratorINS9_11use_defaultEEESI_EEENS0_18inequality_wrapperINS9_8equal_toItEEEEPmJSH_EEE10hipError_tPvRmT3_T4_T5_T6_T7_T9_mT8_P12ihipStream_tbDpT10_ENKUlT_T0_E_clISt17integral_constantIbLb1EES1D_EEDaS18_S19_EUlS18_E_NS1_11comp_targetILNS1_3genE8ELNS1_11target_archE1030ELNS1_3gpuE2ELNS1_3repE0EEENS1_30default_config_static_selectorELNS0_4arch9wavefront6targetE0EEEvT1_,comdat
	.protected	_ZN7rocprim17ROCPRIM_400000_NS6detail17trampoline_kernelINS0_14default_configENS1_25partition_config_selectorILNS1_17partition_subalgoE9EtjbEEZZNS1_14partition_implILS5_9ELb0ES3_jN6thrust23THRUST_200600_302600_NS6detail15normal_iteratorINS9_10device_ptrItEEEENSB_INSC_IjEEEEPNS0_10empty_typeENS0_5tupleIJSE_SH_EEENSJ_IJNS9_16discard_iteratorINS9_11use_defaultEEESI_EEENS0_18inequality_wrapperINS9_8equal_toItEEEEPmJSH_EEE10hipError_tPvRmT3_T4_T5_T6_T7_T9_mT8_P12ihipStream_tbDpT10_ENKUlT_T0_E_clISt17integral_constantIbLb1EES1D_EEDaS18_S19_EUlS18_E_NS1_11comp_targetILNS1_3genE8ELNS1_11target_archE1030ELNS1_3gpuE2ELNS1_3repE0EEENS1_30default_config_static_selectorELNS0_4arch9wavefront6targetE0EEEvT1_ ; -- Begin function _ZN7rocprim17ROCPRIM_400000_NS6detail17trampoline_kernelINS0_14default_configENS1_25partition_config_selectorILNS1_17partition_subalgoE9EtjbEEZZNS1_14partition_implILS5_9ELb0ES3_jN6thrust23THRUST_200600_302600_NS6detail15normal_iteratorINS9_10device_ptrItEEEENSB_INSC_IjEEEEPNS0_10empty_typeENS0_5tupleIJSE_SH_EEENSJ_IJNS9_16discard_iteratorINS9_11use_defaultEEESI_EEENS0_18inequality_wrapperINS9_8equal_toItEEEEPmJSH_EEE10hipError_tPvRmT3_T4_T5_T6_T7_T9_mT8_P12ihipStream_tbDpT10_ENKUlT_T0_E_clISt17integral_constantIbLb1EES1D_EEDaS18_S19_EUlS18_E_NS1_11comp_targetILNS1_3genE8ELNS1_11target_archE1030ELNS1_3gpuE2ELNS1_3repE0EEENS1_30default_config_static_selectorELNS0_4arch9wavefront6targetE0EEEvT1_
	.globl	_ZN7rocprim17ROCPRIM_400000_NS6detail17trampoline_kernelINS0_14default_configENS1_25partition_config_selectorILNS1_17partition_subalgoE9EtjbEEZZNS1_14partition_implILS5_9ELb0ES3_jN6thrust23THRUST_200600_302600_NS6detail15normal_iteratorINS9_10device_ptrItEEEENSB_INSC_IjEEEEPNS0_10empty_typeENS0_5tupleIJSE_SH_EEENSJ_IJNS9_16discard_iteratorINS9_11use_defaultEEESI_EEENS0_18inequality_wrapperINS9_8equal_toItEEEEPmJSH_EEE10hipError_tPvRmT3_T4_T5_T6_T7_T9_mT8_P12ihipStream_tbDpT10_ENKUlT_T0_E_clISt17integral_constantIbLb1EES1D_EEDaS18_S19_EUlS18_E_NS1_11comp_targetILNS1_3genE8ELNS1_11target_archE1030ELNS1_3gpuE2ELNS1_3repE0EEENS1_30default_config_static_selectorELNS0_4arch9wavefront6targetE0EEEvT1_
	.p2align	8
	.type	_ZN7rocprim17ROCPRIM_400000_NS6detail17trampoline_kernelINS0_14default_configENS1_25partition_config_selectorILNS1_17partition_subalgoE9EtjbEEZZNS1_14partition_implILS5_9ELb0ES3_jN6thrust23THRUST_200600_302600_NS6detail15normal_iteratorINS9_10device_ptrItEEEENSB_INSC_IjEEEEPNS0_10empty_typeENS0_5tupleIJSE_SH_EEENSJ_IJNS9_16discard_iteratorINS9_11use_defaultEEESI_EEENS0_18inequality_wrapperINS9_8equal_toItEEEEPmJSH_EEE10hipError_tPvRmT3_T4_T5_T6_T7_T9_mT8_P12ihipStream_tbDpT10_ENKUlT_T0_E_clISt17integral_constantIbLb1EES1D_EEDaS18_S19_EUlS18_E_NS1_11comp_targetILNS1_3genE8ELNS1_11target_archE1030ELNS1_3gpuE2ELNS1_3repE0EEENS1_30default_config_static_selectorELNS0_4arch9wavefront6targetE0EEEvT1_,@function
_ZN7rocprim17ROCPRIM_400000_NS6detail17trampoline_kernelINS0_14default_configENS1_25partition_config_selectorILNS1_17partition_subalgoE9EtjbEEZZNS1_14partition_implILS5_9ELb0ES3_jN6thrust23THRUST_200600_302600_NS6detail15normal_iteratorINS9_10device_ptrItEEEENSB_INSC_IjEEEEPNS0_10empty_typeENS0_5tupleIJSE_SH_EEENSJ_IJNS9_16discard_iteratorINS9_11use_defaultEEESI_EEENS0_18inequality_wrapperINS9_8equal_toItEEEEPmJSH_EEE10hipError_tPvRmT3_T4_T5_T6_T7_T9_mT8_P12ihipStream_tbDpT10_ENKUlT_T0_E_clISt17integral_constantIbLb1EES1D_EEDaS18_S19_EUlS18_E_NS1_11comp_targetILNS1_3genE8ELNS1_11target_archE1030ELNS1_3gpuE2ELNS1_3repE0EEENS1_30default_config_static_selectorELNS0_4arch9wavefront6targetE0EEEvT1_: ; @_ZN7rocprim17ROCPRIM_400000_NS6detail17trampoline_kernelINS0_14default_configENS1_25partition_config_selectorILNS1_17partition_subalgoE9EtjbEEZZNS1_14partition_implILS5_9ELb0ES3_jN6thrust23THRUST_200600_302600_NS6detail15normal_iteratorINS9_10device_ptrItEEEENSB_INSC_IjEEEEPNS0_10empty_typeENS0_5tupleIJSE_SH_EEENSJ_IJNS9_16discard_iteratorINS9_11use_defaultEEESI_EEENS0_18inequality_wrapperINS9_8equal_toItEEEEPmJSH_EEE10hipError_tPvRmT3_T4_T5_T6_T7_T9_mT8_P12ihipStream_tbDpT10_ENKUlT_T0_E_clISt17integral_constantIbLb1EES1D_EEDaS18_S19_EUlS18_E_NS1_11comp_targetILNS1_3genE8ELNS1_11target_archE1030ELNS1_3gpuE2ELNS1_3repE0EEENS1_30default_config_static_selectorELNS0_4arch9wavefront6targetE0EEEvT1_
; %bb.0:
	.section	.rodata,"a",@progbits
	.p2align	6, 0x0
	.amdhsa_kernel _ZN7rocprim17ROCPRIM_400000_NS6detail17trampoline_kernelINS0_14default_configENS1_25partition_config_selectorILNS1_17partition_subalgoE9EtjbEEZZNS1_14partition_implILS5_9ELb0ES3_jN6thrust23THRUST_200600_302600_NS6detail15normal_iteratorINS9_10device_ptrItEEEENSB_INSC_IjEEEEPNS0_10empty_typeENS0_5tupleIJSE_SH_EEENSJ_IJNS9_16discard_iteratorINS9_11use_defaultEEESI_EEENS0_18inequality_wrapperINS9_8equal_toItEEEEPmJSH_EEE10hipError_tPvRmT3_T4_T5_T6_T7_T9_mT8_P12ihipStream_tbDpT10_ENKUlT_T0_E_clISt17integral_constantIbLb1EES1D_EEDaS18_S19_EUlS18_E_NS1_11comp_targetILNS1_3genE8ELNS1_11target_archE1030ELNS1_3gpuE2ELNS1_3repE0EEENS1_30default_config_static_selectorELNS0_4arch9wavefront6targetE0EEEvT1_
		.amdhsa_group_segment_fixed_size 0
		.amdhsa_private_segment_fixed_size 0
		.amdhsa_kernarg_size 136
		.amdhsa_user_sgpr_count 15
		.amdhsa_user_sgpr_dispatch_ptr 0
		.amdhsa_user_sgpr_queue_ptr 0
		.amdhsa_user_sgpr_kernarg_segment_ptr 1
		.amdhsa_user_sgpr_dispatch_id 0
		.amdhsa_user_sgpr_private_segment_size 0
		.amdhsa_wavefront_size32 1
		.amdhsa_uses_dynamic_stack 0
		.amdhsa_enable_private_segment 0
		.amdhsa_system_sgpr_workgroup_id_x 1
		.amdhsa_system_sgpr_workgroup_id_y 0
		.amdhsa_system_sgpr_workgroup_id_z 0
		.amdhsa_system_sgpr_workgroup_info 0
		.amdhsa_system_vgpr_workitem_id 0
		.amdhsa_next_free_vgpr 1
		.amdhsa_next_free_sgpr 1
		.amdhsa_reserve_vcc 0
		.amdhsa_float_round_mode_32 0
		.amdhsa_float_round_mode_16_64 0
		.amdhsa_float_denorm_mode_32 3
		.amdhsa_float_denorm_mode_16_64 3
		.amdhsa_dx10_clamp 1
		.amdhsa_ieee_mode 1
		.amdhsa_fp16_overflow 0
		.amdhsa_workgroup_processor_mode 1
		.amdhsa_memory_ordered 1
		.amdhsa_forward_progress 0
		.amdhsa_shared_vgpr_count 0
		.amdhsa_exception_fp_ieee_invalid_op 0
		.amdhsa_exception_fp_denorm_src 0
		.amdhsa_exception_fp_ieee_div_zero 0
		.amdhsa_exception_fp_ieee_overflow 0
		.amdhsa_exception_fp_ieee_underflow 0
		.amdhsa_exception_fp_ieee_inexact 0
		.amdhsa_exception_int_div_zero 0
	.end_amdhsa_kernel
	.section	.text._ZN7rocprim17ROCPRIM_400000_NS6detail17trampoline_kernelINS0_14default_configENS1_25partition_config_selectorILNS1_17partition_subalgoE9EtjbEEZZNS1_14partition_implILS5_9ELb0ES3_jN6thrust23THRUST_200600_302600_NS6detail15normal_iteratorINS9_10device_ptrItEEEENSB_INSC_IjEEEEPNS0_10empty_typeENS0_5tupleIJSE_SH_EEENSJ_IJNS9_16discard_iteratorINS9_11use_defaultEEESI_EEENS0_18inequality_wrapperINS9_8equal_toItEEEEPmJSH_EEE10hipError_tPvRmT3_T4_T5_T6_T7_T9_mT8_P12ihipStream_tbDpT10_ENKUlT_T0_E_clISt17integral_constantIbLb1EES1D_EEDaS18_S19_EUlS18_E_NS1_11comp_targetILNS1_3genE8ELNS1_11target_archE1030ELNS1_3gpuE2ELNS1_3repE0EEENS1_30default_config_static_selectorELNS0_4arch9wavefront6targetE0EEEvT1_,"axG",@progbits,_ZN7rocprim17ROCPRIM_400000_NS6detail17trampoline_kernelINS0_14default_configENS1_25partition_config_selectorILNS1_17partition_subalgoE9EtjbEEZZNS1_14partition_implILS5_9ELb0ES3_jN6thrust23THRUST_200600_302600_NS6detail15normal_iteratorINS9_10device_ptrItEEEENSB_INSC_IjEEEEPNS0_10empty_typeENS0_5tupleIJSE_SH_EEENSJ_IJNS9_16discard_iteratorINS9_11use_defaultEEESI_EEENS0_18inequality_wrapperINS9_8equal_toItEEEEPmJSH_EEE10hipError_tPvRmT3_T4_T5_T6_T7_T9_mT8_P12ihipStream_tbDpT10_ENKUlT_T0_E_clISt17integral_constantIbLb1EES1D_EEDaS18_S19_EUlS18_E_NS1_11comp_targetILNS1_3genE8ELNS1_11target_archE1030ELNS1_3gpuE2ELNS1_3repE0EEENS1_30default_config_static_selectorELNS0_4arch9wavefront6targetE0EEEvT1_,comdat
.Lfunc_end932:
	.size	_ZN7rocprim17ROCPRIM_400000_NS6detail17trampoline_kernelINS0_14default_configENS1_25partition_config_selectorILNS1_17partition_subalgoE9EtjbEEZZNS1_14partition_implILS5_9ELb0ES3_jN6thrust23THRUST_200600_302600_NS6detail15normal_iteratorINS9_10device_ptrItEEEENSB_INSC_IjEEEEPNS0_10empty_typeENS0_5tupleIJSE_SH_EEENSJ_IJNS9_16discard_iteratorINS9_11use_defaultEEESI_EEENS0_18inequality_wrapperINS9_8equal_toItEEEEPmJSH_EEE10hipError_tPvRmT3_T4_T5_T6_T7_T9_mT8_P12ihipStream_tbDpT10_ENKUlT_T0_E_clISt17integral_constantIbLb1EES1D_EEDaS18_S19_EUlS18_E_NS1_11comp_targetILNS1_3genE8ELNS1_11target_archE1030ELNS1_3gpuE2ELNS1_3repE0EEENS1_30default_config_static_selectorELNS0_4arch9wavefront6targetE0EEEvT1_, .Lfunc_end932-_ZN7rocprim17ROCPRIM_400000_NS6detail17trampoline_kernelINS0_14default_configENS1_25partition_config_selectorILNS1_17partition_subalgoE9EtjbEEZZNS1_14partition_implILS5_9ELb0ES3_jN6thrust23THRUST_200600_302600_NS6detail15normal_iteratorINS9_10device_ptrItEEEENSB_INSC_IjEEEEPNS0_10empty_typeENS0_5tupleIJSE_SH_EEENSJ_IJNS9_16discard_iteratorINS9_11use_defaultEEESI_EEENS0_18inequality_wrapperINS9_8equal_toItEEEEPmJSH_EEE10hipError_tPvRmT3_T4_T5_T6_T7_T9_mT8_P12ihipStream_tbDpT10_ENKUlT_T0_E_clISt17integral_constantIbLb1EES1D_EEDaS18_S19_EUlS18_E_NS1_11comp_targetILNS1_3genE8ELNS1_11target_archE1030ELNS1_3gpuE2ELNS1_3repE0EEENS1_30default_config_static_selectorELNS0_4arch9wavefront6targetE0EEEvT1_
                                        ; -- End function
	.section	.AMDGPU.csdata,"",@progbits
; Kernel info:
; codeLenInByte = 0
; NumSgprs: 0
; NumVgprs: 0
; ScratchSize: 0
; MemoryBound: 0
; FloatMode: 240
; IeeeMode: 1
; LDSByteSize: 0 bytes/workgroup (compile time only)
; SGPRBlocks: 0
; VGPRBlocks: 0
; NumSGPRsForWavesPerEU: 1
; NumVGPRsForWavesPerEU: 1
; Occupancy: 16
; WaveLimiterHint : 0
; COMPUTE_PGM_RSRC2:SCRATCH_EN: 0
; COMPUTE_PGM_RSRC2:USER_SGPR: 15
; COMPUTE_PGM_RSRC2:TRAP_HANDLER: 0
; COMPUTE_PGM_RSRC2:TGID_X_EN: 1
; COMPUTE_PGM_RSRC2:TGID_Y_EN: 0
; COMPUTE_PGM_RSRC2:TGID_Z_EN: 0
; COMPUTE_PGM_RSRC2:TIDIG_COMP_CNT: 0
	.section	.text._ZN7rocprim17ROCPRIM_400000_NS6detail17trampoline_kernelINS0_14default_configENS1_25partition_config_selectorILNS1_17partition_subalgoE9EtjbEEZZNS1_14partition_implILS5_9ELb0ES3_jN6thrust23THRUST_200600_302600_NS6detail15normal_iteratorINS9_10device_ptrItEEEENSB_INSC_IjEEEEPNS0_10empty_typeENS0_5tupleIJSE_SH_EEENSJ_IJNS9_16discard_iteratorINS9_11use_defaultEEESI_EEENS0_18inequality_wrapperINS9_8equal_toItEEEEPmJSH_EEE10hipError_tPvRmT3_T4_T5_T6_T7_T9_mT8_P12ihipStream_tbDpT10_ENKUlT_T0_E_clISt17integral_constantIbLb1EES1C_IbLb0EEEEDaS18_S19_EUlS18_E_NS1_11comp_targetILNS1_3genE0ELNS1_11target_archE4294967295ELNS1_3gpuE0ELNS1_3repE0EEENS1_30default_config_static_selectorELNS0_4arch9wavefront6targetE0EEEvT1_,"axG",@progbits,_ZN7rocprim17ROCPRIM_400000_NS6detail17trampoline_kernelINS0_14default_configENS1_25partition_config_selectorILNS1_17partition_subalgoE9EtjbEEZZNS1_14partition_implILS5_9ELb0ES3_jN6thrust23THRUST_200600_302600_NS6detail15normal_iteratorINS9_10device_ptrItEEEENSB_INSC_IjEEEEPNS0_10empty_typeENS0_5tupleIJSE_SH_EEENSJ_IJNS9_16discard_iteratorINS9_11use_defaultEEESI_EEENS0_18inequality_wrapperINS9_8equal_toItEEEEPmJSH_EEE10hipError_tPvRmT3_T4_T5_T6_T7_T9_mT8_P12ihipStream_tbDpT10_ENKUlT_T0_E_clISt17integral_constantIbLb1EES1C_IbLb0EEEEDaS18_S19_EUlS18_E_NS1_11comp_targetILNS1_3genE0ELNS1_11target_archE4294967295ELNS1_3gpuE0ELNS1_3repE0EEENS1_30default_config_static_selectorELNS0_4arch9wavefront6targetE0EEEvT1_,comdat
	.protected	_ZN7rocprim17ROCPRIM_400000_NS6detail17trampoline_kernelINS0_14default_configENS1_25partition_config_selectorILNS1_17partition_subalgoE9EtjbEEZZNS1_14partition_implILS5_9ELb0ES3_jN6thrust23THRUST_200600_302600_NS6detail15normal_iteratorINS9_10device_ptrItEEEENSB_INSC_IjEEEEPNS0_10empty_typeENS0_5tupleIJSE_SH_EEENSJ_IJNS9_16discard_iteratorINS9_11use_defaultEEESI_EEENS0_18inequality_wrapperINS9_8equal_toItEEEEPmJSH_EEE10hipError_tPvRmT3_T4_T5_T6_T7_T9_mT8_P12ihipStream_tbDpT10_ENKUlT_T0_E_clISt17integral_constantIbLb1EES1C_IbLb0EEEEDaS18_S19_EUlS18_E_NS1_11comp_targetILNS1_3genE0ELNS1_11target_archE4294967295ELNS1_3gpuE0ELNS1_3repE0EEENS1_30default_config_static_selectorELNS0_4arch9wavefront6targetE0EEEvT1_ ; -- Begin function _ZN7rocprim17ROCPRIM_400000_NS6detail17trampoline_kernelINS0_14default_configENS1_25partition_config_selectorILNS1_17partition_subalgoE9EtjbEEZZNS1_14partition_implILS5_9ELb0ES3_jN6thrust23THRUST_200600_302600_NS6detail15normal_iteratorINS9_10device_ptrItEEEENSB_INSC_IjEEEEPNS0_10empty_typeENS0_5tupleIJSE_SH_EEENSJ_IJNS9_16discard_iteratorINS9_11use_defaultEEESI_EEENS0_18inequality_wrapperINS9_8equal_toItEEEEPmJSH_EEE10hipError_tPvRmT3_T4_T5_T6_T7_T9_mT8_P12ihipStream_tbDpT10_ENKUlT_T0_E_clISt17integral_constantIbLb1EES1C_IbLb0EEEEDaS18_S19_EUlS18_E_NS1_11comp_targetILNS1_3genE0ELNS1_11target_archE4294967295ELNS1_3gpuE0ELNS1_3repE0EEENS1_30default_config_static_selectorELNS0_4arch9wavefront6targetE0EEEvT1_
	.globl	_ZN7rocprim17ROCPRIM_400000_NS6detail17trampoline_kernelINS0_14default_configENS1_25partition_config_selectorILNS1_17partition_subalgoE9EtjbEEZZNS1_14partition_implILS5_9ELb0ES3_jN6thrust23THRUST_200600_302600_NS6detail15normal_iteratorINS9_10device_ptrItEEEENSB_INSC_IjEEEEPNS0_10empty_typeENS0_5tupleIJSE_SH_EEENSJ_IJNS9_16discard_iteratorINS9_11use_defaultEEESI_EEENS0_18inequality_wrapperINS9_8equal_toItEEEEPmJSH_EEE10hipError_tPvRmT3_T4_T5_T6_T7_T9_mT8_P12ihipStream_tbDpT10_ENKUlT_T0_E_clISt17integral_constantIbLb1EES1C_IbLb0EEEEDaS18_S19_EUlS18_E_NS1_11comp_targetILNS1_3genE0ELNS1_11target_archE4294967295ELNS1_3gpuE0ELNS1_3repE0EEENS1_30default_config_static_selectorELNS0_4arch9wavefront6targetE0EEEvT1_
	.p2align	8
	.type	_ZN7rocprim17ROCPRIM_400000_NS6detail17trampoline_kernelINS0_14default_configENS1_25partition_config_selectorILNS1_17partition_subalgoE9EtjbEEZZNS1_14partition_implILS5_9ELb0ES3_jN6thrust23THRUST_200600_302600_NS6detail15normal_iteratorINS9_10device_ptrItEEEENSB_INSC_IjEEEEPNS0_10empty_typeENS0_5tupleIJSE_SH_EEENSJ_IJNS9_16discard_iteratorINS9_11use_defaultEEESI_EEENS0_18inequality_wrapperINS9_8equal_toItEEEEPmJSH_EEE10hipError_tPvRmT3_T4_T5_T6_T7_T9_mT8_P12ihipStream_tbDpT10_ENKUlT_T0_E_clISt17integral_constantIbLb1EES1C_IbLb0EEEEDaS18_S19_EUlS18_E_NS1_11comp_targetILNS1_3genE0ELNS1_11target_archE4294967295ELNS1_3gpuE0ELNS1_3repE0EEENS1_30default_config_static_selectorELNS0_4arch9wavefront6targetE0EEEvT1_,@function
_ZN7rocprim17ROCPRIM_400000_NS6detail17trampoline_kernelINS0_14default_configENS1_25partition_config_selectorILNS1_17partition_subalgoE9EtjbEEZZNS1_14partition_implILS5_9ELb0ES3_jN6thrust23THRUST_200600_302600_NS6detail15normal_iteratorINS9_10device_ptrItEEEENSB_INSC_IjEEEEPNS0_10empty_typeENS0_5tupleIJSE_SH_EEENSJ_IJNS9_16discard_iteratorINS9_11use_defaultEEESI_EEENS0_18inequality_wrapperINS9_8equal_toItEEEEPmJSH_EEE10hipError_tPvRmT3_T4_T5_T6_T7_T9_mT8_P12ihipStream_tbDpT10_ENKUlT_T0_E_clISt17integral_constantIbLb1EES1C_IbLb0EEEEDaS18_S19_EUlS18_E_NS1_11comp_targetILNS1_3genE0ELNS1_11target_archE4294967295ELNS1_3gpuE0ELNS1_3repE0EEENS1_30default_config_static_selectorELNS0_4arch9wavefront6targetE0EEEvT1_: ; @_ZN7rocprim17ROCPRIM_400000_NS6detail17trampoline_kernelINS0_14default_configENS1_25partition_config_selectorILNS1_17partition_subalgoE9EtjbEEZZNS1_14partition_implILS5_9ELb0ES3_jN6thrust23THRUST_200600_302600_NS6detail15normal_iteratorINS9_10device_ptrItEEEENSB_INSC_IjEEEEPNS0_10empty_typeENS0_5tupleIJSE_SH_EEENSJ_IJNS9_16discard_iteratorINS9_11use_defaultEEESI_EEENS0_18inequality_wrapperINS9_8equal_toItEEEEPmJSH_EEE10hipError_tPvRmT3_T4_T5_T6_T7_T9_mT8_P12ihipStream_tbDpT10_ENKUlT_T0_E_clISt17integral_constantIbLb1EES1C_IbLb0EEEEDaS18_S19_EUlS18_E_NS1_11comp_targetILNS1_3genE0ELNS1_11target_archE4294967295ELNS1_3gpuE0ELNS1_3repE0EEENS1_30default_config_static_selectorELNS0_4arch9wavefront6targetE0EEEvT1_
; %bb.0:
	.section	.rodata,"a",@progbits
	.p2align	6, 0x0
	.amdhsa_kernel _ZN7rocprim17ROCPRIM_400000_NS6detail17trampoline_kernelINS0_14default_configENS1_25partition_config_selectorILNS1_17partition_subalgoE9EtjbEEZZNS1_14partition_implILS5_9ELb0ES3_jN6thrust23THRUST_200600_302600_NS6detail15normal_iteratorINS9_10device_ptrItEEEENSB_INSC_IjEEEEPNS0_10empty_typeENS0_5tupleIJSE_SH_EEENSJ_IJNS9_16discard_iteratorINS9_11use_defaultEEESI_EEENS0_18inequality_wrapperINS9_8equal_toItEEEEPmJSH_EEE10hipError_tPvRmT3_T4_T5_T6_T7_T9_mT8_P12ihipStream_tbDpT10_ENKUlT_T0_E_clISt17integral_constantIbLb1EES1C_IbLb0EEEEDaS18_S19_EUlS18_E_NS1_11comp_targetILNS1_3genE0ELNS1_11target_archE4294967295ELNS1_3gpuE0ELNS1_3repE0EEENS1_30default_config_static_selectorELNS0_4arch9wavefront6targetE0EEEvT1_
		.amdhsa_group_segment_fixed_size 0
		.amdhsa_private_segment_fixed_size 0
		.amdhsa_kernarg_size 120
		.amdhsa_user_sgpr_count 15
		.amdhsa_user_sgpr_dispatch_ptr 0
		.amdhsa_user_sgpr_queue_ptr 0
		.amdhsa_user_sgpr_kernarg_segment_ptr 1
		.amdhsa_user_sgpr_dispatch_id 0
		.amdhsa_user_sgpr_private_segment_size 0
		.amdhsa_wavefront_size32 1
		.amdhsa_uses_dynamic_stack 0
		.amdhsa_enable_private_segment 0
		.amdhsa_system_sgpr_workgroup_id_x 1
		.amdhsa_system_sgpr_workgroup_id_y 0
		.amdhsa_system_sgpr_workgroup_id_z 0
		.amdhsa_system_sgpr_workgroup_info 0
		.amdhsa_system_vgpr_workitem_id 0
		.amdhsa_next_free_vgpr 1
		.amdhsa_next_free_sgpr 1
		.amdhsa_reserve_vcc 0
		.amdhsa_float_round_mode_32 0
		.amdhsa_float_round_mode_16_64 0
		.amdhsa_float_denorm_mode_32 3
		.amdhsa_float_denorm_mode_16_64 3
		.amdhsa_dx10_clamp 1
		.amdhsa_ieee_mode 1
		.amdhsa_fp16_overflow 0
		.amdhsa_workgroup_processor_mode 1
		.amdhsa_memory_ordered 1
		.amdhsa_forward_progress 0
		.amdhsa_shared_vgpr_count 0
		.amdhsa_exception_fp_ieee_invalid_op 0
		.amdhsa_exception_fp_denorm_src 0
		.amdhsa_exception_fp_ieee_div_zero 0
		.amdhsa_exception_fp_ieee_overflow 0
		.amdhsa_exception_fp_ieee_underflow 0
		.amdhsa_exception_fp_ieee_inexact 0
		.amdhsa_exception_int_div_zero 0
	.end_amdhsa_kernel
	.section	.text._ZN7rocprim17ROCPRIM_400000_NS6detail17trampoline_kernelINS0_14default_configENS1_25partition_config_selectorILNS1_17partition_subalgoE9EtjbEEZZNS1_14partition_implILS5_9ELb0ES3_jN6thrust23THRUST_200600_302600_NS6detail15normal_iteratorINS9_10device_ptrItEEEENSB_INSC_IjEEEEPNS0_10empty_typeENS0_5tupleIJSE_SH_EEENSJ_IJNS9_16discard_iteratorINS9_11use_defaultEEESI_EEENS0_18inequality_wrapperINS9_8equal_toItEEEEPmJSH_EEE10hipError_tPvRmT3_T4_T5_T6_T7_T9_mT8_P12ihipStream_tbDpT10_ENKUlT_T0_E_clISt17integral_constantIbLb1EES1C_IbLb0EEEEDaS18_S19_EUlS18_E_NS1_11comp_targetILNS1_3genE0ELNS1_11target_archE4294967295ELNS1_3gpuE0ELNS1_3repE0EEENS1_30default_config_static_selectorELNS0_4arch9wavefront6targetE0EEEvT1_,"axG",@progbits,_ZN7rocprim17ROCPRIM_400000_NS6detail17trampoline_kernelINS0_14default_configENS1_25partition_config_selectorILNS1_17partition_subalgoE9EtjbEEZZNS1_14partition_implILS5_9ELb0ES3_jN6thrust23THRUST_200600_302600_NS6detail15normal_iteratorINS9_10device_ptrItEEEENSB_INSC_IjEEEEPNS0_10empty_typeENS0_5tupleIJSE_SH_EEENSJ_IJNS9_16discard_iteratorINS9_11use_defaultEEESI_EEENS0_18inequality_wrapperINS9_8equal_toItEEEEPmJSH_EEE10hipError_tPvRmT3_T4_T5_T6_T7_T9_mT8_P12ihipStream_tbDpT10_ENKUlT_T0_E_clISt17integral_constantIbLb1EES1C_IbLb0EEEEDaS18_S19_EUlS18_E_NS1_11comp_targetILNS1_3genE0ELNS1_11target_archE4294967295ELNS1_3gpuE0ELNS1_3repE0EEENS1_30default_config_static_selectorELNS0_4arch9wavefront6targetE0EEEvT1_,comdat
.Lfunc_end933:
	.size	_ZN7rocprim17ROCPRIM_400000_NS6detail17trampoline_kernelINS0_14default_configENS1_25partition_config_selectorILNS1_17partition_subalgoE9EtjbEEZZNS1_14partition_implILS5_9ELb0ES3_jN6thrust23THRUST_200600_302600_NS6detail15normal_iteratorINS9_10device_ptrItEEEENSB_INSC_IjEEEEPNS0_10empty_typeENS0_5tupleIJSE_SH_EEENSJ_IJNS9_16discard_iteratorINS9_11use_defaultEEESI_EEENS0_18inequality_wrapperINS9_8equal_toItEEEEPmJSH_EEE10hipError_tPvRmT3_T4_T5_T6_T7_T9_mT8_P12ihipStream_tbDpT10_ENKUlT_T0_E_clISt17integral_constantIbLb1EES1C_IbLb0EEEEDaS18_S19_EUlS18_E_NS1_11comp_targetILNS1_3genE0ELNS1_11target_archE4294967295ELNS1_3gpuE0ELNS1_3repE0EEENS1_30default_config_static_selectorELNS0_4arch9wavefront6targetE0EEEvT1_, .Lfunc_end933-_ZN7rocprim17ROCPRIM_400000_NS6detail17trampoline_kernelINS0_14default_configENS1_25partition_config_selectorILNS1_17partition_subalgoE9EtjbEEZZNS1_14partition_implILS5_9ELb0ES3_jN6thrust23THRUST_200600_302600_NS6detail15normal_iteratorINS9_10device_ptrItEEEENSB_INSC_IjEEEEPNS0_10empty_typeENS0_5tupleIJSE_SH_EEENSJ_IJNS9_16discard_iteratorINS9_11use_defaultEEESI_EEENS0_18inequality_wrapperINS9_8equal_toItEEEEPmJSH_EEE10hipError_tPvRmT3_T4_T5_T6_T7_T9_mT8_P12ihipStream_tbDpT10_ENKUlT_T0_E_clISt17integral_constantIbLb1EES1C_IbLb0EEEEDaS18_S19_EUlS18_E_NS1_11comp_targetILNS1_3genE0ELNS1_11target_archE4294967295ELNS1_3gpuE0ELNS1_3repE0EEENS1_30default_config_static_selectorELNS0_4arch9wavefront6targetE0EEEvT1_
                                        ; -- End function
	.section	.AMDGPU.csdata,"",@progbits
; Kernel info:
; codeLenInByte = 0
; NumSgprs: 0
; NumVgprs: 0
; ScratchSize: 0
; MemoryBound: 0
; FloatMode: 240
; IeeeMode: 1
; LDSByteSize: 0 bytes/workgroup (compile time only)
; SGPRBlocks: 0
; VGPRBlocks: 0
; NumSGPRsForWavesPerEU: 1
; NumVGPRsForWavesPerEU: 1
; Occupancy: 16
; WaveLimiterHint : 0
; COMPUTE_PGM_RSRC2:SCRATCH_EN: 0
; COMPUTE_PGM_RSRC2:USER_SGPR: 15
; COMPUTE_PGM_RSRC2:TRAP_HANDLER: 0
; COMPUTE_PGM_RSRC2:TGID_X_EN: 1
; COMPUTE_PGM_RSRC2:TGID_Y_EN: 0
; COMPUTE_PGM_RSRC2:TGID_Z_EN: 0
; COMPUTE_PGM_RSRC2:TIDIG_COMP_CNT: 0
	.section	.text._ZN7rocprim17ROCPRIM_400000_NS6detail17trampoline_kernelINS0_14default_configENS1_25partition_config_selectorILNS1_17partition_subalgoE9EtjbEEZZNS1_14partition_implILS5_9ELb0ES3_jN6thrust23THRUST_200600_302600_NS6detail15normal_iteratorINS9_10device_ptrItEEEENSB_INSC_IjEEEEPNS0_10empty_typeENS0_5tupleIJSE_SH_EEENSJ_IJNS9_16discard_iteratorINS9_11use_defaultEEESI_EEENS0_18inequality_wrapperINS9_8equal_toItEEEEPmJSH_EEE10hipError_tPvRmT3_T4_T5_T6_T7_T9_mT8_P12ihipStream_tbDpT10_ENKUlT_T0_E_clISt17integral_constantIbLb1EES1C_IbLb0EEEEDaS18_S19_EUlS18_E_NS1_11comp_targetILNS1_3genE5ELNS1_11target_archE942ELNS1_3gpuE9ELNS1_3repE0EEENS1_30default_config_static_selectorELNS0_4arch9wavefront6targetE0EEEvT1_,"axG",@progbits,_ZN7rocprim17ROCPRIM_400000_NS6detail17trampoline_kernelINS0_14default_configENS1_25partition_config_selectorILNS1_17partition_subalgoE9EtjbEEZZNS1_14partition_implILS5_9ELb0ES3_jN6thrust23THRUST_200600_302600_NS6detail15normal_iteratorINS9_10device_ptrItEEEENSB_INSC_IjEEEEPNS0_10empty_typeENS0_5tupleIJSE_SH_EEENSJ_IJNS9_16discard_iteratorINS9_11use_defaultEEESI_EEENS0_18inequality_wrapperINS9_8equal_toItEEEEPmJSH_EEE10hipError_tPvRmT3_T4_T5_T6_T7_T9_mT8_P12ihipStream_tbDpT10_ENKUlT_T0_E_clISt17integral_constantIbLb1EES1C_IbLb0EEEEDaS18_S19_EUlS18_E_NS1_11comp_targetILNS1_3genE5ELNS1_11target_archE942ELNS1_3gpuE9ELNS1_3repE0EEENS1_30default_config_static_selectorELNS0_4arch9wavefront6targetE0EEEvT1_,comdat
	.protected	_ZN7rocprim17ROCPRIM_400000_NS6detail17trampoline_kernelINS0_14default_configENS1_25partition_config_selectorILNS1_17partition_subalgoE9EtjbEEZZNS1_14partition_implILS5_9ELb0ES3_jN6thrust23THRUST_200600_302600_NS6detail15normal_iteratorINS9_10device_ptrItEEEENSB_INSC_IjEEEEPNS0_10empty_typeENS0_5tupleIJSE_SH_EEENSJ_IJNS9_16discard_iteratorINS9_11use_defaultEEESI_EEENS0_18inequality_wrapperINS9_8equal_toItEEEEPmJSH_EEE10hipError_tPvRmT3_T4_T5_T6_T7_T9_mT8_P12ihipStream_tbDpT10_ENKUlT_T0_E_clISt17integral_constantIbLb1EES1C_IbLb0EEEEDaS18_S19_EUlS18_E_NS1_11comp_targetILNS1_3genE5ELNS1_11target_archE942ELNS1_3gpuE9ELNS1_3repE0EEENS1_30default_config_static_selectorELNS0_4arch9wavefront6targetE0EEEvT1_ ; -- Begin function _ZN7rocprim17ROCPRIM_400000_NS6detail17trampoline_kernelINS0_14default_configENS1_25partition_config_selectorILNS1_17partition_subalgoE9EtjbEEZZNS1_14partition_implILS5_9ELb0ES3_jN6thrust23THRUST_200600_302600_NS6detail15normal_iteratorINS9_10device_ptrItEEEENSB_INSC_IjEEEEPNS0_10empty_typeENS0_5tupleIJSE_SH_EEENSJ_IJNS9_16discard_iteratorINS9_11use_defaultEEESI_EEENS0_18inequality_wrapperINS9_8equal_toItEEEEPmJSH_EEE10hipError_tPvRmT3_T4_T5_T6_T7_T9_mT8_P12ihipStream_tbDpT10_ENKUlT_T0_E_clISt17integral_constantIbLb1EES1C_IbLb0EEEEDaS18_S19_EUlS18_E_NS1_11comp_targetILNS1_3genE5ELNS1_11target_archE942ELNS1_3gpuE9ELNS1_3repE0EEENS1_30default_config_static_selectorELNS0_4arch9wavefront6targetE0EEEvT1_
	.globl	_ZN7rocprim17ROCPRIM_400000_NS6detail17trampoline_kernelINS0_14default_configENS1_25partition_config_selectorILNS1_17partition_subalgoE9EtjbEEZZNS1_14partition_implILS5_9ELb0ES3_jN6thrust23THRUST_200600_302600_NS6detail15normal_iteratorINS9_10device_ptrItEEEENSB_INSC_IjEEEEPNS0_10empty_typeENS0_5tupleIJSE_SH_EEENSJ_IJNS9_16discard_iteratorINS9_11use_defaultEEESI_EEENS0_18inequality_wrapperINS9_8equal_toItEEEEPmJSH_EEE10hipError_tPvRmT3_T4_T5_T6_T7_T9_mT8_P12ihipStream_tbDpT10_ENKUlT_T0_E_clISt17integral_constantIbLb1EES1C_IbLb0EEEEDaS18_S19_EUlS18_E_NS1_11comp_targetILNS1_3genE5ELNS1_11target_archE942ELNS1_3gpuE9ELNS1_3repE0EEENS1_30default_config_static_selectorELNS0_4arch9wavefront6targetE0EEEvT1_
	.p2align	8
	.type	_ZN7rocprim17ROCPRIM_400000_NS6detail17trampoline_kernelINS0_14default_configENS1_25partition_config_selectorILNS1_17partition_subalgoE9EtjbEEZZNS1_14partition_implILS5_9ELb0ES3_jN6thrust23THRUST_200600_302600_NS6detail15normal_iteratorINS9_10device_ptrItEEEENSB_INSC_IjEEEEPNS0_10empty_typeENS0_5tupleIJSE_SH_EEENSJ_IJNS9_16discard_iteratorINS9_11use_defaultEEESI_EEENS0_18inequality_wrapperINS9_8equal_toItEEEEPmJSH_EEE10hipError_tPvRmT3_T4_T5_T6_T7_T9_mT8_P12ihipStream_tbDpT10_ENKUlT_T0_E_clISt17integral_constantIbLb1EES1C_IbLb0EEEEDaS18_S19_EUlS18_E_NS1_11comp_targetILNS1_3genE5ELNS1_11target_archE942ELNS1_3gpuE9ELNS1_3repE0EEENS1_30default_config_static_selectorELNS0_4arch9wavefront6targetE0EEEvT1_,@function
_ZN7rocprim17ROCPRIM_400000_NS6detail17trampoline_kernelINS0_14default_configENS1_25partition_config_selectorILNS1_17partition_subalgoE9EtjbEEZZNS1_14partition_implILS5_9ELb0ES3_jN6thrust23THRUST_200600_302600_NS6detail15normal_iteratorINS9_10device_ptrItEEEENSB_INSC_IjEEEEPNS0_10empty_typeENS0_5tupleIJSE_SH_EEENSJ_IJNS9_16discard_iteratorINS9_11use_defaultEEESI_EEENS0_18inequality_wrapperINS9_8equal_toItEEEEPmJSH_EEE10hipError_tPvRmT3_T4_T5_T6_T7_T9_mT8_P12ihipStream_tbDpT10_ENKUlT_T0_E_clISt17integral_constantIbLb1EES1C_IbLb0EEEEDaS18_S19_EUlS18_E_NS1_11comp_targetILNS1_3genE5ELNS1_11target_archE942ELNS1_3gpuE9ELNS1_3repE0EEENS1_30default_config_static_selectorELNS0_4arch9wavefront6targetE0EEEvT1_: ; @_ZN7rocprim17ROCPRIM_400000_NS6detail17trampoline_kernelINS0_14default_configENS1_25partition_config_selectorILNS1_17partition_subalgoE9EtjbEEZZNS1_14partition_implILS5_9ELb0ES3_jN6thrust23THRUST_200600_302600_NS6detail15normal_iteratorINS9_10device_ptrItEEEENSB_INSC_IjEEEEPNS0_10empty_typeENS0_5tupleIJSE_SH_EEENSJ_IJNS9_16discard_iteratorINS9_11use_defaultEEESI_EEENS0_18inequality_wrapperINS9_8equal_toItEEEEPmJSH_EEE10hipError_tPvRmT3_T4_T5_T6_T7_T9_mT8_P12ihipStream_tbDpT10_ENKUlT_T0_E_clISt17integral_constantIbLb1EES1C_IbLb0EEEEDaS18_S19_EUlS18_E_NS1_11comp_targetILNS1_3genE5ELNS1_11target_archE942ELNS1_3gpuE9ELNS1_3repE0EEENS1_30default_config_static_selectorELNS0_4arch9wavefront6targetE0EEEvT1_
; %bb.0:
	.section	.rodata,"a",@progbits
	.p2align	6, 0x0
	.amdhsa_kernel _ZN7rocprim17ROCPRIM_400000_NS6detail17trampoline_kernelINS0_14default_configENS1_25partition_config_selectorILNS1_17partition_subalgoE9EtjbEEZZNS1_14partition_implILS5_9ELb0ES3_jN6thrust23THRUST_200600_302600_NS6detail15normal_iteratorINS9_10device_ptrItEEEENSB_INSC_IjEEEEPNS0_10empty_typeENS0_5tupleIJSE_SH_EEENSJ_IJNS9_16discard_iteratorINS9_11use_defaultEEESI_EEENS0_18inequality_wrapperINS9_8equal_toItEEEEPmJSH_EEE10hipError_tPvRmT3_T4_T5_T6_T7_T9_mT8_P12ihipStream_tbDpT10_ENKUlT_T0_E_clISt17integral_constantIbLb1EES1C_IbLb0EEEEDaS18_S19_EUlS18_E_NS1_11comp_targetILNS1_3genE5ELNS1_11target_archE942ELNS1_3gpuE9ELNS1_3repE0EEENS1_30default_config_static_selectorELNS0_4arch9wavefront6targetE0EEEvT1_
		.amdhsa_group_segment_fixed_size 0
		.amdhsa_private_segment_fixed_size 0
		.amdhsa_kernarg_size 120
		.amdhsa_user_sgpr_count 15
		.amdhsa_user_sgpr_dispatch_ptr 0
		.amdhsa_user_sgpr_queue_ptr 0
		.amdhsa_user_sgpr_kernarg_segment_ptr 1
		.amdhsa_user_sgpr_dispatch_id 0
		.amdhsa_user_sgpr_private_segment_size 0
		.amdhsa_wavefront_size32 1
		.amdhsa_uses_dynamic_stack 0
		.amdhsa_enable_private_segment 0
		.amdhsa_system_sgpr_workgroup_id_x 1
		.amdhsa_system_sgpr_workgroup_id_y 0
		.amdhsa_system_sgpr_workgroup_id_z 0
		.amdhsa_system_sgpr_workgroup_info 0
		.amdhsa_system_vgpr_workitem_id 0
		.amdhsa_next_free_vgpr 1
		.amdhsa_next_free_sgpr 1
		.amdhsa_reserve_vcc 0
		.amdhsa_float_round_mode_32 0
		.amdhsa_float_round_mode_16_64 0
		.amdhsa_float_denorm_mode_32 3
		.amdhsa_float_denorm_mode_16_64 3
		.amdhsa_dx10_clamp 1
		.amdhsa_ieee_mode 1
		.amdhsa_fp16_overflow 0
		.amdhsa_workgroup_processor_mode 1
		.amdhsa_memory_ordered 1
		.amdhsa_forward_progress 0
		.amdhsa_shared_vgpr_count 0
		.amdhsa_exception_fp_ieee_invalid_op 0
		.amdhsa_exception_fp_denorm_src 0
		.amdhsa_exception_fp_ieee_div_zero 0
		.amdhsa_exception_fp_ieee_overflow 0
		.amdhsa_exception_fp_ieee_underflow 0
		.amdhsa_exception_fp_ieee_inexact 0
		.amdhsa_exception_int_div_zero 0
	.end_amdhsa_kernel
	.section	.text._ZN7rocprim17ROCPRIM_400000_NS6detail17trampoline_kernelINS0_14default_configENS1_25partition_config_selectorILNS1_17partition_subalgoE9EtjbEEZZNS1_14partition_implILS5_9ELb0ES3_jN6thrust23THRUST_200600_302600_NS6detail15normal_iteratorINS9_10device_ptrItEEEENSB_INSC_IjEEEEPNS0_10empty_typeENS0_5tupleIJSE_SH_EEENSJ_IJNS9_16discard_iteratorINS9_11use_defaultEEESI_EEENS0_18inequality_wrapperINS9_8equal_toItEEEEPmJSH_EEE10hipError_tPvRmT3_T4_T5_T6_T7_T9_mT8_P12ihipStream_tbDpT10_ENKUlT_T0_E_clISt17integral_constantIbLb1EES1C_IbLb0EEEEDaS18_S19_EUlS18_E_NS1_11comp_targetILNS1_3genE5ELNS1_11target_archE942ELNS1_3gpuE9ELNS1_3repE0EEENS1_30default_config_static_selectorELNS0_4arch9wavefront6targetE0EEEvT1_,"axG",@progbits,_ZN7rocprim17ROCPRIM_400000_NS6detail17trampoline_kernelINS0_14default_configENS1_25partition_config_selectorILNS1_17partition_subalgoE9EtjbEEZZNS1_14partition_implILS5_9ELb0ES3_jN6thrust23THRUST_200600_302600_NS6detail15normal_iteratorINS9_10device_ptrItEEEENSB_INSC_IjEEEEPNS0_10empty_typeENS0_5tupleIJSE_SH_EEENSJ_IJNS9_16discard_iteratorINS9_11use_defaultEEESI_EEENS0_18inequality_wrapperINS9_8equal_toItEEEEPmJSH_EEE10hipError_tPvRmT3_T4_T5_T6_T7_T9_mT8_P12ihipStream_tbDpT10_ENKUlT_T0_E_clISt17integral_constantIbLb1EES1C_IbLb0EEEEDaS18_S19_EUlS18_E_NS1_11comp_targetILNS1_3genE5ELNS1_11target_archE942ELNS1_3gpuE9ELNS1_3repE0EEENS1_30default_config_static_selectorELNS0_4arch9wavefront6targetE0EEEvT1_,comdat
.Lfunc_end934:
	.size	_ZN7rocprim17ROCPRIM_400000_NS6detail17trampoline_kernelINS0_14default_configENS1_25partition_config_selectorILNS1_17partition_subalgoE9EtjbEEZZNS1_14partition_implILS5_9ELb0ES3_jN6thrust23THRUST_200600_302600_NS6detail15normal_iteratorINS9_10device_ptrItEEEENSB_INSC_IjEEEEPNS0_10empty_typeENS0_5tupleIJSE_SH_EEENSJ_IJNS9_16discard_iteratorINS9_11use_defaultEEESI_EEENS0_18inequality_wrapperINS9_8equal_toItEEEEPmJSH_EEE10hipError_tPvRmT3_T4_T5_T6_T7_T9_mT8_P12ihipStream_tbDpT10_ENKUlT_T0_E_clISt17integral_constantIbLb1EES1C_IbLb0EEEEDaS18_S19_EUlS18_E_NS1_11comp_targetILNS1_3genE5ELNS1_11target_archE942ELNS1_3gpuE9ELNS1_3repE0EEENS1_30default_config_static_selectorELNS0_4arch9wavefront6targetE0EEEvT1_, .Lfunc_end934-_ZN7rocprim17ROCPRIM_400000_NS6detail17trampoline_kernelINS0_14default_configENS1_25partition_config_selectorILNS1_17partition_subalgoE9EtjbEEZZNS1_14partition_implILS5_9ELb0ES3_jN6thrust23THRUST_200600_302600_NS6detail15normal_iteratorINS9_10device_ptrItEEEENSB_INSC_IjEEEEPNS0_10empty_typeENS0_5tupleIJSE_SH_EEENSJ_IJNS9_16discard_iteratorINS9_11use_defaultEEESI_EEENS0_18inequality_wrapperINS9_8equal_toItEEEEPmJSH_EEE10hipError_tPvRmT3_T4_T5_T6_T7_T9_mT8_P12ihipStream_tbDpT10_ENKUlT_T0_E_clISt17integral_constantIbLb1EES1C_IbLb0EEEEDaS18_S19_EUlS18_E_NS1_11comp_targetILNS1_3genE5ELNS1_11target_archE942ELNS1_3gpuE9ELNS1_3repE0EEENS1_30default_config_static_selectorELNS0_4arch9wavefront6targetE0EEEvT1_
                                        ; -- End function
	.section	.AMDGPU.csdata,"",@progbits
; Kernel info:
; codeLenInByte = 0
; NumSgprs: 0
; NumVgprs: 0
; ScratchSize: 0
; MemoryBound: 0
; FloatMode: 240
; IeeeMode: 1
; LDSByteSize: 0 bytes/workgroup (compile time only)
; SGPRBlocks: 0
; VGPRBlocks: 0
; NumSGPRsForWavesPerEU: 1
; NumVGPRsForWavesPerEU: 1
; Occupancy: 16
; WaveLimiterHint : 0
; COMPUTE_PGM_RSRC2:SCRATCH_EN: 0
; COMPUTE_PGM_RSRC2:USER_SGPR: 15
; COMPUTE_PGM_RSRC2:TRAP_HANDLER: 0
; COMPUTE_PGM_RSRC2:TGID_X_EN: 1
; COMPUTE_PGM_RSRC2:TGID_Y_EN: 0
; COMPUTE_PGM_RSRC2:TGID_Z_EN: 0
; COMPUTE_PGM_RSRC2:TIDIG_COMP_CNT: 0
	.section	.text._ZN7rocprim17ROCPRIM_400000_NS6detail17trampoline_kernelINS0_14default_configENS1_25partition_config_selectorILNS1_17partition_subalgoE9EtjbEEZZNS1_14partition_implILS5_9ELb0ES3_jN6thrust23THRUST_200600_302600_NS6detail15normal_iteratorINS9_10device_ptrItEEEENSB_INSC_IjEEEEPNS0_10empty_typeENS0_5tupleIJSE_SH_EEENSJ_IJNS9_16discard_iteratorINS9_11use_defaultEEESI_EEENS0_18inequality_wrapperINS9_8equal_toItEEEEPmJSH_EEE10hipError_tPvRmT3_T4_T5_T6_T7_T9_mT8_P12ihipStream_tbDpT10_ENKUlT_T0_E_clISt17integral_constantIbLb1EES1C_IbLb0EEEEDaS18_S19_EUlS18_E_NS1_11comp_targetILNS1_3genE4ELNS1_11target_archE910ELNS1_3gpuE8ELNS1_3repE0EEENS1_30default_config_static_selectorELNS0_4arch9wavefront6targetE0EEEvT1_,"axG",@progbits,_ZN7rocprim17ROCPRIM_400000_NS6detail17trampoline_kernelINS0_14default_configENS1_25partition_config_selectorILNS1_17partition_subalgoE9EtjbEEZZNS1_14partition_implILS5_9ELb0ES3_jN6thrust23THRUST_200600_302600_NS6detail15normal_iteratorINS9_10device_ptrItEEEENSB_INSC_IjEEEEPNS0_10empty_typeENS0_5tupleIJSE_SH_EEENSJ_IJNS9_16discard_iteratorINS9_11use_defaultEEESI_EEENS0_18inequality_wrapperINS9_8equal_toItEEEEPmJSH_EEE10hipError_tPvRmT3_T4_T5_T6_T7_T9_mT8_P12ihipStream_tbDpT10_ENKUlT_T0_E_clISt17integral_constantIbLb1EES1C_IbLb0EEEEDaS18_S19_EUlS18_E_NS1_11comp_targetILNS1_3genE4ELNS1_11target_archE910ELNS1_3gpuE8ELNS1_3repE0EEENS1_30default_config_static_selectorELNS0_4arch9wavefront6targetE0EEEvT1_,comdat
	.protected	_ZN7rocprim17ROCPRIM_400000_NS6detail17trampoline_kernelINS0_14default_configENS1_25partition_config_selectorILNS1_17partition_subalgoE9EtjbEEZZNS1_14partition_implILS5_9ELb0ES3_jN6thrust23THRUST_200600_302600_NS6detail15normal_iteratorINS9_10device_ptrItEEEENSB_INSC_IjEEEEPNS0_10empty_typeENS0_5tupleIJSE_SH_EEENSJ_IJNS9_16discard_iteratorINS9_11use_defaultEEESI_EEENS0_18inequality_wrapperINS9_8equal_toItEEEEPmJSH_EEE10hipError_tPvRmT3_T4_T5_T6_T7_T9_mT8_P12ihipStream_tbDpT10_ENKUlT_T0_E_clISt17integral_constantIbLb1EES1C_IbLb0EEEEDaS18_S19_EUlS18_E_NS1_11comp_targetILNS1_3genE4ELNS1_11target_archE910ELNS1_3gpuE8ELNS1_3repE0EEENS1_30default_config_static_selectorELNS0_4arch9wavefront6targetE0EEEvT1_ ; -- Begin function _ZN7rocprim17ROCPRIM_400000_NS6detail17trampoline_kernelINS0_14default_configENS1_25partition_config_selectorILNS1_17partition_subalgoE9EtjbEEZZNS1_14partition_implILS5_9ELb0ES3_jN6thrust23THRUST_200600_302600_NS6detail15normal_iteratorINS9_10device_ptrItEEEENSB_INSC_IjEEEEPNS0_10empty_typeENS0_5tupleIJSE_SH_EEENSJ_IJNS9_16discard_iteratorINS9_11use_defaultEEESI_EEENS0_18inequality_wrapperINS9_8equal_toItEEEEPmJSH_EEE10hipError_tPvRmT3_T4_T5_T6_T7_T9_mT8_P12ihipStream_tbDpT10_ENKUlT_T0_E_clISt17integral_constantIbLb1EES1C_IbLb0EEEEDaS18_S19_EUlS18_E_NS1_11comp_targetILNS1_3genE4ELNS1_11target_archE910ELNS1_3gpuE8ELNS1_3repE0EEENS1_30default_config_static_selectorELNS0_4arch9wavefront6targetE0EEEvT1_
	.globl	_ZN7rocprim17ROCPRIM_400000_NS6detail17trampoline_kernelINS0_14default_configENS1_25partition_config_selectorILNS1_17partition_subalgoE9EtjbEEZZNS1_14partition_implILS5_9ELb0ES3_jN6thrust23THRUST_200600_302600_NS6detail15normal_iteratorINS9_10device_ptrItEEEENSB_INSC_IjEEEEPNS0_10empty_typeENS0_5tupleIJSE_SH_EEENSJ_IJNS9_16discard_iteratorINS9_11use_defaultEEESI_EEENS0_18inequality_wrapperINS9_8equal_toItEEEEPmJSH_EEE10hipError_tPvRmT3_T4_T5_T6_T7_T9_mT8_P12ihipStream_tbDpT10_ENKUlT_T0_E_clISt17integral_constantIbLb1EES1C_IbLb0EEEEDaS18_S19_EUlS18_E_NS1_11comp_targetILNS1_3genE4ELNS1_11target_archE910ELNS1_3gpuE8ELNS1_3repE0EEENS1_30default_config_static_selectorELNS0_4arch9wavefront6targetE0EEEvT1_
	.p2align	8
	.type	_ZN7rocprim17ROCPRIM_400000_NS6detail17trampoline_kernelINS0_14default_configENS1_25partition_config_selectorILNS1_17partition_subalgoE9EtjbEEZZNS1_14partition_implILS5_9ELb0ES3_jN6thrust23THRUST_200600_302600_NS6detail15normal_iteratorINS9_10device_ptrItEEEENSB_INSC_IjEEEEPNS0_10empty_typeENS0_5tupleIJSE_SH_EEENSJ_IJNS9_16discard_iteratorINS9_11use_defaultEEESI_EEENS0_18inequality_wrapperINS9_8equal_toItEEEEPmJSH_EEE10hipError_tPvRmT3_T4_T5_T6_T7_T9_mT8_P12ihipStream_tbDpT10_ENKUlT_T0_E_clISt17integral_constantIbLb1EES1C_IbLb0EEEEDaS18_S19_EUlS18_E_NS1_11comp_targetILNS1_3genE4ELNS1_11target_archE910ELNS1_3gpuE8ELNS1_3repE0EEENS1_30default_config_static_selectorELNS0_4arch9wavefront6targetE0EEEvT1_,@function
_ZN7rocprim17ROCPRIM_400000_NS6detail17trampoline_kernelINS0_14default_configENS1_25partition_config_selectorILNS1_17partition_subalgoE9EtjbEEZZNS1_14partition_implILS5_9ELb0ES3_jN6thrust23THRUST_200600_302600_NS6detail15normal_iteratorINS9_10device_ptrItEEEENSB_INSC_IjEEEEPNS0_10empty_typeENS0_5tupleIJSE_SH_EEENSJ_IJNS9_16discard_iteratorINS9_11use_defaultEEESI_EEENS0_18inequality_wrapperINS9_8equal_toItEEEEPmJSH_EEE10hipError_tPvRmT3_T4_T5_T6_T7_T9_mT8_P12ihipStream_tbDpT10_ENKUlT_T0_E_clISt17integral_constantIbLb1EES1C_IbLb0EEEEDaS18_S19_EUlS18_E_NS1_11comp_targetILNS1_3genE4ELNS1_11target_archE910ELNS1_3gpuE8ELNS1_3repE0EEENS1_30default_config_static_selectorELNS0_4arch9wavefront6targetE0EEEvT1_: ; @_ZN7rocprim17ROCPRIM_400000_NS6detail17trampoline_kernelINS0_14default_configENS1_25partition_config_selectorILNS1_17partition_subalgoE9EtjbEEZZNS1_14partition_implILS5_9ELb0ES3_jN6thrust23THRUST_200600_302600_NS6detail15normal_iteratorINS9_10device_ptrItEEEENSB_INSC_IjEEEEPNS0_10empty_typeENS0_5tupleIJSE_SH_EEENSJ_IJNS9_16discard_iteratorINS9_11use_defaultEEESI_EEENS0_18inequality_wrapperINS9_8equal_toItEEEEPmJSH_EEE10hipError_tPvRmT3_T4_T5_T6_T7_T9_mT8_P12ihipStream_tbDpT10_ENKUlT_T0_E_clISt17integral_constantIbLb1EES1C_IbLb0EEEEDaS18_S19_EUlS18_E_NS1_11comp_targetILNS1_3genE4ELNS1_11target_archE910ELNS1_3gpuE8ELNS1_3repE0EEENS1_30default_config_static_selectorELNS0_4arch9wavefront6targetE0EEEvT1_
; %bb.0:
	.section	.rodata,"a",@progbits
	.p2align	6, 0x0
	.amdhsa_kernel _ZN7rocprim17ROCPRIM_400000_NS6detail17trampoline_kernelINS0_14default_configENS1_25partition_config_selectorILNS1_17partition_subalgoE9EtjbEEZZNS1_14partition_implILS5_9ELb0ES3_jN6thrust23THRUST_200600_302600_NS6detail15normal_iteratorINS9_10device_ptrItEEEENSB_INSC_IjEEEEPNS0_10empty_typeENS0_5tupleIJSE_SH_EEENSJ_IJNS9_16discard_iteratorINS9_11use_defaultEEESI_EEENS0_18inequality_wrapperINS9_8equal_toItEEEEPmJSH_EEE10hipError_tPvRmT3_T4_T5_T6_T7_T9_mT8_P12ihipStream_tbDpT10_ENKUlT_T0_E_clISt17integral_constantIbLb1EES1C_IbLb0EEEEDaS18_S19_EUlS18_E_NS1_11comp_targetILNS1_3genE4ELNS1_11target_archE910ELNS1_3gpuE8ELNS1_3repE0EEENS1_30default_config_static_selectorELNS0_4arch9wavefront6targetE0EEEvT1_
		.amdhsa_group_segment_fixed_size 0
		.amdhsa_private_segment_fixed_size 0
		.amdhsa_kernarg_size 120
		.amdhsa_user_sgpr_count 15
		.amdhsa_user_sgpr_dispatch_ptr 0
		.amdhsa_user_sgpr_queue_ptr 0
		.amdhsa_user_sgpr_kernarg_segment_ptr 1
		.amdhsa_user_sgpr_dispatch_id 0
		.amdhsa_user_sgpr_private_segment_size 0
		.amdhsa_wavefront_size32 1
		.amdhsa_uses_dynamic_stack 0
		.amdhsa_enable_private_segment 0
		.amdhsa_system_sgpr_workgroup_id_x 1
		.amdhsa_system_sgpr_workgroup_id_y 0
		.amdhsa_system_sgpr_workgroup_id_z 0
		.amdhsa_system_sgpr_workgroup_info 0
		.amdhsa_system_vgpr_workitem_id 0
		.amdhsa_next_free_vgpr 1
		.amdhsa_next_free_sgpr 1
		.amdhsa_reserve_vcc 0
		.amdhsa_float_round_mode_32 0
		.amdhsa_float_round_mode_16_64 0
		.amdhsa_float_denorm_mode_32 3
		.amdhsa_float_denorm_mode_16_64 3
		.amdhsa_dx10_clamp 1
		.amdhsa_ieee_mode 1
		.amdhsa_fp16_overflow 0
		.amdhsa_workgroup_processor_mode 1
		.amdhsa_memory_ordered 1
		.amdhsa_forward_progress 0
		.amdhsa_shared_vgpr_count 0
		.amdhsa_exception_fp_ieee_invalid_op 0
		.amdhsa_exception_fp_denorm_src 0
		.amdhsa_exception_fp_ieee_div_zero 0
		.amdhsa_exception_fp_ieee_overflow 0
		.amdhsa_exception_fp_ieee_underflow 0
		.amdhsa_exception_fp_ieee_inexact 0
		.amdhsa_exception_int_div_zero 0
	.end_amdhsa_kernel
	.section	.text._ZN7rocprim17ROCPRIM_400000_NS6detail17trampoline_kernelINS0_14default_configENS1_25partition_config_selectorILNS1_17partition_subalgoE9EtjbEEZZNS1_14partition_implILS5_9ELb0ES3_jN6thrust23THRUST_200600_302600_NS6detail15normal_iteratorINS9_10device_ptrItEEEENSB_INSC_IjEEEEPNS0_10empty_typeENS0_5tupleIJSE_SH_EEENSJ_IJNS9_16discard_iteratorINS9_11use_defaultEEESI_EEENS0_18inequality_wrapperINS9_8equal_toItEEEEPmJSH_EEE10hipError_tPvRmT3_T4_T5_T6_T7_T9_mT8_P12ihipStream_tbDpT10_ENKUlT_T0_E_clISt17integral_constantIbLb1EES1C_IbLb0EEEEDaS18_S19_EUlS18_E_NS1_11comp_targetILNS1_3genE4ELNS1_11target_archE910ELNS1_3gpuE8ELNS1_3repE0EEENS1_30default_config_static_selectorELNS0_4arch9wavefront6targetE0EEEvT1_,"axG",@progbits,_ZN7rocprim17ROCPRIM_400000_NS6detail17trampoline_kernelINS0_14default_configENS1_25partition_config_selectorILNS1_17partition_subalgoE9EtjbEEZZNS1_14partition_implILS5_9ELb0ES3_jN6thrust23THRUST_200600_302600_NS6detail15normal_iteratorINS9_10device_ptrItEEEENSB_INSC_IjEEEEPNS0_10empty_typeENS0_5tupleIJSE_SH_EEENSJ_IJNS9_16discard_iteratorINS9_11use_defaultEEESI_EEENS0_18inequality_wrapperINS9_8equal_toItEEEEPmJSH_EEE10hipError_tPvRmT3_T4_T5_T6_T7_T9_mT8_P12ihipStream_tbDpT10_ENKUlT_T0_E_clISt17integral_constantIbLb1EES1C_IbLb0EEEEDaS18_S19_EUlS18_E_NS1_11comp_targetILNS1_3genE4ELNS1_11target_archE910ELNS1_3gpuE8ELNS1_3repE0EEENS1_30default_config_static_selectorELNS0_4arch9wavefront6targetE0EEEvT1_,comdat
.Lfunc_end935:
	.size	_ZN7rocprim17ROCPRIM_400000_NS6detail17trampoline_kernelINS0_14default_configENS1_25partition_config_selectorILNS1_17partition_subalgoE9EtjbEEZZNS1_14partition_implILS5_9ELb0ES3_jN6thrust23THRUST_200600_302600_NS6detail15normal_iteratorINS9_10device_ptrItEEEENSB_INSC_IjEEEEPNS0_10empty_typeENS0_5tupleIJSE_SH_EEENSJ_IJNS9_16discard_iteratorINS9_11use_defaultEEESI_EEENS0_18inequality_wrapperINS9_8equal_toItEEEEPmJSH_EEE10hipError_tPvRmT3_T4_T5_T6_T7_T9_mT8_P12ihipStream_tbDpT10_ENKUlT_T0_E_clISt17integral_constantIbLb1EES1C_IbLb0EEEEDaS18_S19_EUlS18_E_NS1_11comp_targetILNS1_3genE4ELNS1_11target_archE910ELNS1_3gpuE8ELNS1_3repE0EEENS1_30default_config_static_selectorELNS0_4arch9wavefront6targetE0EEEvT1_, .Lfunc_end935-_ZN7rocprim17ROCPRIM_400000_NS6detail17trampoline_kernelINS0_14default_configENS1_25partition_config_selectorILNS1_17partition_subalgoE9EtjbEEZZNS1_14partition_implILS5_9ELb0ES3_jN6thrust23THRUST_200600_302600_NS6detail15normal_iteratorINS9_10device_ptrItEEEENSB_INSC_IjEEEEPNS0_10empty_typeENS0_5tupleIJSE_SH_EEENSJ_IJNS9_16discard_iteratorINS9_11use_defaultEEESI_EEENS0_18inequality_wrapperINS9_8equal_toItEEEEPmJSH_EEE10hipError_tPvRmT3_T4_T5_T6_T7_T9_mT8_P12ihipStream_tbDpT10_ENKUlT_T0_E_clISt17integral_constantIbLb1EES1C_IbLb0EEEEDaS18_S19_EUlS18_E_NS1_11comp_targetILNS1_3genE4ELNS1_11target_archE910ELNS1_3gpuE8ELNS1_3repE0EEENS1_30default_config_static_selectorELNS0_4arch9wavefront6targetE0EEEvT1_
                                        ; -- End function
	.section	.AMDGPU.csdata,"",@progbits
; Kernel info:
; codeLenInByte = 0
; NumSgprs: 0
; NumVgprs: 0
; ScratchSize: 0
; MemoryBound: 0
; FloatMode: 240
; IeeeMode: 1
; LDSByteSize: 0 bytes/workgroup (compile time only)
; SGPRBlocks: 0
; VGPRBlocks: 0
; NumSGPRsForWavesPerEU: 1
; NumVGPRsForWavesPerEU: 1
; Occupancy: 15
; WaveLimiterHint : 0
; COMPUTE_PGM_RSRC2:SCRATCH_EN: 0
; COMPUTE_PGM_RSRC2:USER_SGPR: 15
; COMPUTE_PGM_RSRC2:TRAP_HANDLER: 0
; COMPUTE_PGM_RSRC2:TGID_X_EN: 1
; COMPUTE_PGM_RSRC2:TGID_Y_EN: 0
; COMPUTE_PGM_RSRC2:TGID_Z_EN: 0
; COMPUTE_PGM_RSRC2:TIDIG_COMP_CNT: 0
	.section	.text._ZN7rocprim17ROCPRIM_400000_NS6detail17trampoline_kernelINS0_14default_configENS1_25partition_config_selectorILNS1_17partition_subalgoE9EtjbEEZZNS1_14partition_implILS5_9ELb0ES3_jN6thrust23THRUST_200600_302600_NS6detail15normal_iteratorINS9_10device_ptrItEEEENSB_INSC_IjEEEEPNS0_10empty_typeENS0_5tupleIJSE_SH_EEENSJ_IJNS9_16discard_iteratorINS9_11use_defaultEEESI_EEENS0_18inequality_wrapperINS9_8equal_toItEEEEPmJSH_EEE10hipError_tPvRmT3_T4_T5_T6_T7_T9_mT8_P12ihipStream_tbDpT10_ENKUlT_T0_E_clISt17integral_constantIbLb1EES1C_IbLb0EEEEDaS18_S19_EUlS18_E_NS1_11comp_targetILNS1_3genE3ELNS1_11target_archE908ELNS1_3gpuE7ELNS1_3repE0EEENS1_30default_config_static_selectorELNS0_4arch9wavefront6targetE0EEEvT1_,"axG",@progbits,_ZN7rocprim17ROCPRIM_400000_NS6detail17trampoline_kernelINS0_14default_configENS1_25partition_config_selectorILNS1_17partition_subalgoE9EtjbEEZZNS1_14partition_implILS5_9ELb0ES3_jN6thrust23THRUST_200600_302600_NS6detail15normal_iteratorINS9_10device_ptrItEEEENSB_INSC_IjEEEEPNS0_10empty_typeENS0_5tupleIJSE_SH_EEENSJ_IJNS9_16discard_iteratorINS9_11use_defaultEEESI_EEENS0_18inequality_wrapperINS9_8equal_toItEEEEPmJSH_EEE10hipError_tPvRmT3_T4_T5_T6_T7_T9_mT8_P12ihipStream_tbDpT10_ENKUlT_T0_E_clISt17integral_constantIbLb1EES1C_IbLb0EEEEDaS18_S19_EUlS18_E_NS1_11comp_targetILNS1_3genE3ELNS1_11target_archE908ELNS1_3gpuE7ELNS1_3repE0EEENS1_30default_config_static_selectorELNS0_4arch9wavefront6targetE0EEEvT1_,comdat
	.protected	_ZN7rocprim17ROCPRIM_400000_NS6detail17trampoline_kernelINS0_14default_configENS1_25partition_config_selectorILNS1_17partition_subalgoE9EtjbEEZZNS1_14partition_implILS5_9ELb0ES3_jN6thrust23THRUST_200600_302600_NS6detail15normal_iteratorINS9_10device_ptrItEEEENSB_INSC_IjEEEEPNS0_10empty_typeENS0_5tupleIJSE_SH_EEENSJ_IJNS9_16discard_iteratorINS9_11use_defaultEEESI_EEENS0_18inequality_wrapperINS9_8equal_toItEEEEPmJSH_EEE10hipError_tPvRmT3_T4_T5_T6_T7_T9_mT8_P12ihipStream_tbDpT10_ENKUlT_T0_E_clISt17integral_constantIbLb1EES1C_IbLb0EEEEDaS18_S19_EUlS18_E_NS1_11comp_targetILNS1_3genE3ELNS1_11target_archE908ELNS1_3gpuE7ELNS1_3repE0EEENS1_30default_config_static_selectorELNS0_4arch9wavefront6targetE0EEEvT1_ ; -- Begin function _ZN7rocprim17ROCPRIM_400000_NS6detail17trampoline_kernelINS0_14default_configENS1_25partition_config_selectorILNS1_17partition_subalgoE9EtjbEEZZNS1_14partition_implILS5_9ELb0ES3_jN6thrust23THRUST_200600_302600_NS6detail15normal_iteratorINS9_10device_ptrItEEEENSB_INSC_IjEEEEPNS0_10empty_typeENS0_5tupleIJSE_SH_EEENSJ_IJNS9_16discard_iteratorINS9_11use_defaultEEESI_EEENS0_18inequality_wrapperINS9_8equal_toItEEEEPmJSH_EEE10hipError_tPvRmT3_T4_T5_T6_T7_T9_mT8_P12ihipStream_tbDpT10_ENKUlT_T0_E_clISt17integral_constantIbLb1EES1C_IbLb0EEEEDaS18_S19_EUlS18_E_NS1_11comp_targetILNS1_3genE3ELNS1_11target_archE908ELNS1_3gpuE7ELNS1_3repE0EEENS1_30default_config_static_selectorELNS0_4arch9wavefront6targetE0EEEvT1_
	.globl	_ZN7rocprim17ROCPRIM_400000_NS6detail17trampoline_kernelINS0_14default_configENS1_25partition_config_selectorILNS1_17partition_subalgoE9EtjbEEZZNS1_14partition_implILS5_9ELb0ES3_jN6thrust23THRUST_200600_302600_NS6detail15normal_iteratorINS9_10device_ptrItEEEENSB_INSC_IjEEEEPNS0_10empty_typeENS0_5tupleIJSE_SH_EEENSJ_IJNS9_16discard_iteratorINS9_11use_defaultEEESI_EEENS0_18inequality_wrapperINS9_8equal_toItEEEEPmJSH_EEE10hipError_tPvRmT3_T4_T5_T6_T7_T9_mT8_P12ihipStream_tbDpT10_ENKUlT_T0_E_clISt17integral_constantIbLb1EES1C_IbLb0EEEEDaS18_S19_EUlS18_E_NS1_11comp_targetILNS1_3genE3ELNS1_11target_archE908ELNS1_3gpuE7ELNS1_3repE0EEENS1_30default_config_static_selectorELNS0_4arch9wavefront6targetE0EEEvT1_
	.p2align	8
	.type	_ZN7rocprim17ROCPRIM_400000_NS6detail17trampoline_kernelINS0_14default_configENS1_25partition_config_selectorILNS1_17partition_subalgoE9EtjbEEZZNS1_14partition_implILS5_9ELb0ES3_jN6thrust23THRUST_200600_302600_NS6detail15normal_iteratorINS9_10device_ptrItEEEENSB_INSC_IjEEEEPNS0_10empty_typeENS0_5tupleIJSE_SH_EEENSJ_IJNS9_16discard_iteratorINS9_11use_defaultEEESI_EEENS0_18inequality_wrapperINS9_8equal_toItEEEEPmJSH_EEE10hipError_tPvRmT3_T4_T5_T6_T7_T9_mT8_P12ihipStream_tbDpT10_ENKUlT_T0_E_clISt17integral_constantIbLb1EES1C_IbLb0EEEEDaS18_S19_EUlS18_E_NS1_11comp_targetILNS1_3genE3ELNS1_11target_archE908ELNS1_3gpuE7ELNS1_3repE0EEENS1_30default_config_static_selectorELNS0_4arch9wavefront6targetE0EEEvT1_,@function
_ZN7rocprim17ROCPRIM_400000_NS6detail17trampoline_kernelINS0_14default_configENS1_25partition_config_selectorILNS1_17partition_subalgoE9EtjbEEZZNS1_14partition_implILS5_9ELb0ES3_jN6thrust23THRUST_200600_302600_NS6detail15normal_iteratorINS9_10device_ptrItEEEENSB_INSC_IjEEEEPNS0_10empty_typeENS0_5tupleIJSE_SH_EEENSJ_IJNS9_16discard_iteratorINS9_11use_defaultEEESI_EEENS0_18inequality_wrapperINS9_8equal_toItEEEEPmJSH_EEE10hipError_tPvRmT3_T4_T5_T6_T7_T9_mT8_P12ihipStream_tbDpT10_ENKUlT_T0_E_clISt17integral_constantIbLb1EES1C_IbLb0EEEEDaS18_S19_EUlS18_E_NS1_11comp_targetILNS1_3genE3ELNS1_11target_archE908ELNS1_3gpuE7ELNS1_3repE0EEENS1_30default_config_static_selectorELNS0_4arch9wavefront6targetE0EEEvT1_: ; @_ZN7rocprim17ROCPRIM_400000_NS6detail17trampoline_kernelINS0_14default_configENS1_25partition_config_selectorILNS1_17partition_subalgoE9EtjbEEZZNS1_14partition_implILS5_9ELb0ES3_jN6thrust23THRUST_200600_302600_NS6detail15normal_iteratorINS9_10device_ptrItEEEENSB_INSC_IjEEEEPNS0_10empty_typeENS0_5tupleIJSE_SH_EEENSJ_IJNS9_16discard_iteratorINS9_11use_defaultEEESI_EEENS0_18inequality_wrapperINS9_8equal_toItEEEEPmJSH_EEE10hipError_tPvRmT3_T4_T5_T6_T7_T9_mT8_P12ihipStream_tbDpT10_ENKUlT_T0_E_clISt17integral_constantIbLb1EES1C_IbLb0EEEEDaS18_S19_EUlS18_E_NS1_11comp_targetILNS1_3genE3ELNS1_11target_archE908ELNS1_3gpuE7ELNS1_3repE0EEENS1_30default_config_static_selectorELNS0_4arch9wavefront6targetE0EEEvT1_
; %bb.0:
	.section	.rodata,"a",@progbits
	.p2align	6, 0x0
	.amdhsa_kernel _ZN7rocprim17ROCPRIM_400000_NS6detail17trampoline_kernelINS0_14default_configENS1_25partition_config_selectorILNS1_17partition_subalgoE9EtjbEEZZNS1_14partition_implILS5_9ELb0ES3_jN6thrust23THRUST_200600_302600_NS6detail15normal_iteratorINS9_10device_ptrItEEEENSB_INSC_IjEEEEPNS0_10empty_typeENS0_5tupleIJSE_SH_EEENSJ_IJNS9_16discard_iteratorINS9_11use_defaultEEESI_EEENS0_18inequality_wrapperINS9_8equal_toItEEEEPmJSH_EEE10hipError_tPvRmT3_T4_T5_T6_T7_T9_mT8_P12ihipStream_tbDpT10_ENKUlT_T0_E_clISt17integral_constantIbLb1EES1C_IbLb0EEEEDaS18_S19_EUlS18_E_NS1_11comp_targetILNS1_3genE3ELNS1_11target_archE908ELNS1_3gpuE7ELNS1_3repE0EEENS1_30default_config_static_selectorELNS0_4arch9wavefront6targetE0EEEvT1_
		.amdhsa_group_segment_fixed_size 0
		.amdhsa_private_segment_fixed_size 0
		.amdhsa_kernarg_size 120
		.amdhsa_user_sgpr_count 15
		.amdhsa_user_sgpr_dispatch_ptr 0
		.amdhsa_user_sgpr_queue_ptr 0
		.amdhsa_user_sgpr_kernarg_segment_ptr 1
		.amdhsa_user_sgpr_dispatch_id 0
		.amdhsa_user_sgpr_private_segment_size 0
		.amdhsa_wavefront_size32 1
		.amdhsa_uses_dynamic_stack 0
		.amdhsa_enable_private_segment 0
		.amdhsa_system_sgpr_workgroup_id_x 1
		.amdhsa_system_sgpr_workgroup_id_y 0
		.amdhsa_system_sgpr_workgroup_id_z 0
		.amdhsa_system_sgpr_workgroup_info 0
		.amdhsa_system_vgpr_workitem_id 0
		.amdhsa_next_free_vgpr 1
		.amdhsa_next_free_sgpr 1
		.amdhsa_reserve_vcc 0
		.amdhsa_float_round_mode_32 0
		.amdhsa_float_round_mode_16_64 0
		.amdhsa_float_denorm_mode_32 3
		.amdhsa_float_denorm_mode_16_64 3
		.amdhsa_dx10_clamp 1
		.amdhsa_ieee_mode 1
		.amdhsa_fp16_overflow 0
		.amdhsa_workgroup_processor_mode 1
		.amdhsa_memory_ordered 1
		.amdhsa_forward_progress 0
		.amdhsa_shared_vgpr_count 0
		.amdhsa_exception_fp_ieee_invalid_op 0
		.amdhsa_exception_fp_denorm_src 0
		.amdhsa_exception_fp_ieee_div_zero 0
		.amdhsa_exception_fp_ieee_overflow 0
		.amdhsa_exception_fp_ieee_underflow 0
		.amdhsa_exception_fp_ieee_inexact 0
		.amdhsa_exception_int_div_zero 0
	.end_amdhsa_kernel
	.section	.text._ZN7rocprim17ROCPRIM_400000_NS6detail17trampoline_kernelINS0_14default_configENS1_25partition_config_selectorILNS1_17partition_subalgoE9EtjbEEZZNS1_14partition_implILS5_9ELb0ES3_jN6thrust23THRUST_200600_302600_NS6detail15normal_iteratorINS9_10device_ptrItEEEENSB_INSC_IjEEEEPNS0_10empty_typeENS0_5tupleIJSE_SH_EEENSJ_IJNS9_16discard_iteratorINS9_11use_defaultEEESI_EEENS0_18inequality_wrapperINS9_8equal_toItEEEEPmJSH_EEE10hipError_tPvRmT3_T4_T5_T6_T7_T9_mT8_P12ihipStream_tbDpT10_ENKUlT_T0_E_clISt17integral_constantIbLb1EES1C_IbLb0EEEEDaS18_S19_EUlS18_E_NS1_11comp_targetILNS1_3genE3ELNS1_11target_archE908ELNS1_3gpuE7ELNS1_3repE0EEENS1_30default_config_static_selectorELNS0_4arch9wavefront6targetE0EEEvT1_,"axG",@progbits,_ZN7rocprim17ROCPRIM_400000_NS6detail17trampoline_kernelINS0_14default_configENS1_25partition_config_selectorILNS1_17partition_subalgoE9EtjbEEZZNS1_14partition_implILS5_9ELb0ES3_jN6thrust23THRUST_200600_302600_NS6detail15normal_iteratorINS9_10device_ptrItEEEENSB_INSC_IjEEEEPNS0_10empty_typeENS0_5tupleIJSE_SH_EEENSJ_IJNS9_16discard_iteratorINS9_11use_defaultEEESI_EEENS0_18inequality_wrapperINS9_8equal_toItEEEEPmJSH_EEE10hipError_tPvRmT3_T4_T5_T6_T7_T9_mT8_P12ihipStream_tbDpT10_ENKUlT_T0_E_clISt17integral_constantIbLb1EES1C_IbLb0EEEEDaS18_S19_EUlS18_E_NS1_11comp_targetILNS1_3genE3ELNS1_11target_archE908ELNS1_3gpuE7ELNS1_3repE0EEENS1_30default_config_static_selectorELNS0_4arch9wavefront6targetE0EEEvT1_,comdat
.Lfunc_end936:
	.size	_ZN7rocprim17ROCPRIM_400000_NS6detail17trampoline_kernelINS0_14default_configENS1_25partition_config_selectorILNS1_17partition_subalgoE9EtjbEEZZNS1_14partition_implILS5_9ELb0ES3_jN6thrust23THRUST_200600_302600_NS6detail15normal_iteratorINS9_10device_ptrItEEEENSB_INSC_IjEEEEPNS0_10empty_typeENS0_5tupleIJSE_SH_EEENSJ_IJNS9_16discard_iteratorINS9_11use_defaultEEESI_EEENS0_18inequality_wrapperINS9_8equal_toItEEEEPmJSH_EEE10hipError_tPvRmT3_T4_T5_T6_T7_T9_mT8_P12ihipStream_tbDpT10_ENKUlT_T0_E_clISt17integral_constantIbLb1EES1C_IbLb0EEEEDaS18_S19_EUlS18_E_NS1_11comp_targetILNS1_3genE3ELNS1_11target_archE908ELNS1_3gpuE7ELNS1_3repE0EEENS1_30default_config_static_selectorELNS0_4arch9wavefront6targetE0EEEvT1_, .Lfunc_end936-_ZN7rocprim17ROCPRIM_400000_NS6detail17trampoline_kernelINS0_14default_configENS1_25partition_config_selectorILNS1_17partition_subalgoE9EtjbEEZZNS1_14partition_implILS5_9ELb0ES3_jN6thrust23THRUST_200600_302600_NS6detail15normal_iteratorINS9_10device_ptrItEEEENSB_INSC_IjEEEEPNS0_10empty_typeENS0_5tupleIJSE_SH_EEENSJ_IJNS9_16discard_iteratorINS9_11use_defaultEEESI_EEENS0_18inequality_wrapperINS9_8equal_toItEEEEPmJSH_EEE10hipError_tPvRmT3_T4_T5_T6_T7_T9_mT8_P12ihipStream_tbDpT10_ENKUlT_T0_E_clISt17integral_constantIbLb1EES1C_IbLb0EEEEDaS18_S19_EUlS18_E_NS1_11comp_targetILNS1_3genE3ELNS1_11target_archE908ELNS1_3gpuE7ELNS1_3repE0EEENS1_30default_config_static_selectorELNS0_4arch9wavefront6targetE0EEEvT1_
                                        ; -- End function
	.section	.AMDGPU.csdata,"",@progbits
; Kernel info:
; codeLenInByte = 0
; NumSgprs: 0
; NumVgprs: 0
; ScratchSize: 0
; MemoryBound: 0
; FloatMode: 240
; IeeeMode: 1
; LDSByteSize: 0 bytes/workgroup (compile time only)
; SGPRBlocks: 0
; VGPRBlocks: 0
; NumSGPRsForWavesPerEU: 1
; NumVGPRsForWavesPerEU: 1
; Occupancy: 16
; WaveLimiterHint : 0
; COMPUTE_PGM_RSRC2:SCRATCH_EN: 0
; COMPUTE_PGM_RSRC2:USER_SGPR: 15
; COMPUTE_PGM_RSRC2:TRAP_HANDLER: 0
; COMPUTE_PGM_RSRC2:TGID_X_EN: 1
; COMPUTE_PGM_RSRC2:TGID_Y_EN: 0
; COMPUTE_PGM_RSRC2:TGID_Z_EN: 0
; COMPUTE_PGM_RSRC2:TIDIG_COMP_CNT: 0
	.section	.text._ZN7rocprim17ROCPRIM_400000_NS6detail17trampoline_kernelINS0_14default_configENS1_25partition_config_selectorILNS1_17partition_subalgoE9EtjbEEZZNS1_14partition_implILS5_9ELb0ES3_jN6thrust23THRUST_200600_302600_NS6detail15normal_iteratorINS9_10device_ptrItEEEENSB_INSC_IjEEEEPNS0_10empty_typeENS0_5tupleIJSE_SH_EEENSJ_IJNS9_16discard_iteratorINS9_11use_defaultEEESI_EEENS0_18inequality_wrapperINS9_8equal_toItEEEEPmJSH_EEE10hipError_tPvRmT3_T4_T5_T6_T7_T9_mT8_P12ihipStream_tbDpT10_ENKUlT_T0_E_clISt17integral_constantIbLb1EES1C_IbLb0EEEEDaS18_S19_EUlS18_E_NS1_11comp_targetILNS1_3genE2ELNS1_11target_archE906ELNS1_3gpuE6ELNS1_3repE0EEENS1_30default_config_static_selectorELNS0_4arch9wavefront6targetE0EEEvT1_,"axG",@progbits,_ZN7rocprim17ROCPRIM_400000_NS6detail17trampoline_kernelINS0_14default_configENS1_25partition_config_selectorILNS1_17partition_subalgoE9EtjbEEZZNS1_14partition_implILS5_9ELb0ES3_jN6thrust23THRUST_200600_302600_NS6detail15normal_iteratorINS9_10device_ptrItEEEENSB_INSC_IjEEEEPNS0_10empty_typeENS0_5tupleIJSE_SH_EEENSJ_IJNS9_16discard_iteratorINS9_11use_defaultEEESI_EEENS0_18inequality_wrapperINS9_8equal_toItEEEEPmJSH_EEE10hipError_tPvRmT3_T4_T5_T6_T7_T9_mT8_P12ihipStream_tbDpT10_ENKUlT_T0_E_clISt17integral_constantIbLb1EES1C_IbLb0EEEEDaS18_S19_EUlS18_E_NS1_11comp_targetILNS1_3genE2ELNS1_11target_archE906ELNS1_3gpuE6ELNS1_3repE0EEENS1_30default_config_static_selectorELNS0_4arch9wavefront6targetE0EEEvT1_,comdat
	.protected	_ZN7rocprim17ROCPRIM_400000_NS6detail17trampoline_kernelINS0_14default_configENS1_25partition_config_selectorILNS1_17partition_subalgoE9EtjbEEZZNS1_14partition_implILS5_9ELb0ES3_jN6thrust23THRUST_200600_302600_NS6detail15normal_iteratorINS9_10device_ptrItEEEENSB_INSC_IjEEEEPNS0_10empty_typeENS0_5tupleIJSE_SH_EEENSJ_IJNS9_16discard_iteratorINS9_11use_defaultEEESI_EEENS0_18inequality_wrapperINS9_8equal_toItEEEEPmJSH_EEE10hipError_tPvRmT3_T4_T5_T6_T7_T9_mT8_P12ihipStream_tbDpT10_ENKUlT_T0_E_clISt17integral_constantIbLb1EES1C_IbLb0EEEEDaS18_S19_EUlS18_E_NS1_11comp_targetILNS1_3genE2ELNS1_11target_archE906ELNS1_3gpuE6ELNS1_3repE0EEENS1_30default_config_static_selectorELNS0_4arch9wavefront6targetE0EEEvT1_ ; -- Begin function _ZN7rocprim17ROCPRIM_400000_NS6detail17trampoline_kernelINS0_14default_configENS1_25partition_config_selectorILNS1_17partition_subalgoE9EtjbEEZZNS1_14partition_implILS5_9ELb0ES3_jN6thrust23THRUST_200600_302600_NS6detail15normal_iteratorINS9_10device_ptrItEEEENSB_INSC_IjEEEEPNS0_10empty_typeENS0_5tupleIJSE_SH_EEENSJ_IJNS9_16discard_iteratorINS9_11use_defaultEEESI_EEENS0_18inequality_wrapperINS9_8equal_toItEEEEPmJSH_EEE10hipError_tPvRmT3_T4_T5_T6_T7_T9_mT8_P12ihipStream_tbDpT10_ENKUlT_T0_E_clISt17integral_constantIbLb1EES1C_IbLb0EEEEDaS18_S19_EUlS18_E_NS1_11comp_targetILNS1_3genE2ELNS1_11target_archE906ELNS1_3gpuE6ELNS1_3repE0EEENS1_30default_config_static_selectorELNS0_4arch9wavefront6targetE0EEEvT1_
	.globl	_ZN7rocprim17ROCPRIM_400000_NS6detail17trampoline_kernelINS0_14default_configENS1_25partition_config_selectorILNS1_17partition_subalgoE9EtjbEEZZNS1_14partition_implILS5_9ELb0ES3_jN6thrust23THRUST_200600_302600_NS6detail15normal_iteratorINS9_10device_ptrItEEEENSB_INSC_IjEEEEPNS0_10empty_typeENS0_5tupleIJSE_SH_EEENSJ_IJNS9_16discard_iteratorINS9_11use_defaultEEESI_EEENS0_18inequality_wrapperINS9_8equal_toItEEEEPmJSH_EEE10hipError_tPvRmT3_T4_T5_T6_T7_T9_mT8_P12ihipStream_tbDpT10_ENKUlT_T0_E_clISt17integral_constantIbLb1EES1C_IbLb0EEEEDaS18_S19_EUlS18_E_NS1_11comp_targetILNS1_3genE2ELNS1_11target_archE906ELNS1_3gpuE6ELNS1_3repE0EEENS1_30default_config_static_selectorELNS0_4arch9wavefront6targetE0EEEvT1_
	.p2align	8
	.type	_ZN7rocprim17ROCPRIM_400000_NS6detail17trampoline_kernelINS0_14default_configENS1_25partition_config_selectorILNS1_17partition_subalgoE9EtjbEEZZNS1_14partition_implILS5_9ELb0ES3_jN6thrust23THRUST_200600_302600_NS6detail15normal_iteratorINS9_10device_ptrItEEEENSB_INSC_IjEEEEPNS0_10empty_typeENS0_5tupleIJSE_SH_EEENSJ_IJNS9_16discard_iteratorINS9_11use_defaultEEESI_EEENS0_18inequality_wrapperINS9_8equal_toItEEEEPmJSH_EEE10hipError_tPvRmT3_T4_T5_T6_T7_T9_mT8_P12ihipStream_tbDpT10_ENKUlT_T0_E_clISt17integral_constantIbLb1EES1C_IbLb0EEEEDaS18_S19_EUlS18_E_NS1_11comp_targetILNS1_3genE2ELNS1_11target_archE906ELNS1_3gpuE6ELNS1_3repE0EEENS1_30default_config_static_selectorELNS0_4arch9wavefront6targetE0EEEvT1_,@function
_ZN7rocprim17ROCPRIM_400000_NS6detail17trampoline_kernelINS0_14default_configENS1_25partition_config_selectorILNS1_17partition_subalgoE9EtjbEEZZNS1_14partition_implILS5_9ELb0ES3_jN6thrust23THRUST_200600_302600_NS6detail15normal_iteratorINS9_10device_ptrItEEEENSB_INSC_IjEEEEPNS0_10empty_typeENS0_5tupleIJSE_SH_EEENSJ_IJNS9_16discard_iteratorINS9_11use_defaultEEESI_EEENS0_18inequality_wrapperINS9_8equal_toItEEEEPmJSH_EEE10hipError_tPvRmT3_T4_T5_T6_T7_T9_mT8_P12ihipStream_tbDpT10_ENKUlT_T0_E_clISt17integral_constantIbLb1EES1C_IbLb0EEEEDaS18_S19_EUlS18_E_NS1_11comp_targetILNS1_3genE2ELNS1_11target_archE906ELNS1_3gpuE6ELNS1_3repE0EEENS1_30default_config_static_selectorELNS0_4arch9wavefront6targetE0EEEvT1_: ; @_ZN7rocprim17ROCPRIM_400000_NS6detail17trampoline_kernelINS0_14default_configENS1_25partition_config_selectorILNS1_17partition_subalgoE9EtjbEEZZNS1_14partition_implILS5_9ELb0ES3_jN6thrust23THRUST_200600_302600_NS6detail15normal_iteratorINS9_10device_ptrItEEEENSB_INSC_IjEEEEPNS0_10empty_typeENS0_5tupleIJSE_SH_EEENSJ_IJNS9_16discard_iteratorINS9_11use_defaultEEESI_EEENS0_18inequality_wrapperINS9_8equal_toItEEEEPmJSH_EEE10hipError_tPvRmT3_T4_T5_T6_T7_T9_mT8_P12ihipStream_tbDpT10_ENKUlT_T0_E_clISt17integral_constantIbLb1EES1C_IbLb0EEEEDaS18_S19_EUlS18_E_NS1_11comp_targetILNS1_3genE2ELNS1_11target_archE906ELNS1_3gpuE6ELNS1_3repE0EEENS1_30default_config_static_selectorELNS0_4arch9wavefront6targetE0EEEvT1_
; %bb.0:
	.section	.rodata,"a",@progbits
	.p2align	6, 0x0
	.amdhsa_kernel _ZN7rocprim17ROCPRIM_400000_NS6detail17trampoline_kernelINS0_14default_configENS1_25partition_config_selectorILNS1_17partition_subalgoE9EtjbEEZZNS1_14partition_implILS5_9ELb0ES3_jN6thrust23THRUST_200600_302600_NS6detail15normal_iteratorINS9_10device_ptrItEEEENSB_INSC_IjEEEEPNS0_10empty_typeENS0_5tupleIJSE_SH_EEENSJ_IJNS9_16discard_iteratorINS9_11use_defaultEEESI_EEENS0_18inequality_wrapperINS9_8equal_toItEEEEPmJSH_EEE10hipError_tPvRmT3_T4_T5_T6_T7_T9_mT8_P12ihipStream_tbDpT10_ENKUlT_T0_E_clISt17integral_constantIbLb1EES1C_IbLb0EEEEDaS18_S19_EUlS18_E_NS1_11comp_targetILNS1_3genE2ELNS1_11target_archE906ELNS1_3gpuE6ELNS1_3repE0EEENS1_30default_config_static_selectorELNS0_4arch9wavefront6targetE0EEEvT1_
		.amdhsa_group_segment_fixed_size 0
		.amdhsa_private_segment_fixed_size 0
		.amdhsa_kernarg_size 120
		.amdhsa_user_sgpr_count 15
		.amdhsa_user_sgpr_dispatch_ptr 0
		.amdhsa_user_sgpr_queue_ptr 0
		.amdhsa_user_sgpr_kernarg_segment_ptr 1
		.amdhsa_user_sgpr_dispatch_id 0
		.amdhsa_user_sgpr_private_segment_size 0
		.amdhsa_wavefront_size32 1
		.amdhsa_uses_dynamic_stack 0
		.amdhsa_enable_private_segment 0
		.amdhsa_system_sgpr_workgroup_id_x 1
		.amdhsa_system_sgpr_workgroup_id_y 0
		.amdhsa_system_sgpr_workgroup_id_z 0
		.amdhsa_system_sgpr_workgroup_info 0
		.amdhsa_system_vgpr_workitem_id 0
		.amdhsa_next_free_vgpr 1
		.amdhsa_next_free_sgpr 1
		.amdhsa_reserve_vcc 0
		.amdhsa_float_round_mode_32 0
		.amdhsa_float_round_mode_16_64 0
		.amdhsa_float_denorm_mode_32 3
		.amdhsa_float_denorm_mode_16_64 3
		.amdhsa_dx10_clamp 1
		.amdhsa_ieee_mode 1
		.amdhsa_fp16_overflow 0
		.amdhsa_workgroup_processor_mode 1
		.amdhsa_memory_ordered 1
		.amdhsa_forward_progress 0
		.amdhsa_shared_vgpr_count 0
		.amdhsa_exception_fp_ieee_invalid_op 0
		.amdhsa_exception_fp_denorm_src 0
		.amdhsa_exception_fp_ieee_div_zero 0
		.amdhsa_exception_fp_ieee_overflow 0
		.amdhsa_exception_fp_ieee_underflow 0
		.amdhsa_exception_fp_ieee_inexact 0
		.amdhsa_exception_int_div_zero 0
	.end_amdhsa_kernel
	.section	.text._ZN7rocprim17ROCPRIM_400000_NS6detail17trampoline_kernelINS0_14default_configENS1_25partition_config_selectorILNS1_17partition_subalgoE9EtjbEEZZNS1_14partition_implILS5_9ELb0ES3_jN6thrust23THRUST_200600_302600_NS6detail15normal_iteratorINS9_10device_ptrItEEEENSB_INSC_IjEEEEPNS0_10empty_typeENS0_5tupleIJSE_SH_EEENSJ_IJNS9_16discard_iteratorINS9_11use_defaultEEESI_EEENS0_18inequality_wrapperINS9_8equal_toItEEEEPmJSH_EEE10hipError_tPvRmT3_T4_T5_T6_T7_T9_mT8_P12ihipStream_tbDpT10_ENKUlT_T0_E_clISt17integral_constantIbLb1EES1C_IbLb0EEEEDaS18_S19_EUlS18_E_NS1_11comp_targetILNS1_3genE2ELNS1_11target_archE906ELNS1_3gpuE6ELNS1_3repE0EEENS1_30default_config_static_selectorELNS0_4arch9wavefront6targetE0EEEvT1_,"axG",@progbits,_ZN7rocprim17ROCPRIM_400000_NS6detail17trampoline_kernelINS0_14default_configENS1_25partition_config_selectorILNS1_17partition_subalgoE9EtjbEEZZNS1_14partition_implILS5_9ELb0ES3_jN6thrust23THRUST_200600_302600_NS6detail15normal_iteratorINS9_10device_ptrItEEEENSB_INSC_IjEEEEPNS0_10empty_typeENS0_5tupleIJSE_SH_EEENSJ_IJNS9_16discard_iteratorINS9_11use_defaultEEESI_EEENS0_18inequality_wrapperINS9_8equal_toItEEEEPmJSH_EEE10hipError_tPvRmT3_T4_T5_T6_T7_T9_mT8_P12ihipStream_tbDpT10_ENKUlT_T0_E_clISt17integral_constantIbLb1EES1C_IbLb0EEEEDaS18_S19_EUlS18_E_NS1_11comp_targetILNS1_3genE2ELNS1_11target_archE906ELNS1_3gpuE6ELNS1_3repE0EEENS1_30default_config_static_selectorELNS0_4arch9wavefront6targetE0EEEvT1_,comdat
.Lfunc_end937:
	.size	_ZN7rocprim17ROCPRIM_400000_NS6detail17trampoline_kernelINS0_14default_configENS1_25partition_config_selectorILNS1_17partition_subalgoE9EtjbEEZZNS1_14partition_implILS5_9ELb0ES3_jN6thrust23THRUST_200600_302600_NS6detail15normal_iteratorINS9_10device_ptrItEEEENSB_INSC_IjEEEEPNS0_10empty_typeENS0_5tupleIJSE_SH_EEENSJ_IJNS9_16discard_iteratorINS9_11use_defaultEEESI_EEENS0_18inequality_wrapperINS9_8equal_toItEEEEPmJSH_EEE10hipError_tPvRmT3_T4_T5_T6_T7_T9_mT8_P12ihipStream_tbDpT10_ENKUlT_T0_E_clISt17integral_constantIbLb1EES1C_IbLb0EEEEDaS18_S19_EUlS18_E_NS1_11comp_targetILNS1_3genE2ELNS1_11target_archE906ELNS1_3gpuE6ELNS1_3repE0EEENS1_30default_config_static_selectorELNS0_4arch9wavefront6targetE0EEEvT1_, .Lfunc_end937-_ZN7rocprim17ROCPRIM_400000_NS6detail17trampoline_kernelINS0_14default_configENS1_25partition_config_selectorILNS1_17partition_subalgoE9EtjbEEZZNS1_14partition_implILS5_9ELb0ES3_jN6thrust23THRUST_200600_302600_NS6detail15normal_iteratorINS9_10device_ptrItEEEENSB_INSC_IjEEEEPNS0_10empty_typeENS0_5tupleIJSE_SH_EEENSJ_IJNS9_16discard_iteratorINS9_11use_defaultEEESI_EEENS0_18inequality_wrapperINS9_8equal_toItEEEEPmJSH_EEE10hipError_tPvRmT3_T4_T5_T6_T7_T9_mT8_P12ihipStream_tbDpT10_ENKUlT_T0_E_clISt17integral_constantIbLb1EES1C_IbLb0EEEEDaS18_S19_EUlS18_E_NS1_11comp_targetILNS1_3genE2ELNS1_11target_archE906ELNS1_3gpuE6ELNS1_3repE0EEENS1_30default_config_static_selectorELNS0_4arch9wavefront6targetE0EEEvT1_
                                        ; -- End function
	.section	.AMDGPU.csdata,"",@progbits
; Kernel info:
; codeLenInByte = 0
; NumSgprs: 0
; NumVgprs: 0
; ScratchSize: 0
; MemoryBound: 0
; FloatMode: 240
; IeeeMode: 1
; LDSByteSize: 0 bytes/workgroup (compile time only)
; SGPRBlocks: 0
; VGPRBlocks: 0
; NumSGPRsForWavesPerEU: 1
; NumVGPRsForWavesPerEU: 1
; Occupancy: 16
; WaveLimiterHint : 0
; COMPUTE_PGM_RSRC2:SCRATCH_EN: 0
; COMPUTE_PGM_RSRC2:USER_SGPR: 15
; COMPUTE_PGM_RSRC2:TRAP_HANDLER: 0
; COMPUTE_PGM_RSRC2:TGID_X_EN: 1
; COMPUTE_PGM_RSRC2:TGID_Y_EN: 0
; COMPUTE_PGM_RSRC2:TGID_Z_EN: 0
; COMPUTE_PGM_RSRC2:TIDIG_COMP_CNT: 0
	.section	.text._ZN7rocprim17ROCPRIM_400000_NS6detail17trampoline_kernelINS0_14default_configENS1_25partition_config_selectorILNS1_17partition_subalgoE9EtjbEEZZNS1_14partition_implILS5_9ELb0ES3_jN6thrust23THRUST_200600_302600_NS6detail15normal_iteratorINS9_10device_ptrItEEEENSB_INSC_IjEEEEPNS0_10empty_typeENS0_5tupleIJSE_SH_EEENSJ_IJNS9_16discard_iteratorINS9_11use_defaultEEESI_EEENS0_18inequality_wrapperINS9_8equal_toItEEEEPmJSH_EEE10hipError_tPvRmT3_T4_T5_T6_T7_T9_mT8_P12ihipStream_tbDpT10_ENKUlT_T0_E_clISt17integral_constantIbLb1EES1C_IbLb0EEEEDaS18_S19_EUlS18_E_NS1_11comp_targetILNS1_3genE10ELNS1_11target_archE1200ELNS1_3gpuE4ELNS1_3repE0EEENS1_30default_config_static_selectorELNS0_4arch9wavefront6targetE0EEEvT1_,"axG",@progbits,_ZN7rocprim17ROCPRIM_400000_NS6detail17trampoline_kernelINS0_14default_configENS1_25partition_config_selectorILNS1_17partition_subalgoE9EtjbEEZZNS1_14partition_implILS5_9ELb0ES3_jN6thrust23THRUST_200600_302600_NS6detail15normal_iteratorINS9_10device_ptrItEEEENSB_INSC_IjEEEEPNS0_10empty_typeENS0_5tupleIJSE_SH_EEENSJ_IJNS9_16discard_iteratorINS9_11use_defaultEEESI_EEENS0_18inequality_wrapperINS9_8equal_toItEEEEPmJSH_EEE10hipError_tPvRmT3_T4_T5_T6_T7_T9_mT8_P12ihipStream_tbDpT10_ENKUlT_T0_E_clISt17integral_constantIbLb1EES1C_IbLb0EEEEDaS18_S19_EUlS18_E_NS1_11comp_targetILNS1_3genE10ELNS1_11target_archE1200ELNS1_3gpuE4ELNS1_3repE0EEENS1_30default_config_static_selectorELNS0_4arch9wavefront6targetE0EEEvT1_,comdat
	.protected	_ZN7rocprim17ROCPRIM_400000_NS6detail17trampoline_kernelINS0_14default_configENS1_25partition_config_selectorILNS1_17partition_subalgoE9EtjbEEZZNS1_14partition_implILS5_9ELb0ES3_jN6thrust23THRUST_200600_302600_NS6detail15normal_iteratorINS9_10device_ptrItEEEENSB_INSC_IjEEEEPNS0_10empty_typeENS0_5tupleIJSE_SH_EEENSJ_IJNS9_16discard_iteratorINS9_11use_defaultEEESI_EEENS0_18inequality_wrapperINS9_8equal_toItEEEEPmJSH_EEE10hipError_tPvRmT3_T4_T5_T6_T7_T9_mT8_P12ihipStream_tbDpT10_ENKUlT_T0_E_clISt17integral_constantIbLb1EES1C_IbLb0EEEEDaS18_S19_EUlS18_E_NS1_11comp_targetILNS1_3genE10ELNS1_11target_archE1200ELNS1_3gpuE4ELNS1_3repE0EEENS1_30default_config_static_selectorELNS0_4arch9wavefront6targetE0EEEvT1_ ; -- Begin function _ZN7rocprim17ROCPRIM_400000_NS6detail17trampoline_kernelINS0_14default_configENS1_25partition_config_selectorILNS1_17partition_subalgoE9EtjbEEZZNS1_14partition_implILS5_9ELb0ES3_jN6thrust23THRUST_200600_302600_NS6detail15normal_iteratorINS9_10device_ptrItEEEENSB_INSC_IjEEEEPNS0_10empty_typeENS0_5tupleIJSE_SH_EEENSJ_IJNS9_16discard_iteratorINS9_11use_defaultEEESI_EEENS0_18inequality_wrapperINS9_8equal_toItEEEEPmJSH_EEE10hipError_tPvRmT3_T4_T5_T6_T7_T9_mT8_P12ihipStream_tbDpT10_ENKUlT_T0_E_clISt17integral_constantIbLb1EES1C_IbLb0EEEEDaS18_S19_EUlS18_E_NS1_11comp_targetILNS1_3genE10ELNS1_11target_archE1200ELNS1_3gpuE4ELNS1_3repE0EEENS1_30default_config_static_selectorELNS0_4arch9wavefront6targetE0EEEvT1_
	.globl	_ZN7rocprim17ROCPRIM_400000_NS6detail17trampoline_kernelINS0_14default_configENS1_25partition_config_selectorILNS1_17partition_subalgoE9EtjbEEZZNS1_14partition_implILS5_9ELb0ES3_jN6thrust23THRUST_200600_302600_NS6detail15normal_iteratorINS9_10device_ptrItEEEENSB_INSC_IjEEEEPNS0_10empty_typeENS0_5tupleIJSE_SH_EEENSJ_IJNS9_16discard_iteratorINS9_11use_defaultEEESI_EEENS0_18inequality_wrapperINS9_8equal_toItEEEEPmJSH_EEE10hipError_tPvRmT3_T4_T5_T6_T7_T9_mT8_P12ihipStream_tbDpT10_ENKUlT_T0_E_clISt17integral_constantIbLb1EES1C_IbLb0EEEEDaS18_S19_EUlS18_E_NS1_11comp_targetILNS1_3genE10ELNS1_11target_archE1200ELNS1_3gpuE4ELNS1_3repE0EEENS1_30default_config_static_selectorELNS0_4arch9wavefront6targetE0EEEvT1_
	.p2align	8
	.type	_ZN7rocprim17ROCPRIM_400000_NS6detail17trampoline_kernelINS0_14default_configENS1_25partition_config_selectorILNS1_17partition_subalgoE9EtjbEEZZNS1_14partition_implILS5_9ELb0ES3_jN6thrust23THRUST_200600_302600_NS6detail15normal_iteratorINS9_10device_ptrItEEEENSB_INSC_IjEEEEPNS0_10empty_typeENS0_5tupleIJSE_SH_EEENSJ_IJNS9_16discard_iteratorINS9_11use_defaultEEESI_EEENS0_18inequality_wrapperINS9_8equal_toItEEEEPmJSH_EEE10hipError_tPvRmT3_T4_T5_T6_T7_T9_mT8_P12ihipStream_tbDpT10_ENKUlT_T0_E_clISt17integral_constantIbLb1EES1C_IbLb0EEEEDaS18_S19_EUlS18_E_NS1_11comp_targetILNS1_3genE10ELNS1_11target_archE1200ELNS1_3gpuE4ELNS1_3repE0EEENS1_30default_config_static_selectorELNS0_4arch9wavefront6targetE0EEEvT1_,@function
_ZN7rocprim17ROCPRIM_400000_NS6detail17trampoline_kernelINS0_14default_configENS1_25partition_config_selectorILNS1_17partition_subalgoE9EtjbEEZZNS1_14partition_implILS5_9ELb0ES3_jN6thrust23THRUST_200600_302600_NS6detail15normal_iteratorINS9_10device_ptrItEEEENSB_INSC_IjEEEEPNS0_10empty_typeENS0_5tupleIJSE_SH_EEENSJ_IJNS9_16discard_iteratorINS9_11use_defaultEEESI_EEENS0_18inequality_wrapperINS9_8equal_toItEEEEPmJSH_EEE10hipError_tPvRmT3_T4_T5_T6_T7_T9_mT8_P12ihipStream_tbDpT10_ENKUlT_T0_E_clISt17integral_constantIbLb1EES1C_IbLb0EEEEDaS18_S19_EUlS18_E_NS1_11comp_targetILNS1_3genE10ELNS1_11target_archE1200ELNS1_3gpuE4ELNS1_3repE0EEENS1_30default_config_static_selectorELNS0_4arch9wavefront6targetE0EEEvT1_: ; @_ZN7rocprim17ROCPRIM_400000_NS6detail17trampoline_kernelINS0_14default_configENS1_25partition_config_selectorILNS1_17partition_subalgoE9EtjbEEZZNS1_14partition_implILS5_9ELb0ES3_jN6thrust23THRUST_200600_302600_NS6detail15normal_iteratorINS9_10device_ptrItEEEENSB_INSC_IjEEEEPNS0_10empty_typeENS0_5tupleIJSE_SH_EEENSJ_IJNS9_16discard_iteratorINS9_11use_defaultEEESI_EEENS0_18inequality_wrapperINS9_8equal_toItEEEEPmJSH_EEE10hipError_tPvRmT3_T4_T5_T6_T7_T9_mT8_P12ihipStream_tbDpT10_ENKUlT_T0_E_clISt17integral_constantIbLb1EES1C_IbLb0EEEEDaS18_S19_EUlS18_E_NS1_11comp_targetILNS1_3genE10ELNS1_11target_archE1200ELNS1_3gpuE4ELNS1_3repE0EEENS1_30default_config_static_selectorELNS0_4arch9wavefront6targetE0EEEvT1_
; %bb.0:
	.section	.rodata,"a",@progbits
	.p2align	6, 0x0
	.amdhsa_kernel _ZN7rocprim17ROCPRIM_400000_NS6detail17trampoline_kernelINS0_14default_configENS1_25partition_config_selectorILNS1_17partition_subalgoE9EtjbEEZZNS1_14partition_implILS5_9ELb0ES3_jN6thrust23THRUST_200600_302600_NS6detail15normal_iteratorINS9_10device_ptrItEEEENSB_INSC_IjEEEEPNS0_10empty_typeENS0_5tupleIJSE_SH_EEENSJ_IJNS9_16discard_iteratorINS9_11use_defaultEEESI_EEENS0_18inequality_wrapperINS9_8equal_toItEEEEPmJSH_EEE10hipError_tPvRmT3_T4_T5_T6_T7_T9_mT8_P12ihipStream_tbDpT10_ENKUlT_T0_E_clISt17integral_constantIbLb1EES1C_IbLb0EEEEDaS18_S19_EUlS18_E_NS1_11comp_targetILNS1_3genE10ELNS1_11target_archE1200ELNS1_3gpuE4ELNS1_3repE0EEENS1_30default_config_static_selectorELNS0_4arch9wavefront6targetE0EEEvT1_
		.amdhsa_group_segment_fixed_size 0
		.amdhsa_private_segment_fixed_size 0
		.amdhsa_kernarg_size 120
		.amdhsa_user_sgpr_count 15
		.amdhsa_user_sgpr_dispatch_ptr 0
		.amdhsa_user_sgpr_queue_ptr 0
		.amdhsa_user_sgpr_kernarg_segment_ptr 1
		.amdhsa_user_sgpr_dispatch_id 0
		.amdhsa_user_sgpr_private_segment_size 0
		.amdhsa_wavefront_size32 1
		.amdhsa_uses_dynamic_stack 0
		.amdhsa_enable_private_segment 0
		.amdhsa_system_sgpr_workgroup_id_x 1
		.amdhsa_system_sgpr_workgroup_id_y 0
		.amdhsa_system_sgpr_workgroup_id_z 0
		.amdhsa_system_sgpr_workgroup_info 0
		.amdhsa_system_vgpr_workitem_id 0
		.amdhsa_next_free_vgpr 1
		.amdhsa_next_free_sgpr 1
		.amdhsa_reserve_vcc 0
		.amdhsa_float_round_mode_32 0
		.amdhsa_float_round_mode_16_64 0
		.amdhsa_float_denorm_mode_32 3
		.amdhsa_float_denorm_mode_16_64 3
		.amdhsa_dx10_clamp 1
		.amdhsa_ieee_mode 1
		.amdhsa_fp16_overflow 0
		.amdhsa_workgroup_processor_mode 1
		.amdhsa_memory_ordered 1
		.amdhsa_forward_progress 0
		.amdhsa_shared_vgpr_count 0
		.amdhsa_exception_fp_ieee_invalid_op 0
		.amdhsa_exception_fp_denorm_src 0
		.amdhsa_exception_fp_ieee_div_zero 0
		.amdhsa_exception_fp_ieee_overflow 0
		.amdhsa_exception_fp_ieee_underflow 0
		.amdhsa_exception_fp_ieee_inexact 0
		.amdhsa_exception_int_div_zero 0
	.end_amdhsa_kernel
	.section	.text._ZN7rocprim17ROCPRIM_400000_NS6detail17trampoline_kernelINS0_14default_configENS1_25partition_config_selectorILNS1_17partition_subalgoE9EtjbEEZZNS1_14partition_implILS5_9ELb0ES3_jN6thrust23THRUST_200600_302600_NS6detail15normal_iteratorINS9_10device_ptrItEEEENSB_INSC_IjEEEEPNS0_10empty_typeENS0_5tupleIJSE_SH_EEENSJ_IJNS9_16discard_iteratorINS9_11use_defaultEEESI_EEENS0_18inequality_wrapperINS9_8equal_toItEEEEPmJSH_EEE10hipError_tPvRmT3_T4_T5_T6_T7_T9_mT8_P12ihipStream_tbDpT10_ENKUlT_T0_E_clISt17integral_constantIbLb1EES1C_IbLb0EEEEDaS18_S19_EUlS18_E_NS1_11comp_targetILNS1_3genE10ELNS1_11target_archE1200ELNS1_3gpuE4ELNS1_3repE0EEENS1_30default_config_static_selectorELNS0_4arch9wavefront6targetE0EEEvT1_,"axG",@progbits,_ZN7rocprim17ROCPRIM_400000_NS6detail17trampoline_kernelINS0_14default_configENS1_25partition_config_selectorILNS1_17partition_subalgoE9EtjbEEZZNS1_14partition_implILS5_9ELb0ES3_jN6thrust23THRUST_200600_302600_NS6detail15normal_iteratorINS9_10device_ptrItEEEENSB_INSC_IjEEEEPNS0_10empty_typeENS0_5tupleIJSE_SH_EEENSJ_IJNS9_16discard_iteratorINS9_11use_defaultEEESI_EEENS0_18inequality_wrapperINS9_8equal_toItEEEEPmJSH_EEE10hipError_tPvRmT3_T4_T5_T6_T7_T9_mT8_P12ihipStream_tbDpT10_ENKUlT_T0_E_clISt17integral_constantIbLb1EES1C_IbLb0EEEEDaS18_S19_EUlS18_E_NS1_11comp_targetILNS1_3genE10ELNS1_11target_archE1200ELNS1_3gpuE4ELNS1_3repE0EEENS1_30default_config_static_selectorELNS0_4arch9wavefront6targetE0EEEvT1_,comdat
.Lfunc_end938:
	.size	_ZN7rocprim17ROCPRIM_400000_NS6detail17trampoline_kernelINS0_14default_configENS1_25partition_config_selectorILNS1_17partition_subalgoE9EtjbEEZZNS1_14partition_implILS5_9ELb0ES3_jN6thrust23THRUST_200600_302600_NS6detail15normal_iteratorINS9_10device_ptrItEEEENSB_INSC_IjEEEEPNS0_10empty_typeENS0_5tupleIJSE_SH_EEENSJ_IJNS9_16discard_iteratorINS9_11use_defaultEEESI_EEENS0_18inequality_wrapperINS9_8equal_toItEEEEPmJSH_EEE10hipError_tPvRmT3_T4_T5_T6_T7_T9_mT8_P12ihipStream_tbDpT10_ENKUlT_T0_E_clISt17integral_constantIbLb1EES1C_IbLb0EEEEDaS18_S19_EUlS18_E_NS1_11comp_targetILNS1_3genE10ELNS1_11target_archE1200ELNS1_3gpuE4ELNS1_3repE0EEENS1_30default_config_static_selectorELNS0_4arch9wavefront6targetE0EEEvT1_, .Lfunc_end938-_ZN7rocprim17ROCPRIM_400000_NS6detail17trampoline_kernelINS0_14default_configENS1_25partition_config_selectorILNS1_17partition_subalgoE9EtjbEEZZNS1_14partition_implILS5_9ELb0ES3_jN6thrust23THRUST_200600_302600_NS6detail15normal_iteratorINS9_10device_ptrItEEEENSB_INSC_IjEEEEPNS0_10empty_typeENS0_5tupleIJSE_SH_EEENSJ_IJNS9_16discard_iteratorINS9_11use_defaultEEESI_EEENS0_18inequality_wrapperINS9_8equal_toItEEEEPmJSH_EEE10hipError_tPvRmT3_T4_T5_T6_T7_T9_mT8_P12ihipStream_tbDpT10_ENKUlT_T0_E_clISt17integral_constantIbLb1EES1C_IbLb0EEEEDaS18_S19_EUlS18_E_NS1_11comp_targetILNS1_3genE10ELNS1_11target_archE1200ELNS1_3gpuE4ELNS1_3repE0EEENS1_30default_config_static_selectorELNS0_4arch9wavefront6targetE0EEEvT1_
                                        ; -- End function
	.section	.AMDGPU.csdata,"",@progbits
; Kernel info:
; codeLenInByte = 0
; NumSgprs: 0
; NumVgprs: 0
; ScratchSize: 0
; MemoryBound: 0
; FloatMode: 240
; IeeeMode: 1
; LDSByteSize: 0 bytes/workgroup (compile time only)
; SGPRBlocks: 0
; VGPRBlocks: 0
; NumSGPRsForWavesPerEU: 1
; NumVGPRsForWavesPerEU: 1
; Occupancy: 16
; WaveLimiterHint : 0
; COMPUTE_PGM_RSRC2:SCRATCH_EN: 0
; COMPUTE_PGM_RSRC2:USER_SGPR: 15
; COMPUTE_PGM_RSRC2:TRAP_HANDLER: 0
; COMPUTE_PGM_RSRC2:TGID_X_EN: 1
; COMPUTE_PGM_RSRC2:TGID_Y_EN: 0
; COMPUTE_PGM_RSRC2:TGID_Z_EN: 0
; COMPUTE_PGM_RSRC2:TIDIG_COMP_CNT: 0
	.section	.text._ZN7rocprim17ROCPRIM_400000_NS6detail17trampoline_kernelINS0_14default_configENS1_25partition_config_selectorILNS1_17partition_subalgoE9EtjbEEZZNS1_14partition_implILS5_9ELb0ES3_jN6thrust23THRUST_200600_302600_NS6detail15normal_iteratorINS9_10device_ptrItEEEENSB_INSC_IjEEEEPNS0_10empty_typeENS0_5tupleIJSE_SH_EEENSJ_IJNS9_16discard_iteratorINS9_11use_defaultEEESI_EEENS0_18inequality_wrapperINS9_8equal_toItEEEEPmJSH_EEE10hipError_tPvRmT3_T4_T5_T6_T7_T9_mT8_P12ihipStream_tbDpT10_ENKUlT_T0_E_clISt17integral_constantIbLb1EES1C_IbLb0EEEEDaS18_S19_EUlS18_E_NS1_11comp_targetILNS1_3genE9ELNS1_11target_archE1100ELNS1_3gpuE3ELNS1_3repE0EEENS1_30default_config_static_selectorELNS0_4arch9wavefront6targetE0EEEvT1_,"axG",@progbits,_ZN7rocprim17ROCPRIM_400000_NS6detail17trampoline_kernelINS0_14default_configENS1_25partition_config_selectorILNS1_17partition_subalgoE9EtjbEEZZNS1_14partition_implILS5_9ELb0ES3_jN6thrust23THRUST_200600_302600_NS6detail15normal_iteratorINS9_10device_ptrItEEEENSB_INSC_IjEEEEPNS0_10empty_typeENS0_5tupleIJSE_SH_EEENSJ_IJNS9_16discard_iteratorINS9_11use_defaultEEESI_EEENS0_18inequality_wrapperINS9_8equal_toItEEEEPmJSH_EEE10hipError_tPvRmT3_T4_T5_T6_T7_T9_mT8_P12ihipStream_tbDpT10_ENKUlT_T0_E_clISt17integral_constantIbLb1EES1C_IbLb0EEEEDaS18_S19_EUlS18_E_NS1_11comp_targetILNS1_3genE9ELNS1_11target_archE1100ELNS1_3gpuE3ELNS1_3repE0EEENS1_30default_config_static_selectorELNS0_4arch9wavefront6targetE0EEEvT1_,comdat
	.protected	_ZN7rocprim17ROCPRIM_400000_NS6detail17trampoline_kernelINS0_14default_configENS1_25partition_config_selectorILNS1_17partition_subalgoE9EtjbEEZZNS1_14partition_implILS5_9ELb0ES3_jN6thrust23THRUST_200600_302600_NS6detail15normal_iteratorINS9_10device_ptrItEEEENSB_INSC_IjEEEEPNS0_10empty_typeENS0_5tupleIJSE_SH_EEENSJ_IJNS9_16discard_iteratorINS9_11use_defaultEEESI_EEENS0_18inequality_wrapperINS9_8equal_toItEEEEPmJSH_EEE10hipError_tPvRmT3_T4_T5_T6_T7_T9_mT8_P12ihipStream_tbDpT10_ENKUlT_T0_E_clISt17integral_constantIbLb1EES1C_IbLb0EEEEDaS18_S19_EUlS18_E_NS1_11comp_targetILNS1_3genE9ELNS1_11target_archE1100ELNS1_3gpuE3ELNS1_3repE0EEENS1_30default_config_static_selectorELNS0_4arch9wavefront6targetE0EEEvT1_ ; -- Begin function _ZN7rocprim17ROCPRIM_400000_NS6detail17trampoline_kernelINS0_14default_configENS1_25partition_config_selectorILNS1_17partition_subalgoE9EtjbEEZZNS1_14partition_implILS5_9ELb0ES3_jN6thrust23THRUST_200600_302600_NS6detail15normal_iteratorINS9_10device_ptrItEEEENSB_INSC_IjEEEEPNS0_10empty_typeENS0_5tupleIJSE_SH_EEENSJ_IJNS9_16discard_iteratorINS9_11use_defaultEEESI_EEENS0_18inequality_wrapperINS9_8equal_toItEEEEPmJSH_EEE10hipError_tPvRmT3_T4_T5_T6_T7_T9_mT8_P12ihipStream_tbDpT10_ENKUlT_T0_E_clISt17integral_constantIbLb1EES1C_IbLb0EEEEDaS18_S19_EUlS18_E_NS1_11comp_targetILNS1_3genE9ELNS1_11target_archE1100ELNS1_3gpuE3ELNS1_3repE0EEENS1_30default_config_static_selectorELNS0_4arch9wavefront6targetE0EEEvT1_
	.globl	_ZN7rocprim17ROCPRIM_400000_NS6detail17trampoline_kernelINS0_14default_configENS1_25partition_config_selectorILNS1_17partition_subalgoE9EtjbEEZZNS1_14partition_implILS5_9ELb0ES3_jN6thrust23THRUST_200600_302600_NS6detail15normal_iteratorINS9_10device_ptrItEEEENSB_INSC_IjEEEEPNS0_10empty_typeENS0_5tupleIJSE_SH_EEENSJ_IJNS9_16discard_iteratorINS9_11use_defaultEEESI_EEENS0_18inequality_wrapperINS9_8equal_toItEEEEPmJSH_EEE10hipError_tPvRmT3_T4_T5_T6_T7_T9_mT8_P12ihipStream_tbDpT10_ENKUlT_T0_E_clISt17integral_constantIbLb1EES1C_IbLb0EEEEDaS18_S19_EUlS18_E_NS1_11comp_targetILNS1_3genE9ELNS1_11target_archE1100ELNS1_3gpuE3ELNS1_3repE0EEENS1_30default_config_static_selectorELNS0_4arch9wavefront6targetE0EEEvT1_
	.p2align	8
	.type	_ZN7rocprim17ROCPRIM_400000_NS6detail17trampoline_kernelINS0_14default_configENS1_25partition_config_selectorILNS1_17partition_subalgoE9EtjbEEZZNS1_14partition_implILS5_9ELb0ES3_jN6thrust23THRUST_200600_302600_NS6detail15normal_iteratorINS9_10device_ptrItEEEENSB_INSC_IjEEEEPNS0_10empty_typeENS0_5tupleIJSE_SH_EEENSJ_IJNS9_16discard_iteratorINS9_11use_defaultEEESI_EEENS0_18inequality_wrapperINS9_8equal_toItEEEEPmJSH_EEE10hipError_tPvRmT3_T4_T5_T6_T7_T9_mT8_P12ihipStream_tbDpT10_ENKUlT_T0_E_clISt17integral_constantIbLb1EES1C_IbLb0EEEEDaS18_S19_EUlS18_E_NS1_11comp_targetILNS1_3genE9ELNS1_11target_archE1100ELNS1_3gpuE3ELNS1_3repE0EEENS1_30default_config_static_selectorELNS0_4arch9wavefront6targetE0EEEvT1_,@function
_ZN7rocprim17ROCPRIM_400000_NS6detail17trampoline_kernelINS0_14default_configENS1_25partition_config_selectorILNS1_17partition_subalgoE9EtjbEEZZNS1_14partition_implILS5_9ELb0ES3_jN6thrust23THRUST_200600_302600_NS6detail15normal_iteratorINS9_10device_ptrItEEEENSB_INSC_IjEEEEPNS0_10empty_typeENS0_5tupleIJSE_SH_EEENSJ_IJNS9_16discard_iteratorINS9_11use_defaultEEESI_EEENS0_18inequality_wrapperINS9_8equal_toItEEEEPmJSH_EEE10hipError_tPvRmT3_T4_T5_T6_T7_T9_mT8_P12ihipStream_tbDpT10_ENKUlT_T0_E_clISt17integral_constantIbLb1EES1C_IbLb0EEEEDaS18_S19_EUlS18_E_NS1_11comp_targetILNS1_3genE9ELNS1_11target_archE1100ELNS1_3gpuE3ELNS1_3repE0EEENS1_30default_config_static_selectorELNS0_4arch9wavefront6targetE0EEEvT1_: ; @_ZN7rocprim17ROCPRIM_400000_NS6detail17trampoline_kernelINS0_14default_configENS1_25partition_config_selectorILNS1_17partition_subalgoE9EtjbEEZZNS1_14partition_implILS5_9ELb0ES3_jN6thrust23THRUST_200600_302600_NS6detail15normal_iteratorINS9_10device_ptrItEEEENSB_INSC_IjEEEEPNS0_10empty_typeENS0_5tupleIJSE_SH_EEENSJ_IJNS9_16discard_iteratorINS9_11use_defaultEEESI_EEENS0_18inequality_wrapperINS9_8equal_toItEEEEPmJSH_EEE10hipError_tPvRmT3_T4_T5_T6_T7_T9_mT8_P12ihipStream_tbDpT10_ENKUlT_T0_E_clISt17integral_constantIbLb1EES1C_IbLb0EEEEDaS18_S19_EUlS18_E_NS1_11comp_targetILNS1_3genE9ELNS1_11target_archE1100ELNS1_3gpuE3ELNS1_3repE0EEENS1_30default_config_static_selectorELNS0_4arch9wavefront6targetE0EEEvT1_
; %bb.0:
	s_clause 0x4
	s_load_b128 s[4:7], s[0:1], 0x8
	s_load_b32 s14, s[0:1], 0x70
	s_load_b128 s[16:19], s[0:1], 0x48
	s_load_b64 s[2:3], s[0:1], 0x58
	s_load_b64 s[8:9], s[0:1], 0x18
	s_waitcnt lgkmcnt(0)
	s_lshl_b64 s[10:11], s[6:7], 1
	s_mul_i32 s20, s14, 0x580
	s_add_u32 s10, s4, s10
	s_addc_u32 s11, s5, s11
	s_add_i32 s4, s20, s6
	s_load_b64 s[12:13], s[18:19], 0x0
	s_sub_i32 s19, s2, s4
	s_add_i32 s14, s14, -1
	s_addk_i32 s19, 0x580
	s_add_u32 s4, s6, s20
	s_addc_u32 s5, s7, 0
	s_cmp_eq_u32 s15, s14
	v_cmp_ge_u64_e64 s2, s[4:5], s[2:3]
	s_cselect_b32 s14, -1, 0
	s_mov_b32 s5, 0
	s_mul_i32 s4, s15, 0x580
	s_delay_alu instid0(VALU_DEP_1)
	s_and_b32 s20, s14, s2
	s_lshl_b64 s[2:3], s[4:5], 1
	s_xor_b32 s18, s20, -1
	s_add_u32 s10, s10, s2
	s_addc_u32 s3, s11, s3
	s_and_b32 vcc_lo, exec_lo, s18
	s_mov_b32 s11, -1
	s_cbranch_vccz .LBB939_2
; %bb.1:
	v_lshlrev_b32_e32 v3, 1, v0
	s_mov_b32 s11, s5
	s_delay_alu instid0(VALU_DEP_1) | instskip(NEXT) | instid1(VALU_DEP_1)
	v_add_co_u32 v1, s2, s10, v3
	v_add_co_ci_u32_e64 v2, null, s3, 0, s2
	s_clause 0xa
	flat_load_u16 v4, v[1:2]
	flat_load_u16 v5, v[1:2] offset:256
	flat_load_u16 v6, v[1:2] offset:512
	flat_load_u16 v7, v[1:2] offset:768
	flat_load_u16 v8, v[1:2] offset:1024
	flat_load_u16 v9, v[1:2] offset:1280
	flat_load_u16 v10, v[1:2] offset:1536
	flat_load_u16 v11, v[1:2] offset:1792
	flat_load_u16 v12, v[1:2] offset:2048
	flat_load_u16 v13, v[1:2] offset:2304
	flat_load_u16 v1, v[1:2] offset:2560
	s_waitcnt vmcnt(10) lgkmcnt(0)
	ds_store_b16 v3, v4
	s_waitcnt vmcnt(9)
	ds_store_b16 v3, v5 offset:256
	s_waitcnt vmcnt(8)
	ds_store_b16 v3, v6 offset:512
	;; [unrolled: 2-line block ×10, first 2 shown]
	s_waitcnt lgkmcnt(0)
	s_barrier
.LBB939_2:
	v_cmp_gt_u32_e64 s2, s19, v0
	s_and_not1_b32 vcc_lo, exec_lo, s11
	s_cbranch_vccnz .LBB939_26
; %bb.3:
                                        ; implicit-def: $vgpr1_vgpr2_vgpr3_vgpr4_vgpr5_vgpr6_vgpr7_vgpr8
	s_delay_alu instid0(VALU_DEP_1)
	s_and_saveexec_b32 s11, s2
	s_cbranch_execz .LBB939_5
; %bb.4:
	v_lshlrev_b32_e32 v1, 1, v0
	s_delay_alu instid0(VALU_DEP_1) | instskip(NEXT) | instid1(VALU_DEP_1)
	v_add_co_u32 v1, s2, s10, v1
	v_add_co_ci_u32_e64 v2, null, s3, 0, s2
	flat_load_d16_b16 v1, v[1:2]
.LBB939_5:
	s_or_b32 exec_lo, exec_lo, s11
	v_or_b32_e32 v7, 0x80, v0
	s_mov_b32 s2, exec_lo
	s_delay_alu instid0(VALU_DEP_1)
	v_cmpx_gt_u32_e64 s19, v7
	s_cbranch_execz .LBB939_7
; %bb.6:
	v_lshlrev_b32_e32 v7, 1, v0
	s_delay_alu instid0(VALU_DEP_1) | instskip(NEXT) | instid1(VALU_DEP_1)
	v_add_co_u32 v7, s11, s10, v7
	v_add_co_ci_u32_e64 v8, null, s3, 0, s11
	s_waitcnt vmcnt(0) lgkmcnt(0)
	flat_load_d16_hi_b16 v1, v[7:8] offset:256
.LBB939_7:
	s_or_b32 exec_lo, exec_lo, s2
	v_or_b32_e32 v7, 0x100, v0
	s_mov_b32 s2, exec_lo
	s_delay_alu instid0(VALU_DEP_1)
	v_cmpx_gt_u32_e64 s19, v7
	s_cbranch_execz .LBB939_9
; %bb.8:
	v_lshlrev_b32_e32 v7, 1, v0
	s_delay_alu instid0(VALU_DEP_1) | instskip(NEXT) | instid1(VALU_DEP_1)
	v_add_co_u32 v7, s11, s10, v7
	v_add_co_ci_u32_e64 v8, null, s3, 0, s11
	flat_load_d16_b16 v2, v[7:8] offset:512
.LBB939_9:
	s_or_b32 exec_lo, exec_lo, s2
	v_or_b32_e32 v7, 0x180, v0
	s_mov_b32 s2, exec_lo
	s_delay_alu instid0(VALU_DEP_1)
	v_cmpx_gt_u32_e64 s19, v7
	s_cbranch_execz .LBB939_11
; %bb.10:
	v_lshlrev_b32_e32 v7, 1, v0
	s_delay_alu instid0(VALU_DEP_1) | instskip(NEXT) | instid1(VALU_DEP_1)
	v_add_co_u32 v7, s11, s10, v7
	v_add_co_ci_u32_e64 v8, null, s3, 0, s11
	s_waitcnt vmcnt(0) lgkmcnt(0)
	flat_load_d16_hi_b16 v2, v[7:8] offset:768
.LBB939_11:
	s_or_b32 exec_lo, exec_lo, s2
	v_or_b32_e32 v7, 0x200, v0
	s_mov_b32 s2, exec_lo
	s_delay_alu instid0(VALU_DEP_1)
	v_cmpx_gt_u32_e64 s19, v7
	s_cbranch_execz .LBB939_13
; %bb.12:
	v_lshlrev_b32_e32 v7, 1, v0
	s_delay_alu instid0(VALU_DEP_1) | instskip(NEXT) | instid1(VALU_DEP_1)
	v_add_co_u32 v7, s11, s10, v7
	v_add_co_ci_u32_e64 v8, null, s3, 0, s11
	flat_load_d16_b16 v3, v[7:8] offset:1024
.LBB939_13:
	;; [unrolled: 27-line block ×5, first 2 shown]
	s_or_b32 exec_lo, exec_lo, s2
	v_lshlrev_b32_e32 v7, 1, v0
	s_waitcnt vmcnt(0) lgkmcnt(0)
	ds_store_b16 v7, v1
	ds_store_b16_d16_hi v7, v1 offset:256
	ds_store_b16 v7, v2 offset:512
	ds_store_b16_d16_hi v7, v2 offset:768
	ds_store_b16 v7, v3 offset:1024
	;; [unrolled: 2-line block ×5, first 2 shown]
	s_waitcnt lgkmcnt(0)
	s_barrier
.LBB939_26:
	v_mul_u32_u24_e32 v1, 11, v0
	s_waitcnt lgkmcnt(0)
	buffer_gl0_inv
	s_lshl_b64 s[22:23], s[6:7], 2
	s_delay_alu instid0(SALU_CYCLE_1)
	s_add_u32 s2, s8, s22
	v_lshlrev_b32_e32 v2, 1, v1
	s_addc_u32 s8, s9, s23
	s_lshl_b64 s[4:5], s[4:5], 2
	ds_load_b128 v[13:16], v2
	ds_load_u16 v38, v2 offset:16
	ds_load_u16 v37, v2 offset:18
	;; [unrolled: 1-line block ×3, first 2 shown]
	s_add_u32 s2, s2, s4
	s_addc_u32 s4, s8, s5
	s_and_b32 vcc_lo, exec_lo, s18
	s_mov_b32 s5, -1
	s_waitcnt lgkmcnt(0)
	s_barrier
	buffer_gl0_inv
	s_cbranch_vccz .LBB939_28
; %bb.27:
	v_lshlrev_b32_e32 v7, 2, v0
	s_delay_alu instid0(VALU_DEP_1) | instskip(NEXT) | instid1(VALU_DEP_1)
	v_add_co_u32 v3, s5, s2, v7
	v_add_co_ci_u32_e64 v4, null, s4, 0, s5
	s_mov_b32 s5, 0
	s_delay_alu instid0(VALU_DEP_2) | instskip(NEXT) | instid1(VALU_DEP_2)
	v_add_co_u32 v5, vcc_lo, 0x1000, v3
	v_add_co_ci_u32_e32 v6, vcc_lo, 0, v4, vcc_lo
	s_clause 0xa
	flat_load_b32 v8, v[3:4]
	flat_load_b32 v9, v[3:4] offset:512
	flat_load_b32 v10, v[3:4] offset:1024
	;; [unrolled: 1-line block ×7, first 2 shown]
	flat_load_b32 v4, v[5:6]
	flat_load_b32 v19, v[5:6] offset:512
	flat_load_b32 v5, v[5:6] offset:1024
	s_waitcnt vmcnt(9) lgkmcnt(9)
	ds_store_2addr_stride64_b32 v7, v8, v9 offset1:2
	s_waitcnt vmcnt(7) lgkmcnt(8)
	ds_store_2addr_stride64_b32 v7, v10, v11 offset0:4 offset1:6
	s_waitcnt vmcnt(5) lgkmcnt(7)
	ds_store_2addr_stride64_b32 v7, v12, v17 offset0:8 offset1:10
	;; [unrolled: 2-line block ×4, first 2 shown]
	s_waitcnt vmcnt(0) lgkmcnt(5)
	ds_store_b32 v7, v5 offset:5120
	s_waitcnt lgkmcnt(0)
	s_barrier
.LBB939_28:
	s_and_not1_b32 vcc_lo, exec_lo, s5
	s_cbranch_vccnz .LBB939_52
; %bb.29:
	s_mov_b32 s5, exec_lo
                                        ; implicit-def: $vgpr3
	v_cmpx_gt_u32_e64 s19, v0
	s_cbranch_execz .LBB939_31
; %bb.30:
	v_lshlrev_b32_e32 v3, 2, v0
	s_delay_alu instid0(VALU_DEP_1) | instskip(NEXT) | instid1(VALU_DEP_1)
	v_add_co_u32 v3, s8, s2, v3
	v_add_co_ci_u32_e64 v4, null, s4, 0, s8
	flat_load_b32 v3, v[3:4]
.LBB939_31:
	s_or_b32 exec_lo, exec_lo, s5
	v_or_b32_e32 v4, 0x80, v0
	s_delay_alu instid0(VALU_DEP_1)
	v_cmp_gt_u32_e32 vcc_lo, s19, v4
                                        ; implicit-def: $vgpr4
	s_and_saveexec_b32 s5, vcc_lo
	s_cbranch_execz .LBB939_33
; %bb.32:
	v_lshlrev_b32_e32 v4, 2, v0
	s_delay_alu instid0(VALU_DEP_1) | instskip(NEXT) | instid1(VALU_DEP_1)
	v_add_co_u32 v4, s8, s2, v4
	v_add_co_ci_u32_e64 v5, null, s4, 0, s8
	flat_load_b32 v4, v[4:5] offset:512
.LBB939_33:
	s_or_b32 exec_lo, exec_lo, s5
	v_or_b32_e32 v5, 0x100, v0
	s_delay_alu instid0(VALU_DEP_1)
	v_cmp_gt_u32_e32 vcc_lo, s19, v5
                                        ; implicit-def: $vgpr5
	s_and_saveexec_b32 s5, vcc_lo
	s_cbranch_execz .LBB939_35
; %bb.34:
	v_lshlrev_b32_e32 v5, 2, v0
	s_delay_alu instid0(VALU_DEP_1) | instskip(NEXT) | instid1(VALU_DEP_1)
	v_add_co_u32 v5, s8, s2, v5
	v_add_co_ci_u32_e64 v6, null, s4, 0, s8
	flat_load_b32 v5, v[5:6] offset:1024
.LBB939_35:
	s_or_b32 exec_lo, exec_lo, s5
	v_or_b32_e32 v6, 0x180, v0
	s_delay_alu instid0(VALU_DEP_1)
	v_cmp_gt_u32_e32 vcc_lo, s19, v6
                                        ; implicit-def: $vgpr6
	s_and_saveexec_b32 s5, vcc_lo
	s_cbranch_execz .LBB939_37
; %bb.36:
	v_lshlrev_b32_e32 v6, 2, v0
	s_delay_alu instid0(VALU_DEP_1) | instskip(NEXT) | instid1(VALU_DEP_1)
	v_add_co_u32 v6, s8, s2, v6
	v_add_co_ci_u32_e64 v7, null, s4, 0, s8
	flat_load_b32 v6, v[6:7] offset:1536
.LBB939_37:
	s_or_b32 exec_lo, exec_lo, s5
	v_or_b32_e32 v7, 0x200, v0
	s_delay_alu instid0(VALU_DEP_1)
	v_cmp_gt_u32_e32 vcc_lo, s19, v7
                                        ; implicit-def: $vgpr7
	s_and_saveexec_b32 s5, vcc_lo
	s_cbranch_execz .LBB939_39
; %bb.38:
	v_lshlrev_b32_e32 v7, 2, v0
	s_delay_alu instid0(VALU_DEP_1) | instskip(NEXT) | instid1(VALU_DEP_1)
	v_add_co_u32 v7, s8, s2, v7
	v_add_co_ci_u32_e64 v8, null, s4, 0, s8
	flat_load_b32 v7, v[7:8] offset:2048
.LBB939_39:
	s_or_b32 exec_lo, exec_lo, s5
	v_or_b32_e32 v8, 0x280, v0
	s_delay_alu instid0(VALU_DEP_1)
	v_cmp_gt_u32_e32 vcc_lo, s19, v8
                                        ; implicit-def: $vgpr8
	s_and_saveexec_b32 s5, vcc_lo
	s_cbranch_execz .LBB939_41
; %bb.40:
	v_lshlrev_b32_e32 v8, 2, v0
	s_delay_alu instid0(VALU_DEP_1) | instskip(NEXT) | instid1(VALU_DEP_1)
	v_add_co_u32 v8, s8, s2, v8
	v_add_co_ci_u32_e64 v9, null, s4, 0, s8
	flat_load_b32 v8, v[8:9] offset:2560
.LBB939_41:
	s_or_b32 exec_lo, exec_lo, s5
	v_or_b32_e32 v9, 0x300, v0
	s_delay_alu instid0(VALU_DEP_1)
	v_cmp_gt_u32_e32 vcc_lo, s19, v9
                                        ; implicit-def: $vgpr9
	s_and_saveexec_b32 s5, vcc_lo
	s_cbranch_execz .LBB939_43
; %bb.42:
	v_lshlrev_b32_e32 v9, 2, v0
	s_delay_alu instid0(VALU_DEP_1) | instskip(NEXT) | instid1(VALU_DEP_1)
	v_add_co_u32 v9, s8, s2, v9
	v_add_co_ci_u32_e64 v10, null, s4, 0, s8
	flat_load_b32 v9, v[9:10] offset:3072
.LBB939_43:
	s_or_b32 exec_lo, exec_lo, s5
	v_or_b32_e32 v10, 0x380, v0
	s_delay_alu instid0(VALU_DEP_1)
	v_cmp_gt_u32_e32 vcc_lo, s19, v10
                                        ; implicit-def: $vgpr10
	s_and_saveexec_b32 s5, vcc_lo
	s_cbranch_execz .LBB939_45
; %bb.44:
	v_lshlrev_b32_e32 v10, 2, v0
	s_delay_alu instid0(VALU_DEP_1) | instskip(NEXT) | instid1(VALU_DEP_1)
	v_add_co_u32 v10, s8, s2, v10
	v_add_co_ci_u32_e64 v11, null, s4, 0, s8
	flat_load_b32 v10, v[10:11] offset:3584
.LBB939_45:
	s_or_b32 exec_lo, exec_lo, s5
	v_or_b32_e32 v12, 0x400, v0
	s_mov_b32 s5, exec_lo
                                        ; implicit-def: $vgpr11
	s_delay_alu instid0(VALU_DEP_1)
	v_cmpx_gt_u32_e64 s19, v12
	s_cbranch_execz .LBB939_47
; %bb.46:
	v_lshlrev_b32_e32 v11, 2, v12
	s_delay_alu instid0(VALU_DEP_1) | instskip(NEXT) | instid1(VALU_DEP_1)
	v_add_co_u32 v11, s8, s2, v11
	v_add_co_ci_u32_e64 v12, null, s4, 0, s8
	flat_load_b32 v11, v[11:12]
.LBB939_47:
	s_or_b32 exec_lo, exec_lo, s5
	v_or_b32_e32 v17, 0x480, v0
	s_mov_b32 s5, exec_lo
                                        ; implicit-def: $vgpr12
	s_delay_alu instid0(VALU_DEP_1)
	v_cmpx_gt_u32_e64 s19, v17
	s_cbranch_execz .LBB939_49
; %bb.48:
	v_lshlrev_b32_e32 v12, 2, v17
	s_delay_alu instid0(VALU_DEP_1) | instskip(NEXT) | instid1(VALU_DEP_1)
	v_add_co_u32 v17, s8, s2, v12
	v_add_co_ci_u32_e64 v18, null, s4, 0, s8
	flat_load_b32 v12, v[17:18]
.LBB939_49:
	s_or_b32 exec_lo, exec_lo, s5
	v_or_b32_e32 v18, 0x500, v0
	s_mov_b32 s5, exec_lo
                                        ; implicit-def: $vgpr17
	s_delay_alu instid0(VALU_DEP_1)
	v_cmpx_gt_u32_e64 s19, v18
	s_cbranch_execz .LBB939_51
; %bb.50:
	v_lshlrev_b32_e32 v17, 2, v18
	s_delay_alu instid0(VALU_DEP_1) | instskip(NEXT) | instid1(VALU_DEP_1)
	v_add_co_u32 v17, s2, s2, v17
	v_add_co_ci_u32_e64 v18, null, s4, 0, s2
	flat_load_b32 v17, v[17:18]
.LBB939_51:
	s_or_b32 exec_lo, exec_lo, s5
	v_mad_i32_i24 v2, 0xffffffee, v0, v2
	s_waitcnt vmcnt(0) lgkmcnt(0)
	ds_store_2addr_stride64_b32 v2, v3, v4 offset1:2
	ds_store_2addr_stride64_b32 v2, v5, v6 offset0:4 offset1:6
	ds_store_2addr_stride64_b32 v2, v7, v8 offset0:8 offset1:10
	;; [unrolled: 1-line block ×4, first 2 shown]
	ds_store_b32 v2, v17 offset:5120
	s_waitcnt lgkmcnt(0)
	s_barrier
.LBB939_52:
	v_lshlrev_b32_e32 v44, 2, v1
	buffer_gl0_inv
	s_cmp_lg_u32 s15, 0
	v_lshrrev_b32_e32 v42, 16, v13
	s_cselect_b32 s21, -1, 0
	ds_load_2addr_b32 v[28:29], v44 offset1:1
	ds_load_2addr_b32 v[26:27], v44 offset0:2 offset1:3
	ds_load_2addr_b32 v[24:25], v44 offset0:4 offset1:5
	;; [unrolled: 1-line block ×4, first 2 shown]
	ds_load_b32 v36, v44 offset:40
	s_cmp_lg_u64 s[6:7], 0
	v_lshrrev_b32_e32 v41, 16, v14
	s_cselect_b32 s2, -1, 0
	v_lshrrev_b32_e32 v40, 16, v15
	v_lshrrev_b32_e32 v39, 16, v16
	v_add_nc_u32_e32 v5, 1, v1
	v_add_nc_u32_e32 v6, 2, v1
	;; [unrolled: 1-line block ×10, first 2 shown]
	s_or_b32 s2, s21, s2
	s_mov_b32 s22, 0
	s_and_b32 vcc_lo, exec_lo, s2
	s_waitcnt lgkmcnt(0)
	s_barrier
	buffer_gl0_inv
	s_cbranch_vccz .LBB939_57
; %bb.53:
	v_add_co_u32 v17, s2, -2, s10
	s_delay_alu instid0(VALU_DEP_1)
	v_add_co_ci_u32_e64 v18, null, -1, s3, s2
	s_mov_b32 s3, -1
	s_and_b32 vcc_lo, exec_lo, s18
	flat_load_u16 v17, v[17:18]
	v_lshlrev_b32_e32 v18, 1, v0
	ds_store_b16 v18, v33
	s_cbranch_vccz .LBB939_59
; %bb.54:
	s_waitcnt vmcnt(0) lgkmcnt(1)
	v_mov_b32_e32 v19, v17
	s_mov_b32 s3, 0
	s_mov_b32 s2, exec_lo
	s_waitcnt lgkmcnt(0)
	s_barrier
	buffer_gl0_inv
	v_cmpx_ne_u32_e32 0, v0
	s_cbranch_execz .LBB939_56
; %bb.55:
	v_add_nc_u32_e32 v12, -2, v18
	ds_load_u16 v19, v12
.LBB939_56:
	s_or_b32 exec_lo, exec_lo, s2
	v_cmp_ne_u16_e32 vcc_lo, v16, v39
	s_waitcnt lgkmcnt(0)
	v_cmp_ne_u16_e64 s2, v19, v13
	v_cndmask_b32_e64 v12, 0, 1, vcc_lo
	v_cmp_ne_u16_e32 vcc_lo, v40, v16
	s_delay_alu instid0(VALU_DEP_2) | instskip(SKIP_2) | instid1(VALU_DEP_2)
	v_lshlrev_b16 v12, 8, v12
	v_cndmask_b32_e64 v30, 0, 1, vcc_lo
	v_cmp_ne_u16_e32 vcc_lo, v15, v40
	v_or_b32_e32 v30, v30, v12
	v_cndmask_b32_e64 v31, 0, 1, vcc_lo
	v_cmp_ne_u16_e32 vcc_lo, v41, v15
	s_delay_alu instid0(VALU_DEP_2) | instskip(SKIP_2) | instid1(VALU_DEP_2)
	v_lshlrev_b16 v31, 8, v31
	v_cndmask_b32_e64 v32, 0, 1, vcc_lo
	v_cmp_ne_u16_e32 vcc_lo, v14, v41
	v_or_b32_e32 v31, v32, v31
	v_cndmask_b32_e64 v34, 0, 1, vcc_lo
	v_cmp_ne_u16_e32 vcc_lo, v42, v14
	s_delay_alu instid0(VALU_DEP_3) | instskip(NEXT) | instid1(VALU_DEP_3)
	v_and_b32_e32 v31, 0xffff, v31
	v_lshlrev_b16 v45, 8, v34
	v_cndmask_b32_e64 v35, 0, 1, vcc_lo
	v_cmp_ne_u16_e32 vcc_lo, v13, v42
	s_delay_alu instid0(VALU_DEP_2) | instskip(SKIP_3) | instid1(VALU_DEP_4)
	v_or_b32_e32 v35, v35, v45
	v_cndmask_b32_e64 v43, 0, 1, vcc_lo
	v_cmp_ne_u16_e32 vcc_lo, v37, v33
	v_lshlrev_b32_e32 v45, 16, v30
	v_lshlrev_b32_e32 v35, 16, v35
	s_delay_alu instid0(VALU_DEP_4) | instskip(SKIP_3) | instid1(VALU_DEP_4)
	v_lshlrev_b16 v43, 8, v43
	v_cndmask_b32_e64 v34, 0, 1, vcc_lo
	v_cmp_ne_u16_e32 vcc_lo, v38, v37
	v_or_b32_e32 v31, v31, v45
	v_and_b32_e32 v43, 0xffff, v43
	v_cndmask_b32_e64 v12, 0, 1, vcc_lo
	v_cmp_ne_u16_e32 vcc_lo, v39, v38
	s_delay_alu instid0(VALU_DEP_3)
	v_or_b32_e32 v30, v43, v35
	v_cndmask_b32_e64 v32, 0, 1, vcc_lo
	s_and_b32 vcc_lo, exec_lo, s3
	s_cbranch_vccnz .LBB939_60
	s_branch .LBB939_63
.LBB939_57:
                                        ; implicit-def: $sgpr2
                                        ; implicit-def: $vgpr34
                                        ; implicit-def: $vgpr12
                                        ; implicit-def: $vgpr32
                                        ; implicit-def: $vgpr31
	s_branch .LBB939_64
.LBB939_58:
                                        ; implicit-def: $vgpr17_vgpr18_vgpr19
	s_and_saveexec_b32 s3, s22
	s_cbranch_execnz .LBB939_72
	s_branch .LBB939_73
.LBB939_59:
                                        ; implicit-def: $sgpr2
                                        ; implicit-def: $vgpr34
                                        ; implicit-def: $vgpr12
                                        ; implicit-def: $vgpr32
                                        ; implicit-def: $vgpr31
	s_and_b32 vcc_lo, exec_lo, s3
	s_cbranch_vccz .LBB939_63
.LBB939_60:
	s_mov_b32 s2, exec_lo
	s_waitcnt vmcnt(0) lgkmcnt(0)
	s_barrier
	buffer_gl0_inv
	v_cmpx_ne_u32_e32 0, v0
	s_cbranch_execz .LBB939_62
; %bb.61:
	v_add_nc_u32_e32 v12, -2, v18
	ds_load_u16 v17, v12
.LBB939_62:
	s_or_b32 exec_lo, exec_lo, s2
	v_cmp_gt_u32_e32 vcc_lo, s19, v9
	v_cmp_ne_u16_e64 s2, v37, v33
	v_cmp_gt_u32_e64 s3, s19, v10
	v_cmp_ne_u16_e64 s4, v38, v37
	v_cmp_gt_u32_e64 s5, s19, v5
	v_cmp_ne_u16_e64 s6, v13, v42
	s_and_b32 s2, vcc_lo, s2
	v_cmp_gt_u32_e32 vcc_lo, s19, v2
	v_cndmask_b32_e64 v34, 0, 1, s2
	v_cmp_ne_u16_e64 s2, v16, v39
	s_and_b32 s3, s3, s4
	v_cmp_ne_u16_e64 s4, v40, v16
	v_cndmask_b32_e64 v12, 0, 1, s3
	v_cmp_gt_u32_e64 s3, s19, v4
	s_and_b32 s2, vcc_lo, s2
	v_cmp_gt_u32_e32 vcc_lo, s19, v7
	v_cndmask_b32_e64 v18, 0, 1, s2
	v_cmp_ne_u16_e64 s2, v15, v40
	s_and_b32 s3, s3, s4
	v_cmp_ne_u16_e64 s4, v14, v41
	v_cndmask_b32_e64 v19, 0, 1, s3
	v_cmp_gt_u32_e64 s3, s19, v3
	s_and_b32 s2, vcc_lo, s2
	v_cmp_gt_u32_e32 vcc_lo, s19, v8
	v_cndmask_b32_e64 v30, 0, 1, s2
	v_cmp_ne_u16_e64 s2, v41, v15
	s_and_b32 s3, s3, s4
	v_cmp_ne_u16_e64 s4, v42, v14
	v_cndmask_b32_e64 v31, 0, 1, s3
	v_cmp_gt_u32_e64 s3, s19, v6
	s_and_b32 s2, vcc_lo, s2
	v_lshlrev_b16 v30, 8, v30
	v_cndmask_b32_e64 v32, 0, 1, s2
	v_lshlrev_b16 v31, 8, v31
	s_and_b32 s2, s3, s4
	v_lshlrev_b16 v18, 8, v18
	v_cndmask_b32_e64 v35, 0, 1, s2
	s_and_b32 s2, s5, s6
	v_or_b32_e32 v30, v32, v30
	v_cndmask_b32_e64 v43, 0, 1, s2
	v_or_b32_e32 v18, v19, v18
	v_or_b32_e32 v31, v35, v31
	v_cmp_gt_u32_e32 vcc_lo, s19, v11
	v_cmp_ne_u16_e64 s2, v39, v38
	v_lshlrev_b16 v35, 8, v43
	v_lshlrev_b32_e32 v18, 16, v18
	v_lshlrev_b32_e32 v19, 16, v31
	s_delay_alu instid0(VALU_DEP_4) | instskip(NEXT) | instid1(VALU_DEP_3)
	s_and_b32 s2, vcc_lo, s2
	v_and_b32_e32 v31, 0xffff, v35
	v_and_b32_e32 v35, 0xffff, v30
	v_cndmask_b32_e64 v32, 0, 1, s2
	v_cmp_gt_u32_e32 vcc_lo, s19, v1
	s_waitcnt lgkmcnt(0)
	v_cmp_ne_u16_e64 s2, v17, v13
	v_or_b32_e32 v30, v31, v19
	v_or_b32_e32 v31, v35, v18
	s_delay_alu instid0(VALU_DEP_3)
	s_and_b32 s2, vcc_lo, s2
.LBB939_63:
	s_mov_b32 s22, -1
	s_cbranch_execnz .LBB939_58
.LBB939_64:
	v_mad_i32_i24 v35, 0xffffffd6, v0, v44
	v_cmp_ne_u16_e64 s2, v37, v33
	v_cmp_ne_u16_e64 s9, v38, v37
	;; [unrolled: 1-line block ×10, first 2 shown]
	s_and_b32 vcc_lo, exec_lo, s18
	ds_store_b16 v35, v33
	s_cbranch_vccz .LBB939_68
; %bb.65:
	s_waitcnt vmcnt(0) lgkmcnt(2)
	v_cndmask_b32_e64 v17, 0, 1, s11
	v_cndmask_b32_e64 v12, 0, 1, s9
	;; [unrolled: 1-line block ×5, first 2 shown]
	v_lshlrev_b16 v17, 8, v17
	v_cndmask_b32_e64 v43, 0, 1, s4
	v_cndmask_b32_e64 v32, 0, 1, s10
	;; [unrolled: 1-line block ×4, first 2 shown]
	v_lshlrev_b16 v18, 8, v18
	v_lshlrev_b16 v45, 8, v12
	v_or_b32_e32 v17, v30, v17
	v_lshlrev_b16 v30, 8, v31
	v_lshlrev_b16 v31, 8, v43
	v_or_b32_e32 v18, v19, v18
	v_or_b32_e32 v19, v32, v45
	v_and_b32_e32 v17, 0xffff, v17
	v_or_b32_e32 v30, v34, v30
	v_or_b32_e32 v31, 1, v31
	v_lshlrev_b32_e32 v18, 16, v18
	v_and_b32_e32 v19, 0xffff, v19
	v_cndmask_b32_e64 v34, 0, 1, s2
	v_lshlrev_b32_e32 v30, 16, v30
	v_and_b32_e32 v43, 0xffff, v31
	v_or_b32_e32 v31, v17, v18
	s_mov_b32 s3, 0
	v_lshl_or_b32 v19, v34, 16, v19
	s_mov_b32 s4, exec_lo
	v_or_b32_e32 v30, v43, v30
	s_waitcnt lgkmcnt(0)
	s_barrier
	buffer_gl0_inv
                                        ; implicit-def: $sgpr2
	v_cmpx_ne_u32_e32 0, v0
	s_xor_b32 s4, exec_lo, s4
	s_cbranch_execz .LBB939_67
; %bb.66:
	v_add_nc_u32_e32 v17, -2, v35
	s_or_b32 s22, s22, exec_lo
	ds_load_u16 v17, v17
	s_waitcnt lgkmcnt(0)
	v_cmp_ne_u16_e32 vcc_lo, v17, v13
                                        ; implicit-def: $vgpr17_vgpr18_vgpr19
	s_and_b32 s2, vcc_lo, exec_lo
.LBB939_67:
	s_or_b32 exec_lo, exec_lo, s4
	s_delay_alu instid0(SALU_CYCLE_1)
	s_and_b32 vcc_lo, exec_lo, s3
	s_cbranch_vccnz .LBB939_69
	s_branch .LBB939_71
.LBB939_68:
                                        ; implicit-def: $sgpr2
                                        ; implicit-def: $vgpr34
                                        ; implicit-def: $vgpr12
                                        ; implicit-def: $vgpr32
                                        ; implicit-def: $vgpr31
                                        ; implicit-def: $vgpr17_vgpr18_vgpr19
	s_cbranch_execz .LBB939_71
.LBB939_69:
	v_cmp_gt_u32_e32 vcc_lo, s19, v10
	v_cmp_ne_u16_e64 s2, v38, v37
	v_cmp_gt_u32_e64 s5, s19, v11
	v_cmp_ne_u16_e64 s6, v39, v38
	v_cmp_gt_u32_e64 s3, s19, v9
	v_cmp_ne_u16_e64 s4, v37, v33
	s_and_b32 s2, vcc_lo, s2
	v_cmp_gt_u32_e32 vcc_lo, s19, v2
	v_cndmask_b32_e64 v12, 0, 1, s2
	v_cmp_ne_u16_e64 s2, v16, v39
	s_and_b32 s5, s5, s6
	v_cmp_ne_u16_e64 s6, v40, v16
	v_cndmask_b32_e64 v32, 0, 1, s5
	v_cmp_gt_u32_e64 s5, s19, v4
	s_and_b32 s2, vcc_lo, s2
	v_cmp_gt_u32_e32 vcc_lo, s19, v7
	s_waitcnt vmcnt(0) lgkmcnt(2)
	v_cndmask_b32_e64 v17, 0, 1, s2
	v_cmp_ne_u16_e64 s2, v15, v40
	s_and_b32 s5, s5, s6
	v_cmp_ne_u16_e64 s6, v41, v15
	v_cndmask_b32_e64 v18, 0, 1, s5
	v_cmp_gt_u32_e64 s5, s19, v8
	s_and_b32 s2, vcc_lo, s2
	v_cmp_gt_u32_e32 vcc_lo, s19, v3
	v_cndmask_b32_e64 v19, 0, 1, s2
	v_cmp_ne_u16_e64 s2, v14, v41
	s_and_b32 s5, s5, s6
	v_cmp_ne_u16_e64 s6, v42, v14
	v_cndmask_b32_e64 v30, 0, 1, s5
	v_cmp_gt_u32_e64 s5, s19, v6
	s_and_b32 s2, vcc_lo, s2
	v_cmp_gt_u32_e32 vcc_lo, s19, v5
	v_cndmask_b32_e64 v31, 0, 1, s2
	v_cmp_ne_u16_e64 s2, v13, v42
	v_lshlrev_b16 v19, 8, v19
	v_lshlrev_b16 v17, 8, v17
	s_and_b32 s5, s5, s6
	v_lshlrev_b16 v45, 8, v12
	s_and_b32 s2, vcc_lo, s2
	v_cndmask_b32_e64 v34, 0, 1, s5
	v_cndmask_b32_e64 v43, 0, 1, s2
	v_or_b32_e32 v19, v30, v19
	v_or_b32_e32 v17, v18, v17
	v_lshlrev_b16 v18, 8, v31
	v_or_b32_e32 v31, v32, v45
	v_lshlrev_b16 v30, 8, v43
	s_and_b32 s2, s3, s4
	v_and_b32_e32 v19, 0xffff, v19
	v_or_b32_e32 v18, v34, v18
	v_lshlrev_b32_e32 v17, 16, v17
	v_or_b32_e32 v30, 1, v30
	v_and_b32_e32 v43, 0xffff, v31
	v_cndmask_b32_e64 v34, 0, 1, s2
	v_lshlrev_b32_e32 v18, 16, v18
	v_or_b32_e32 v31, v19, v17
	v_and_b32_e32 v30, 0xffff, v30
	s_mov_b32 s3, exec_lo
	v_lshl_or_b32 v19, v34, 16, v43
	s_waitcnt lgkmcnt(0)
	s_barrier
	v_or_b32_e32 v30, v30, v18
	buffer_gl0_inv
                                        ; implicit-def: $sgpr2
	v_cmpx_ne_u32_e32 0, v0
	s_cbranch_execz .LBB939_217
; %bb.70:
	v_add_nc_u32_e32 v17, -2, v35
	v_cmp_gt_u32_e32 vcc_lo, s19, v1
	s_or_b32 s22, s22, exec_lo
	ds_load_u16 v17, v17
	s_waitcnt lgkmcnt(0)
	v_cmp_ne_u16_e64 s2, v17, v13
                                        ; implicit-def: $vgpr17_vgpr18_vgpr19
	s_delay_alu instid0(VALU_DEP_1) | instskip(NEXT) | instid1(SALU_CYCLE_1)
	s_and_b32 s2, vcc_lo, s2
	s_and_b32 s2, s2, exec_lo
	s_or_b32 exec_lo, exec_lo, s3
.LBB939_71:
	s_and_saveexec_b32 s3, s22
	s_cbranch_execz .LBB939_73
.LBB939_72:
	v_lshrrev_b32_e32 v18, 24, v30
	v_lshrrev_b32_e32 v19, 16, v30
	;; [unrolled: 1-line block ×3, first 2 shown]
	s_waitcnt vmcnt(0) lgkmcnt(1)
	v_cndmask_b32_e64 v17, 0, 1, s2
	v_lshlrev_b16 v12, 8, v12
	v_and_b32_e32 v32, 0xff, v32
	v_lshlrev_b16 v18, 8, v18
	v_and_b32_e32 v19, 0xff, v19
	;; [unrolled: 2-line block ×3, first 2 shown]
	v_or_b32_e32 v12, v32, v12
	s_delay_alu instid0(VALU_DEP_4) | instskip(NEXT) | instid1(VALU_DEP_4)
	v_or_b32_e32 v18, v19, v18
	v_or_b32_e32 v17, v17, v30
	s_delay_alu instid0(VALU_DEP_4) | instskip(NEXT) | instid1(VALU_DEP_4)
	v_lshlrev_b32_e32 v19, 16, v34
	v_and_b32_e32 v12, 0xffff, v12
	s_delay_alu instid0(VALU_DEP_4) | instskip(NEXT) | instid1(VALU_DEP_4)
	v_lshlrev_b32_e32 v18, 16, v18
	v_and_b32_e32 v17, 0xffff, v17
	s_delay_alu instid0(VALU_DEP_3) | instskip(NEXT) | instid1(VALU_DEP_2)
	v_or_b32_e32 v19, v12, v19
	v_or_b32_e32 v30, v17, v18
.LBB939_73:
	s_or_b32 exec_lo, exec_lo, s3
	s_load_b64 s[10:11], s[0:1], 0x68
	s_and_not1_b32 vcc_lo, exec_lo, s20
	s_cbranch_vccnz .LBB939_75
; %bb.74:
	v_cmp_gt_u32_e32 vcc_lo, s19, v1
	v_cmp_gt_u32_e64 s2, s19, v5
	v_cmp_gt_u32_e64 s4, s19, v6
	v_and_b32_e32 v5, 0xffffff00, v31
	v_cmp_gt_u32_e64 s3, s19, v10
	v_dual_cndmask_b32 v1, 0, v30 :: v_dual_and_b32 v12, 0xff000000, v19
	v_cmp_gt_u32_e32 vcc_lo, s19, v11
	v_cmp_gt_u32_e64 s6, s19, v3
	v_cmp_gt_u32_e64 s5, s19, v9
	s_delay_alu instid0(VALU_DEP_4) | instskip(SKIP_1) | instid1(VALU_DEP_2)
	v_and_b32_e32 v1, 0xff, v1
	v_cndmask_b32_e32 v11, v12, v19, vcc_lo
	v_cndmask_b32_e64 v1, v1, v30, s2
	v_cmp_gt_u32_e64 s2, s19, v8
	s_delay_alu instid0(VALU_DEP_3) | instskip(NEXT) | instid1(VALU_DEP_3)
	v_and_b32_e32 v11, 0xff0000ff, v11
	v_and_b32_e32 v1, 0xffff, v1
	s_delay_alu instid0(VALU_DEP_3) | instskip(NEXT) | instid1(VALU_DEP_3)
	v_cndmask_b32_e64 v5, v5, v31, s2
	v_cndmask_b32_e64 v8, v11, v19, s3
	s_or_b32 s3, s5, s3
	s_delay_alu instid0(VALU_DEP_3) | instskip(NEXT) | instid1(VALU_DEP_3)
	v_cndmask_b32_e64 v1, v1, v30, s4
	v_and_b32_e32 v5, 0xffff00ff, v5
	s_delay_alu instid0(VALU_DEP_3) | instskip(SKIP_1) | instid1(VALU_DEP_4)
	v_and_b32_e32 v6, 0xff00ffff, v8
	v_cmp_gt_u32_e64 s4, s19, v7
	v_and_b32_e32 v1, 0xffffff, v1
	s_delay_alu instid0(VALU_DEP_3) | instskip(NEXT) | instid1(VALU_DEP_3)
	v_cndmask_b32_e64 v6, v6, v19, s5
	v_cndmask_b32_e64 v5, v5, v31, s4
	s_delay_alu instid0(VALU_DEP_3) | instskip(NEXT) | instid1(VALU_DEP_2)
	v_cndmask_b32_e64 v1, v1, v30, s6
	v_and_b32_e32 v3, 0xff00ffff, v5
	s_delay_alu instid0(VALU_DEP_4) | instskip(NEXT) | instid1(VALU_DEP_3)
	v_lshrrev_b32_e32 v5, 8, v6
	v_cndmask_b32_e64 v1, v1, v30, s2
	v_cmp_gt_u32_e64 s2, s19, v4
	s_delay_alu instid0(VALU_DEP_3) | instskip(NEXT) | instid1(VALU_DEP_3)
	v_lshlrev_b16 v5, 8, v5
	v_cndmask_b32_e64 v1, v1, v30, s4
	v_cmp_gt_u32_e64 s4, s19, v2
	s_delay_alu instid0(VALU_DEP_4) | instskip(NEXT) | instid1(VALU_DEP_3)
	v_cndmask_b32_e64 v3, v3, v31, s2
	v_cndmask_b32_e64 v1, v1, v30, s2
	s_or_b32 s2, s3, vcc_lo
	s_delay_alu instid0(VALU_DEP_3) | instid1(SALU_CYCLE_1)
	s_or_b32 vcc_lo, s2, s4
	s_delay_alu instid0(VALU_DEP_1) | instskip(NEXT) | instid1(VALU_DEP_1)
	v_dual_cndmask_b32 v1, v1, v30 :: v_dual_and_b32 v2, 0xffffff, v3
	v_dual_cndmask_b32 v31, v2, v31 :: v_dual_and_b32 v4, 0xff, v6
	s_delay_alu instid0(VALU_DEP_2) | instskip(NEXT) | instid1(VALU_DEP_2)
	v_perm_b32 v30, v1, v1, 0x3020104
	v_or_b32_e32 v3, v4, v5
	s_delay_alu instid0(VALU_DEP_1) | instskip(NEXT) | instid1(VALU_DEP_1)
	v_and_b32_e32 v2, 0xffff, v3
	v_and_or_b32 v19, 0xff0000, v6, v2
.LBB939_75:
	s_delay_alu instid0(VALU_DEP_4)
	v_and_b32_e32 v45, 0xff, v30
	v_bfe_u32 v46, v30, 8, 8
	v_alignbit_b32 v1, v31, v30, 24
	v_bfe_u32 v47, v30, 16, 8
	v_and_b32_e32 v48, 0xff, v31
	v_bfe_u32 v50, v31, 8, 8
	v_bfe_u32 v51, v31, 16, 8
	v_and_b32_e32 v49, 0xff, v1
	v_add3_u32 v1, v46, v45, v47
	v_lshrrev_b32_e32 v43, 24, v31
	v_mbcnt_lo_u32_b32 v54, -1, 0
	v_and_b32_e32 v52, 0xff, v19
	v_bfe_u32 v53, v19, 8, 8
	v_add3_u32 v1, v1, v49, v48
	v_bfe_u32 v3, v19, 16, 8
	v_and_b32_e32 v2, 15, v54
	v_or_b32_e32 v4, 31, v0
	v_and_b32_e32 v5, 16, v54
	v_add3_u32 v1, v1, v50, v51
	v_lshrrev_b32_e32 v55, 5, v0
	v_cmp_eq_u32_e64 s7, 0, v2
	v_cmp_lt_u32_e64 s6, 1, v2
	v_cmp_lt_u32_e64 s5, 3, v2
	v_add3_u32 v1, v1, v43, v52
	v_cmp_lt_u32_e64 s4, 7, v2
	v_cmp_eq_u32_e64 s3, 0, v5
	v_cmp_eq_u32_e64 s2, v4, v0
	s_and_b32 vcc_lo, exec_lo, s21
	v_add3_u32 v56, v1, v53, v3
	s_mov_b32 s19, -1
	s_waitcnt vmcnt(0) lgkmcnt(0)
	s_barrier
	buffer_gl0_inv
	s_cbranch_vccz .LBB939_106
; %bb.76:
	v_mov_b32_dpp v1, v56 row_shr:1 row_mask:0xf bank_mask:0xf
	s_delay_alu instid0(VALU_DEP_1) | instskip(NEXT) | instid1(VALU_DEP_1)
	v_cndmask_b32_e64 v1, v1, 0, s7
	v_add_nc_u32_e32 v1, v1, v56
	s_delay_alu instid0(VALU_DEP_1) | instskip(NEXT) | instid1(VALU_DEP_1)
	v_mov_b32_dpp v2, v1 row_shr:2 row_mask:0xf bank_mask:0xf
	v_cndmask_b32_e64 v2, 0, v2, s6
	s_delay_alu instid0(VALU_DEP_1) | instskip(NEXT) | instid1(VALU_DEP_1)
	v_add_nc_u32_e32 v1, v1, v2
	v_mov_b32_dpp v2, v1 row_shr:4 row_mask:0xf bank_mask:0xf
	s_delay_alu instid0(VALU_DEP_1) | instskip(NEXT) | instid1(VALU_DEP_1)
	v_cndmask_b32_e64 v2, 0, v2, s5
	v_add_nc_u32_e32 v1, v1, v2
	s_delay_alu instid0(VALU_DEP_1) | instskip(NEXT) | instid1(VALU_DEP_1)
	v_mov_b32_dpp v2, v1 row_shr:8 row_mask:0xf bank_mask:0xf
	v_cndmask_b32_e64 v2, 0, v2, s4
	s_delay_alu instid0(VALU_DEP_1) | instskip(SKIP_3) | instid1(VALU_DEP_1)
	v_add_nc_u32_e32 v1, v1, v2
	ds_swizzle_b32 v2, v1 offset:swizzle(BROADCAST,32,15)
	s_waitcnt lgkmcnt(0)
	v_cndmask_b32_e64 v2, v2, 0, s3
	v_add_nc_u32_e32 v1, v1, v2
	s_and_saveexec_b32 s8, s2
	s_cbranch_execz .LBB939_78
; %bb.77:
	v_lshlrev_b32_e32 v2, 2, v55
	ds_store_b32 v2, v1
.LBB939_78:
	s_or_b32 exec_lo, exec_lo, s8
	s_delay_alu instid0(SALU_CYCLE_1)
	s_mov_b32 s8, exec_lo
	s_waitcnt lgkmcnt(0)
	s_barrier
	buffer_gl0_inv
	v_cmpx_gt_u32_e32 4, v0
	s_cbranch_execz .LBB939_80
; %bb.79:
	v_and_b32_e32 v4, 3, v54
	s_delay_alu instid0(VALU_DEP_1) | instskip(SKIP_4) | instid1(VALU_DEP_1)
	v_cmp_ne_u32_e32 vcc_lo, 0, v4
	v_lshlrev_b32_e32 v2, 2, v0
	ds_load_b32 v3, v2
	s_waitcnt lgkmcnt(0)
	v_mov_b32_dpp v5, v3 row_shr:1 row_mask:0xf bank_mask:0xf
	v_cndmask_b32_e32 v5, 0, v5, vcc_lo
	v_cmp_lt_u32_e32 vcc_lo, 1, v4
	s_delay_alu instid0(VALU_DEP_2) | instskip(NEXT) | instid1(VALU_DEP_1)
	v_add_nc_u32_e32 v3, v5, v3
	v_mov_b32_dpp v5, v3 row_shr:2 row_mask:0xf bank_mask:0xf
	s_delay_alu instid0(VALU_DEP_1) | instskip(NEXT) | instid1(VALU_DEP_1)
	v_cndmask_b32_e32 v4, 0, v5, vcc_lo
	v_add_nc_u32_e32 v3, v3, v4
	ds_store_b32 v2, v3
.LBB939_80:
	s_or_b32 exec_lo, exec_lo, s8
	v_cmp_gt_u32_e32 vcc_lo, 32, v0
	s_mov_b32 s9, exec_lo
	s_waitcnt lgkmcnt(0)
	s_barrier
	buffer_gl0_inv
                                        ; implicit-def: $vgpr9
	v_cmpx_lt_u32_e32 31, v0
	s_cbranch_execz .LBB939_82
; %bb.81:
	v_lshl_add_u32 v2, v55, 2, -4
	ds_load_b32 v9, v2
	s_waitcnt lgkmcnt(0)
	v_add_nc_u32_e32 v1, v9, v1
.LBB939_82:
	s_or_b32 exec_lo, exec_lo, s9
	v_add_nc_u32_e32 v2, -1, v54
	s_delay_alu instid0(VALU_DEP_1) | instskip(NEXT) | instid1(VALU_DEP_1)
	v_cmp_gt_i32_e64 s8, 0, v2
	v_cndmask_b32_e64 v2, v2, v54, s8
	v_cmp_eq_u32_e64 s8, 0, v54
	s_delay_alu instid0(VALU_DEP_2)
	v_lshlrev_b32_e32 v2, 2, v2
	ds_bpermute_b32 v10, v2, v1
	s_and_saveexec_b32 s9, vcc_lo
	s_cbranch_execz .LBB939_105
; %bb.83:
	v_mov_b32_e32 v5, 0
	ds_load_b32 v1, v5 offset:12
	s_and_saveexec_b32 s19, s8
	s_cbranch_execz .LBB939_85
; %bb.84:
	s_add_i32 s20, s15, 32
	s_mov_b32 s21, 0
	v_mov_b32_e32 v2, 1
	s_lshl_b64 s[20:21], s[20:21], 3
	s_delay_alu instid0(SALU_CYCLE_1)
	s_add_u32 s20, s10, s20
	s_addc_u32 s21, s11, s21
	s_waitcnt lgkmcnt(0)
	global_store_b64 v5, v[1:2], s[20:21]
.LBB939_85:
	s_or_b32 exec_lo, exec_lo, s19
	v_xad_u32 v3, v54, -1, s15
	s_mov_b32 s20, 0
	s_mov_b32 s19, exec_lo
	s_delay_alu instid0(VALU_DEP_1) | instskip(NEXT) | instid1(VALU_DEP_1)
	v_add_nc_u32_e32 v4, 32, v3
	v_lshlrev_b64 v[4:5], 3, v[4:5]
	s_delay_alu instid0(VALU_DEP_1) | instskip(NEXT) | instid1(VALU_DEP_2)
	v_add_co_u32 v7, vcc_lo, s10, v4
	v_add_co_ci_u32_e32 v8, vcc_lo, s11, v5, vcc_lo
	global_load_b64 v[5:6], v[7:8], off glc
	s_waitcnt vmcnt(0)
	v_and_b32_e32 v2, 0xff, v6
	s_delay_alu instid0(VALU_DEP_1)
	v_cmpx_eq_u16_e32 0, v2
	s_cbranch_execz .LBB939_91
; %bb.86:
	s_mov_b32 s21, 1
	.p2align	6
.LBB939_87:                             ; =>This Loop Header: Depth=1
                                        ;     Child Loop BB939_88 Depth 2
	s_delay_alu instid0(SALU_CYCLE_1)
	s_max_u32 s22, s21, 1
.LBB939_88:                             ;   Parent Loop BB939_87 Depth=1
                                        ; =>  This Inner Loop Header: Depth=2
	s_delay_alu instid0(SALU_CYCLE_1)
	s_add_i32 s22, s22, -1
	s_sleep 1
	s_cmp_eq_u32 s22, 0
	s_cbranch_scc0 .LBB939_88
; %bb.89:                               ;   in Loop: Header=BB939_87 Depth=1
	global_load_b64 v[5:6], v[7:8], off glc
	s_cmp_lt_u32 s21, 32
	s_cselect_b32 s22, -1, 0
	s_delay_alu instid0(SALU_CYCLE_1) | instskip(SKIP_3) | instid1(VALU_DEP_1)
	s_cmp_lg_u32 s22, 0
	s_addc_u32 s21, s21, 0
	s_waitcnt vmcnt(0)
	v_and_b32_e32 v2, 0xff, v6
	v_cmp_ne_u16_e32 vcc_lo, 0, v2
	s_or_b32 s20, vcc_lo, s20
	s_delay_alu instid0(SALU_CYCLE_1)
	s_and_not1_b32 exec_lo, exec_lo, s20
	s_cbranch_execnz .LBB939_87
; %bb.90:
	s_or_b32 exec_lo, exec_lo, s20
.LBB939_91:
	s_delay_alu instid0(SALU_CYCLE_1)
	s_or_b32 exec_lo, exec_lo, s19
	v_cmp_ne_u32_e32 vcc_lo, 31, v54
	v_lshlrev_b32_e64 v12, v54, -1
	v_add_nc_u32_e32 v18, 2, v54
	v_add_nc_u32_e32 v34, 4, v54
	;; [unrolled: 1-line block ×3, first 2 shown]
	v_add_co_ci_u32_e32 v2, vcc_lo, 0, v54, vcc_lo
	v_add_nc_u32_e32 v59, 16, v54
	s_delay_alu instid0(VALU_DEP_2)
	v_lshlrev_b32_e32 v11, 2, v2
	v_and_b32_e32 v2, 0xff, v6
	ds_bpermute_b32 v4, v11, v5
	v_cmp_eq_u16_e32 vcc_lo, 2, v2
	v_and_or_b32 v2, vcc_lo, v12, 0x80000000
	v_cmp_gt_u32_e32 vcc_lo, 30, v54
	s_delay_alu instid0(VALU_DEP_2) | instskip(SKIP_1) | instid1(VALU_DEP_2)
	v_ctz_i32_b32_e32 v2, v2
	v_cndmask_b32_e64 v7, 0, 1, vcc_lo
	v_cmp_lt_u32_e32 vcc_lo, v54, v2
	s_waitcnt lgkmcnt(0)
	s_delay_alu instid0(VALU_DEP_2) | instskip(NEXT) | instid1(VALU_DEP_1)
	v_dual_cndmask_b32 v4, 0, v4 :: v_dual_lshlrev_b32 v7, 1, v7
	v_add_lshl_u32 v17, v7, v54, 2
	v_cmp_gt_u32_e32 vcc_lo, 28, v54
	s_delay_alu instid0(VALU_DEP_3) | instskip(SKIP_4) | instid1(VALU_DEP_1)
	v_add_nc_u32_e32 v4, v4, v5
	v_cndmask_b32_e64 v7, 0, 1, vcc_lo
	v_cmp_le_u32_e32 vcc_lo, v18, v2
	ds_bpermute_b32 v5, v17, v4
	v_lshlrev_b32_e32 v7, 2, v7
	v_add_lshl_u32 v32, v7, v54, 2
	s_waitcnt lgkmcnt(0)
	v_cndmask_b32_e32 v5, 0, v5, vcc_lo
	v_cmp_gt_u32_e32 vcc_lo, 24, v54
	s_delay_alu instid0(VALU_DEP_2) | instskip(SKIP_4) | instid1(VALU_DEP_1)
	v_add_nc_u32_e32 v4, v4, v5
	v_cndmask_b32_e64 v7, 0, 1, vcc_lo
	v_cmp_le_u32_e32 vcc_lo, v34, v2
	ds_bpermute_b32 v5, v32, v4
	v_lshlrev_b32_e32 v7, 3, v7
	v_add_lshl_u32 v35, v7, v54, 2
	s_waitcnt lgkmcnt(0)
	v_cndmask_b32_e32 v5, 0, v5, vcc_lo
	v_cmp_gt_u32_e32 vcc_lo, 16, v54
	s_delay_alu instid0(VALU_DEP_2) | instskip(SKIP_4) | instid1(VALU_DEP_1)
	v_add_nc_u32_e32 v4, v4, v5
	v_cndmask_b32_e64 v7, 0, 1, vcc_lo
	v_cmp_le_u32_e32 vcc_lo, v57, v2
	ds_bpermute_b32 v5, v35, v4
	v_lshlrev_b32_e32 v7, 4, v7
	v_add_lshl_u32 v58, v7, v54, 2
	s_waitcnt lgkmcnt(0)
	v_cndmask_b32_e32 v5, 0, v5, vcc_lo
	v_cmp_le_u32_e32 vcc_lo, v59, v2
	s_delay_alu instid0(VALU_DEP_2) | instskip(SKIP_3) | instid1(VALU_DEP_1)
	v_add_nc_u32_e32 v4, v4, v5
	ds_bpermute_b32 v5, v58, v4
	s_waitcnt lgkmcnt(0)
	v_cndmask_b32_e32 v2, 0, v5, vcc_lo
	v_dual_mov_b32 v4, 0 :: v_dual_add_nc_u32 v5, v4, v2
	s_branch .LBB939_93
.LBB939_92:                             ;   in Loop: Header=BB939_93 Depth=1
	s_or_b32 exec_lo, exec_lo, s19
	ds_bpermute_b32 v8, v11, v5
	v_and_b32_e32 v7, 0xff, v6
	v_subrev_nc_u32_e32 v3, 32, v3
	s_delay_alu instid0(VALU_DEP_2) | instskip(SKIP_1) | instid1(VALU_DEP_1)
	v_cmp_eq_u16_e32 vcc_lo, 2, v7
	v_and_or_b32 v7, vcc_lo, v12, 0x80000000
	v_ctz_i32_b32_e32 v7, v7
	s_delay_alu instid0(VALU_DEP_1) | instskip(SKIP_3) | instid1(VALU_DEP_2)
	v_cmp_lt_u32_e32 vcc_lo, v54, v7
	s_waitcnt lgkmcnt(0)
	v_cndmask_b32_e32 v8, 0, v8, vcc_lo
	v_cmp_le_u32_e32 vcc_lo, v18, v7
	v_add_nc_u32_e32 v5, v8, v5
	ds_bpermute_b32 v8, v17, v5
	s_waitcnt lgkmcnt(0)
	v_cndmask_b32_e32 v8, 0, v8, vcc_lo
	v_cmp_le_u32_e32 vcc_lo, v34, v7
	s_delay_alu instid0(VALU_DEP_2) | instskip(SKIP_4) | instid1(VALU_DEP_2)
	v_add_nc_u32_e32 v5, v5, v8
	ds_bpermute_b32 v8, v32, v5
	s_waitcnt lgkmcnt(0)
	v_cndmask_b32_e32 v8, 0, v8, vcc_lo
	v_cmp_le_u32_e32 vcc_lo, v57, v7
	v_add_nc_u32_e32 v5, v5, v8
	ds_bpermute_b32 v8, v35, v5
	s_waitcnt lgkmcnt(0)
	v_cndmask_b32_e32 v8, 0, v8, vcc_lo
	v_cmp_le_u32_e32 vcc_lo, v59, v7
	s_delay_alu instid0(VALU_DEP_2) | instskip(SKIP_3) | instid1(VALU_DEP_1)
	v_add_nc_u32_e32 v5, v5, v8
	ds_bpermute_b32 v8, v58, v5
	s_waitcnt lgkmcnt(0)
	v_cndmask_b32_e32 v7, 0, v8, vcc_lo
	v_add3_u32 v5, v7, v2, v5
.LBB939_93:                             ; =>This Loop Header: Depth=1
                                        ;     Child Loop BB939_96 Depth 2
                                        ;       Child Loop BB939_97 Depth 3
	v_and_b32_e32 v2, 0xff, v6
	s_delay_alu instid0(VALU_DEP_1) | instskip(SKIP_2) | instid1(VALU_DEP_1)
	v_cmp_ne_u16_e32 vcc_lo, 2, v2
	v_cndmask_b32_e64 v2, 0, 1, vcc_lo
	;;#ASMSTART
	;;#ASMEND
	v_cmp_ne_u32_e32 vcc_lo, 0, v2
	v_mov_b32_e32 v2, v5
	s_cmp_lg_u32 vcc_lo, exec_lo
	s_cbranch_scc1 .LBB939_100
; %bb.94:                               ;   in Loop: Header=BB939_93 Depth=1
	v_lshlrev_b64 v[5:6], 3, v[3:4]
	s_mov_b32 s19, exec_lo
	s_delay_alu instid0(VALU_DEP_1) | instskip(NEXT) | instid1(VALU_DEP_2)
	v_add_co_u32 v7, vcc_lo, s10, v5
	v_add_co_ci_u32_e32 v8, vcc_lo, s11, v6, vcc_lo
	global_load_b64 v[5:6], v[7:8], off glc
	s_waitcnt vmcnt(0)
	v_and_b32_e32 v60, 0xff, v6
	s_delay_alu instid0(VALU_DEP_1)
	v_cmpx_eq_u16_e32 0, v60
	s_cbranch_execz .LBB939_92
; %bb.95:                               ;   in Loop: Header=BB939_93 Depth=1
	s_mov_b32 s21, 1
	s_mov_b32 s20, 0
	.p2align	6
.LBB939_96:                             ;   Parent Loop BB939_93 Depth=1
                                        ; =>  This Loop Header: Depth=2
                                        ;       Child Loop BB939_97 Depth 3
	s_max_u32 s22, s21, 1
.LBB939_97:                             ;   Parent Loop BB939_93 Depth=1
                                        ;     Parent Loop BB939_96 Depth=2
                                        ; =>    This Inner Loop Header: Depth=3
	s_delay_alu instid0(SALU_CYCLE_1)
	s_add_i32 s22, s22, -1
	s_sleep 1
	s_cmp_eq_u32 s22, 0
	s_cbranch_scc0 .LBB939_97
; %bb.98:                               ;   in Loop: Header=BB939_96 Depth=2
	global_load_b64 v[5:6], v[7:8], off glc
	s_cmp_lt_u32 s21, 32
	s_cselect_b32 s22, -1, 0
	s_delay_alu instid0(SALU_CYCLE_1) | instskip(SKIP_3) | instid1(VALU_DEP_1)
	s_cmp_lg_u32 s22, 0
	s_addc_u32 s21, s21, 0
	s_waitcnt vmcnt(0)
	v_and_b32_e32 v60, 0xff, v6
	v_cmp_ne_u16_e32 vcc_lo, 0, v60
	s_or_b32 s20, vcc_lo, s20
	s_delay_alu instid0(SALU_CYCLE_1)
	s_and_not1_b32 exec_lo, exec_lo, s20
	s_cbranch_execnz .LBB939_96
; %bb.99:                               ;   in Loop: Header=BB939_93 Depth=1
	s_or_b32 exec_lo, exec_lo, s20
	s_branch .LBB939_92
.LBB939_100:                            ;   in Loop: Header=BB939_93 Depth=1
                                        ; implicit-def: $vgpr5
                                        ; implicit-def: $vgpr6
	s_cbranch_execz .LBB939_93
; %bb.101:
	s_and_saveexec_b32 s19, s8
	s_cbranch_execz .LBB939_103
; %bb.102:
	s_add_i32 s20, s15, 32
	s_mov_b32 s21, 0
	v_dual_mov_b32 v4, 2 :: v_dual_add_nc_u32 v3, v2, v1
	s_lshl_b64 s[20:21], s[20:21], 3
	v_mov_b32_e32 v5, 0
	s_add_u32 s20, s10, s20
	s_addc_u32 s21, s11, s21
	global_store_b64 v5, v[3:4], s[20:21]
	ds_store_b64 v5, v[1:2] offset:5632
.LBB939_103:
	s_or_b32 exec_lo, exec_lo, s19
	v_cmp_eq_u32_e32 vcc_lo, 0, v0
	s_and_b32 exec_lo, exec_lo, vcc_lo
	s_cbranch_execz .LBB939_105
; %bb.104:
	v_mov_b32_e32 v1, 0
	ds_store_b32 v1, v2 offset:12
.LBB939_105:
	s_or_b32 exec_lo, exec_lo, s9
	s_waitcnt lgkmcnt(0)
	v_cndmask_b32_e64 v3, v10, v9, s8
	v_cmp_ne_u32_e32 vcc_lo, 0, v0
	s_waitcnt_vscnt null, 0x0
	s_barrier
	buffer_gl0_inv
	v_cndmask_b32_e32 v3, 0, v3, vcc_lo
	v_mov_b32_e32 v1, 0
	ds_load_b32 v2, v1 offset:12
	s_waitcnt lgkmcnt(0)
	s_barrier
	buffer_gl0_inv
	v_add_nc_u32_e32 v2, v2, v3
	ds_load_b64 v[17:18], v1 offset:5632
	v_add_nc_u32_e32 v3, v2, v45
	s_delay_alu instid0(VALU_DEP_1) | instskip(SKIP_1) | instid1(VALU_DEP_1)
	v_add_nc_u32_e32 v4, v3, v46
	s_waitcnt lgkmcnt(0)
	v_dual_mov_b32 v32, v18 :: v_dual_add_nc_u32 v5, v4, v47
	s_delay_alu instid0(VALU_DEP_1) | instskip(NEXT) | instid1(VALU_DEP_1)
	v_add_nc_u32_e32 v6, v5, v49
	v_add_nc_u32_e32 v7, v6, v48
	s_delay_alu instid0(VALU_DEP_1) | instskip(NEXT) | instid1(VALU_DEP_1)
	v_add_nc_u32_e32 v8, v7, v50
	v_add_nc_u32_e32 v9, v8, v51
	;; [unrolled: 3-line block ×3, first 2 shown]
	s_delay_alu instid0(VALU_DEP_1)
	v_add_nc_u32_e32 v12, v11, v53
	s_load_b64 s[8:9], s[0:1], 0x28
	v_lshrrev_b64 v[34:35], 24, v[30:31]
	s_branch .LBB939_116
.LBB939_106:
                                        ; implicit-def: $vgpr32
                                        ; implicit-def: $vgpr2_vgpr3_vgpr4_vgpr5_vgpr6_vgpr7_vgpr8_vgpr9_vgpr10_vgpr11_vgpr12
                                        ; implicit-def: $vgpr17
	s_load_b64 s[8:9], s[0:1], 0x28
	v_lshrrev_b64 v[34:35], 24, v[30:31]
	s_and_b32 vcc_lo, exec_lo, s19
	s_cbranch_vccz .LBB939_116
; %bb.107:
	v_mov_b32_dpp v1, v56 row_shr:1 row_mask:0xf bank_mask:0xf
	s_delay_alu instid0(VALU_DEP_1) | instskip(NEXT) | instid1(VALU_DEP_1)
	v_cndmask_b32_e64 v1, v1, 0, s7
	v_add_nc_u32_e32 v1, v1, v56
	s_delay_alu instid0(VALU_DEP_1) | instskip(NEXT) | instid1(VALU_DEP_1)
	v_mov_b32_dpp v2, v1 row_shr:2 row_mask:0xf bank_mask:0xf
	v_cndmask_b32_e64 v2, 0, v2, s6
	s_delay_alu instid0(VALU_DEP_1) | instskip(NEXT) | instid1(VALU_DEP_1)
	v_add_nc_u32_e32 v1, v1, v2
	v_mov_b32_dpp v2, v1 row_shr:4 row_mask:0xf bank_mask:0xf
	s_delay_alu instid0(VALU_DEP_1) | instskip(NEXT) | instid1(VALU_DEP_1)
	v_cndmask_b32_e64 v2, 0, v2, s5
	v_add_nc_u32_e32 v1, v1, v2
	s_delay_alu instid0(VALU_DEP_1) | instskip(NEXT) | instid1(VALU_DEP_1)
	v_mov_b32_dpp v2, v1 row_shr:8 row_mask:0xf bank_mask:0xf
	v_cndmask_b32_e64 v2, 0, v2, s4
	s_delay_alu instid0(VALU_DEP_1) | instskip(SKIP_3) | instid1(VALU_DEP_1)
	v_add_nc_u32_e32 v1, v1, v2
	ds_swizzle_b32 v2, v1 offset:swizzle(BROADCAST,32,15)
	s_waitcnt lgkmcnt(0)
	v_cndmask_b32_e64 v2, v2, 0, s3
	v_add_nc_u32_e32 v1, v1, v2
	s_and_saveexec_b32 s0, s2
	s_cbranch_execz .LBB939_109
; %bb.108:
	v_lshlrev_b32_e32 v2, 2, v55
	ds_store_b32 v2, v1
.LBB939_109:
	s_or_b32 exec_lo, exec_lo, s0
	s_delay_alu instid0(SALU_CYCLE_1)
	s_mov_b32 s0, exec_lo
	s_waitcnt lgkmcnt(0)
	s_barrier
	buffer_gl0_inv
	v_cmpx_gt_u32_e32 4, v0
	s_cbranch_execz .LBB939_111
; %bb.110:
	v_mad_i32_i24 v2, 0xffffffd8, v0, v44
	ds_load_b32 v3, v2
	s_waitcnt lgkmcnt(0)
	v_mov_b32_dpp v5, v3 row_shr:1 row_mask:0xf bank_mask:0xf
	v_and_b32_e32 v4, 3, v54
	s_delay_alu instid0(VALU_DEP_1) | instskip(NEXT) | instid1(VALU_DEP_3)
	v_cmp_ne_u32_e32 vcc_lo, 0, v4
	v_cndmask_b32_e32 v5, 0, v5, vcc_lo
	v_cmp_lt_u32_e32 vcc_lo, 1, v4
	s_delay_alu instid0(VALU_DEP_2) | instskip(NEXT) | instid1(VALU_DEP_1)
	v_add_nc_u32_e32 v3, v5, v3
	v_mov_b32_dpp v5, v3 row_shr:2 row_mask:0xf bank_mask:0xf
	s_delay_alu instid0(VALU_DEP_1) | instskip(NEXT) | instid1(VALU_DEP_1)
	v_cndmask_b32_e32 v4, 0, v5, vcc_lo
	v_add_nc_u32_e32 v3, v3, v4
	ds_store_b32 v2, v3
.LBB939_111:
	s_or_b32 exec_lo, exec_lo, s0
	v_dual_mov_b32 v3, 0 :: v_dual_mov_b32 v2, 0
	s_mov_b32 s0, exec_lo
	s_waitcnt lgkmcnt(0)
	s_barrier
	buffer_gl0_inv
	v_cmpx_lt_u32_e32 31, v0
	s_cbranch_execz .LBB939_113
; %bb.112:
	v_lshl_add_u32 v2, v55, 2, -4
	ds_load_b32 v2, v2
.LBB939_113:
	s_or_b32 exec_lo, exec_lo, s0
	v_add_nc_u32_e32 v4, -1, v54
	ds_load_b32 v17, v3 offset:12
	s_waitcnt lgkmcnt(1)
	v_add_nc_u32_e32 v1, v2, v1
	v_cmp_gt_i32_e32 vcc_lo, 0, v4
	v_cndmask_b32_e32 v4, v4, v54, vcc_lo
	v_cmp_eq_u32_e32 vcc_lo, 0, v0
	s_delay_alu instid0(VALU_DEP_2)
	v_lshlrev_b32_e32 v4, 2, v4
	ds_bpermute_b32 v1, v4, v1
	s_and_saveexec_b32 s0, vcc_lo
	s_cbranch_execz .LBB939_115
; %bb.114:
	v_dual_mov_b32 v3, 0 :: v_dual_mov_b32 v18, 2
	s_waitcnt lgkmcnt(1)
	global_store_b64 v3, v[17:18], s[10:11] offset:256
.LBB939_115:
	s_or_b32 exec_lo, exec_lo, s0
	v_cmp_eq_u32_e64 s0, 0, v54
	s_waitcnt lgkmcnt(0)
	s_waitcnt_vscnt null, 0x0
	s_barrier
	buffer_gl0_inv
	v_mov_b32_e32 v32, 0
	v_cndmask_b32_e64 v1, v1, v2, s0
	s_delay_alu instid0(VALU_DEP_1) | instskip(NEXT) | instid1(VALU_DEP_1)
	v_cndmask_b32_e64 v2, v1, 0, vcc_lo
	v_add_nc_u32_e32 v3, v2, v45
	s_delay_alu instid0(VALU_DEP_1) | instskip(NEXT) | instid1(VALU_DEP_1)
	v_add_nc_u32_e32 v4, v3, v46
	v_add_nc_u32_e32 v5, v4, v47
	s_delay_alu instid0(VALU_DEP_1) | instskip(NEXT) | instid1(VALU_DEP_1)
	v_add_nc_u32_e32 v6, v5, v49
	;; [unrolled: 3-line block ×4, first 2 shown]
	v_add_nc_u32_e32 v11, v10, v52
	s_delay_alu instid0(VALU_DEP_1)
	v_add_nc_u32_e32 v12, v11, v53
.LBB939_116:
	v_cmp_gt_u32_e32 vcc_lo, 0x81, v17
	v_lshrrev_b32_e32 v18, 16, v19
	v_lshrrev_b32_e32 v46, 16, v30
	;; [unrolled: 1-line block ×6, first 2 shown]
	v_cmp_lt_u32_e64 s0, 0x80, v17
	s_mov_b32 s1, -1
	s_cbranch_vccz .LBB939_151
; %bb.117:
	v_add_nc_u32_e32 v1, v32, v17
	s_lshl_b64 s[2:3], s[12:13], 1
	s_waitcnt lgkmcnt(0)
	s_add_u32 s1, s8, s2
	s_addc_u32 s2, s9, s3
	v_cmp_lt_u32_e32 vcc_lo, v2, v1
	s_or_b32 s4, s18, vcc_lo
	s_delay_alu instid0(SALU_CYCLE_1)
	s_and_saveexec_b32 s3, s4
	s_cbranch_execz .LBB939_120
; %bb.118:
	v_and_b32_e32 v48, 1, v30
	s_delay_alu instid0(VALU_DEP_1)
	v_cmp_eq_u32_e32 vcc_lo, 1, v48
	s_and_b32 exec_lo, exec_lo, vcc_lo
	s_cbranch_execz .LBB939_120
; %bb.119:
	v_dual_mov_b32 v49, 0 :: v_dual_mov_b32 v48, v2
	s_delay_alu instid0(VALU_DEP_1) | instskip(NEXT) | instid1(VALU_DEP_1)
	v_lshlrev_b64 v[48:49], 1, v[48:49]
	v_add_co_u32 v48, vcc_lo, s1, v48
	s_delay_alu instid0(VALU_DEP_2)
	v_add_co_ci_u32_e32 v49, vcc_lo, s2, v49, vcc_lo
	global_store_b16 v[48:49], v13, off
.LBB939_120:
	s_or_b32 exec_lo, exec_lo, s3
	v_cmp_lt_u32_e32 vcc_lo, v3, v1
	s_or_b32 s4, s18, vcc_lo
	s_delay_alu instid0(SALU_CYCLE_1)
	s_and_saveexec_b32 s3, s4
	s_cbranch_execz .LBB939_123
; %bb.121:
	v_and_b32_e32 v48, 1, v47
	s_delay_alu instid0(VALU_DEP_1)
	v_cmp_eq_u32_e32 vcc_lo, 1, v48
	s_and_b32 exec_lo, exec_lo, vcc_lo
	s_cbranch_execz .LBB939_123
; %bb.122:
	v_dual_mov_b32 v49, 0 :: v_dual_mov_b32 v48, v3
	s_delay_alu instid0(VALU_DEP_1) | instskip(NEXT) | instid1(VALU_DEP_1)
	v_lshlrev_b64 v[48:49], 1, v[48:49]
	v_add_co_u32 v48, vcc_lo, s1, v48
	s_delay_alu instid0(VALU_DEP_2)
	v_add_co_ci_u32_e32 v49, vcc_lo, s2, v49, vcc_lo
	global_store_b16 v[48:49], v42, off
.LBB939_123:
	s_or_b32 exec_lo, exec_lo, s3
	;; [unrolled: 21-line block ×11, first 2 shown]
	s_mov_b32 s1, 0
.LBB939_151:
	v_and_b32_e32 v30, 1, v30
	s_and_b32 vcc_lo, exec_lo, s1
	s_delay_alu instid0(VALU_DEP_1)
	v_cmp_eq_u32_e64 s1, 1, v30
	s_cbranch_vccz .LBB939_190
; %bb.152:
	s_delay_alu instid0(VALU_DEP_1)
	s_and_saveexec_b32 s2, s1
	s_cbranch_execz .LBB939_154
; %bb.153:
	v_sub_nc_u32_e32 v1, v2, v32
	s_delay_alu instid0(VALU_DEP_1)
	v_lshlrev_b32_e32 v1, 1, v1
	ds_store_b16 v1, v13
.LBB939_154:
	s_or_b32 exec_lo, exec_lo, s2
	v_and_b32_e32 v1, 1, v47
	s_mov_b32 s1, exec_lo
	s_delay_alu instid0(VALU_DEP_1)
	v_cmpx_eq_u32_e32 1, v1
	s_cbranch_execz .LBB939_156
; %bb.155:
	v_sub_nc_u32_e32 v1, v3, v32
	s_delay_alu instid0(VALU_DEP_1)
	v_lshlrev_b32_e32 v1, 1, v1
	ds_store_b16 v1, v42
.LBB939_156:
	s_or_b32 exec_lo, exec_lo, s1
	v_and_b32_e32 v1, 1, v46
	s_mov_b32 s1, exec_lo
	s_delay_alu instid0(VALU_DEP_1)
	v_cmpx_eq_u32_e32 1, v1
	;; [unrolled: 12-line block ×10, first 2 shown]
	s_cbranch_execz .LBB939_174
; %bb.173:
	v_sub_nc_u32_e32 v1, v12, v32
	s_delay_alu instid0(VALU_DEP_1)
	v_lshlrev_b32_e32 v1, 1, v1
	ds_store_b16 v1, v33
.LBB939_174:
	s_or_b32 exec_lo, exec_lo, s1
	s_delay_alu instid0(SALU_CYCLE_1)
	s_mov_b32 s3, exec_lo
	s_waitcnt lgkmcnt(0)
	s_waitcnt_vscnt null, 0x0
	s_barrier
	buffer_gl0_inv
	v_cmpx_lt_u32_e64 v0, v17
	s_cbranch_execz .LBB939_189
; %bb.175:
	v_mov_b32_e32 v33, 0
	s_lshl_b64 s[4:5], s[12:13], 1
	v_xad_u32 v1, v0, -1, v17
	s_add_u32 s2, s8, s4
	s_addc_u32 s4, s9, s5
	v_lshlrev_b64 v[13:14], 1, v[32:33]
	s_delay_alu instid0(VALU_DEP_2) | instskip(NEXT) | instid1(VALU_DEP_2)
	v_cmp_gt_u32_e32 vcc_lo, 0xc80, v1
	v_add_co_u32 v33, s2, s2, v13
	s_delay_alu instid0(VALU_DEP_1)
	v_add_co_ci_u32_e64 v37, s2, s4, v14, s2
	v_mov_b32_e32 v13, v0
	s_mov_b32 s2, -1
	s_mov_b32 s4, exec_lo
	v_cmpx_lt_u32_e32 0xc7f, v1
	s_cbranch_execz .LBB939_186
; %bb.176:
	v_sub_nc_u32_e32 v13, v0, v17
	s_delay_alu instid0(VALU_DEP_1) | instskip(NEXT) | instid1(VALU_DEP_1)
	v_or_b32_e32 v13, 0x7f, v13
	v_cmp_ge_u32_e64 s1, v13, v0
	v_mov_b32_e32 v13, v0
	s_delay_alu instid0(VALU_DEP_2)
	s_and_saveexec_b32 s5, s1
	s_cbranch_execz .LBB939_185
; %bb.177:
	v_lshrrev_b32_e32 v38, 7, v1
	v_or_b32_e32 v1, 0x80, v0
	v_dual_mov_b32 v48, 0 :: v_dual_lshlrev_b32 v39, 1, v0
	s_delay_alu instid0(VALU_DEP_3) | instskip(NEXT) | instid1(VALU_DEP_1)
	v_add_nc_u32_e32 v13, -1, v38
	v_lshrrev_b32_e32 v14, 1, v13
	v_cmp_lt_u32_e64 s1, 13, v13
	s_delay_alu instid0(VALU_DEP_2) | instskip(SKIP_1) | instid1(VALU_DEP_3)
	v_add_nc_u32_e32 v40, 1, v14
	v_dual_mov_b32 v14, v1 :: v_dual_mov_b32 v13, v0
	s_and_saveexec_b32 s2, s1
	s_cbranch_execz .LBB939_181
; %bb.178:
	s_delay_alu instid0(VALU_DEP_2)
	v_dual_mov_b32 v14, v1 :: v_dual_and_b32 v41, -8, v40
	v_mov_b32_e32 v16, 0
	v_dual_mov_b32 v42, v39 :: v_dual_mov_b32 v13, v0
	s_mov_b32 s6, 0
	s_mov_b32 s7, 0
.LBB939_179:                            ; =>This Inner Loop Header: Depth=1
	s_delay_alu instid0(VALU_DEP_1) | instskip(SKIP_2) | instid1(VALU_DEP_3)
	v_dual_mov_b32 v15, v13 :: v_dual_mov_b32 v50, v16
	v_add_nc_u32_e32 v41, -8, v41
	v_dual_mov_b32 v52, v16 :: v_dual_add_nc_u32 v49, 0x100, v14
	v_lshlrev_b64 v[63:64], 1, v[15:16]
	v_dual_mov_b32 v54, v16 :: v_dual_add_nc_u32 v51, 0x200, v14
	s_delay_alu instid0(VALU_DEP_4) | instskip(NEXT) | instid1(VALU_DEP_4)
	v_cmp_eq_u32_e64 s1, 0, v41
	v_lshlrev_b64 v[49:50], 1, v[49:50]
	v_dual_mov_b32 v56, v16 :: v_dual_add_nc_u32 v53, 0x300, v14
	s_add_i32 s7, s7, 16
	v_lshlrev_b64 v[51:52], 1, v[51:52]
	s_or_b32 s6, s1, s6
	v_add_co_u32 v63, s1, v33, v63
	v_dual_mov_b32 v58, v16 :: v_dual_add_nc_u32 v55, 0x400, v14
	v_add_co_ci_u32_e64 v64, s1, v37, v64, s1
	v_lshlrev_b64 v[53:54], 1, v[53:54]
	v_add_co_u32 v49, s1, v33, v49
	v_dual_mov_b32 v60, v16 :: v_dual_add_nc_u32 v57, 0x500, v14
	v_add_co_ci_u32_e64 v50, s1, v37, v50, s1
	v_lshlrev_b64 v[55:56], 1, v[55:56]
	;; [unrolled: 4-line block ×3, first 2 shown]
	v_add_co_u32 v53, s1, v33, v53
	v_dual_mov_b32 v48, s7 :: v_dual_add_nc_u32 v61, 0x700, v14
	ds_load_u16 v1, v42
	ds_load_u16 v69, v42 offset:256
	ds_load_u16 v70, v42 offset:512
	;; [unrolled: 1-line block ×15, first 2 shown]
	v_dual_mov_b32 v15, v14 :: v_dual_add_nc_u32 v42, 0x1000, v42
	v_add_co_ci_u32_e64 v54, s1, v37, v54, s1
	v_lshlrev_b64 v[59:60], 1, v[59:60]
	v_add_co_u32 v55, s1, v33, v55
	s_delay_alu instid0(VALU_DEP_1)
	v_add_co_ci_u32_e64 v56, s1, v37, v56, s1
	v_lshlrev_b64 v[61:62], 1, v[61:62]
	v_add_co_u32 v57, s1, v33, v57
	v_lshlrev_b64 v[65:66], 1, v[15:16]
	v_add_nc_u32_e32 v15, 0x100, v13
	v_add_co_ci_u32_e64 v58, s1, v37, v58, s1
	v_add_co_u32 v59, s1, v33, v59
	s_delay_alu instid0(VALU_DEP_1)
	v_add_co_ci_u32_e64 v60, s1, v37, v60, s1
	v_add_co_u32 v61, s1, v33, v61
	v_lshlrev_b64 v[67:68], 1, v[15:16]
	v_add_nc_u32_e32 v15, 0x200, v13
	v_add_co_ci_u32_e64 v62, s1, v37, v62, s1
	v_add_co_u32 v65, s1, v33, v65
	s_delay_alu instid0(VALU_DEP_1)
	v_add_co_ci_u32_e64 v66, s1, v37, v66, s1
	s_waitcnt lgkmcnt(15)
	global_store_b16 v[63:64], v1, off
	v_lshlrev_b64 v[63:64], 1, v[15:16]
	v_add_nc_u32_e32 v15, 0x300, v13
	v_add_co_u32 v67, s1, v33, v67
	s_delay_alu instid0(VALU_DEP_1)
	v_add_co_ci_u32_e64 v68, s1, v37, v68, s1
	s_waitcnt lgkmcnt(14)
	global_store_b16 v[65:66], v69, off
	v_lshlrev_b64 v[65:66], 1, v[15:16]
	v_add_nc_u32_e32 v15, 0x400, v13
	s_waitcnt lgkmcnt(13)
	global_store_b16 v[67:68], v70, off
	s_waitcnt lgkmcnt(12)
	global_store_b16 v[49:50], v71, off
	v_add_co_u32 v49, s1, v33, v63
	s_delay_alu instid0(VALU_DEP_1) | instskip(SKIP_3) | instid1(VALU_DEP_1)
	v_add_co_ci_u32_e64 v50, s1, v37, v64, s1
	v_lshlrev_b64 v[63:64], 1, v[15:16]
	v_add_nc_u32_e32 v15, 0x500, v13
	v_add_co_u32 v65, s1, v33, v65
	v_add_co_ci_u32_e64 v66, s1, v37, v66, s1
	s_waitcnt lgkmcnt(11)
	global_store_b16 v[49:50], v72, off
	s_waitcnt lgkmcnt(10)
	global_store_b16 v[51:52], v73, off
	v_lshlrev_b64 v[49:50], 1, v[15:16]
	v_add_nc_u32_e32 v15, 0x600, v13
	v_add_co_u32 v51, s1, v33, v63
	s_waitcnt lgkmcnt(9)
	global_store_b16 v[65:66], v74, off
	s_waitcnt lgkmcnt(8)
	global_store_b16 v[53:54], v75, off
	v_add_co_ci_u32_e64 v52, s1, v37, v64, s1
	v_lshlrev_b64 v[53:54], 1, v[15:16]
	v_add_nc_u32_e32 v15, 0x700, v13
	v_add_co_u32 v49, s1, v33, v49
	s_delay_alu instid0(VALU_DEP_1)
	v_add_co_ci_u32_e64 v50, s1, v37, v50, s1
	s_waitcnt lgkmcnt(7)
	global_store_b16 v[51:52], v76, off
	s_waitcnt lgkmcnt(6)
	global_store_b16 v[55:56], v77, off
	v_lshlrev_b64 v[51:52], 1, v[15:16]
	v_add_nc_u32_e32 v14, 0x800, v14
	s_waitcnt lgkmcnt(5)
	global_store_b16 v[49:50], v78, off
	v_add_co_u32 v49, s1, v33, v53
	v_add_nc_u32_e32 v13, 0x800, v13
	v_add_co_ci_u32_e64 v50, s1, v37, v54, s1
	v_add_co_u32 v51, s1, v33, v51
	s_delay_alu instid0(VALU_DEP_1)
	v_add_co_ci_u32_e64 v52, s1, v37, v52, s1
	s_waitcnt lgkmcnt(4)
	global_store_b16 v[57:58], v79, off
	s_waitcnt lgkmcnt(3)
	global_store_b16 v[49:50], v80, off
	;; [unrolled: 2-line block ×5, first 2 shown]
	s_and_not1_b32 exec_lo, exec_lo, s6
	s_cbranch_execnz .LBB939_179
; %bb.180:
	s_or_b32 exec_lo, exec_lo, s6
.LBB939_181:
	s_delay_alu instid0(SALU_CYCLE_1) | instskip(SKIP_3) | instid1(VALU_DEP_1)
	s_or_b32 exec_lo, exec_lo, s2
	v_and_b32_e32 v1, 7, v40
	s_mov_b32 s7, 0
	s_mov_b32 s6, exec_lo
	v_cmpx_ne_u32_e32 0, v1
	s_cbranch_execz .LBB939_184
; %bb.182:
	v_lshl_or_b32 v39, v48, 8, v39
	v_mov_b32_e32 v16, 0
	s_set_inst_prefetch_distance 0x1
	.p2align	6
.LBB939_183:                            ; =>This Inner Loop Header: Depth=1
	v_mov_b32_e32 v15, v13
	ds_load_u16 v42, v39
	ds_load_u16 v50, v39 offset:256
	v_add_nc_u32_e32 v1, -1, v1
	v_add_nc_u32_e32 v13, 0x100, v13
	v_add_nc_u32_e32 v39, 0x200, v39
	v_lshlrev_b64 v[40:41], 1, v[15:16]
	v_dual_mov_b32 v15, v14 :: v_dual_add_nc_u32 v14, 0x100, v14
	v_cmp_eq_u32_e64 s1, 0, v1
	s_delay_alu instid0(VALU_DEP_2) | instskip(NEXT) | instid1(VALU_DEP_4)
	v_lshlrev_b64 v[48:49], 1, v[15:16]
	v_add_co_u32 v40, s2, v33, v40
	s_delay_alu instid0(VALU_DEP_1) | instskip(NEXT) | instid1(VALU_DEP_4)
	v_add_co_ci_u32_e64 v41, s2, v37, v41, s2
	s_or_b32 s7, s1, s7
	s_delay_alu instid0(VALU_DEP_3) | instskip(NEXT) | instid1(VALU_DEP_1)
	v_add_co_u32 v48, s2, v33, v48
	v_add_co_ci_u32_e64 v49, s2, v37, v49, s2
	s_waitcnt lgkmcnt(1)
	global_store_b16 v[40:41], v42, off
	s_waitcnt lgkmcnt(0)
	global_store_b16 v[48:49], v50, off
	s_and_not1_b32 exec_lo, exec_lo, s7
	s_cbranch_execnz .LBB939_183
.LBB939_184:
	s_set_inst_prefetch_distance 0x2
	s_or_b32 exec_lo, exec_lo, s6
	v_add_nc_u32_e32 v1, 1, v38
	s_delay_alu instid0(VALU_DEP_1) | instskip(NEXT) | instid1(VALU_DEP_1)
	v_and_b32_e32 v13, 0x3fffffe, v1
	v_cmp_ne_u32_e64 s1, v1, v13
	v_lshl_or_b32 v13, v13, 7, v0
	s_delay_alu instid0(VALU_DEP_2)
	s_or_not1_b32 s2, s1, exec_lo
.LBB939_185:
	s_or_b32 exec_lo, exec_lo, s5
	s_delay_alu instid0(SALU_CYCLE_1) | instskip(SKIP_1) | instid1(SALU_CYCLE_1)
	s_and_not1_b32 s1, vcc_lo, exec_lo
	s_and_b32 s2, s2, exec_lo
	s_or_b32 vcc_lo, s1, s2
.LBB939_186:
	s_or_b32 exec_lo, exec_lo, s4
	s_delay_alu instid0(SALU_CYCLE_1)
	s_and_b32 exec_lo, exec_lo, vcc_lo
	s_cbranch_execz .LBB939_189
; %bb.187:
	v_dual_mov_b32 v14, 0 :: v_dual_lshlrev_b32 v1, 1, v13
	s_mov_b32 s2, 0
	.p2align	6
.LBB939_188:                            ; =>This Inner Loop Header: Depth=1
	ds_load_u16 v38, v1
	v_lshlrev_b64 v[15:16], 1, v[13:14]
	v_add_nc_u32_e32 v13, 0x80, v13
	v_add_nc_u32_e32 v1, 0x100, v1
	s_delay_alu instid0(VALU_DEP_2) | instskip(NEXT) | instid1(VALU_DEP_4)
	v_cmp_ge_u32_e32 vcc_lo, v13, v17
	v_add_co_u32 v15, s1, v33, v15
	s_delay_alu instid0(VALU_DEP_1)
	v_add_co_ci_u32_e64 v16, s1, v37, v16, s1
	s_or_b32 s2, vcc_lo, s2
	s_waitcnt lgkmcnt(0)
	global_store_b16 v[15:16], v38, off
	s_and_not1_b32 exec_lo, exec_lo, s2
	s_cbranch_execnz .LBB939_188
.LBB939_189:
	s_or_b32 exec_lo, exec_lo, s3
.LBB939_190:
	s_delay_alu instid0(SALU_CYCLE_1)
	s_and_not1_b32 vcc_lo, exec_lo, s0
	s_waitcnt lgkmcnt(0)
	s_waitcnt_vscnt null, 0x0
	s_barrier
	buffer_gl0_inv
	s_cbranch_vccz .LBB939_193
; %bb.191:
	v_cmp_eq_u32_e32 vcc_lo, 0, v0
	s_and_b32 s0, vcc_lo, s14
	s_delay_alu instid0(SALU_CYCLE_1)
	s_and_saveexec_b32 s1, s0
	s_cbranch_execnz .LBB939_216
.LBB939_192:
	s_endpgm
.LBB939_193:
	s_mov_b32 s0, exec_lo
	v_cmpx_eq_u32_e32 1, v30
	s_cbranch_execz .LBB939_195
; %bb.194:
	v_sub_nc_u32_e32 v1, v2, v32
	s_delay_alu instid0(VALU_DEP_1)
	v_lshlrev_b32_e32 v1, 2, v1
	ds_store_b32 v1, v28
.LBB939_195:
	s_or_b32 exec_lo, exec_lo, s0
	v_and_b32_e32 v1, 1, v47
	s_mov_b32 s0, exec_lo
	s_delay_alu instid0(VALU_DEP_1)
	v_cmpx_eq_u32_e32 1, v1
	s_cbranch_execz .LBB939_197
; %bb.196:
	v_sub_nc_u32_e32 v1, v3, v32
	s_delay_alu instid0(VALU_DEP_1)
	v_lshlrev_b32_e32 v1, 2, v1
	ds_store_b32 v1, v29
.LBB939_197:
	s_or_b32 exec_lo, exec_lo, s0
	v_and_b32_e32 v1, 1, v46
	s_mov_b32 s0, exec_lo
	s_delay_alu instid0(VALU_DEP_1)
	;; [unrolled: 12-line block ×10, first 2 shown]
	v_cmpx_eq_u32_e32 1, v1
	s_cbranch_execz .LBB939_215
; %bb.214:
	v_sub_nc_u32_e32 v1, v12, v32
	s_delay_alu instid0(VALU_DEP_1)
	v_lshlrev_b32_e32 v1, 2, v1
	ds_store_b32 v1, v36
.LBB939_215:
	s_or_b32 exec_lo, exec_lo, s0
	s_waitcnt lgkmcnt(0)
	s_barrier
	buffer_gl0_inv
	v_cmp_eq_u32_e32 vcc_lo, 0, v0
	s_and_b32 s0, vcc_lo, s14
	s_delay_alu instid0(SALU_CYCLE_1)
	s_and_saveexec_b32 s1, s0
	s_cbranch_execz .LBB939_192
.LBB939_216:
	v_add_co_u32 v0, s0, s12, v17
	s_delay_alu instid0(VALU_DEP_1) | instskip(SKIP_1) | instid1(VALU_DEP_3)
	v_add_co_ci_u32_e64 v1, null, s13, 0, s0
	v_mov_b32_e32 v2, 0
	v_add_co_u32 v0, vcc_lo, v0, v32
	s_delay_alu instid0(VALU_DEP_3)
	v_add_co_ci_u32_e32 v1, vcc_lo, 0, v1, vcc_lo
	global_store_b64 v2, v[0:1], s[16:17]
	s_nop 0
	s_sendmsg sendmsg(MSG_DEALLOC_VGPRS)
	s_endpgm
.LBB939_217:
	s_or_b32 exec_lo, exec_lo, s3
	s_and_saveexec_b32 s3, s22
	s_cbranch_execnz .LBB939_72
	s_branch .LBB939_73
	.section	.rodata,"a",@progbits
	.p2align	6, 0x0
	.amdhsa_kernel _ZN7rocprim17ROCPRIM_400000_NS6detail17trampoline_kernelINS0_14default_configENS1_25partition_config_selectorILNS1_17partition_subalgoE9EtjbEEZZNS1_14partition_implILS5_9ELb0ES3_jN6thrust23THRUST_200600_302600_NS6detail15normal_iteratorINS9_10device_ptrItEEEENSB_INSC_IjEEEEPNS0_10empty_typeENS0_5tupleIJSE_SH_EEENSJ_IJNS9_16discard_iteratorINS9_11use_defaultEEESI_EEENS0_18inequality_wrapperINS9_8equal_toItEEEEPmJSH_EEE10hipError_tPvRmT3_T4_T5_T6_T7_T9_mT8_P12ihipStream_tbDpT10_ENKUlT_T0_E_clISt17integral_constantIbLb1EES1C_IbLb0EEEEDaS18_S19_EUlS18_E_NS1_11comp_targetILNS1_3genE9ELNS1_11target_archE1100ELNS1_3gpuE3ELNS1_3repE0EEENS1_30default_config_static_selectorELNS0_4arch9wavefront6targetE0EEEvT1_
		.amdhsa_group_segment_fixed_size 5640
		.amdhsa_private_segment_fixed_size 0
		.amdhsa_kernarg_size 120
		.amdhsa_user_sgpr_count 15
		.amdhsa_user_sgpr_dispatch_ptr 0
		.amdhsa_user_sgpr_queue_ptr 0
		.amdhsa_user_sgpr_kernarg_segment_ptr 1
		.amdhsa_user_sgpr_dispatch_id 0
		.amdhsa_user_sgpr_private_segment_size 0
		.amdhsa_wavefront_size32 1
		.amdhsa_uses_dynamic_stack 0
		.amdhsa_enable_private_segment 0
		.amdhsa_system_sgpr_workgroup_id_x 1
		.amdhsa_system_sgpr_workgroup_id_y 0
		.amdhsa_system_sgpr_workgroup_id_z 0
		.amdhsa_system_sgpr_workgroup_info 0
		.amdhsa_system_vgpr_workitem_id 0
		.amdhsa_next_free_vgpr 84
		.amdhsa_next_free_sgpr 24
		.amdhsa_reserve_vcc 1
		.amdhsa_float_round_mode_32 0
		.amdhsa_float_round_mode_16_64 0
		.amdhsa_float_denorm_mode_32 3
		.amdhsa_float_denorm_mode_16_64 3
		.amdhsa_dx10_clamp 1
		.amdhsa_ieee_mode 1
		.amdhsa_fp16_overflow 0
		.amdhsa_workgroup_processor_mode 1
		.amdhsa_memory_ordered 1
		.amdhsa_forward_progress 0
		.amdhsa_shared_vgpr_count 0
		.amdhsa_exception_fp_ieee_invalid_op 0
		.amdhsa_exception_fp_denorm_src 0
		.amdhsa_exception_fp_ieee_div_zero 0
		.amdhsa_exception_fp_ieee_overflow 0
		.amdhsa_exception_fp_ieee_underflow 0
		.amdhsa_exception_fp_ieee_inexact 0
		.amdhsa_exception_int_div_zero 0
	.end_amdhsa_kernel
	.section	.text._ZN7rocprim17ROCPRIM_400000_NS6detail17trampoline_kernelINS0_14default_configENS1_25partition_config_selectorILNS1_17partition_subalgoE9EtjbEEZZNS1_14partition_implILS5_9ELb0ES3_jN6thrust23THRUST_200600_302600_NS6detail15normal_iteratorINS9_10device_ptrItEEEENSB_INSC_IjEEEEPNS0_10empty_typeENS0_5tupleIJSE_SH_EEENSJ_IJNS9_16discard_iteratorINS9_11use_defaultEEESI_EEENS0_18inequality_wrapperINS9_8equal_toItEEEEPmJSH_EEE10hipError_tPvRmT3_T4_T5_T6_T7_T9_mT8_P12ihipStream_tbDpT10_ENKUlT_T0_E_clISt17integral_constantIbLb1EES1C_IbLb0EEEEDaS18_S19_EUlS18_E_NS1_11comp_targetILNS1_3genE9ELNS1_11target_archE1100ELNS1_3gpuE3ELNS1_3repE0EEENS1_30default_config_static_selectorELNS0_4arch9wavefront6targetE0EEEvT1_,"axG",@progbits,_ZN7rocprim17ROCPRIM_400000_NS6detail17trampoline_kernelINS0_14default_configENS1_25partition_config_selectorILNS1_17partition_subalgoE9EtjbEEZZNS1_14partition_implILS5_9ELb0ES3_jN6thrust23THRUST_200600_302600_NS6detail15normal_iteratorINS9_10device_ptrItEEEENSB_INSC_IjEEEEPNS0_10empty_typeENS0_5tupleIJSE_SH_EEENSJ_IJNS9_16discard_iteratorINS9_11use_defaultEEESI_EEENS0_18inequality_wrapperINS9_8equal_toItEEEEPmJSH_EEE10hipError_tPvRmT3_T4_T5_T6_T7_T9_mT8_P12ihipStream_tbDpT10_ENKUlT_T0_E_clISt17integral_constantIbLb1EES1C_IbLb0EEEEDaS18_S19_EUlS18_E_NS1_11comp_targetILNS1_3genE9ELNS1_11target_archE1100ELNS1_3gpuE3ELNS1_3repE0EEENS1_30default_config_static_selectorELNS0_4arch9wavefront6targetE0EEEvT1_,comdat
.Lfunc_end939:
	.size	_ZN7rocprim17ROCPRIM_400000_NS6detail17trampoline_kernelINS0_14default_configENS1_25partition_config_selectorILNS1_17partition_subalgoE9EtjbEEZZNS1_14partition_implILS5_9ELb0ES3_jN6thrust23THRUST_200600_302600_NS6detail15normal_iteratorINS9_10device_ptrItEEEENSB_INSC_IjEEEEPNS0_10empty_typeENS0_5tupleIJSE_SH_EEENSJ_IJNS9_16discard_iteratorINS9_11use_defaultEEESI_EEENS0_18inequality_wrapperINS9_8equal_toItEEEEPmJSH_EEE10hipError_tPvRmT3_T4_T5_T6_T7_T9_mT8_P12ihipStream_tbDpT10_ENKUlT_T0_E_clISt17integral_constantIbLb1EES1C_IbLb0EEEEDaS18_S19_EUlS18_E_NS1_11comp_targetILNS1_3genE9ELNS1_11target_archE1100ELNS1_3gpuE3ELNS1_3repE0EEENS1_30default_config_static_selectorELNS0_4arch9wavefront6targetE0EEEvT1_, .Lfunc_end939-_ZN7rocprim17ROCPRIM_400000_NS6detail17trampoline_kernelINS0_14default_configENS1_25partition_config_selectorILNS1_17partition_subalgoE9EtjbEEZZNS1_14partition_implILS5_9ELb0ES3_jN6thrust23THRUST_200600_302600_NS6detail15normal_iteratorINS9_10device_ptrItEEEENSB_INSC_IjEEEEPNS0_10empty_typeENS0_5tupleIJSE_SH_EEENSJ_IJNS9_16discard_iteratorINS9_11use_defaultEEESI_EEENS0_18inequality_wrapperINS9_8equal_toItEEEEPmJSH_EEE10hipError_tPvRmT3_T4_T5_T6_T7_T9_mT8_P12ihipStream_tbDpT10_ENKUlT_T0_E_clISt17integral_constantIbLb1EES1C_IbLb0EEEEDaS18_S19_EUlS18_E_NS1_11comp_targetILNS1_3genE9ELNS1_11target_archE1100ELNS1_3gpuE3ELNS1_3repE0EEENS1_30default_config_static_selectorELNS0_4arch9wavefront6targetE0EEEvT1_
                                        ; -- End function
	.section	.AMDGPU.csdata,"",@progbits
; Kernel info:
; codeLenInByte = 10812
; NumSgprs: 26
; NumVgprs: 84
; ScratchSize: 0
; MemoryBound: 0
; FloatMode: 240
; IeeeMode: 1
; LDSByteSize: 5640 bytes/workgroup (compile time only)
; SGPRBlocks: 3
; VGPRBlocks: 10
; NumSGPRsForWavesPerEU: 26
; NumVGPRsForWavesPerEU: 84
; Occupancy: 16
; WaveLimiterHint : 1
; COMPUTE_PGM_RSRC2:SCRATCH_EN: 0
; COMPUTE_PGM_RSRC2:USER_SGPR: 15
; COMPUTE_PGM_RSRC2:TRAP_HANDLER: 0
; COMPUTE_PGM_RSRC2:TGID_X_EN: 1
; COMPUTE_PGM_RSRC2:TGID_Y_EN: 0
; COMPUTE_PGM_RSRC2:TGID_Z_EN: 0
; COMPUTE_PGM_RSRC2:TIDIG_COMP_CNT: 0
	.section	.text._ZN7rocprim17ROCPRIM_400000_NS6detail17trampoline_kernelINS0_14default_configENS1_25partition_config_selectorILNS1_17partition_subalgoE9EtjbEEZZNS1_14partition_implILS5_9ELb0ES3_jN6thrust23THRUST_200600_302600_NS6detail15normal_iteratorINS9_10device_ptrItEEEENSB_INSC_IjEEEEPNS0_10empty_typeENS0_5tupleIJSE_SH_EEENSJ_IJNS9_16discard_iteratorINS9_11use_defaultEEESI_EEENS0_18inequality_wrapperINS9_8equal_toItEEEEPmJSH_EEE10hipError_tPvRmT3_T4_T5_T6_T7_T9_mT8_P12ihipStream_tbDpT10_ENKUlT_T0_E_clISt17integral_constantIbLb1EES1C_IbLb0EEEEDaS18_S19_EUlS18_E_NS1_11comp_targetILNS1_3genE8ELNS1_11target_archE1030ELNS1_3gpuE2ELNS1_3repE0EEENS1_30default_config_static_selectorELNS0_4arch9wavefront6targetE0EEEvT1_,"axG",@progbits,_ZN7rocprim17ROCPRIM_400000_NS6detail17trampoline_kernelINS0_14default_configENS1_25partition_config_selectorILNS1_17partition_subalgoE9EtjbEEZZNS1_14partition_implILS5_9ELb0ES3_jN6thrust23THRUST_200600_302600_NS6detail15normal_iteratorINS9_10device_ptrItEEEENSB_INSC_IjEEEEPNS0_10empty_typeENS0_5tupleIJSE_SH_EEENSJ_IJNS9_16discard_iteratorINS9_11use_defaultEEESI_EEENS0_18inequality_wrapperINS9_8equal_toItEEEEPmJSH_EEE10hipError_tPvRmT3_T4_T5_T6_T7_T9_mT8_P12ihipStream_tbDpT10_ENKUlT_T0_E_clISt17integral_constantIbLb1EES1C_IbLb0EEEEDaS18_S19_EUlS18_E_NS1_11comp_targetILNS1_3genE8ELNS1_11target_archE1030ELNS1_3gpuE2ELNS1_3repE0EEENS1_30default_config_static_selectorELNS0_4arch9wavefront6targetE0EEEvT1_,comdat
	.protected	_ZN7rocprim17ROCPRIM_400000_NS6detail17trampoline_kernelINS0_14default_configENS1_25partition_config_selectorILNS1_17partition_subalgoE9EtjbEEZZNS1_14partition_implILS5_9ELb0ES3_jN6thrust23THRUST_200600_302600_NS6detail15normal_iteratorINS9_10device_ptrItEEEENSB_INSC_IjEEEEPNS0_10empty_typeENS0_5tupleIJSE_SH_EEENSJ_IJNS9_16discard_iteratorINS9_11use_defaultEEESI_EEENS0_18inequality_wrapperINS9_8equal_toItEEEEPmJSH_EEE10hipError_tPvRmT3_T4_T5_T6_T7_T9_mT8_P12ihipStream_tbDpT10_ENKUlT_T0_E_clISt17integral_constantIbLb1EES1C_IbLb0EEEEDaS18_S19_EUlS18_E_NS1_11comp_targetILNS1_3genE8ELNS1_11target_archE1030ELNS1_3gpuE2ELNS1_3repE0EEENS1_30default_config_static_selectorELNS0_4arch9wavefront6targetE0EEEvT1_ ; -- Begin function _ZN7rocprim17ROCPRIM_400000_NS6detail17trampoline_kernelINS0_14default_configENS1_25partition_config_selectorILNS1_17partition_subalgoE9EtjbEEZZNS1_14partition_implILS5_9ELb0ES3_jN6thrust23THRUST_200600_302600_NS6detail15normal_iteratorINS9_10device_ptrItEEEENSB_INSC_IjEEEEPNS0_10empty_typeENS0_5tupleIJSE_SH_EEENSJ_IJNS9_16discard_iteratorINS9_11use_defaultEEESI_EEENS0_18inequality_wrapperINS9_8equal_toItEEEEPmJSH_EEE10hipError_tPvRmT3_T4_T5_T6_T7_T9_mT8_P12ihipStream_tbDpT10_ENKUlT_T0_E_clISt17integral_constantIbLb1EES1C_IbLb0EEEEDaS18_S19_EUlS18_E_NS1_11comp_targetILNS1_3genE8ELNS1_11target_archE1030ELNS1_3gpuE2ELNS1_3repE0EEENS1_30default_config_static_selectorELNS0_4arch9wavefront6targetE0EEEvT1_
	.globl	_ZN7rocprim17ROCPRIM_400000_NS6detail17trampoline_kernelINS0_14default_configENS1_25partition_config_selectorILNS1_17partition_subalgoE9EtjbEEZZNS1_14partition_implILS5_9ELb0ES3_jN6thrust23THRUST_200600_302600_NS6detail15normal_iteratorINS9_10device_ptrItEEEENSB_INSC_IjEEEEPNS0_10empty_typeENS0_5tupleIJSE_SH_EEENSJ_IJNS9_16discard_iteratorINS9_11use_defaultEEESI_EEENS0_18inequality_wrapperINS9_8equal_toItEEEEPmJSH_EEE10hipError_tPvRmT3_T4_T5_T6_T7_T9_mT8_P12ihipStream_tbDpT10_ENKUlT_T0_E_clISt17integral_constantIbLb1EES1C_IbLb0EEEEDaS18_S19_EUlS18_E_NS1_11comp_targetILNS1_3genE8ELNS1_11target_archE1030ELNS1_3gpuE2ELNS1_3repE0EEENS1_30default_config_static_selectorELNS0_4arch9wavefront6targetE0EEEvT1_
	.p2align	8
	.type	_ZN7rocprim17ROCPRIM_400000_NS6detail17trampoline_kernelINS0_14default_configENS1_25partition_config_selectorILNS1_17partition_subalgoE9EtjbEEZZNS1_14partition_implILS5_9ELb0ES3_jN6thrust23THRUST_200600_302600_NS6detail15normal_iteratorINS9_10device_ptrItEEEENSB_INSC_IjEEEEPNS0_10empty_typeENS0_5tupleIJSE_SH_EEENSJ_IJNS9_16discard_iteratorINS9_11use_defaultEEESI_EEENS0_18inequality_wrapperINS9_8equal_toItEEEEPmJSH_EEE10hipError_tPvRmT3_T4_T5_T6_T7_T9_mT8_P12ihipStream_tbDpT10_ENKUlT_T0_E_clISt17integral_constantIbLb1EES1C_IbLb0EEEEDaS18_S19_EUlS18_E_NS1_11comp_targetILNS1_3genE8ELNS1_11target_archE1030ELNS1_3gpuE2ELNS1_3repE0EEENS1_30default_config_static_selectorELNS0_4arch9wavefront6targetE0EEEvT1_,@function
_ZN7rocprim17ROCPRIM_400000_NS6detail17trampoline_kernelINS0_14default_configENS1_25partition_config_selectorILNS1_17partition_subalgoE9EtjbEEZZNS1_14partition_implILS5_9ELb0ES3_jN6thrust23THRUST_200600_302600_NS6detail15normal_iteratorINS9_10device_ptrItEEEENSB_INSC_IjEEEEPNS0_10empty_typeENS0_5tupleIJSE_SH_EEENSJ_IJNS9_16discard_iteratorINS9_11use_defaultEEESI_EEENS0_18inequality_wrapperINS9_8equal_toItEEEEPmJSH_EEE10hipError_tPvRmT3_T4_T5_T6_T7_T9_mT8_P12ihipStream_tbDpT10_ENKUlT_T0_E_clISt17integral_constantIbLb1EES1C_IbLb0EEEEDaS18_S19_EUlS18_E_NS1_11comp_targetILNS1_3genE8ELNS1_11target_archE1030ELNS1_3gpuE2ELNS1_3repE0EEENS1_30default_config_static_selectorELNS0_4arch9wavefront6targetE0EEEvT1_: ; @_ZN7rocprim17ROCPRIM_400000_NS6detail17trampoline_kernelINS0_14default_configENS1_25partition_config_selectorILNS1_17partition_subalgoE9EtjbEEZZNS1_14partition_implILS5_9ELb0ES3_jN6thrust23THRUST_200600_302600_NS6detail15normal_iteratorINS9_10device_ptrItEEEENSB_INSC_IjEEEEPNS0_10empty_typeENS0_5tupleIJSE_SH_EEENSJ_IJNS9_16discard_iteratorINS9_11use_defaultEEESI_EEENS0_18inequality_wrapperINS9_8equal_toItEEEEPmJSH_EEE10hipError_tPvRmT3_T4_T5_T6_T7_T9_mT8_P12ihipStream_tbDpT10_ENKUlT_T0_E_clISt17integral_constantIbLb1EES1C_IbLb0EEEEDaS18_S19_EUlS18_E_NS1_11comp_targetILNS1_3genE8ELNS1_11target_archE1030ELNS1_3gpuE2ELNS1_3repE0EEENS1_30default_config_static_selectorELNS0_4arch9wavefront6targetE0EEEvT1_
; %bb.0:
	.section	.rodata,"a",@progbits
	.p2align	6, 0x0
	.amdhsa_kernel _ZN7rocprim17ROCPRIM_400000_NS6detail17trampoline_kernelINS0_14default_configENS1_25partition_config_selectorILNS1_17partition_subalgoE9EtjbEEZZNS1_14partition_implILS5_9ELb0ES3_jN6thrust23THRUST_200600_302600_NS6detail15normal_iteratorINS9_10device_ptrItEEEENSB_INSC_IjEEEEPNS0_10empty_typeENS0_5tupleIJSE_SH_EEENSJ_IJNS9_16discard_iteratorINS9_11use_defaultEEESI_EEENS0_18inequality_wrapperINS9_8equal_toItEEEEPmJSH_EEE10hipError_tPvRmT3_T4_T5_T6_T7_T9_mT8_P12ihipStream_tbDpT10_ENKUlT_T0_E_clISt17integral_constantIbLb1EES1C_IbLb0EEEEDaS18_S19_EUlS18_E_NS1_11comp_targetILNS1_3genE8ELNS1_11target_archE1030ELNS1_3gpuE2ELNS1_3repE0EEENS1_30default_config_static_selectorELNS0_4arch9wavefront6targetE0EEEvT1_
		.amdhsa_group_segment_fixed_size 0
		.amdhsa_private_segment_fixed_size 0
		.amdhsa_kernarg_size 120
		.amdhsa_user_sgpr_count 15
		.amdhsa_user_sgpr_dispatch_ptr 0
		.amdhsa_user_sgpr_queue_ptr 0
		.amdhsa_user_sgpr_kernarg_segment_ptr 1
		.amdhsa_user_sgpr_dispatch_id 0
		.amdhsa_user_sgpr_private_segment_size 0
		.amdhsa_wavefront_size32 1
		.amdhsa_uses_dynamic_stack 0
		.amdhsa_enable_private_segment 0
		.amdhsa_system_sgpr_workgroup_id_x 1
		.amdhsa_system_sgpr_workgroup_id_y 0
		.amdhsa_system_sgpr_workgroup_id_z 0
		.amdhsa_system_sgpr_workgroup_info 0
		.amdhsa_system_vgpr_workitem_id 0
		.amdhsa_next_free_vgpr 1
		.amdhsa_next_free_sgpr 1
		.amdhsa_reserve_vcc 0
		.amdhsa_float_round_mode_32 0
		.amdhsa_float_round_mode_16_64 0
		.amdhsa_float_denorm_mode_32 3
		.amdhsa_float_denorm_mode_16_64 3
		.amdhsa_dx10_clamp 1
		.amdhsa_ieee_mode 1
		.amdhsa_fp16_overflow 0
		.amdhsa_workgroup_processor_mode 1
		.amdhsa_memory_ordered 1
		.amdhsa_forward_progress 0
		.amdhsa_shared_vgpr_count 0
		.amdhsa_exception_fp_ieee_invalid_op 0
		.amdhsa_exception_fp_denorm_src 0
		.amdhsa_exception_fp_ieee_div_zero 0
		.amdhsa_exception_fp_ieee_overflow 0
		.amdhsa_exception_fp_ieee_underflow 0
		.amdhsa_exception_fp_ieee_inexact 0
		.amdhsa_exception_int_div_zero 0
	.end_amdhsa_kernel
	.section	.text._ZN7rocprim17ROCPRIM_400000_NS6detail17trampoline_kernelINS0_14default_configENS1_25partition_config_selectorILNS1_17partition_subalgoE9EtjbEEZZNS1_14partition_implILS5_9ELb0ES3_jN6thrust23THRUST_200600_302600_NS6detail15normal_iteratorINS9_10device_ptrItEEEENSB_INSC_IjEEEEPNS0_10empty_typeENS0_5tupleIJSE_SH_EEENSJ_IJNS9_16discard_iteratorINS9_11use_defaultEEESI_EEENS0_18inequality_wrapperINS9_8equal_toItEEEEPmJSH_EEE10hipError_tPvRmT3_T4_T5_T6_T7_T9_mT8_P12ihipStream_tbDpT10_ENKUlT_T0_E_clISt17integral_constantIbLb1EES1C_IbLb0EEEEDaS18_S19_EUlS18_E_NS1_11comp_targetILNS1_3genE8ELNS1_11target_archE1030ELNS1_3gpuE2ELNS1_3repE0EEENS1_30default_config_static_selectorELNS0_4arch9wavefront6targetE0EEEvT1_,"axG",@progbits,_ZN7rocprim17ROCPRIM_400000_NS6detail17trampoline_kernelINS0_14default_configENS1_25partition_config_selectorILNS1_17partition_subalgoE9EtjbEEZZNS1_14partition_implILS5_9ELb0ES3_jN6thrust23THRUST_200600_302600_NS6detail15normal_iteratorINS9_10device_ptrItEEEENSB_INSC_IjEEEEPNS0_10empty_typeENS0_5tupleIJSE_SH_EEENSJ_IJNS9_16discard_iteratorINS9_11use_defaultEEESI_EEENS0_18inequality_wrapperINS9_8equal_toItEEEEPmJSH_EEE10hipError_tPvRmT3_T4_T5_T6_T7_T9_mT8_P12ihipStream_tbDpT10_ENKUlT_T0_E_clISt17integral_constantIbLb1EES1C_IbLb0EEEEDaS18_S19_EUlS18_E_NS1_11comp_targetILNS1_3genE8ELNS1_11target_archE1030ELNS1_3gpuE2ELNS1_3repE0EEENS1_30default_config_static_selectorELNS0_4arch9wavefront6targetE0EEEvT1_,comdat
.Lfunc_end940:
	.size	_ZN7rocprim17ROCPRIM_400000_NS6detail17trampoline_kernelINS0_14default_configENS1_25partition_config_selectorILNS1_17partition_subalgoE9EtjbEEZZNS1_14partition_implILS5_9ELb0ES3_jN6thrust23THRUST_200600_302600_NS6detail15normal_iteratorINS9_10device_ptrItEEEENSB_INSC_IjEEEEPNS0_10empty_typeENS0_5tupleIJSE_SH_EEENSJ_IJNS9_16discard_iteratorINS9_11use_defaultEEESI_EEENS0_18inequality_wrapperINS9_8equal_toItEEEEPmJSH_EEE10hipError_tPvRmT3_T4_T5_T6_T7_T9_mT8_P12ihipStream_tbDpT10_ENKUlT_T0_E_clISt17integral_constantIbLb1EES1C_IbLb0EEEEDaS18_S19_EUlS18_E_NS1_11comp_targetILNS1_3genE8ELNS1_11target_archE1030ELNS1_3gpuE2ELNS1_3repE0EEENS1_30default_config_static_selectorELNS0_4arch9wavefront6targetE0EEEvT1_, .Lfunc_end940-_ZN7rocprim17ROCPRIM_400000_NS6detail17trampoline_kernelINS0_14default_configENS1_25partition_config_selectorILNS1_17partition_subalgoE9EtjbEEZZNS1_14partition_implILS5_9ELb0ES3_jN6thrust23THRUST_200600_302600_NS6detail15normal_iteratorINS9_10device_ptrItEEEENSB_INSC_IjEEEEPNS0_10empty_typeENS0_5tupleIJSE_SH_EEENSJ_IJNS9_16discard_iteratorINS9_11use_defaultEEESI_EEENS0_18inequality_wrapperINS9_8equal_toItEEEEPmJSH_EEE10hipError_tPvRmT3_T4_T5_T6_T7_T9_mT8_P12ihipStream_tbDpT10_ENKUlT_T0_E_clISt17integral_constantIbLb1EES1C_IbLb0EEEEDaS18_S19_EUlS18_E_NS1_11comp_targetILNS1_3genE8ELNS1_11target_archE1030ELNS1_3gpuE2ELNS1_3repE0EEENS1_30default_config_static_selectorELNS0_4arch9wavefront6targetE0EEEvT1_
                                        ; -- End function
	.section	.AMDGPU.csdata,"",@progbits
; Kernel info:
; codeLenInByte = 0
; NumSgprs: 0
; NumVgprs: 0
; ScratchSize: 0
; MemoryBound: 0
; FloatMode: 240
; IeeeMode: 1
; LDSByteSize: 0 bytes/workgroup (compile time only)
; SGPRBlocks: 0
; VGPRBlocks: 0
; NumSGPRsForWavesPerEU: 1
; NumVGPRsForWavesPerEU: 1
; Occupancy: 16
; WaveLimiterHint : 0
; COMPUTE_PGM_RSRC2:SCRATCH_EN: 0
; COMPUTE_PGM_RSRC2:USER_SGPR: 15
; COMPUTE_PGM_RSRC2:TRAP_HANDLER: 0
; COMPUTE_PGM_RSRC2:TGID_X_EN: 1
; COMPUTE_PGM_RSRC2:TGID_Y_EN: 0
; COMPUTE_PGM_RSRC2:TGID_Z_EN: 0
; COMPUTE_PGM_RSRC2:TIDIG_COMP_CNT: 0
	.section	.text._ZN7rocprim17ROCPRIM_400000_NS6detail17trampoline_kernelINS0_14default_configENS1_25partition_config_selectorILNS1_17partition_subalgoE9EtjbEEZZNS1_14partition_implILS5_9ELb0ES3_jN6thrust23THRUST_200600_302600_NS6detail15normal_iteratorINS9_10device_ptrItEEEENSB_INSC_IjEEEEPNS0_10empty_typeENS0_5tupleIJSE_SH_EEENSJ_IJNS9_16discard_iteratorINS9_11use_defaultEEESI_EEENS0_18inequality_wrapperINS9_8equal_toItEEEEPmJSH_EEE10hipError_tPvRmT3_T4_T5_T6_T7_T9_mT8_P12ihipStream_tbDpT10_ENKUlT_T0_E_clISt17integral_constantIbLb0EES1C_IbLb1EEEEDaS18_S19_EUlS18_E_NS1_11comp_targetILNS1_3genE0ELNS1_11target_archE4294967295ELNS1_3gpuE0ELNS1_3repE0EEENS1_30default_config_static_selectorELNS0_4arch9wavefront6targetE0EEEvT1_,"axG",@progbits,_ZN7rocprim17ROCPRIM_400000_NS6detail17trampoline_kernelINS0_14default_configENS1_25partition_config_selectorILNS1_17partition_subalgoE9EtjbEEZZNS1_14partition_implILS5_9ELb0ES3_jN6thrust23THRUST_200600_302600_NS6detail15normal_iteratorINS9_10device_ptrItEEEENSB_INSC_IjEEEEPNS0_10empty_typeENS0_5tupleIJSE_SH_EEENSJ_IJNS9_16discard_iteratorINS9_11use_defaultEEESI_EEENS0_18inequality_wrapperINS9_8equal_toItEEEEPmJSH_EEE10hipError_tPvRmT3_T4_T5_T6_T7_T9_mT8_P12ihipStream_tbDpT10_ENKUlT_T0_E_clISt17integral_constantIbLb0EES1C_IbLb1EEEEDaS18_S19_EUlS18_E_NS1_11comp_targetILNS1_3genE0ELNS1_11target_archE4294967295ELNS1_3gpuE0ELNS1_3repE0EEENS1_30default_config_static_selectorELNS0_4arch9wavefront6targetE0EEEvT1_,comdat
	.protected	_ZN7rocprim17ROCPRIM_400000_NS6detail17trampoline_kernelINS0_14default_configENS1_25partition_config_selectorILNS1_17partition_subalgoE9EtjbEEZZNS1_14partition_implILS5_9ELb0ES3_jN6thrust23THRUST_200600_302600_NS6detail15normal_iteratorINS9_10device_ptrItEEEENSB_INSC_IjEEEEPNS0_10empty_typeENS0_5tupleIJSE_SH_EEENSJ_IJNS9_16discard_iteratorINS9_11use_defaultEEESI_EEENS0_18inequality_wrapperINS9_8equal_toItEEEEPmJSH_EEE10hipError_tPvRmT3_T4_T5_T6_T7_T9_mT8_P12ihipStream_tbDpT10_ENKUlT_T0_E_clISt17integral_constantIbLb0EES1C_IbLb1EEEEDaS18_S19_EUlS18_E_NS1_11comp_targetILNS1_3genE0ELNS1_11target_archE4294967295ELNS1_3gpuE0ELNS1_3repE0EEENS1_30default_config_static_selectorELNS0_4arch9wavefront6targetE0EEEvT1_ ; -- Begin function _ZN7rocprim17ROCPRIM_400000_NS6detail17trampoline_kernelINS0_14default_configENS1_25partition_config_selectorILNS1_17partition_subalgoE9EtjbEEZZNS1_14partition_implILS5_9ELb0ES3_jN6thrust23THRUST_200600_302600_NS6detail15normal_iteratorINS9_10device_ptrItEEEENSB_INSC_IjEEEEPNS0_10empty_typeENS0_5tupleIJSE_SH_EEENSJ_IJNS9_16discard_iteratorINS9_11use_defaultEEESI_EEENS0_18inequality_wrapperINS9_8equal_toItEEEEPmJSH_EEE10hipError_tPvRmT3_T4_T5_T6_T7_T9_mT8_P12ihipStream_tbDpT10_ENKUlT_T0_E_clISt17integral_constantIbLb0EES1C_IbLb1EEEEDaS18_S19_EUlS18_E_NS1_11comp_targetILNS1_3genE0ELNS1_11target_archE4294967295ELNS1_3gpuE0ELNS1_3repE0EEENS1_30default_config_static_selectorELNS0_4arch9wavefront6targetE0EEEvT1_
	.globl	_ZN7rocprim17ROCPRIM_400000_NS6detail17trampoline_kernelINS0_14default_configENS1_25partition_config_selectorILNS1_17partition_subalgoE9EtjbEEZZNS1_14partition_implILS5_9ELb0ES3_jN6thrust23THRUST_200600_302600_NS6detail15normal_iteratorINS9_10device_ptrItEEEENSB_INSC_IjEEEEPNS0_10empty_typeENS0_5tupleIJSE_SH_EEENSJ_IJNS9_16discard_iteratorINS9_11use_defaultEEESI_EEENS0_18inequality_wrapperINS9_8equal_toItEEEEPmJSH_EEE10hipError_tPvRmT3_T4_T5_T6_T7_T9_mT8_P12ihipStream_tbDpT10_ENKUlT_T0_E_clISt17integral_constantIbLb0EES1C_IbLb1EEEEDaS18_S19_EUlS18_E_NS1_11comp_targetILNS1_3genE0ELNS1_11target_archE4294967295ELNS1_3gpuE0ELNS1_3repE0EEENS1_30default_config_static_selectorELNS0_4arch9wavefront6targetE0EEEvT1_
	.p2align	8
	.type	_ZN7rocprim17ROCPRIM_400000_NS6detail17trampoline_kernelINS0_14default_configENS1_25partition_config_selectorILNS1_17partition_subalgoE9EtjbEEZZNS1_14partition_implILS5_9ELb0ES3_jN6thrust23THRUST_200600_302600_NS6detail15normal_iteratorINS9_10device_ptrItEEEENSB_INSC_IjEEEEPNS0_10empty_typeENS0_5tupleIJSE_SH_EEENSJ_IJNS9_16discard_iteratorINS9_11use_defaultEEESI_EEENS0_18inequality_wrapperINS9_8equal_toItEEEEPmJSH_EEE10hipError_tPvRmT3_T4_T5_T6_T7_T9_mT8_P12ihipStream_tbDpT10_ENKUlT_T0_E_clISt17integral_constantIbLb0EES1C_IbLb1EEEEDaS18_S19_EUlS18_E_NS1_11comp_targetILNS1_3genE0ELNS1_11target_archE4294967295ELNS1_3gpuE0ELNS1_3repE0EEENS1_30default_config_static_selectorELNS0_4arch9wavefront6targetE0EEEvT1_,@function
_ZN7rocprim17ROCPRIM_400000_NS6detail17trampoline_kernelINS0_14default_configENS1_25partition_config_selectorILNS1_17partition_subalgoE9EtjbEEZZNS1_14partition_implILS5_9ELb0ES3_jN6thrust23THRUST_200600_302600_NS6detail15normal_iteratorINS9_10device_ptrItEEEENSB_INSC_IjEEEEPNS0_10empty_typeENS0_5tupleIJSE_SH_EEENSJ_IJNS9_16discard_iteratorINS9_11use_defaultEEESI_EEENS0_18inequality_wrapperINS9_8equal_toItEEEEPmJSH_EEE10hipError_tPvRmT3_T4_T5_T6_T7_T9_mT8_P12ihipStream_tbDpT10_ENKUlT_T0_E_clISt17integral_constantIbLb0EES1C_IbLb1EEEEDaS18_S19_EUlS18_E_NS1_11comp_targetILNS1_3genE0ELNS1_11target_archE4294967295ELNS1_3gpuE0ELNS1_3repE0EEENS1_30default_config_static_selectorELNS0_4arch9wavefront6targetE0EEEvT1_: ; @_ZN7rocprim17ROCPRIM_400000_NS6detail17trampoline_kernelINS0_14default_configENS1_25partition_config_selectorILNS1_17partition_subalgoE9EtjbEEZZNS1_14partition_implILS5_9ELb0ES3_jN6thrust23THRUST_200600_302600_NS6detail15normal_iteratorINS9_10device_ptrItEEEENSB_INSC_IjEEEEPNS0_10empty_typeENS0_5tupleIJSE_SH_EEENSJ_IJNS9_16discard_iteratorINS9_11use_defaultEEESI_EEENS0_18inequality_wrapperINS9_8equal_toItEEEEPmJSH_EEE10hipError_tPvRmT3_T4_T5_T6_T7_T9_mT8_P12ihipStream_tbDpT10_ENKUlT_T0_E_clISt17integral_constantIbLb0EES1C_IbLb1EEEEDaS18_S19_EUlS18_E_NS1_11comp_targetILNS1_3genE0ELNS1_11target_archE4294967295ELNS1_3gpuE0ELNS1_3repE0EEENS1_30default_config_static_selectorELNS0_4arch9wavefront6targetE0EEEvT1_
; %bb.0:
	.section	.rodata,"a",@progbits
	.p2align	6, 0x0
	.amdhsa_kernel _ZN7rocprim17ROCPRIM_400000_NS6detail17trampoline_kernelINS0_14default_configENS1_25partition_config_selectorILNS1_17partition_subalgoE9EtjbEEZZNS1_14partition_implILS5_9ELb0ES3_jN6thrust23THRUST_200600_302600_NS6detail15normal_iteratorINS9_10device_ptrItEEEENSB_INSC_IjEEEEPNS0_10empty_typeENS0_5tupleIJSE_SH_EEENSJ_IJNS9_16discard_iteratorINS9_11use_defaultEEESI_EEENS0_18inequality_wrapperINS9_8equal_toItEEEEPmJSH_EEE10hipError_tPvRmT3_T4_T5_T6_T7_T9_mT8_P12ihipStream_tbDpT10_ENKUlT_T0_E_clISt17integral_constantIbLb0EES1C_IbLb1EEEEDaS18_S19_EUlS18_E_NS1_11comp_targetILNS1_3genE0ELNS1_11target_archE4294967295ELNS1_3gpuE0ELNS1_3repE0EEENS1_30default_config_static_selectorELNS0_4arch9wavefront6targetE0EEEvT1_
		.amdhsa_group_segment_fixed_size 0
		.amdhsa_private_segment_fixed_size 0
		.amdhsa_kernarg_size 136
		.amdhsa_user_sgpr_count 15
		.amdhsa_user_sgpr_dispatch_ptr 0
		.amdhsa_user_sgpr_queue_ptr 0
		.amdhsa_user_sgpr_kernarg_segment_ptr 1
		.amdhsa_user_sgpr_dispatch_id 0
		.amdhsa_user_sgpr_private_segment_size 0
		.amdhsa_wavefront_size32 1
		.amdhsa_uses_dynamic_stack 0
		.amdhsa_enable_private_segment 0
		.amdhsa_system_sgpr_workgroup_id_x 1
		.amdhsa_system_sgpr_workgroup_id_y 0
		.amdhsa_system_sgpr_workgroup_id_z 0
		.amdhsa_system_sgpr_workgroup_info 0
		.amdhsa_system_vgpr_workitem_id 0
		.amdhsa_next_free_vgpr 1
		.amdhsa_next_free_sgpr 1
		.amdhsa_reserve_vcc 0
		.amdhsa_float_round_mode_32 0
		.amdhsa_float_round_mode_16_64 0
		.amdhsa_float_denorm_mode_32 3
		.amdhsa_float_denorm_mode_16_64 3
		.amdhsa_dx10_clamp 1
		.amdhsa_ieee_mode 1
		.amdhsa_fp16_overflow 0
		.amdhsa_workgroup_processor_mode 1
		.amdhsa_memory_ordered 1
		.amdhsa_forward_progress 0
		.amdhsa_shared_vgpr_count 0
		.amdhsa_exception_fp_ieee_invalid_op 0
		.amdhsa_exception_fp_denorm_src 0
		.amdhsa_exception_fp_ieee_div_zero 0
		.amdhsa_exception_fp_ieee_overflow 0
		.amdhsa_exception_fp_ieee_underflow 0
		.amdhsa_exception_fp_ieee_inexact 0
		.amdhsa_exception_int_div_zero 0
	.end_amdhsa_kernel
	.section	.text._ZN7rocprim17ROCPRIM_400000_NS6detail17trampoline_kernelINS0_14default_configENS1_25partition_config_selectorILNS1_17partition_subalgoE9EtjbEEZZNS1_14partition_implILS5_9ELb0ES3_jN6thrust23THRUST_200600_302600_NS6detail15normal_iteratorINS9_10device_ptrItEEEENSB_INSC_IjEEEEPNS0_10empty_typeENS0_5tupleIJSE_SH_EEENSJ_IJNS9_16discard_iteratorINS9_11use_defaultEEESI_EEENS0_18inequality_wrapperINS9_8equal_toItEEEEPmJSH_EEE10hipError_tPvRmT3_T4_T5_T6_T7_T9_mT8_P12ihipStream_tbDpT10_ENKUlT_T0_E_clISt17integral_constantIbLb0EES1C_IbLb1EEEEDaS18_S19_EUlS18_E_NS1_11comp_targetILNS1_3genE0ELNS1_11target_archE4294967295ELNS1_3gpuE0ELNS1_3repE0EEENS1_30default_config_static_selectorELNS0_4arch9wavefront6targetE0EEEvT1_,"axG",@progbits,_ZN7rocprim17ROCPRIM_400000_NS6detail17trampoline_kernelINS0_14default_configENS1_25partition_config_selectorILNS1_17partition_subalgoE9EtjbEEZZNS1_14partition_implILS5_9ELb0ES3_jN6thrust23THRUST_200600_302600_NS6detail15normal_iteratorINS9_10device_ptrItEEEENSB_INSC_IjEEEEPNS0_10empty_typeENS0_5tupleIJSE_SH_EEENSJ_IJNS9_16discard_iteratorINS9_11use_defaultEEESI_EEENS0_18inequality_wrapperINS9_8equal_toItEEEEPmJSH_EEE10hipError_tPvRmT3_T4_T5_T6_T7_T9_mT8_P12ihipStream_tbDpT10_ENKUlT_T0_E_clISt17integral_constantIbLb0EES1C_IbLb1EEEEDaS18_S19_EUlS18_E_NS1_11comp_targetILNS1_3genE0ELNS1_11target_archE4294967295ELNS1_3gpuE0ELNS1_3repE0EEENS1_30default_config_static_selectorELNS0_4arch9wavefront6targetE0EEEvT1_,comdat
.Lfunc_end941:
	.size	_ZN7rocprim17ROCPRIM_400000_NS6detail17trampoline_kernelINS0_14default_configENS1_25partition_config_selectorILNS1_17partition_subalgoE9EtjbEEZZNS1_14partition_implILS5_9ELb0ES3_jN6thrust23THRUST_200600_302600_NS6detail15normal_iteratorINS9_10device_ptrItEEEENSB_INSC_IjEEEEPNS0_10empty_typeENS0_5tupleIJSE_SH_EEENSJ_IJNS9_16discard_iteratorINS9_11use_defaultEEESI_EEENS0_18inequality_wrapperINS9_8equal_toItEEEEPmJSH_EEE10hipError_tPvRmT3_T4_T5_T6_T7_T9_mT8_P12ihipStream_tbDpT10_ENKUlT_T0_E_clISt17integral_constantIbLb0EES1C_IbLb1EEEEDaS18_S19_EUlS18_E_NS1_11comp_targetILNS1_3genE0ELNS1_11target_archE4294967295ELNS1_3gpuE0ELNS1_3repE0EEENS1_30default_config_static_selectorELNS0_4arch9wavefront6targetE0EEEvT1_, .Lfunc_end941-_ZN7rocprim17ROCPRIM_400000_NS6detail17trampoline_kernelINS0_14default_configENS1_25partition_config_selectorILNS1_17partition_subalgoE9EtjbEEZZNS1_14partition_implILS5_9ELb0ES3_jN6thrust23THRUST_200600_302600_NS6detail15normal_iteratorINS9_10device_ptrItEEEENSB_INSC_IjEEEEPNS0_10empty_typeENS0_5tupleIJSE_SH_EEENSJ_IJNS9_16discard_iteratorINS9_11use_defaultEEESI_EEENS0_18inequality_wrapperINS9_8equal_toItEEEEPmJSH_EEE10hipError_tPvRmT3_T4_T5_T6_T7_T9_mT8_P12ihipStream_tbDpT10_ENKUlT_T0_E_clISt17integral_constantIbLb0EES1C_IbLb1EEEEDaS18_S19_EUlS18_E_NS1_11comp_targetILNS1_3genE0ELNS1_11target_archE4294967295ELNS1_3gpuE0ELNS1_3repE0EEENS1_30default_config_static_selectorELNS0_4arch9wavefront6targetE0EEEvT1_
                                        ; -- End function
	.section	.AMDGPU.csdata,"",@progbits
; Kernel info:
; codeLenInByte = 0
; NumSgprs: 0
; NumVgprs: 0
; ScratchSize: 0
; MemoryBound: 0
; FloatMode: 240
; IeeeMode: 1
; LDSByteSize: 0 bytes/workgroup (compile time only)
; SGPRBlocks: 0
; VGPRBlocks: 0
; NumSGPRsForWavesPerEU: 1
; NumVGPRsForWavesPerEU: 1
; Occupancy: 16
; WaveLimiterHint : 0
; COMPUTE_PGM_RSRC2:SCRATCH_EN: 0
; COMPUTE_PGM_RSRC2:USER_SGPR: 15
; COMPUTE_PGM_RSRC2:TRAP_HANDLER: 0
; COMPUTE_PGM_RSRC2:TGID_X_EN: 1
; COMPUTE_PGM_RSRC2:TGID_Y_EN: 0
; COMPUTE_PGM_RSRC2:TGID_Z_EN: 0
; COMPUTE_PGM_RSRC2:TIDIG_COMP_CNT: 0
	.section	.text._ZN7rocprim17ROCPRIM_400000_NS6detail17trampoline_kernelINS0_14default_configENS1_25partition_config_selectorILNS1_17partition_subalgoE9EtjbEEZZNS1_14partition_implILS5_9ELb0ES3_jN6thrust23THRUST_200600_302600_NS6detail15normal_iteratorINS9_10device_ptrItEEEENSB_INSC_IjEEEEPNS0_10empty_typeENS0_5tupleIJSE_SH_EEENSJ_IJNS9_16discard_iteratorINS9_11use_defaultEEESI_EEENS0_18inequality_wrapperINS9_8equal_toItEEEEPmJSH_EEE10hipError_tPvRmT3_T4_T5_T6_T7_T9_mT8_P12ihipStream_tbDpT10_ENKUlT_T0_E_clISt17integral_constantIbLb0EES1C_IbLb1EEEEDaS18_S19_EUlS18_E_NS1_11comp_targetILNS1_3genE5ELNS1_11target_archE942ELNS1_3gpuE9ELNS1_3repE0EEENS1_30default_config_static_selectorELNS0_4arch9wavefront6targetE0EEEvT1_,"axG",@progbits,_ZN7rocprim17ROCPRIM_400000_NS6detail17trampoline_kernelINS0_14default_configENS1_25partition_config_selectorILNS1_17partition_subalgoE9EtjbEEZZNS1_14partition_implILS5_9ELb0ES3_jN6thrust23THRUST_200600_302600_NS6detail15normal_iteratorINS9_10device_ptrItEEEENSB_INSC_IjEEEEPNS0_10empty_typeENS0_5tupleIJSE_SH_EEENSJ_IJNS9_16discard_iteratorINS9_11use_defaultEEESI_EEENS0_18inequality_wrapperINS9_8equal_toItEEEEPmJSH_EEE10hipError_tPvRmT3_T4_T5_T6_T7_T9_mT8_P12ihipStream_tbDpT10_ENKUlT_T0_E_clISt17integral_constantIbLb0EES1C_IbLb1EEEEDaS18_S19_EUlS18_E_NS1_11comp_targetILNS1_3genE5ELNS1_11target_archE942ELNS1_3gpuE9ELNS1_3repE0EEENS1_30default_config_static_selectorELNS0_4arch9wavefront6targetE0EEEvT1_,comdat
	.protected	_ZN7rocprim17ROCPRIM_400000_NS6detail17trampoline_kernelINS0_14default_configENS1_25partition_config_selectorILNS1_17partition_subalgoE9EtjbEEZZNS1_14partition_implILS5_9ELb0ES3_jN6thrust23THRUST_200600_302600_NS6detail15normal_iteratorINS9_10device_ptrItEEEENSB_INSC_IjEEEEPNS0_10empty_typeENS0_5tupleIJSE_SH_EEENSJ_IJNS9_16discard_iteratorINS9_11use_defaultEEESI_EEENS0_18inequality_wrapperINS9_8equal_toItEEEEPmJSH_EEE10hipError_tPvRmT3_T4_T5_T6_T7_T9_mT8_P12ihipStream_tbDpT10_ENKUlT_T0_E_clISt17integral_constantIbLb0EES1C_IbLb1EEEEDaS18_S19_EUlS18_E_NS1_11comp_targetILNS1_3genE5ELNS1_11target_archE942ELNS1_3gpuE9ELNS1_3repE0EEENS1_30default_config_static_selectorELNS0_4arch9wavefront6targetE0EEEvT1_ ; -- Begin function _ZN7rocprim17ROCPRIM_400000_NS6detail17trampoline_kernelINS0_14default_configENS1_25partition_config_selectorILNS1_17partition_subalgoE9EtjbEEZZNS1_14partition_implILS5_9ELb0ES3_jN6thrust23THRUST_200600_302600_NS6detail15normal_iteratorINS9_10device_ptrItEEEENSB_INSC_IjEEEEPNS0_10empty_typeENS0_5tupleIJSE_SH_EEENSJ_IJNS9_16discard_iteratorINS9_11use_defaultEEESI_EEENS0_18inequality_wrapperINS9_8equal_toItEEEEPmJSH_EEE10hipError_tPvRmT3_T4_T5_T6_T7_T9_mT8_P12ihipStream_tbDpT10_ENKUlT_T0_E_clISt17integral_constantIbLb0EES1C_IbLb1EEEEDaS18_S19_EUlS18_E_NS1_11comp_targetILNS1_3genE5ELNS1_11target_archE942ELNS1_3gpuE9ELNS1_3repE0EEENS1_30default_config_static_selectorELNS0_4arch9wavefront6targetE0EEEvT1_
	.globl	_ZN7rocprim17ROCPRIM_400000_NS6detail17trampoline_kernelINS0_14default_configENS1_25partition_config_selectorILNS1_17partition_subalgoE9EtjbEEZZNS1_14partition_implILS5_9ELb0ES3_jN6thrust23THRUST_200600_302600_NS6detail15normal_iteratorINS9_10device_ptrItEEEENSB_INSC_IjEEEEPNS0_10empty_typeENS0_5tupleIJSE_SH_EEENSJ_IJNS9_16discard_iteratorINS9_11use_defaultEEESI_EEENS0_18inequality_wrapperINS9_8equal_toItEEEEPmJSH_EEE10hipError_tPvRmT3_T4_T5_T6_T7_T9_mT8_P12ihipStream_tbDpT10_ENKUlT_T0_E_clISt17integral_constantIbLb0EES1C_IbLb1EEEEDaS18_S19_EUlS18_E_NS1_11comp_targetILNS1_3genE5ELNS1_11target_archE942ELNS1_3gpuE9ELNS1_3repE0EEENS1_30default_config_static_selectorELNS0_4arch9wavefront6targetE0EEEvT1_
	.p2align	8
	.type	_ZN7rocprim17ROCPRIM_400000_NS6detail17trampoline_kernelINS0_14default_configENS1_25partition_config_selectorILNS1_17partition_subalgoE9EtjbEEZZNS1_14partition_implILS5_9ELb0ES3_jN6thrust23THRUST_200600_302600_NS6detail15normal_iteratorINS9_10device_ptrItEEEENSB_INSC_IjEEEEPNS0_10empty_typeENS0_5tupleIJSE_SH_EEENSJ_IJNS9_16discard_iteratorINS9_11use_defaultEEESI_EEENS0_18inequality_wrapperINS9_8equal_toItEEEEPmJSH_EEE10hipError_tPvRmT3_T4_T5_T6_T7_T9_mT8_P12ihipStream_tbDpT10_ENKUlT_T0_E_clISt17integral_constantIbLb0EES1C_IbLb1EEEEDaS18_S19_EUlS18_E_NS1_11comp_targetILNS1_3genE5ELNS1_11target_archE942ELNS1_3gpuE9ELNS1_3repE0EEENS1_30default_config_static_selectorELNS0_4arch9wavefront6targetE0EEEvT1_,@function
_ZN7rocprim17ROCPRIM_400000_NS6detail17trampoline_kernelINS0_14default_configENS1_25partition_config_selectorILNS1_17partition_subalgoE9EtjbEEZZNS1_14partition_implILS5_9ELb0ES3_jN6thrust23THRUST_200600_302600_NS6detail15normal_iteratorINS9_10device_ptrItEEEENSB_INSC_IjEEEEPNS0_10empty_typeENS0_5tupleIJSE_SH_EEENSJ_IJNS9_16discard_iteratorINS9_11use_defaultEEESI_EEENS0_18inequality_wrapperINS9_8equal_toItEEEEPmJSH_EEE10hipError_tPvRmT3_T4_T5_T6_T7_T9_mT8_P12ihipStream_tbDpT10_ENKUlT_T0_E_clISt17integral_constantIbLb0EES1C_IbLb1EEEEDaS18_S19_EUlS18_E_NS1_11comp_targetILNS1_3genE5ELNS1_11target_archE942ELNS1_3gpuE9ELNS1_3repE0EEENS1_30default_config_static_selectorELNS0_4arch9wavefront6targetE0EEEvT1_: ; @_ZN7rocprim17ROCPRIM_400000_NS6detail17trampoline_kernelINS0_14default_configENS1_25partition_config_selectorILNS1_17partition_subalgoE9EtjbEEZZNS1_14partition_implILS5_9ELb0ES3_jN6thrust23THRUST_200600_302600_NS6detail15normal_iteratorINS9_10device_ptrItEEEENSB_INSC_IjEEEEPNS0_10empty_typeENS0_5tupleIJSE_SH_EEENSJ_IJNS9_16discard_iteratorINS9_11use_defaultEEESI_EEENS0_18inequality_wrapperINS9_8equal_toItEEEEPmJSH_EEE10hipError_tPvRmT3_T4_T5_T6_T7_T9_mT8_P12ihipStream_tbDpT10_ENKUlT_T0_E_clISt17integral_constantIbLb0EES1C_IbLb1EEEEDaS18_S19_EUlS18_E_NS1_11comp_targetILNS1_3genE5ELNS1_11target_archE942ELNS1_3gpuE9ELNS1_3repE0EEENS1_30default_config_static_selectorELNS0_4arch9wavefront6targetE0EEEvT1_
; %bb.0:
	.section	.rodata,"a",@progbits
	.p2align	6, 0x0
	.amdhsa_kernel _ZN7rocprim17ROCPRIM_400000_NS6detail17trampoline_kernelINS0_14default_configENS1_25partition_config_selectorILNS1_17partition_subalgoE9EtjbEEZZNS1_14partition_implILS5_9ELb0ES3_jN6thrust23THRUST_200600_302600_NS6detail15normal_iteratorINS9_10device_ptrItEEEENSB_INSC_IjEEEEPNS0_10empty_typeENS0_5tupleIJSE_SH_EEENSJ_IJNS9_16discard_iteratorINS9_11use_defaultEEESI_EEENS0_18inequality_wrapperINS9_8equal_toItEEEEPmJSH_EEE10hipError_tPvRmT3_T4_T5_T6_T7_T9_mT8_P12ihipStream_tbDpT10_ENKUlT_T0_E_clISt17integral_constantIbLb0EES1C_IbLb1EEEEDaS18_S19_EUlS18_E_NS1_11comp_targetILNS1_3genE5ELNS1_11target_archE942ELNS1_3gpuE9ELNS1_3repE0EEENS1_30default_config_static_selectorELNS0_4arch9wavefront6targetE0EEEvT1_
		.amdhsa_group_segment_fixed_size 0
		.amdhsa_private_segment_fixed_size 0
		.amdhsa_kernarg_size 136
		.amdhsa_user_sgpr_count 15
		.amdhsa_user_sgpr_dispatch_ptr 0
		.amdhsa_user_sgpr_queue_ptr 0
		.amdhsa_user_sgpr_kernarg_segment_ptr 1
		.amdhsa_user_sgpr_dispatch_id 0
		.amdhsa_user_sgpr_private_segment_size 0
		.amdhsa_wavefront_size32 1
		.amdhsa_uses_dynamic_stack 0
		.amdhsa_enable_private_segment 0
		.amdhsa_system_sgpr_workgroup_id_x 1
		.amdhsa_system_sgpr_workgroup_id_y 0
		.amdhsa_system_sgpr_workgroup_id_z 0
		.amdhsa_system_sgpr_workgroup_info 0
		.amdhsa_system_vgpr_workitem_id 0
		.amdhsa_next_free_vgpr 1
		.amdhsa_next_free_sgpr 1
		.amdhsa_reserve_vcc 0
		.amdhsa_float_round_mode_32 0
		.amdhsa_float_round_mode_16_64 0
		.amdhsa_float_denorm_mode_32 3
		.amdhsa_float_denorm_mode_16_64 3
		.amdhsa_dx10_clamp 1
		.amdhsa_ieee_mode 1
		.amdhsa_fp16_overflow 0
		.amdhsa_workgroup_processor_mode 1
		.amdhsa_memory_ordered 1
		.amdhsa_forward_progress 0
		.amdhsa_shared_vgpr_count 0
		.amdhsa_exception_fp_ieee_invalid_op 0
		.amdhsa_exception_fp_denorm_src 0
		.amdhsa_exception_fp_ieee_div_zero 0
		.amdhsa_exception_fp_ieee_overflow 0
		.amdhsa_exception_fp_ieee_underflow 0
		.amdhsa_exception_fp_ieee_inexact 0
		.amdhsa_exception_int_div_zero 0
	.end_amdhsa_kernel
	.section	.text._ZN7rocprim17ROCPRIM_400000_NS6detail17trampoline_kernelINS0_14default_configENS1_25partition_config_selectorILNS1_17partition_subalgoE9EtjbEEZZNS1_14partition_implILS5_9ELb0ES3_jN6thrust23THRUST_200600_302600_NS6detail15normal_iteratorINS9_10device_ptrItEEEENSB_INSC_IjEEEEPNS0_10empty_typeENS0_5tupleIJSE_SH_EEENSJ_IJNS9_16discard_iteratorINS9_11use_defaultEEESI_EEENS0_18inequality_wrapperINS9_8equal_toItEEEEPmJSH_EEE10hipError_tPvRmT3_T4_T5_T6_T7_T9_mT8_P12ihipStream_tbDpT10_ENKUlT_T0_E_clISt17integral_constantIbLb0EES1C_IbLb1EEEEDaS18_S19_EUlS18_E_NS1_11comp_targetILNS1_3genE5ELNS1_11target_archE942ELNS1_3gpuE9ELNS1_3repE0EEENS1_30default_config_static_selectorELNS0_4arch9wavefront6targetE0EEEvT1_,"axG",@progbits,_ZN7rocprim17ROCPRIM_400000_NS6detail17trampoline_kernelINS0_14default_configENS1_25partition_config_selectorILNS1_17partition_subalgoE9EtjbEEZZNS1_14partition_implILS5_9ELb0ES3_jN6thrust23THRUST_200600_302600_NS6detail15normal_iteratorINS9_10device_ptrItEEEENSB_INSC_IjEEEEPNS0_10empty_typeENS0_5tupleIJSE_SH_EEENSJ_IJNS9_16discard_iteratorINS9_11use_defaultEEESI_EEENS0_18inequality_wrapperINS9_8equal_toItEEEEPmJSH_EEE10hipError_tPvRmT3_T4_T5_T6_T7_T9_mT8_P12ihipStream_tbDpT10_ENKUlT_T0_E_clISt17integral_constantIbLb0EES1C_IbLb1EEEEDaS18_S19_EUlS18_E_NS1_11comp_targetILNS1_3genE5ELNS1_11target_archE942ELNS1_3gpuE9ELNS1_3repE0EEENS1_30default_config_static_selectorELNS0_4arch9wavefront6targetE0EEEvT1_,comdat
.Lfunc_end942:
	.size	_ZN7rocprim17ROCPRIM_400000_NS6detail17trampoline_kernelINS0_14default_configENS1_25partition_config_selectorILNS1_17partition_subalgoE9EtjbEEZZNS1_14partition_implILS5_9ELb0ES3_jN6thrust23THRUST_200600_302600_NS6detail15normal_iteratorINS9_10device_ptrItEEEENSB_INSC_IjEEEEPNS0_10empty_typeENS0_5tupleIJSE_SH_EEENSJ_IJNS9_16discard_iteratorINS9_11use_defaultEEESI_EEENS0_18inequality_wrapperINS9_8equal_toItEEEEPmJSH_EEE10hipError_tPvRmT3_T4_T5_T6_T7_T9_mT8_P12ihipStream_tbDpT10_ENKUlT_T0_E_clISt17integral_constantIbLb0EES1C_IbLb1EEEEDaS18_S19_EUlS18_E_NS1_11comp_targetILNS1_3genE5ELNS1_11target_archE942ELNS1_3gpuE9ELNS1_3repE0EEENS1_30default_config_static_selectorELNS0_4arch9wavefront6targetE0EEEvT1_, .Lfunc_end942-_ZN7rocprim17ROCPRIM_400000_NS6detail17trampoline_kernelINS0_14default_configENS1_25partition_config_selectorILNS1_17partition_subalgoE9EtjbEEZZNS1_14partition_implILS5_9ELb0ES3_jN6thrust23THRUST_200600_302600_NS6detail15normal_iteratorINS9_10device_ptrItEEEENSB_INSC_IjEEEEPNS0_10empty_typeENS0_5tupleIJSE_SH_EEENSJ_IJNS9_16discard_iteratorINS9_11use_defaultEEESI_EEENS0_18inequality_wrapperINS9_8equal_toItEEEEPmJSH_EEE10hipError_tPvRmT3_T4_T5_T6_T7_T9_mT8_P12ihipStream_tbDpT10_ENKUlT_T0_E_clISt17integral_constantIbLb0EES1C_IbLb1EEEEDaS18_S19_EUlS18_E_NS1_11comp_targetILNS1_3genE5ELNS1_11target_archE942ELNS1_3gpuE9ELNS1_3repE0EEENS1_30default_config_static_selectorELNS0_4arch9wavefront6targetE0EEEvT1_
                                        ; -- End function
	.section	.AMDGPU.csdata,"",@progbits
; Kernel info:
; codeLenInByte = 0
; NumSgprs: 0
; NumVgprs: 0
; ScratchSize: 0
; MemoryBound: 0
; FloatMode: 240
; IeeeMode: 1
; LDSByteSize: 0 bytes/workgroup (compile time only)
; SGPRBlocks: 0
; VGPRBlocks: 0
; NumSGPRsForWavesPerEU: 1
; NumVGPRsForWavesPerEU: 1
; Occupancy: 16
; WaveLimiterHint : 0
; COMPUTE_PGM_RSRC2:SCRATCH_EN: 0
; COMPUTE_PGM_RSRC2:USER_SGPR: 15
; COMPUTE_PGM_RSRC2:TRAP_HANDLER: 0
; COMPUTE_PGM_RSRC2:TGID_X_EN: 1
; COMPUTE_PGM_RSRC2:TGID_Y_EN: 0
; COMPUTE_PGM_RSRC2:TGID_Z_EN: 0
; COMPUTE_PGM_RSRC2:TIDIG_COMP_CNT: 0
	.section	.text._ZN7rocprim17ROCPRIM_400000_NS6detail17trampoline_kernelINS0_14default_configENS1_25partition_config_selectorILNS1_17partition_subalgoE9EtjbEEZZNS1_14partition_implILS5_9ELb0ES3_jN6thrust23THRUST_200600_302600_NS6detail15normal_iteratorINS9_10device_ptrItEEEENSB_INSC_IjEEEEPNS0_10empty_typeENS0_5tupleIJSE_SH_EEENSJ_IJNS9_16discard_iteratorINS9_11use_defaultEEESI_EEENS0_18inequality_wrapperINS9_8equal_toItEEEEPmJSH_EEE10hipError_tPvRmT3_T4_T5_T6_T7_T9_mT8_P12ihipStream_tbDpT10_ENKUlT_T0_E_clISt17integral_constantIbLb0EES1C_IbLb1EEEEDaS18_S19_EUlS18_E_NS1_11comp_targetILNS1_3genE4ELNS1_11target_archE910ELNS1_3gpuE8ELNS1_3repE0EEENS1_30default_config_static_selectorELNS0_4arch9wavefront6targetE0EEEvT1_,"axG",@progbits,_ZN7rocprim17ROCPRIM_400000_NS6detail17trampoline_kernelINS0_14default_configENS1_25partition_config_selectorILNS1_17partition_subalgoE9EtjbEEZZNS1_14partition_implILS5_9ELb0ES3_jN6thrust23THRUST_200600_302600_NS6detail15normal_iteratorINS9_10device_ptrItEEEENSB_INSC_IjEEEEPNS0_10empty_typeENS0_5tupleIJSE_SH_EEENSJ_IJNS9_16discard_iteratorINS9_11use_defaultEEESI_EEENS0_18inequality_wrapperINS9_8equal_toItEEEEPmJSH_EEE10hipError_tPvRmT3_T4_T5_T6_T7_T9_mT8_P12ihipStream_tbDpT10_ENKUlT_T0_E_clISt17integral_constantIbLb0EES1C_IbLb1EEEEDaS18_S19_EUlS18_E_NS1_11comp_targetILNS1_3genE4ELNS1_11target_archE910ELNS1_3gpuE8ELNS1_3repE0EEENS1_30default_config_static_selectorELNS0_4arch9wavefront6targetE0EEEvT1_,comdat
	.protected	_ZN7rocprim17ROCPRIM_400000_NS6detail17trampoline_kernelINS0_14default_configENS1_25partition_config_selectorILNS1_17partition_subalgoE9EtjbEEZZNS1_14partition_implILS5_9ELb0ES3_jN6thrust23THRUST_200600_302600_NS6detail15normal_iteratorINS9_10device_ptrItEEEENSB_INSC_IjEEEEPNS0_10empty_typeENS0_5tupleIJSE_SH_EEENSJ_IJNS9_16discard_iteratorINS9_11use_defaultEEESI_EEENS0_18inequality_wrapperINS9_8equal_toItEEEEPmJSH_EEE10hipError_tPvRmT3_T4_T5_T6_T7_T9_mT8_P12ihipStream_tbDpT10_ENKUlT_T0_E_clISt17integral_constantIbLb0EES1C_IbLb1EEEEDaS18_S19_EUlS18_E_NS1_11comp_targetILNS1_3genE4ELNS1_11target_archE910ELNS1_3gpuE8ELNS1_3repE0EEENS1_30default_config_static_selectorELNS0_4arch9wavefront6targetE0EEEvT1_ ; -- Begin function _ZN7rocprim17ROCPRIM_400000_NS6detail17trampoline_kernelINS0_14default_configENS1_25partition_config_selectorILNS1_17partition_subalgoE9EtjbEEZZNS1_14partition_implILS5_9ELb0ES3_jN6thrust23THRUST_200600_302600_NS6detail15normal_iteratorINS9_10device_ptrItEEEENSB_INSC_IjEEEEPNS0_10empty_typeENS0_5tupleIJSE_SH_EEENSJ_IJNS9_16discard_iteratorINS9_11use_defaultEEESI_EEENS0_18inequality_wrapperINS9_8equal_toItEEEEPmJSH_EEE10hipError_tPvRmT3_T4_T5_T6_T7_T9_mT8_P12ihipStream_tbDpT10_ENKUlT_T0_E_clISt17integral_constantIbLb0EES1C_IbLb1EEEEDaS18_S19_EUlS18_E_NS1_11comp_targetILNS1_3genE4ELNS1_11target_archE910ELNS1_3gpuE8ELNS1_3repE0EEENS1_30default_config_static_selectorELNS0_4arch9wavefront6targetE0EEEvT1_
	.globl	_ZN7rocprim17ROCPRIM_400000_NS6detail17trampoline_kernelINS0_14default_configENS1_25partition_config_selectorILNS1_17partition_subalgoE9EtjbEEZZNS1_14partition_implILS5_9ELb0ES3_jN6thrust23THRUST_200600_302600_NS6detail15normal_iteratorINS9_10device_ptrItEEEENSB_INSC_IjEEEEPNS0_10empty_typeENS0_5tupleIJSE_SH_EEENSJ_IJNS9_16discard_iteratorINS9_11use_defaultEEESI_EEENS0_18inequality_wrapperINS9_8equal_toItEEEEPmJSH_EEE10hipError_tPvRmT3_T4_T5_T6_T7_T9_mT8_P12ihipStream_tbDpT10_ENKUlT_T0_E_clISt17integral_constantIbLb0EES1C_IbLb1EEEEDaS18_S19_EUlS18_E_NS1_11comp_targetILNS1_3genE4ELNS1_11target_archE910ELNS1_3gpuE8ELNS1_3repE0EEENS1_30default_config_static_selectorELNS0_4arch9wavefront6targetE0EEEvT1_
	.p2align	8
	.type	_ZN7rocprim17ROCPRIM_400000_NS6detail17trampoline_kernelINS0_14default_configENS1_25partition_config_selectorILNS1_17partition_subalgoE9EtjbEEZZNS1_14partition_implILS5_9ELb0ES3_jN6thrust23THRUST_200600_302600_NS6detail15normal_iteratorINS9_10device_ptrItEEEENSB_INSC_IjEEEEPNS0_10empty_typeENS0_5tupleIJSE_SH_EEENSJ_IJNS9_16discard_iteratorINS9_11use_defaultEEESI_EEENS0_18inequality_wrapperINS9_8equal_toItEEEEPmJSH_EEE10hipError_tPvRmT3_T4_T5_T6_T7_T9_mT8_P12ihipStream_tbDpT10_ENKUlT_T0_E_clISt17integral_constantIbLb0EES1C_IbLb1EEEEDaS18_S19_EUlS18_E_NS1_11comp_targetILNS1_3genE4ELNS1_11target_archE910ELNS1_3gpuE8ELNS1_3repE0EEENS1_30default_config_static_selectorELNS0_4arch9wavefront6targetE0EEEvT1_,@function
_ZN7rocprim17ROCPRIM_400000_NS6detail17trampoline_kernelINS0_14default_configENS1_25partition_config_selectorILNS1_17partition_subalgoE9EtjbEEZZNS1_14partition_implILS5_9ELb0ES3_jN6thrust23THRUST_200600_302600_NS6detail15normal_iteratorINS9_10device_ptrItEEEENSB_INSC_IjEEEEPNS0_10empty_typeENS0_5tupleIJSE_SH_EEENSJ_IJNS9_16discard_iteratorINS9_11use_defaultEEESI_EEENS0_18inequality_wrapperINS9_8equal_toItEEEEPmJSH_EEE10hipError_tPvRmT3_T4_T5_T6_T7_T9_mT8_P12ihipStream_tbDpT10_ENKUlT_T0_E_clISt17integral_constantIbLb0EES1C_IbLb1EEEEDaS18_S19_EUlS18_E_NS1_11comp_targetILNS1_3genE4ELNS1_11target_archE910ELNS1_3gpuE8ELNS1_3repE0EEENS1_30default_config_static_selectorELNS0_4arch9wavefront6targetE0EEEvT1_: ; @_ZN7rocprim17ROCPRIM_400000_NS6detail17trampoline_kernelINS0_14default_configENS1_25partition_config_selectorILNS1_17partition_subalgoE9EtjbEEZZNS1_14partition_implILS5_9ELb0ES3_jN6thrust23THRUST_200600_302600_NS6detail15normal_iteratorINS9_10device_ptrItEEEENSB_INSC_IjEEEEPNS0_10empty_typeENS0_5tupleIJSE_SH_EEENSJ_IJNS9_16discard_iteratorINS9_11use_defaultEEESI_EEENS0_18inequality_wrapperINS9_8equal_toItEEEEPmJSH_EEE10hipError_tPvRmT3_T4_T5_T6_T7_T9_mT8_P12ihipStream_tbDpT10_ENKUlT_T0_E_clISt17integral_constantIbLb0EES1C_IbLb1EEEEDaS18_S19_EUlS18_E_NS1_11comp_targetILNS1_3genE4ELNS1_11target_archE910ELNS1_3gpuE8ELNS1_3repE0EEENS1_30default_config_static_selectorELNS0_4arch9wavefront6targetE0EEEvT1_
; %bb.0:
	.section	.rodata,"a",@progbits
	.p2align	6, 0x0
	.amdhsa_kernel _ZN7rocprim17ROCPRIM_400000_NS6detail17trampoline_kernelINS0_14default_configENS1_25partition_config_selectorILNS1_17partition_subalgoE9EtjbEEZZNS1_14partition_implILS5_9ELb0ES3_jN6thrust23THRUST_200600_302600_NS6detail15normal_iteratorINS9_10device_ptrItEEEENSB_INSC_IjEEEEPNS0_10empty_typeENS0_5tupleIJSE_SH_EEENSJ_IJNS9_16discard_iteratorINS9_11use_defaultEEESI_EEENS0_18inequality_wrapperINS9_8equal_toItEEEEPmJSH_EEE10hipError_tPvRmT3_T4_T5_T6_T7_T9_mT8_P12ihipStream_tbDpT10_ENKUlT_T0_E_clISt17integral_constantIbLb0EES1C_IbLb1EEEEDaS18_S19_EUlS18_E_NS1_11comp_targetILNS1_3genE4ELNS1_11target_archE910ELNS1_3gpuE8ELNS1_3repE0EEENS1_30default_config_static_selectorELNS0_4arch9wavefront6targetE0EEEvT1_
		.amdhsa_group_segment_fixed_size 0
		.amdhsa_private_segment_fixed_size 0
		.amdhsa_kernarg_size 136
		.amdhsa_user_sgpr_count 15
		.amdhsa_user_sgpr_dispatch_ptr 0
		.amdhsa_user_sgpr_queue_ptr 0
		.amdhsa_user_sgpr_kernarg_segment_ptr 1
		.amdhsa_user_sgpr_dispatch_id 0
		.amdhsa_user_sgpr_private_segment_size 0
		.amdhsa_wavefront_size32 1
		.amdhsa_uses_dynamic_stack 0
		.amdhsa_enable_private_segment 0
		.amdhsa_system_sgpr_workgroup_id_x 1
		.amdhsa_system_sgpr_workgroup_id_y 0
		.amdhsa_system_sgpr_workgroup_id_z 0
		.amdhsa_system_sgpr_workgroup_info 0
		.amdhsa_system_vgpr_workitem_id 0
		.amdhsa_next_free_vgpr 1
		.amdhsa_next_free_sgpr 1
		.amdhsa_reserve_vcc 0
		.amdhsa_float_round_mode_32 0
		.amdhsa_float_round_mode_16_64 0
		.amdhsa_float_denorm_mode_32 3
		.amdhsa_float_denorm_mode_16_64 3
		.amdhsa_dx10_clamp 1
		.amdhsa_ieee_mode 1
		.amdhsa_fp16_overflow 0
		.amdhsa_workgroup_processor_mode 1
		.amdhsa_memory_ordered 1
		.amdhsa_forward_progress 0
		.amdhsa_shared_vgpr_count 0
		.amdhsa_exception_fp_ieee_invalid_op 0
		.amdhsa_exception_fp_denorm_src 0
		.amdhsa_exception_fp_ieee_div_zero 0
		.amdhsa_exception_fp_ieee_overflow 0
		.amdhsa_exception_fp_ieee_underflow 0
		.amdhsa_exception_fp_ieee_inexact 0
		.amdhsa_exception_int_div_zero 0
	.end_amdhsa_kernel
	.section	.text._ZN7rocprim17ROCPRIM_400000_NS6detail17trampoline_kernelINS0_14default_configENS1_25partition_config_selectorILNS1_17partition_subalgoE9EtjbEEZZNS1_14partition_implILS5_9ELb0ES3_jN6thrust23THRUST_200600_302600_NS6detail15normal_iteratorINS9_10device_ptrItEEEENSB_INSC_IjEEEEPNS0_10empty_typeENS0_5tupleIJSE_SH_EEENSJ_IJNS9_16discard_iteratorINS9_11use_defaultEEESI_EEENS0_18inequality_wrapperINS9_8equal_toItEEEEPmJSH_EEE10hipError_tPvRmT3_T4_T5_T6_T7_T9_mT8_P12ihipStream_tbDpT10_ENKUlT_T0_E_clISt17integral_constantIbLb0EES1C_IbLb1EEEEDaS18_S19_EUlS18_E_NS1_11comp_targetILNS1_3genE4ELNS1_11target_archE910ELNS1_3gpuE8ELNS1_3repE0EEENS1_30default_config_static_selectorELNS0_4arch9wavefront6targetE0EEEvT1_,"axG",@progbits,_ZN7rocprim17ROCPRIM_400000_NS6detail17trampoline_kernelINS0_14default_configENS1_25partition_config_selectorILNS1_17partition_subalgoE9EtjbEEZZNS1_14partition_implILS5_9ELb0ES3_jN6thrust23THRUST_200600_302600_NS6detail15normal_iteratorINS9_10device_ptrItEEEENSB_INSC_IjEEEEPNS0_10empty_typeENS0_5tupleIJSE_SH_EEENSJ_IJNS9_16discard_iteratorINS9_11use_defaultEEESI_EEENS0_18inequality_wrapperINS9_8equal_toItEEEEPmJSH_EEE10hipError_tPvRmT3_T4_T5_T6_T7_T9_mT8_P12ihipStream_tbDpT10_ENKUlT_T0_E_clISt17integral_constantIbLb0EES1C_IbLb1EEEEDaS18_S19_EUlS18_E_NS1_11comp_targetILNS1_3genE4ELNS1_11target_archE910ELNS1_3gpuE8ELNS1_3repE0EEENS1_30default_config_static_selectorELNS0_4arch9wavefront6targetE0EEEvT1_,comdat
.Lfunc_end943:
	.size	_ZN7rocprim17ROCPRIM_400000_NS6detail17trampoline_kernelINS0_14default_configENS1_25partition_config_selectorILNS1_17partition_subalgoE9EtjbEEZZNS1_14partition_implILS5_9ELb0ES3_jN6thrust23THRUST_200600_302600_NS6detail15normal_iteratorINS9_10device_ptrItEEEENSB_INSC_IjEEEEPNS0_10empty_typeENS0_5tupleIJSE_SH_EEENSJ_IJNS9_16discard_iteratorINS9_11use_defaultEEESI_EEENS0_18inequality_wrapperINS9_8equal_toItEEEEPmJSH_EEE10hipError_tPvRmT3_T4_T5_T6_T7_T9_mT8_P12ihipStream_tbDpT10_ENKUlT_T0_E_clISt17integral_constantIbLb0EES1C_IbLb1EEEEDaS18_S19_EUlS18_E_NS1_11comp_targetILNS1_3genE4ELNS1_11target_archE910ELNS1_3gpuE8ELNS1_3repE0EEENS1_30default_config_static_selectorELNS0_4arch9wavefront6targetE0EEEvT1_, .Lfunc_end943-_ZN7rocprim17ROCPRIM_400000_NS6detail17trampoline_kernelINS0_14default_configENS1_25partition_config_selectorILNS1_17partition_subalgoE9EtjbEEZZNS1_14partition_implILS5_9ELb0ES3_jN6thrust23THRUST_200600_302600_NS6detail15normal_iteratorINS9_10device_ptrItEEEENSB_INSC_IjEEEEPNS0_10empty_typeENS0_5tupleIJSE_SH_EEENSJ_IJNS9_16discard_iteratorINS9_11use_defaultEEESI_EEENS0_18inequality_wrapperINS9_8equal_toItEEEEPmJSH_EEE10hipError_tPvRmT3_T4_T5_T6_T7_T9_mT8_P12ihipStream_tbDpT10_ENKUlT_T0_E_clISt17integral_constantIbLb0EES1C_IbLb1EEEEDaS18_S19_EUlS18_E_NS1_11comp_targetILNS1_3genE4ELNS1_11target_archE910ELNS1_3gpuE8ELNS1_3repE0EEENS1_30default_config_static_selectorELNS0_4arch9wavefront6targetE0EEEvT1_
                                        ; -- End function
	.section	.AMDGPU.csdata,"",@progbits
; Kernel info:
; codeLenInByte = 0
; NumSgprs: 0
; NumVgprs: 0
; ScratchSize: 0
; MemoryBound: 0
; FloatMode: 240
; IeeeMode: 1
; LDSByteSize: 0 bytes/workgroup (compile time only)
; SGPRBlocks: 0
; VGPRBlocks: 0
; NumSGPRsForWavesPerEU: 1
; NumVGPRsForWavesPerEU: 1
; Occupancy: 15
; WaveLimiterHint : 0
; COMPUTE_PGM_RSRC2:SCRATCH_EN: 0
; COMPUTE_PGM_RSRC2:USER_SGPR: 15
; COMPUTE_PGM_RSRC2:TRAP_HANDLER: 0
; COMPUTE_PGM_RSRC2:TGID_X_EN: 1
; COMPUTE_PGM_RSRC2:TGID_Y_EN: 0
; COMPUTE_PGM_RSRC2:TGID_Z_EN: 0
; COMPUTE_PGM_RSRC2:TIDIG_COMP_CNT: 0
	.section	.text._ZN7rocprim17ROCPRIM_400000_NS6detail17trampoline_kernelINS0_14default_configENS1_25partition_config_selectorILNS1_17partition_subalgoE9EtjbEEZZNS1_14partition_implILS5_9ELb0ES3_jN6thrust23THRUST_200600_302600_NS6detail15normal_iteratorINS9_10device_ptrItEEEENSB_INSC_IjEEEEPNS0_10empty_typeENS0_5tupleIJSE_SH_EEENSJ_IJNS9_16discard_iteratorINS9_11use_defaultEEESI_EEENS0_18inequality_wrapperINS9_8equal_toItEEEEPmJSH_EEE10hipError_tPvRmT3_T4_T5_T6_T7_T9_mT8_P12ihipStream_tbDpT10_ENKUlT_T0_E_clISt17integral_constantIbLb0EES1C_IbLb1EEEEDaS18_S19_EUlS18_E_NS1_11comp_targetILNS1_3genE3ELNS1_11target_archE908ELNS1_3gpuE7ELNS1_3repE0EEENS1_30default_config_static_selectorELNS0_4arch9wavefront6targetE0EEEvT1_,"axG",@progbits,_ZN7rocprim17ROCPRIM_400000_NS6detail17trampoline_kernelINS0_14default_configENS1_25partition_config_selectorILNS1_17partition_subalgoE9EtjbEEZZNS1_14partition_implILS5_9ELb0ES3_jN6thrust23THRUST_200600_302600_NS6detail15normal_iteratorINS9_10device_ptrItEEEENSB_INSC_IjEEEEPNS0_10empty_typeENS0_5tupleIJSE_SH_EEENSJ_IJNS9_16discard_iteratorINS9_11use_defaultEEESI_EEENS0_18inequality_wrapperINS9_8equal_toItEEEEPmJSH_EEE10hipError_tPvRmT3_T4_T5_T6_T7_T9_mT8_P12ihipStream_tbDpT10_ENKUlT_T0_E_clISt17integral_constantIbLb0EES1C_IbLb1EEEEDaS18_S19_EUlS18_E_NS1_11comp_targetILNS1_3genE3ELNS1_11target_archE908ELNS1_3gpuE7ELNS1_3repE0EEENS1_30default_config_static_selectorELNS0_4arch9wavefront6targetE0EEEvT1_,comdat
	.protected	_ZN7rocprim17ROCPRIM_400000_NS6detail17trampoline_kernelINS0_14default_configENS1_25partition_config_selectorILNS1_17partition_subalgoE9EtjbEEZZNS1_14partition_implILS5_9ELb0ES3_jN6thrust23THRUST_200600_302600_NS6detail15normal_iteratorINS9_10device_ptrItEEEENSB_INSC_IjEEEEPNS0_10empty_typeENS0_5tupleIJSE_SH_EEENSJ_IJNS9_16discard_iteratorINS9_11use_defaultEEESI_EEENS0_18inequality_wrapperINS9_8equal_toItEEEEPmJSH_EEE10hipError_tPvRmT3_T4_T5_T6_T7_T9_mT8_P12ihipStream_tbDpT10_ENKUlT_T0_E_clISt17integral_constantIbLb0EES1C_IbLb1EEEEDaS18_S19_EUlS18_E_NS1_11comp_targetILNS1_3genE3ELNS1_11target_archE908ELNS1_3gpuE7ELNS1_3repE0EEENS1_30default_config_static_selectorELNS0_4arch9wavefront6targetE0EEEvT1_ ; -- Begin function _ZN7rocprim17ROCPRIM_400000_NS6detail17trampoline_kernelINS0_14default_configENS1_25partition_config_selectorILNS1_17partition_subalgoE9EtjbEEZZNS1_14partition_implILS5_9ELb0ES3_jN6thrust23THRUST_200600_302600_NS6detail15normal_iteratorINS9_10device_ptrItEEEENSB_INSC_IjEEEEPNS0_10empty_typeENS0_5tupleIJSE_SH_EEENSJ_IJNS9_16discard_iteratorINS9_11use_defaultEEESI_EEENS0_18inequality_wrapperINS9_8equal_toItEEEEPmJSH_EEE10hipError_tPvRmT3_T4_T5_T6_T7_T9_mT8_P12ihipStream_tbDpT10_ENKUlT_T0_E_clISt17integral_constantIbLb0EES1C_IbLb1EEEEDaS18_S19_EUlS18_E_NS1_11comp_targetILNS1_3genE3ELNS1_11target_archE908ELNS1_3gpuE7ELNS1_3repE0EEENS1_30default_config_static_selectorELNS0_4arch9wavefront6targetE0EEEvT1_
	.globl	_ZN7rocprim17ROCPRIM_400000_NS6detail17trampoline_kernelINS0_14default_configENS1_25partition_config_selectorILNS1_17partition_subalgoE9EtjbEEZZNS1_14partition_implILS5_9ELb0ES3_jN6thrust23THRUST_200600_302600_NS6detail15normal_iteratorINS9_10device_ptrItEEEENSB_INSC_IjEEEEPNS0_10empty_typeENS0_5tupleIJSE_SH_EEENSJ_IJNS9_16discard_iteratorINS9_11use_defaultEEESI_EEENS0_18inequality_wrapperINS9_8equal_toItEEEEPmJSH_EEE10hipError_tPvRmT3_T4_T5_T6_T7_T9_mT8_P12ihipStream_tbDpT10_ENKUlT_T0_E_clISt17integral_constantIbLb0EES1C_IbLb1EEEEDaS18_S19_EUlS18_E_NS1_11comp_targetILNS1_3genE3ELNS1_11target_archE908ELNS1_3gpuE7ELNS1_3repE0EEENS1_30default_config_static_selectorELNS0_4arch9wavefront6targetE0EEEvT1_
	.p2align	8
	.type	_ZN7rocprim17ROCPRIM_400000_NS6detail17trampoline_kernelINS0_14default_configENS1_25partition_config_selectorILNS1_17partition_subalgoE9EtjbEEZZNS1_14partition_implILS5_9ELb0ES3_jN6thrust23THRUST_200600_302600_NS6detail15normal_iteratorINS9_10device_ptrItEEEENSB_INSC_IjEEEEPNS0_10empty_typeENS0_5tupleIJSE_SH_EEENSJ_IJNS9_16discard_iteratorINS9_11use_defaultEEESI_EEENS0_18inequality_wrapperINS9_8equal_toItEEEEPmJSH_EEE10hipError_tPvRmT3_T4_T5_T6_T7_T9_mT8_P12ihipStream_tbDpT10_ENKUlT_T0_E_clISt17integral_constantIbLb0EES1C_IbLb1EEEEDaS18_S19_EUlS18_E_NS1_11comp_targetILNS1_3genE3ELNS1_11target_archE908ELNS1_3gpuE7ELNS1_3repE0EEENS1_30default_config_static_selectorELNS0_4arch9wavefront6targetE0EEEvT1_,@function
_ZN7rocprim17ROCPRIM_400000_NS6detail17trampoline_kernelINS0_14default_configENS1_25partition_config_selectorILNS1_17partition_subalgoE9EtjbEEZZNS1_14partition_implILS5_9ELb0ES3_jN6thrust23THRUST_200600_302600_NS6detail15normal_iteratorINS9_10device_ptrItEEEENSB_INSC_IjEEEEPNS0_10empty_typeENS0_5tupleIJSE_SH_EEENSJ_IJNS9_16discard_iteratorINS9_11use_defaultEEESI_EEENS0_18inequality_wrapperINS9_8equal_toItEEEEPmJSH_EEE10hipError_tPvRmT3_T4_T5_T6_T7_T9_mT8_P12ihipStream_tbDpT10_ENKUlT_T0_E_clISt17integral_constantIbLb0EES1C_IbLb1EEEEDaS18_S19_EUlS18_E_NS1_11comp_targetILNS1_3genE3ELNS1_11target_archE908ELNS1_3gpuE7ELNS1_3repE0EEENS1_30default_config_static_selectorELNS0_4arch9wavefront6targetE0EEEvT1_: ; @_ZN7rocprim17ROCPRIM_400000_NS6detail17trampoline_kernelINS0_14default_configENS1_25partition_config_selectorILNS1_17partition_subalgoE9EtjbEEZZNS1_14partition_implILS5_9ELb0ES3_jN6thrust23THRUST_200600_302600_NS6detail15normal_iteratorINS9_10device_ptrItEEEENSB_INSC_IjEEEEPNS0_10empty_typeENS0_5tupleIJSE_SH_EEENSJ_IJNS9_16discard_iteratorINS9_11use_defaultEEESI_EEENS0_18inequality_wrapperINS9_8equal_toItEEEEPmJSH_EEE10hipError_tPvRmT3_T4_T5_T6_T7_T9_mT8_P12ihipStream_tbDpT10_ENKUlT_T0_E_clISt17integral_constantIbLb0EES1C_IbLb1EEEEDaS18_S19_EUlS18_E_NS1_11comp_targetILNS1_3genE3ELNS1_11target_archE908ELNS1_3gpuE7ELNS1_3repE0EEENS1_30default_config_static_selectorELNS0_4arch9wavefront6targetE0EEEvT1_
; %bb.0:
	.section	.rodata,"a",@progbits
	.p2align	6, 0x0
	.amdhsa_kernel _ZN7rocprim17ROCPRIM_400000_NS6detail17trampoline_kernelINS0_14default_configENS1_25partition_config_selectorILNS1_17partition_subalgoE9EtjbEEZZNS1_14partition_implILS5_9ELb0ES3_jN6thrust23THRUST_200600_302600_NS6detail15normal_iteratorINS9_10device_ptrItEEEENSB_INSC_IjEEEEPNS0_10empty_typeENS0_5tupleIJSE_SH_EEENSJ_IJNS9_16discard_iteratorINS9_11use_defaultEEESI_EEENS0_18inequality_wrapperINS9_8equal_toItEEEEPmJSH_EEE10hipError_tPvRmT3_T4_T5_T6_T7_T9_mT8_P12ihipStream_tbDpT10_ENKUlT_T0_E_clISt17integral_constantIbLb0EES1C_IbLb1EEEEDaS18_S19_EUlS18_E_NS1_11comp_targetILNS1_3genE3ELNS1_11target_archE908ELNS1_3gpuE7ELNS1_3repE0EEENS1_30default_config_static_selectorELNS0_4arch9wavefront6targetE0EEEvT1_
		.amdhsa_group_segment_fixed_size 0
		.amdhsa_private_segment_fixed_size 0
		.amdhsa_kernarg_size 136
		.amdhsa_user_sgpr_count 15
		.amdhsa_user_sgpr_dispatch_ptr 0
		.amdhsa_user_sgpr_queue_ptr 0
		.amdhsa_user_sgpr_kernarg_segment_ptr 1
		.amdhsa_user_sgpr_dispatch_id 0
		.amdhsa_user_sgpr_private_segment_size 0
		.amdhsa_wavefront_size32 1
		.amdhsa_uses_dynamic_stack 0
		.amdhsa_enable_private_segment 0
		.amdhsa_system_sgpr_workgroup_id_x 1
		.amdhsa_system_sgpr_workgroup_id_y 0
		.amdhsa_system_sgpr_workgroup_id_z 0
		.amdhsa_system_sgpr_workgroup_info 0
		.amdhsa_system_vgpr_workitem_id 0
		.amdhsa_next_free_vgpr 1
		.amdhsa_next_free_sgpr 1
		.amdhsa_reserve_vcc 0
		.amdhsa_float_round_mode_32 0
		.amdhsa_float_round_mode_16_64 0
		.amdhsa_float_denorm_mode_32 3
		.amdhsa_float_denorm_mode_16_64 3
		.amdhsa_dx10_clamp 1
		.amdhsa_ieee_mode 1
		.amdhsa_fp16_overflow 0
		.amdhsa_workgroup_processor_mode 1
		.amdhsa_memory_ordered 1
		.amdhsa_forward_progress 0
		.amdhsa_shared_vgpr_count 0
		.amdhsa_exception_fp_ieee_invalid_op 0
		.amdhsa_exception_fp_denorm_src 0
		.amdhsa_exception_fp_ieee_div_zero 0
		.amdhsa_exception_fp_ieee_overflow 0
		.amdhsa_exception_fp_ieee_underflow 0
		.amdhsa_exception_fp_ieee_inexact 0
		.amdhsa_exception_int_div_zero 0
	.end_amdhsa_kernel
	.section	.text._ZN7rocprim17ROCPRIM_400000_NS6detail17trampoline_kernelINS0_14default_configENS1_25partition_config_selectorILNS1_17partition_subalgoE9EtjbEEZZNS1_14partition_implILS5_9ELb0ES3_jN6thrust23THRUST_200600_302600_NS6detail15normal_iteratorINS9_10device_ptrItEEEENSB_INSC_IjEEEEPNS0_10empty_typeENS0_5tupleIJSE_SH_EEENSJ_IJNS9_16discard_iteratorINS9_11use_defaultEEESI_EEENS0_18inequality_wrapperINS9_8equal_toItEEEEPmJSH_EEE10hipError_tPvRmT3_T4_T5_T6_T7_T9_mT8_P12ihipStream_tbDpT10_ENKUlT_T0_E_clISt17integral_constantIbLb0EES1C_IbLb1EEEEDaS18_S19_EUlS18_E_NS1_11comp_targetILNS1_3genE3ELNS1_11target_archE908ELNS1_3gpuE7ELNS1_3repE0EEENS1_30default_config_static_selectorELNS0_4arch9wavefront6targetE0EEEvT1_,"axG",@progbits,_ZN7rocprim17ROCPRIM_400000_NS6detail17trampoline_kernelINS0_14default_configENS1_25partition_config_selectorILNS1_17partition_subalgoE9EtjbEEZZNS1_14partition_implILS5_9ELb0ES3_jN6thrust23THRUST_200600_302600_NS6detail15normal_iteratorINS9_10device_ptrItEEEENSB_INSC_IjEEEEPNS0_10empty_typeENS0_5tupleIJSE_SH_EEENSJ_IJNS9_16discard_iteratorINS9_11use_defaultEEESI_EEENS0_18inequality_wrapperINS9_8equal_toItEEEEPmJSH_EEE10hipError_tPvRmT3_T4_T5_T6_T7_T9_mT8_P12ihipStream_tbDpT10_ENKUlT_T0_E_clISt17integral_constantIbLb0EES1C_IbLb1EEEEDaS18_S19_EUlS18_E_NS1_11comp_targetILNS1_3genE3ELNS1_11target_archE908ELNS1_3gpuE7ELNS1_3repE0EEENS1_30default_config_static_selectorELNS0_4arch9wavefront6targetE0EEEvT1_,comdat
.Lfunc_end944:
	.size	_ZN7rocprim17ROCPRIM_400000_NS6detail17trampoline_kernelINS0_14default_configENS1_25partition_config_selectorILNS1_17partition_subalgoE9EtjbEEZZNS1_14partition_implILS5_9ELb0ES3_jN6thrust23THRUST_200600_302600_NS6detail15normal_iteratorINS9_10device_ptrItEEEENSB_INSC_IjEEEEPNS0_10empty_typeENS0_5tupleIJSE_SH_EEENSJ_IJNS9_16discard_iteratorINS9_11use_defaultEEESI_EEENS0_18inequality_wrapperINS9_8equal_toItEEEEPmJSH_EEE10hipError_tPvRmT3_T4_T5_T6_T7_T9_mT8_P12ihipStream_tbDpT10_ENKUlT_T0_E_clISt17integral_constantIbLb0EES1C_IbLb1EEEEDaS18_S19_EUlS18_E_NS1_11comp_targetILNS1_3genE3ELNS1_11target_archE908ELNS1_3gpuE7ELNS1_3repE0EEENS1_30default_config_static_selectorELNS0_4arch9wavefront6targetE0EEEvT1_, .Lfunc_end944-_ZN7rocprim17ROCPRIM_400000_NS6detail17trampoline_kernelINS0_14default_configENS1_25partition_config_selectorILNS1_17partition_subalgoE9EtjbEEZZNS1_14partition_implILS5_9ELb0ES3_jN6thrust23THRUST_200600_302600_NS6detail15normal_iteratorINS9_10device_ptrItEEEENSB_INSC_IjEEEEPNS0_10empty_typeENS0_5tupleIJSE_SH_EEENSJ_IJNS9_16discard_iteratorINS9_11use_defaultEEESI_EEENS0_18inequality_wrapperINS9_8equal_toItEEEEPmJSH_EEE10hipError_tPvRmT3_T4_T5_T6_T7_T9_mT8_P12ihipStream_tbDpT10_ENKUlT_T0_E_clISt17integral_constantIbLb0EES1C_IbLb1EEEEDaS18_S19_EUlS18_E_NS1_11comp_targetILNS1_3genE3ELNS1_11target_archE908ELNS1_3gpuE7ELNS1_3repE0EEENS1_30default_config_static_selectorELNS0_4arch9wavefront6targetE0EEEvT1_
                                        ; -- End function
	.section	.AMDGPU.csdata,"",@progbits
; Kernel info:
; codeLenInByte = 0
; NumSgprs: 0
; NumVgprs: 0
; ScratchSize: 0
; MemoryBound: 0
; FloatMode: 240
; IeeeMode: 1
; LDSByteSize: 0 bytes/workgroup (compile time only)
; SGPRBlocks: 0
; VGPRBlocks: 0
; NumSGPRsForWavesPerEU: 1
; NumVGPRsForWavesPerEU: 1
; Occupancy: 16
; WaveLimiterHint : 0
; COMPUTE_PGM_RSRC2:SCRATCH_EN: 0
; COMPUTE_PGM_RSRC2:USER_SGPR: 15
; COMPUTE_PGM_RSRC2:TRAP_HANDLER: 0
; COMPUTE_PGM_RSRC2:TGID_X_EN: 1
; COMPUTE_PGM_RSRC2:TGID_Y_EN: 0
; COMPUTE_PGM_RSRC2:TGID_Z_EN: 0
; COMPUTE_PGM_RSRC2:TIDIG_COMP_CNT: 0
	.section	.text._ZN7rocprim17ROCPRIM_400000_NS6detail17trampoline_kernelINS0_14default_configENS1_25partition_config_selectorILNS1_17partition_subalgoE9EtjbEEZZNS1_14partition_implILS5_9ELb0ES3_jN6thrust23THRUST_200600_302600_NS6detail15normal_iteratorINS9_10device_ptrItEEEENSB_INSC_IjEEEEPNS0_10empty_typeENS0_5tupleIJSE_SH_EEENSJ_IJNS9_16discard_iteratorINS9_11use_defaultEEESI_EEENS0_18inequality_wrapperINS9_8equal_toItEEEEPmJSH_EEE10hipError_tPvRmT3_T4_T5_T6_T7_T9_mT8_P12ihipStream_tbDpT10_ENKUlT_T0_E_clISt17integral_constantIbLb0EES1C_IbLb1EEEEDaS18_S19_EUlS18_E_NS1_11comp_targetILNS1_3genE2ELNS1_11target_archE906ELNS1_3gpuE6ELNS1_3repE0EEENS1_30default_config_static_selectorELNS0_4arch9wavefront6targetE0EEEvT1_,"axG",@progbits,_ZN7rocprim17ROCPRIM_400000_NS6detail17trampoline_kernelINS0_14default_configENS1_25partition_config_selectorILNS1_17partition_subalgoE9EtjbEEZZNS1_14partition_implILS5_9ELb0ES3_jN6thrust23THRUST_200600_302600_NS6detail15normal_iteratorINS9_10device_ptrItEEEENSB_INSC_IjEEEEPNS0_10empty_typeENS0_5tupleIJSE_SH_EEENSJ_IJNS9_16discard_iteratorINS9_11use_defaultEEESI_EEENS0_18inequality_wrapperINS9_8equal_toItEEEEPmJSH_EEE10hipError_tPvRmT3_T4_T5_T6_T7_T9_mT8_P12ihipStream_tbDpT10_ENKUlT_T0_E_clISt17integral_constantIbLb0EES1C_IbLb1EEEEDaS18_S19_EUlS18_E_NS1_11comp_targetILNS1_3genE2ELNS1_11target_archE906ELNS1_3gpuE6ELNS1_3repE0EEENS1_30default_config_static_selectorELNS0_4arch9wavefront6targetE0EEEvT1_,comdat
	.protected	_ZN7rocprim17ROCPRIM_400000_NS6detail17trampoline_kernelINS0_14default_configENS1_25partition_config_selectorILNS1_17partition_subalgoE9EtjbEEZZNS1_14partition_implILS5_9ELb0ES3_jN6thrust23THRUST_200600_302600_NS6detail15normal_iteratorINS9_10device_ptrItEEEENSB_INSC_IjEEEEPNS0_10empty_typeENS0_5tupleIJSE_SH_EEENSJ_IJNS9_16discard_iteratorINS9_11use_defaultEEESI_EEENS0_18inequality_wrapperINS9_8equal_toItEEEEPmJSH_EEE10hipError_tPvRmT3_T4_T5_T6_T7_T9_mT8_P12ihipStream_tbDpT10_ENKUlT_T0_E_clISt17integral_constantIbLb0EES1C_IbLb1EEEEDaS18_S19_EUlS18_E_NS1_11comp_targetILNS1_3genE2ELNS1_11target_archE906ELNS1_3gpuE6ELNS1_3repE0EEENS1_30default_config_static_selectorELNS0_4arch9wavefront6targetE0EEEvT1_ ; -- Begin function _ZN7rocprim17ROCPRIM_400000_NS6detail17trampoline_kernelINS0_14default_configENS1_25partition_config_selectorILNS1_17partition_subalgoE9EtjbEEZZNS1_14partition_implILS5_9ELb0ES3_jN6thrust23THRUST_200600_302600_NS6detail15normal_iteratorINS9_10device_ptrItEEEENSB_INSC_IjEEEEPNS0_10empty_typeENS0_5tupleIJSE_SH_EEENSJ_IJNS9_16discard_iteratorINS9_11use_defaultEEESI_EEENS0_18inequality_wrapperINS9_8equal_toItEEEEPmJSH_EEE10hipError_tPvRmT3_T4_T5_T6_T7_T9_mT8_P12ihipStream_tbDpT10_ENKUlT_T0_E_clISt17integral_constantIbLb0EES1C_IbLb1EEEEDaS18_S19_EUlS18_E_NS1_11comp_targetILNS1_3genE2ELNS1_11target_archE906ELNS1_3gpuE6ELNS1_3repE0EEENS1_30default_config_static_selectorELNS0_4arch9wavefront6targetE0EEEvT1_
	.globl	_ZN7rocprim17ROCPRIM_400000_NS6detail17trampoline_kernelINS0_14default_configENS1_25partition_config_selectorILNS1_17partition_subalgoE9EtjbEEZZNS1_14partition_implILS5_9ELb0ES3_jN6thrust23THRUST_200600_302600_NS6detail15normal_iteratorINS9_10device_ptrItEEEENSB_INSC_IjEEEEPNS0_10empty_typeENS0_5tupleIJSE_SH_EEENSJ_IJNS9_16discard_iteratorINS9_11use_defaultEEESI_EEENS0_18inequality_wrapperINS9_8equal_toItEEEEPmJSH_EEE10hipError_tPvRmT3_T4_T5_T6_T7_T9_mT8_P12ihipStream_tbDpT10_ENKUlT_T0_E_clISt17integral_constantIbLb0EES1C_IbLb1EEEEDaS18_S19_EUlS18_E_NS1_11comp_targetILNS1_3genE2ELNS1_11target_archE906ELNS1_3gpuE6ELNS1_3repE0EEENS1_30default_config_static_selectorELNS0_4arch9wavefront6targetE0EEEvT1_
	.p2align	8
	.type	_ZN7rocprim17ROCPRIM_400000_NS6detail17trampoline_kernelINS0_14default_configENS1_25partition_config_selectorILNS1_17partition_subalgoE9EtjbEEZZNS1_14partition_implILS5_9ELb0ES3_jN6thrust23THRUST_200600_302600_NS6detail15normal_iteratorINS9_10device_ptrItEEEENSB_INSC_IjEEEEPNS0_10empty_typeENS0_5tupleIJSE_SH_EEENSJ_IJNS9_16discard_iteratorINS9_11use_defaultEEESI_EEENS0_18inequality_wrapperINS9_8equal_toItEEEEPmJSH_EEE10hipError_tPvRmT3_T4_T5_T6_T7_T9_mT8_P12ihipStream_tbDpT10_ENKUlT_T0_E_clISt17integral_constantIbLb0EES1C_IbLb1EEEEDaS18_S19_EUlS18_E_NS1_11comp_targetILNS1_3genE2ELNS1_11target_archE906ELNS1_3gpuE6ELNS1_3repE0EEENS1_30default_config_static_selectorELNS0_4arch9wavefront6targetE0EEEvT1_,@function
_ZN7rocprim17ROCPRIM_400000_NS6detail17trampoline_kernelINS0_14default_configENS1_25partition_config_selectorILNS1_17partition_subalgoE9EtjbEEZZNS1_14partition_implILS5_9ELb0ES3_jN6thrust23THRUST_200600_302600_NS6detail15normal_iteratorINS9_10device_ptrItEEEENSB_INSC_IjEEEEPNS0_10empty_typeENS0_5tupleIJSE_SH_EEENSJ_IJNS9_16discard_iteratorINS9_11use_defaultEEESI_EEENS0_18inequality_wrapperINS9_8equal_toItEEEEPmJSH_EEE10hipError_tPvRmT3_T4_T5_T6_T7_T9_mT8_P12ihipStream_tbDpT10_ENKUlT_T0_E_clISt17integral_constantIbLb0EES1C_IbLb1EEEEDaS18_S19_EUlS18_E_NS1_11comp_targetILNS1_3genE2ELNS1_11target_archE906ELNS1_3gpuE6ELNS1_3repE0EEENS1_30default_config_static_selectorELNS0_4arch9wavefront6targetE0EEEvT1_: ; @_ZN7rocprim17ROCPRIM_400000_NS6detail17trampoline_kernelINS0_14default_configENS1_25partition_config_selectorILNS1_17partition_subalgoE9EtjbEEZZNS1_14partition_implILS5_9ELb0ES3_jN6thrust23THRUST_200600_302600_NS6detail15normal_iteratorINS9_10device_ptrItEEEENSB_INSC_IjEEEEPNS0_10empty_typeENS0_5tupleIJSE_SH_EEENSJ_IJNS9_16discard_iteratorINS9_11use_defaultEEESI_EEENS0_18inequality_wrapperINS9_8equal_toItEEEEPmJSH_EEE10hipError_tPvRmT3_T4_T5_T6_T7_T9_mT8_P12ihipStream_tbDpT10_ENKUlT_T0_E_clISt17integral_constantIbLb0EES1C_IbLb1EEEEDaS18_S19_EUlS18_E_NS1_11comp_targetILNS1_3genE2ELNS1_11target_archE906ELNS1_3gpuE6ELNS1_3repE0EEENS1_30default_config_static_selectorELNS0_4arch9wavefront6targetE0EEEvT1_
; %bb.0:
	.section	.rodata,"a",@progbits
	.p2align	6, 0x0
	.amdhsa_kernel _ZN7rocprim17ROCPRIM_400000_NS6detail17trampoline_kernelINS0_14default_configENS1_25partition_config_selectorILNS1_17partition_subalgoE9EtjbEEZZNS1_14partition_implILS5_9ELb0ES3_jN6thrust23THRUST_200600_302600_NS6detail15normal_iteratorINS9_10device_ptrItEEEENSB_INSC_IjEEEEPNS0_10empty_typeENS0_5tupleIJSE_SH_EEENSJ_IJNS9_16discard_iteratorINS9_11use_defaultEEESI_EEENS0_18inequality_wrapperINS9_8equal_toItEEEEPmJSH_EEE10hipError_tPvRmT3_T4_T5_T6_T7_T9_mT8_P12ihipStream_tbDpT10_ENKUlT_T0_E_clISt17integral_constantIbLb0EES1C_IbLb1EEEEDaS18_S19_EUlS18_E_NS1_11comp_targetILNS1_3genE2ELNS1_11target_archE906ELNS1_3gpuE6ELNS1_3repE0EEENS1_30default_config_static_selectorELNS0_4arch9wavefront6targetE0EEEvT1_
		.amdhsa_group_segment_fixed_size 0
		.amdhsa_private_segment_fixed_size 0
		.amdhsa_kernarg_size 136
		.amdhsa_user_sgpr_count 15
		.amdhsa_user_sgpr_dispatch_ptr 0
		.amdhsa_user_sgpr_queue_ptr 0
		.amdhsa_user_sgpr_kernarg_segment_ptr 1
		.amdhsa_user_sgpr_dispatch_id 0
		.amdhsa_user_sgpr_private_segment_size 0
		.amdhsa_wavefront_size32 1
		.amdhsa_uses_dynamic_stack 0
		.amdhsa_enable_private_segment 0
		.amdhsa_system_sgpr_workgroup_id_x 1
		.amdhsa_system_sgpr_workgroup_id_y 0
		.amdhsa_system_sgpr_workgroup_id_z 0
		.amdhsa_system_sgpr_workgroup_info 0
		.amdhsa_system_vgpr_workitem_id 0
		.amdhsa_next_free_vgpr 1
		.amdhsa_next_free_sgpr 1
		.amdhsa_reserve_vcc 0
		.amdhsa_float_round_mode_32 0
		.amdhsa_float_round_mode_16_64 0
		.amdhsa_float_denorm_mode_32 3
		.amdhsa_float_denorm_mode_16_64 3
		.amdhsa_dx10_clamp 1
		.amdhsa_ieee_mode 1
		.amdhsa_fp16_overflow 0
		.amdhsa_workgroup_processor_mode 1
		.amdhsa_memory_ordered 1
		.amdhsa_forward_progress 0
		.amdhsa_shared_vgpr_count 0
		.amdhsa_exception_fp_ieee_invalid_op 0
		.amdhsa_exception_fp_denorm_src 0
		.amdhsa_exception_fp_ieee_div_zero 0
		.amdhsa_exception_fp_ieee_overflow 0
		.amdhsa_exception_fp_ieee_underflow 0
		.amdhsa_exception_fp_ieee_inexact 0
		.amdhsa_exception_int_div_zero 0
	.end_amdhsa_kernel
	.section	.text._ZN7rocprim17ROCPRIM_400000_NS6detail17trampoline_kernelINS0_14default_configENS1_25partition_config_selectorILNS1_17partition_subalgoE9EtjbEEZZNS1_14partition_implILS5_9ELb0ES3_jN6thrust23THRUST_200600_302600_NS6detail15normal_iteratorINS9_10device_ptrItEEEENSB_INSC_IjEEEEPNS0_10empty_typeENS0_5tupleIJSE_SH_EEENSJ_IJNS9_16discard_iteratorINS9_11use_defaultEEESI_EEENS0_18inequality_wrapperINS9_8equal_toItEEEEPmJSH_EEE10hipError_tPvRmT3_T4_T5_T6_T7_T9_mT8_P12ihipStream_tbDpT10_ENKUlT_T0_E_clISt17integral_constantIbLb0EES1C_IbLb1EEEEDaS18_S19_EUlS18_E_NS1_11comp_targetILNS1_3genE2ELNS1_11target_archE906ELNS1_3gpuE6ELNS1_3repE0EEENS1_30default_config_static_selectorELNS0_4arch9wavefront6targetE0EEEvT1_,"axG",@progbits,_ZN7rocprim17ROCPRIM_400000_NS6detail17trampoline_kernelINS0_14default_configENS1_25partition_config_selectorILNS1_17partition_subalgoE9EtjbEEZZNS1_14partition_implILS5_9ELb0ES3_jN6thrust23THRUST_200600_302600_NS6detail15normal_iteratorINS9_10device_ptrItEEEENSB_INSC_IjEEEEPNS0_10empty_typeENS0_5tupleIJSE_SH_EEENSJ_IJNS9_16discard_iteratorINS9_11use_defaultEEESI_EEENS0_18inequality_wrapperINS9_8equal_toItEEEEPmJSH_EEE10hipError_tPvRmT3_T4_T5_T6_T7_T9_mT8_P12ihipStream_tbDpT10_ENKUlT_T0_E_clISt17integral_constantIbLb0EES1C_IbLb1EEEEDaS18_S19_EUlS18_E_NS1_11comp_targetILNS1_3genE2ELNS1_11target_archE906ELNS1_3gpuE6ELNS1_3repE0EEENS1_30default_config_static_selectorELNS0_4arch9wavefront6targetE0EEEvT1_,comdat
.Lfunc_end945:
	.size	_ZN7rocprim17ROCPRIM_400000_NS6detail17trampoline_kernelINS0_14default_configENS1_25partition_config_selectorILNS1_17partition_subalgoE9EtjbEEZZNS1_14partition_implILS5_9ELb0ES3_jN6thrust23THRUST_200600_302600_NS6detail15normal_iteratorINS9_10device_ptrItEEEENSB_INSC_IjEEEEPNS0_10empty_typeENS0_5tupleIJSE_SH_EEENSJ_IJNS9_16discard_iteratorINS9_11use_defaultEEESI_EEENS0_18inequality_wrapperINS9_8equal_toItEEEEPmJSH_EEE10hipError_tPvRmT3_T4_T5_T6_T7_T9_mT8_P12ihipStream_tbDpT10_ENKUlT_T0_E_clISt17integral_constantIbLb0EES1C_IbLb1EEEEDaS18_S19_EUlS18_E_NS1_11comp_targetILNS1_3genE2ELNS1_11target_archE906ELNS1_3gpuE6ELNS1_3repE0EEENS1_30default_config_static_selectorELNS0_4arch9wavefront6targetE0EEEvT1_, .Lfunc_end945-_ZN7rocprim17ROCPRIM_400000_NS6detail17trampoline_kernelINS0_14default_configENS1_25partition_config_selectorILNS1_17partition_subalgoE9EtjbEEZZNS1_14partition_implILS5_9ELb0ES3_jN6thrust23THRUST_200600_302600_NS6detail15normal_iteratorINS9_10device_ptrItEEEENSB_INSC_IjEEEEPNS0_10empty_typeENS0_5tupleIJSE_SH_EEENSJ_IJNS9_16discard_iteratorINS9_11use_defaultEEESI_EEENS0_18inequality_wrapperINS9_8equal_toItEEEEPmJSH_EEE10hipError_tPvRmT3_T4_T5_T6_T7_T9_mT8_P12ihipStream_tbDpT10_ENKUlT_T0_E_clISt17integral_constantIbLb0EES1C_IbLb1EEEEDaS18_S19_EUlS18_E_NS1_11comp_targetILNS1_3genE2ELNS1_11target_archE906ELNS1_3gpuE6ELNS1_3repE0EEENS1_30default_config_static_selectorELNS0_4arch9wavefront6targetE0EEEvT1_
                                        ; -- End function
	.section	.AMDGPU.csdata,"",@progbits
; Kernel info:
; codeLenInByte = 0
; NumSgprs: 0
; NumVgprs: 0
; ScratchSize: 0
; MemoryBound: 0
; FloatMode: 240
; IeeeMode: 1
; LDSByteSize: 0 bytes/workgroup (compile time only)
; SGPRBlocks: 0
; VGPRBlocks: 0
; NumSGPRsForWavesPerEU: 1
; NumVGPRsForWavesPerEU: 1
; Occupancy: 16
; WaveLimiterHint : 0
; COMPUTE_PGM_RSRC2:SCRATCH_EN: 0
; COMPUTE_PGM_RSRC2:USER_SGPR: 15
; COMPUTE_PGM_RSRC2:TRAP_HANDLER: 0
; COMPUTE_PGM_RSRC2:TGID_X_EN: 1
; COMPUTE_PGM_RSRC2:TGID_Y_EN: 0
; COMPUTE_PGM_RSRC2:TGID_Z_EN: 0
; COMPUTE_PGM_RSRC2:TIDIG_COMP_CNT: 0
	.section	.text._ZN7rocprim17ROCPRIM_400000_NS6detail17trampoline_kernelINS0_14default_configENS1_25partition_config_selectorILNS1_17partition_subalgoE9EtjbEEZZNS1_14partition_implILS5_9ELb0ES3_jN6thrust23THRUST_200600_302600_NS6detail15normal_iteratorINS9_10device_ptrItEEEENSB_INSC_IjEEEEPNS0_10empty_typeENS0_5tupleIJSE_SH_EEENSJ_IJNS9_16discard_iteratorINS9_11use_defaultEEESI_EEENS0_18inequality_wrapperINS9_8equal_toItEEEEPmJSH_EEE10hipError_tPvRmT3_T4_T5_T6_T7_T9_mT8_P12ihipStream_tbDpT10_ENKUlT_T0_E_clISt17integral_constantIbLb0EES1C_IbLb1EEEEDaS18_S19_EUlS18_E_NS1_11comp_targetILNS1_3genE10ELNS1_11target_archE1200ELNS1_3gpuE4ELNS1_3repE0EEENS1_30default_config_static_selectorELNS0_4arch9wavefront6targetE0EEEvT1_,"axG",@progbits,_ZN7rocprim17ROCPRIM_400000_NS6detail17trampoline_kernelINS0_14default_configENS1_25partition_config_selectorILNS1_17partition_subalgoE9EtjbEEZZNS1_14partition_implILS5_9ELb0ES3_jN6thrust23THRUST_200600_302600_NS6detail15normal_iteratorINS9_10device_ptrItEEEENSB_INSC_IjEEEEPNS0_10empty_typeENS0_5tupleIJSE_SH_EEENSJ_IJNS9_16discard_iteratorINS9_11use_defaultEEESI_EEENS0_18inequality_wrapperINS9_8equal_toItEEEEPmJSH_EEE10hipError_tPvRmT3_T4_T5_T6_T7_T9_mT8_P12ihipStream_tbDpT10_ENKUlT_T0_E_clISt17integral_constantIbLb0EES1C_IbLb1EEEEDaS18_S19_EUlS18_E_NS1_11comp_targetILNS1_3genE10ELNS1_11target_archE1200ELNS1_3gpuE4ELNS1_3repE0EEENS1_30default_config_static_selectorELNS0_4arch9wavefront6targetE0EEEvT1_,comdat
	.protected	_ZN7rocprim17ROCPRIM_400000_NS6detail17trampoline_kernelINS0_14default_configENS1_25partition_config_selectorILNS1_17partition_subalgoE9EtjbEEZZNS1_14partition_implILS5_9ELb0ES3_jN6thrust23THRUST_200600_302600_NS6detail15normal_iteratorINS9_10device_ptrItEEEENSB_INSC_IjEEEEPNS0_10empty_typeENS0_5tupleIJSE_SH_EEENSJ_IJNS9_16discard_iteratorINS9_11use_defaultEEESI_EEENS0_18inequality_wrapperINS9_8equal_toItEEEEPmJSH_EEE10hipError_tPvRmT3_T4_T5_T6_T7_T9_mT8_P12ihipStream_tbDpT10_ENKUlT_T0_E_clISt17integral_constantIbLb0EES1C_IbLb1EEEEDaS18_S19_EUlS18_E_NS1_11comp_targetILNS1_3genE10ELNS1_11target_archE1200ELNS1_3gpuE4ELNS1_3repE0EEENS1_30default_config_static_selectorELNS0_4arch9wavefront6targetE0EEEvT1_ ; -- Begin function _ZN7rocprim17ROCPRIM_400000_NS6detail17trampoline_kernelINS0_14default_configENS1_25partition_config_selectorILNS1_17partition_subalgoE9EtjbEEZZNS1_14partition_implILS5_9ELb0ES3_jN6thrust23THRUST_200600_302600_NS6detail15normal_iteratorINS9_10device_ptrItEEEENSB_INSC_IjEEEEPNS0_10empty_typeENS0_5tupleIJSE_SH_EEENSJ_IJNS9_16discard_iteratorINS9_11use_defaultEEESI_EEENS0_18inequality_wrapperINS9_8equal_toItEEEEPmJSH_EEE10hipError_tPvRmT3_T4_T5_T6_T7_T9_mT8_P12ihipStream_tbDpT10_ENKUlT_T0_E_clISt17integral_constantIbLb0EES1C_IbLb1EEEEDaS18_S19_EUlS18_E_NS1_11comp_targetILNS1_3genE10ELNS1_11target_archE1200ELNS1_3gpuE4ELNS1_3repE0EEENS1_30default_config_static_selectorELNS0_4arch9wavefront6targetE0EEEvT1_
	.globl	_ZN7rocprim17ROCPRIM_400000_NS6detail17trampoline_kernelINS0_14default_configENS1_25partition_config_selectorILNS1_17partition_subalgoE9EtjbEEZZNS1_14partition_implILS5_9ELb0ES3_jN6thrust23THRUST_200600_302600_NS6detail15normal_iteratorINS9_10device_ptrItEEEENSB_INSC_IjEEEEPNS0_10empty_typeENS0_5tupleIJSE_SH_EEENSJ_IJNS9_16discard_iteratorINS9_11use_defaultEEESI_EEENS0_18inequality_wrapperINS9_8equal_toItEEEEPmJSH_EEE10hipError_tPvRmT3_T4_T5_T6_T7_T9_mT8_P12ihipStream_tbDpT10_ENKUlT_T0_E_clISt17integral_constantIbLb0EES1C_IbLb1EEEEDaS18_S19_EUlS18_E_NS1_11comp_targetILNS1_3genE10ELNS1_11target_archE1200ELNS1_3gpuE4ELNS1_3repE0EEENS1_30default_config_static_selectorELNS0_4arch9wavefront6targetE0EEEvT1_
	.p2align	8
	.type	_ZN7rocprim17ROCPRIM_400000_NS6detail17trampoline_kernelINS0_14default_configENS1_25partition_config_selectorILNS1_17partition_subalgoE9EtjbEEZZNS1_14partition_implILS5_9ELb0ES3_jN6thrust23THRUST_200600_302600_NS6detail15normal_iteratorINS9_10device_ptrItEEEENSB_INSC_IjEEEEPNS0_10empty_typeENS0_5tupleIJSE_SH_EEENSJ_IJNS9_16discard_iteratorINS9_11use_defaultEEESI_EEENS0_18inequality_wrapperINS9_8equal_toItEEEEPmJSH_EEE10hipError_tPvRmT3_T4_T5_T6_T7_T9_mT8_P12ihipStream_tbDpT10_ENKUlT_T0_E_clISt17integral_constantIbLb0EES1C_IbLb1EEEEDaS18_S19_EUlS18_E_NS1_11comp_targetILNS1_3genE10ELNS1_11target_archE1200ELNS1_3gpuE4ELNS1_3repE0EEENS1_30default_config_static_selectorELNS0_4arch9wavefront6targetE0EEEvT1_,@function
_ZN7rocprim17ROCPRIM_400000_NS6detail17trampoline_kernelINS0_14default_configENS1_25partition_config_selectorILNS1_17partition_subalgoE9EtjbEEZZNS1_14partition_implILS5_9ELb0ES3_jN6thrust23THRUST_200600_302600_NS6detail15normal_iteratorINS9_10device_ptrItEEEENSB_INSC_IjEEEEPNS0_10empty_typeENS0_5tupleIJSE_SH_EEENSJ_IJNS9_16discard_iteratorINS9_11use_defaultEEESI_EEENS0_18inequality_wrapperINS9_8equal_toItEEEEPmJSH_EEE10hipError_tPvRmT3_T4_T5_T6_T7_T9_mT8_P12ihipStream_tbDpT10_ENKUlT_T0_E_clISt17integral_constantIbLb0EES1C_IbLb1EEEEDaS18_S19_EUlS18_E_NS1_11comp_targetILNS1_3genE10ELNS1_11target_archE1200ELNS1_3gpuE4ELNS1_3repE0EEENS1_30default_config_static_selectorELNS0_4arch9wavefront6targetE0EEEvT1_: ; @_ZN7rocprim17ROCPRIM_400000_NS6detail17trampoline_kernelINS0_14default_configENS1_25partition_config_selectorILNS1_17partition_subalgoE9EtjbEEZZNS1_14partition_implILS5_9ELb0ES3_jN6thrust23THRUST_200600_302600_NS6detail15normal_iteratorINS9_10device_ptrItEEEENSB_INSC_IjEEEEPNS0_10empty_typeENS0_5tupleIJSE_SH_EEENSJ_IJNS9_16discard_iteratorINS9_11use_defaultEEESI_EEENS0_18inequality_wrapperINS9_8equal_toItEEEEPmJSH_EEE10hipError_tPvRmT3_T4_T5_T6_T7_T9_mT8_P12ihipStream_tbDpT10_ENKUlT_T0_E_clISt17integral_constantIbLb0EES1C_IbLb1EEEEDaS18_S19_EUlS18_E_NS1_11comp_targetILNS1_3genE10ELNS1_11target_archE1200ELNS1_3gpuE4ELNS1_3repE0EEENS1_30default_config_static_selectorELNS0_4arch9wavefront6targetE0EEEvT1_
; %bb.0:
	.section	.rodata,"a",@progbits
	.p2align	6, 0x0
	.amdhsa_kernel _ZN7rocprim17ROCPRIM_400000_NS6detail17trampoline_kernelINS0_14default_configENS1_25partition_config_selectorILNS1_17partition_subalgoE9EtjbEEZZNS1_14partition_implILS5_9ELb0ES3_jN6thrust23THRUST_200600_302600_NS6detail15normal_iteratorINS9_10device_ptrItEEEENSB_INSC_IjEEEEPNS0_10empty_typeENS0_5tupleIJSE_SH_EEENSJ_IJNS9_16discard_iteratorINS9_11use_defaultEEESI_EEENS0_18inequality_wrapperINS9_8equal_toItEEEEPmJSH_EEE10hipError_tPvRmT3_T4_T5_T6_T7_T9_mT8_P12ihipStream_tbDpT10_ENKUlT_T0_E_clISt17integral_constantIbLb0EES1C_IbLb1EEEEDaS18_S19_EUlS18_E_NS1_11comp_targetILNS1_3genE10ELNS1_11target_archE1200ELNS1_3gpuE4ELNS1_3repE0EEENS1_30default_config_static_selectorELNS0_4arch9wavefront6targetE0EEEvT1_
		.amdhsa_group_segment_fixed_size 0
		.amdhsa_private_segment_fixed_size 0
		.amdhsa_kernarg_size 136
		.amdhsa_user_sgpr_count 15
		.amdhsa_user_sgpr_dispatch_ptr 0
		.amdhsa_user_sgpr_queue_ptr 0
		.amdhsa_user_sgpr_kernarg_segment_ptr 1
		.amdhsa_user_sgpr_dispatch_id 0
		.amdhsa_user_sgpr_private_segment_size 0
		.amdhsa_wavefront_size32 1
		.amdhsa_uses_dynamic_stack 0
		.amdhsa_enable_private_segment 0
		.amdhsa_system_sgpr_workgroup_id_x 1
		.amdhsa_system_sgpr_workgroup_id_y 0
		.amdhsa_system_sgpr_workgroup_id_z 0
		.amdhsa_system_sgpr_workgroup_info 0
		.amdhsa_system_vgpr_workitem_id 0
		.amdhsa_next_free_vgpr 1
		.amdhsa_next_free_sgpr 1
		.amdhsa_reserve_vcc 0
		.amdhsa_float_round_mode_32 0
		.amdhsa_float_round_mode_16_64 0
		.amdhsa_float_denorm_mode_32 3
		.amdhsa_float_denorm_mode_16_64 3
		.amdhsa_dx10_clamp 1
		.amdhsa_ieee_mode 1
		.amdhsa_fp16_overflow 0
		.amdhsa_workgroup_processor_mode 1
		.amdhsa_memory_ordered 1
		.amdhsa_forward_progress 0
		.amdhsa_shared_vgpr_count 0
		.amdhsa_exception_fp_ieee_invalid_op 0
		.amdhsa_exception_fp_denorm_src 0
		.amdhsa_exception_fp_ieee_div_zero 0
		.amdhsa_exception_fp_ieee_overflow 0
		.amdhsa_exception_fp_ieee_underflow 0
		.amdhsa_exception_fp_ieee_inexact 0
		.amdhsa_exception_int_div_zero 0
	.end_amdhsa_kernel
	.section	.text._ZN7rocprim17ROCPRIM_400000_NS6detail17trampoline_kernelINS0_14default_configENS1_25partition_config_selectorILNS1_17partition_subalgoE9EtjbEEZZNS1_14partition_implILS5_9ELb0ES3_jN6thrust23THRUST_200600_302600_NS6detail15normal_iteratorINS9_10device_ptrItEEEENSB_INSC_IjEEEEPNS0_10empty_typeENS0_5tupleIJSE_SH_EEENSJ_IJNS9_16discard_iteratorINS9_11use_defaultEEESI_EEENS0_18inequality_wrapperINS9_8equal_toItEEEEPmJSH_EEE10hipError_tPvRmT3_T4_T5_T6_T7_T9_mT8_P12ihipStream_tbDpT10_ENKUlT_T0_E_clISt17integral_constantIbLb0EES1C_IbLb1EEEEDaS18_S19_EUlS18_E_NS1_11comp_targetILNS1_3genE10ELNS1_11target_archE1200ELNS1_3gpuE4ELNS1_3repE0EEENS1_30default_config_static_selectorELNS0_4arch9wavefront6targetE0EEEvT1_,"axG",@progbits,_ZN7rocprim17ROCPRIM_400000_NS6detail17trampoline_kernelINS0_14default_configENS1_25partition_config_selectorILNS1_17partition_subalgoE9EtjbEEZZNS1_14partition_implILS5_9ELb0ES3_jN6thrust23THRUST_200600_302600_NS6detail15normal_iteratorINS9_10device_ptrItEEEENSB_INSC_IjEEEEPNS0_10empty_typeENS0_5tupleIJSE_SH_EEENSJ_IJNS9_16discard_iteratorINS9_11use_defaultEEESI_EEENS0_18inequality_wrapperINS9_8equal_toItEEEEPmJSH_EEE10hipError_tPvRmT3_T4_T5_T6_T7_T9_mT8_P12ihipStream_tbDpT10_ENKUlT_T0_E_clISt17integral_constantIbLb0EES1C_IbLb1EEEEDaS18_S19_EUlS18_E_NS1_11comp_targetILNS1_3genE10ELNS1_11target_archE1200ELNS1_3gpuE4ELNS1_3repE0EEENS1_30default_config_static_selectorELNS0_4arch9wavefront6targetE0EEEvT1_,comdat
.Lfunc_end946:
	.size	_ZN7rocprim17ROCPRIM_400000_NS6detail17trampoline_kernelINS0_14default_configENS1_25partition_config_selectorILNS1_17partition_subalgoE9EtjbEEZZNS1_14partition_implILS5_9ELb0ES3_jN6thrust23THRUST_200600_302600_NS6detail15normal_iteratorINS9_10device_ptrItEEEENSB_INSC_IjEEEEPNS0_10empty_typeENS0_5tupleIJSE_SH_EEENSJ_IJNS9_16discard_iteratorINS9_11use_defaultEEESI_EEENS0_18inequality_wrapperINS9_8equal_toItEEEEPmJSH_EEE10hipError_tPvRmT3_T4_T5_T6_T7_T9_mT8_P12ihipStream_tbDpT10_ENKUlT_T0_E_clISt17integral_constantIbLb0EES1C_IbLb1EEEEDaS18_S19_EUlS18_E_NS1_11comp_targetILNS1_3genE10ELNS1_11target_archE1200ELNS1_3gpuE4ELNS1_3repE0EEENS1_30default_config_static_selectorELNS0_4arch9wavefront6targetE0EEEvT1_, .Lfunc_end946-_ZN7rocprim17ROCPRIM_400000_NS6detail17trampoline_kernelINS0_14default_configENS1_25partition_config_selectorILNS1_17partition_subalgoE9EtjbEEZZNS1_14partition_implILS5_9ELb0ES3_jN6thrust23THRUST_200600_302600_NS6detail15normal_iteratorINS9_10device_ptrItEEEENSB_INSC_IjEEEEPNS0_10empty_typeENS0_5tupleIJSE_SH_EEENSJ_IJNS9_16discard_iteratorINS9_11use_defaultEEESI_EEENS0_18inequality_wrapperINS9_8equal_toItEEEEPmJSH_EEE10hipError_tPvRmT3_T4_T5_T6_T7_T9_mT8_P12ihipStream_tbDpT10_ENKUlT_T0_E_clISt17integral_constantIbLb0EES1C_IbLb1EEEEDaS18_S19_EUlS18_E_NS1_11comp_targetILNS1_3genE10ELNS1_11target_archE1200ELNS1_3gpuE4ELNS1_3repE0EEENS1_30default_config_static_selectorELNS0_4arch9wavefront6targetE0EEEvT1_
                                        ; -- End function
	.section	.AMDGPU.csdata,"",@progbits
; Kernel info:
; codeLenInByte = 0
; NumSgprs: 0
; NumVgprs: 0
; ScratchSize: 0
; MemoryBound: 0
; FloatMode: 240
; IeeeMode: 1
; LDSByteSize: 0 bytes/workgroup (compile time only)
; SGPRBlocks: 0
; VGPRBlocks: 0
; NumSGPRsForWavesPerEU: 1
; NumVGPRsForWavesPerEU: 1
; Occupancy: 16
; WaveLimiterHint : 0
; COMPUTE_PGM_RSRC2:SCRATCH_EN: 0
; COMPUTE_PGM_RSRC2:USER_SGPR: 15
; COMPUTE_PGM_RSRC2:TRAP_HANDLER: 0
; COMPUTE_PGM_RSRC2:TGID_X_EN: 1
; COMPUTE_PGM_RSRC2:TGID_Y_EN: 0
; COMPUTE_PGM_RSRC2:TGID_Z_EN: 0
; COMPUTE_PGM_RSRC2:TIDIG_COMP_CNT: 0
	.section	.text._ZN7rocprim17ROCPRIM_400000_NS6detail17trampoline_kernelINS0_14default_configENS1_25partition_config_selectorILNS1_17partition_subalgoE9EtjbEEZZNS1_14partition_implILS5_9ELb0ES3_jN6thrust23THRUST_200600_302600_NS6detail15normal_iteratorINS9_10device_ptrItEEEENSB_INSC_IjEEEEPNS0_10empty_typeENS0_5tupleIJSE_SH_EEENSJ_IJNS9_16discard_iteratorINS9_11use_defaultEEESI_EEENS0_18inequality_wrapperINS9_8equal_toItEEEEPmJSH_EEE10hipError_tPvRmT3_T4_T5_T6_T7_T9_mT8_P12ihipStream_tbDpT10_ENKUlT_T0_E_clISt17integral_constantIbLb0EES1C_IbLb1EEEEDaS18_S19_EUlS18_E_NS1_11comp_targetILNS1_3genE9ELNS1_11target_archE1100ELNS1_3gpuE3ELNS1_3repE0EEENS1_30default_config_static_selectorELNS0_4arch9wavefront6targetE0EEEvT1_,"axG",@progbits,_ZN7rocprim17ROCPRIM_400000_NS6detail17trampoline_kernelINS0_14default_configENS1_25partition_config_selectorILNS1_17partition_subalgoE9EtjbEEZZNS1_14partition_implILS5_9ELb0ES3_jN6thrust23THRUST_200600_302600_NS6detail15normal_iteratorINS9_10device_ptrItEEEENSB_INSC_IjEEEEPNS0_10empty_typeENS0_5tupleIJSE_SH_EEENSJ_IJNS9_16discard_iteratorINS9_11use_defaultEEESI_EEENS0_18inequality_wrapperINS9_8equal_toItEEEEPmJSH_EEE10hipError_tPvRmT3_T4_T5_T6_T7_T9_mT8_P12ihipStream_tbDpT10_ENKUlT_T0_E_clISt17integral_constantIbLb0EES1C_IbLb1EEEEDaS18_S19_EUlS18_E_NS1_11comp_targetILNS1_3genE9ELNS1_11target_archE1100ELNS1_3gpuE3ELNS1_3repE0EEENS1_30default_config_static_selectorELNS0_4arch9wavefront6targetE0EEEvT1_,comdat
	.protected	_ZN7rocprim17ROCPRIM_400000_NS6detail17trampoline_kernelINS0_14default_configENS1_25partition_config_selectorILNS1_17partition_subalgoE9EtjbEEZZNS1_14partition_implILS5_9ELb0ES3_jN6thrust23THRUST_200600_302600_NS6detail15normal_iteratorINS9_10device_ptrItEEEENSB_INSC_IjEEEEPNS0_10empty_typeENS0_5tupleIJSE_SH_EEENSJ_IJNS9_16discard_iteratorINS9_11use_defaultEEESI_EEENS0_18inequality_wrapperINS9_8equal_toItEEEEPmJSH_EEE10hipError_tPvRmT3_T4_T5_T6_T7_T9_mT8_P12ihipStream_tbDpT10_ENKUlT_T0_E_clISt17integral_constantIbLb0EES1C_IbLb1EEEEDaS18_S19_EUlS18_E_NS1_11comp_targetILNS1_3genE9ELNS1_11target_archE1100ELNS1_3gpuE3ELNS1_3repE0EEENS1_30default_config_static_selectorELNS0_4arch9wavefront6targetE0EEEvT1_ ; -- Begin function _ZN7rocprim17ROCPRIM_400000_NS6detail17trampoline_kernelINS0_14default_configENS1_25partition_config_selectorILNS1_17partition_subalgoE9EtjbEEZZNS1_14partition_implILS5_9ELb0ES3_jN6thrust23THRUST_200600_302600_NS6detail15normal_iteratorINS9_10device_ptrItEEEENSB_INSC_IjEEEEPNS0_10empty_typeENS0_5tupleIJSE_SH_EEENSJ_IJNS9_16discard_iteratorINS9_11use_defaultEEESI_EEENS0_18inequality_wrapperINS9_8equal_toItEEEEPmJSH_EEE10hipError_tPvRmT3_T4_T5_T6_T7_T9_mT8_P12ihipStream_tbDpT10_ENKUlT_T0_E_clISt17integral_constantIbLb0EES1C_IbLb1EEEEDaS18_S19_EUlS18_E_NS1_11comp_targetILNS1_3genE9ELNS1_11target_archE1100ELNS1_3gpuE3ELNS1_3repE0EEENS1_30default_config_static_selectorELNS0_4arch9wavefront6targetE0EEEvT1_
	.globl	_ZN7rocprim17ROCPRIM_400000_NS6detail17trampoline_kernelINS0_14default_configENS1_25partition_config_selectorILNS1_17partition_subalgoE9EtjbEEZZNS1_14partition_implILS5_9ELb0ES3_jN6thrust23THRUST_200600_302600_NS6detail15normal_iteratorINS9_10device_ptrItEEEENSB_INSC_IjEEEEPNS0_10empty_typeENS0_5tupleIJSE_SH_EEENSJ_IJNS9_16discard_iteratorINS9_11use_defaultEEESI_EEENS0_18inequality_wrapperINS9_8equal_toItEEEEPmJSH_EEE10hipError_tPvRmT3_T4_T5_T6_T7_T9_mT8_P12ihipStream_tbDpT10_ENKUlT_T0_E_clISt17integral_constantIbLb0EES1C_IbLb1EEEEDaS18_S19_EUlS18_E_NS1_11comp_targetILNS1_3genE9ELNS1_11target_archE1100ELNS1_3gpuE3ELNS1_3repE0EEENS1_30default_config_static_selectorELNS0_4arch9wavefront6targetE0EEEvT1_
	.p2align	8
	.type	_ZN7rocprim17ROCPRIM_400000_NS6detail17trampoline_kernelINS0_14default_configENS1_25partition_config_selectorILNS1_17partition_subalgoE9EtjbEEZZNS1_14partition_implILS5_9ELb0ES3_jN6thrust23THRUST_200600_302600_NS6detail15normal_iteratorINS9_10device_ptrItEEEENSB_INSC_IjEEEEPNS0_10empty_typeENS0_5tupleIJSE_SH_EEENSJ_IJNS9_16discard_iteratorINS9_11use_defaultEEESI_EEENS0_18inequality_wrapperINS9_8equal_toItEEEEPmJSH_EEE10hipError_tPvRmT3_T4_T5_T6_T7_T9_mT8_P12ihipStream_tbDpT10_ENKUlT_T0_E_clISt17integral_constantIbLb0EES1C_IbLb1EEEEDaS18_S19_EUlS18_E_NS1_11comp_targetILNS1_3genE9ELNS1_11target_archE1100ELNS1_3gpuE3ELNS1_3repE0EEENS1_30default_config_static_selectorELNS0_4arch9wavefront6targetE0EEEvT1_,@function
_ZN7rocprim17ROCPRIM_400000_NS6detail17trampoline_kernelINS0_14default_configENS1_25partition_config_selectorILNS1_17partition_subalgoE9EtjbEEZZNS1_14partition_implILS5_9ELb0ES3_jN6thrust23THRUST_200600_302600_NS6detail15normal_iteratorINS9_10device_ptrItEEEENSB_INSC_IjEEEEPNS0_10empty_typeENS0_5tupleIJSE_SH_EEENSJ_IJNS9_16discard_iteratorINS9_11use_defaultEEESI_EEENS0_18inequality_wrapperINS9_8equal_toItEEEEPmJSH_EEE10hipError_tPvRmT3_T4_T5_T6_T7_T9_mT8_P12ihipStream_tbDpT10_ENKUlT_T0_E_clISt17integral_constantIbLb0EES1C_IbLb1EEEEDaS18_S19_EUlS18_E_NS1_11comp_targetILNS1_3genE9ELNS1_11target_archE1100ELNS1_3gpuE3ELNS1_3repE0EEENS1_30default_config_static_selectorELNS0_4arch9wavefront6targetE0EEEvT1_: ; @_ZN7rocprim17ROCPRIM_400000_NS6detail17trampoline_kernelINS0_14default_configENS1_25partition_config_selectorILNS1_17partition_subalgoE9EtjbEEZZNS1_14partition_implILS5_9ELb0ES3_jN6thrust23THRUST_200600_302600_NS6detail15normal_iteratorINS9_10device_ptrItEEEENSB_INSC_IjEEEEPNS0_10empty_typeENS0_5tupleIJSE_SH_EEENSJ_IJNS9_16discard_iteratorINS9_11use_defaultEEESI_EEENS0_18inequality_wrapperINS9_8equal_toItEEEEPmJSH_EEE10hipError_tPvRmT3_T4_T5_T6_T7_T9_mT8_P12ihipStream_tbDpT10_ENKUlT_T0_E_clISt17integral_constantIbLb0EES1C_IbLb1EEEEDaS18_S19_EUlS18_E_NS1_11comp_targetILNS1_3genE9ELNS1_11target_archE1100ELNS1_3gpuE3ELNS1_3repE0EEENS1_30default_config_static_selectorELNS0_4arch9wavefront6targetE0EEEvT1_
; %bb.0:
	s_clause 0x5
	s_load_b128 s[4:7], s[0:1], 0x8
	s_load_b64 s[8:9], s[0:1], 0x18
	s_load_b64 s[16:17], s[0:1], 0x28
	s_load_b128 s[12:15], s[0:1], 0x48
	s_load_b64 s[10:11], s[0:1], 0x58
	s_load_b64 s[18:19], s[0:1], 0x68
	v_cmp_ne_u32_e64 s3, 0, v0
	v_cmp_eq_u32_e64 s2, 0, v0
	s_delay_alu instid0(VALU_DEP_1)
	s_and_saveexec_b32 s20, s2
	s_cbranch_execz .LBB947_4
; %bb.1:
	s_mov_b32 s22, exec_lo
	s_mov_b32 s21, exec_lo
	v_mbcnt_lo_u32_b32 v1, s22, 0
                                        ; implicit-def: $vgpr2
	s_delay_alu instid0(VALU_DEP_1)
	v_cmpx_eq_u32_e32 0, v1
	s_cbranch_execz .LBB947_3
; %bb.2:
	s_load_b64 s[24:25], s[0:1], 0x78
	s_bcnt1_i32_b32 s22, s22
	s_delay_alu instid0(SALU_CYCLE_1)
	v_dual_mov_b32 v2, 0 :: v_dual_mov_b32 v3, s22
	s_waitcnt lgkmcnt(0)
	global_atomic_add_u32 v2, v2, v3, s[24:25] glc
.LBB947_3:
	s_or_b32 exec_lo, exec_lo, s21
	s_waitcnt vmcnt(0)
	v_readfirstlane_b32 s21, v2
	s_delay_alu instid0(VALU_DEP_1)
	v_dual_mov_b32 v2, 0 :: v_dual_add_nc_u32 v1, s21, v1
	ds_store_b32 v2, v1
.LBB947_4:
	s_or_b32 exec_lo, exec_lo, s20
	v_mov_b32_e32 v1, 0
	s_waitcnt lgkmcnt(0)
	s_barrier
	buffer_gl0_inv
	s_load_b32 s0, s[0:1], 0x70
	ds_load_b32 v2, v1
	s_waitcnt lgkmcnt(0)
	s_barrier
	buffer_gl0_inv
	global_load_b64 v[20:21], v1, s[14:15]
	s_lshl_b64 s[14:15], s[6:7], 1
	s_delay_alu instid0(SALU_CYCLE_1)
	s_add_u32 s23, s4, s14
	s_addc_u32 s24, s5, s15
	s_mov_b32 s5, 0
	s_mul_i32 s1, s0, 0x580
	v_readfirstlane_b32 s20, v2
	s_add_i32 s4, s1, s6
	s_delay_alu instid0(SALU_CYCLE_1)
	s_sub_i32 s21, s10, s4
	s_add_i32 s4, s0, -1
	s_addk_i32 s21, 0x580
	s_add_u32 s0, s6, s1
	s_addc_u32 s1, s7, 0
	s_cmp_eq_u32 s20, s4
	v_cmp_ge_u64_e64 s0, s[0:1], s[10:11]
	s_cselect_b32 s14, -1, 0
	s_mul_i32 s4, s20, 0x580
	s_mov_b32 s11, -1
	s_delay_alu instid0(VALU_DEP_1)
	s_and_b32 s22, s0, s14
	s_lshl_b64 s[0:1], s[4:5], 1
	s_xor_b32 s15, s22, -1
	s_add_u32 s10, s23, s0
	s_addc_u32 s1, s24, s1
	s_and_b32 vcc_lo, exec_lo, s15
	s_cbranch_vccz .LBB947_6
; %bb.5:
	v_lshlrev_b32_e32 v3, 1, v0
	s_mov_b32 s11, s5
	s_delay_alu instid0(VALU_DEP_1) | instskip(NEXT) | instid1(VALU_DEP_1)
	v_add_co_u32 v1, s0, s10, v3
	v_add_co_ci_u32_e64 v2, null, s1, 0, s0
	s_clause 0xa
	flat_load_u16 v4, v[1:2]
	flat_load_u16 v5, v[1:2] offset:256
	flat_load_u16 v6, v[1:2] offset:512
	;; [unrolled: 1-line block ×10, first 2 shown]
	s_waitcnt vmcnt(10) lgkmcnt(10)
	ds_store_b16 v3, v4
	s_waitcnt vmcnt(9) lgkmcnt(10)
	ds_store_b16 v3, v5 offset:256
	s_waitcnt vmcnt(8) lgkmcnt(10)
	ds_store_b16 v3, v6 offset:512
	;; [unrolled: 2-line block ×10, first 2 shown]
	s_waitcnt lgkmcnt(0)
	s_barrier
.LBB947_6:
	v_cmp_gt_u32_e64 s0, s21, v0
	s_and_not1_b32 vcc_lo, exec_lo, s11
	s_cbranch_vccnz .LBB947_30
; %bb.7:
                                        ; implicit-def: $vgpr1_vgpr2_vgpr3_vgpr4_vgpr5_vgpr6_vgpr7_vgpr8
	s_delay_alu instid0(VALU_DEP_1)
	s_and_saveexec_b32 s11, s0
	s_cbranch_execz .LBB947_9
; %bb.8:
	v_lshlrev_b32_e32 v1, 1, v0
	s_delay_alu instid0(VALU_DEP_1) | instskip(NEXT) | instid1(VALU_DEP_1)
	v_add_co_u32 v1, s0, s10, v1
	v_add_co_ci_u32_e64 v2, null, s1, 0, s0
	flat_load_d16_b16 v1, v[1:2]
.LBB947_9:
	s_or_b32 exec_lo, exec_lo, s11
	v_or_b32_e32 v7, 0x80, v0
	s_mov_b32 s0, exec_lo
	s_delay_alu instid0(VALU_DEP_1)
	v_cmpx_gt_u32_e64 s21, v7
	s_cbranch_execz .LBB947_11
; %bb.10:
	v_lshlrev_b32_e32 v7, 1, v0
	s_delay_alu instid0(VALU_DEP_1) | instskip(NEXT) | instid1(VALU_DEP_1)
	v_add_co_u32 v7, s11, s10, v7
	v_add_co_ci_u32_e64 v8, null, s1, 0, s11
	s_waitcnt vmcnt(0) lgkmcnt(0)
	flat_load_d16_hi_b16 v1, v[7:8] offset:256
.LBB947_11:
	s_or_b32 exec_lo, exec_lo, s0
	v_or_b32_e32 v7, 0x100, v0
	s_mov_b32 s0, exec_lo
	s_delay_alu instid0(VALU_DEP_1)
	v_cmpx_gt_u32_e64 s21, v7
	s_cbranch_execz .LBB947_13
; %bb.12:
	v_lshlrev_b32_e32 v7, 1, v0
	s_delay_alu instid0(VALU_DEP_1) | instskip(NEXT) | instid1(VALU_DEP_1)
	v_add_co_u32 v7, s11, s10, v7
	v_add_co_ci_u32_e64 v8, null, s1, 0, s11
	flat_load_d16_b16 v2, v[7:8] offset:512
.LBB947_13:
	s_or_b32 exec_lo, exec_lo, s0
	v_or_b32_e32 v7, 0x180, v0
	s_mov_b32 s0, exec_lo
	s_delay_alu instid0(VALU_DEP_1)
	v_cmpx_gt_u32_e64 s21, v7
	s_cbranch_execz .LBB947_15
; %bb.14:
	v_lshlrev_b32_e32 v7, 1, v0
	s_delay_alu instid0(VALU_DEP_1) | instskip(NEXT) | instid1(VALU_DEP_1)
	v_add_co_u32 v7, s11, s10, v7
	v_add_co_ci_u32_e64 v8, null, s1, 0, s11
	s_waitcnt vmcnt(0) lgkmcnt(0)
	flat_load_d16_hi_b16 v2, v[7:8] offset:768
.LBB947_15:
	s_or_b32 exec_lo, exec_lo, s0
	v_or_b32_e32 v7, 0x200, v0
	s_mov_b32 s0, exec_lo
	s_delay_alu instid0(VALU_DEP_1)
	v_cmpx_gt_u32_e64 s21, v7
	s_cbranch_execz .LBB947_17
; %bb.16:
	v_lshlrev_b32_e32 v7, 1, v0
	s_delay_alu instid0(VALU_DEP_1) | instskip(NEXT) | instid1(VALU_DEP_1)
	v_add_co_u32 v7, s11, s10, v7
	v_add_co_ci_u32_e64 v8, null, s1, 0, s11
	flat_load_d16_b16 v3, v[7:8] offset:1024
.LBB947_17:
	;; [unrolled: 27-line block ×5, first 2 shown]
	s_or_b32 exec_lo, exec_lo, s0
	v_lshlrev_b32_e32 v7, 1, v0
	s_waitcnt vmcnt(0) lgkmcnt(0)
	ds_store_b16 v7, v1
	ds_store_b16_d16_hi v7, v1 offset:256
	ds_store_b16 v7, v2 offset:512
	ds_store_b16_d16_hi v7, v2 offset:768
	ds_store_b16 v7, v3 offset:1024
	ds_store_b16_d16_hi v7, v3 offset:1280
	ds_store_b16 v7, v4 offset:1536
	ds_store_b16_d16_hi v7, v4 offset:1792
	ds_store_b16 v7, v5 offset:2048
	ds_store_b16_d16_hi v7, v5 offset:2304
	ds_store_b16 v7, v6 offset:2560
	s_waitcnt lgkmcnt(0)
	s_barrier
.LBB947_30:
	v_mul_u32_u24_e32 v1, 11, v0
	s_waitcnt vmcnt(0)
	buffer_gl0_inv
	s_lshl_b64 s[24:25], s[6:7], 2
	s_delay_alu instid0(SALU_CYCLE_1)
	s_add_u32 s0, s8, s24
	v_lshlrev_b32_e32 v2, 1, v1
	s_addc_u32 s8, s9, s25
	s_lshl_b64 s[4:5], s[4:5], 2
	ds_load_b128 v[13:16], v2
	ds_load_u16 v40, v2 offset:16
	ds_load_u16 v39, v2 offset:18
	;; [unrolled: 1-line block ×3, first 2 shown]
	s_add_u32 s0, s0, s4
	s_addc_u32 s4, s8, s5
	s_and_b32 vcc_lo, exec_lo, s15
	s_mov_b32 s5, -1
	s_waitcnt lgkmcnt(0)
	s_barrier
	buffer_gl0_inv
	s_cbranch_vccz .LBB947_32
; %bb.31:
	v_lshlrev_b32_e32 v7, 2, v0
	s_delay_alu instid0(VALU_DEP_1) | instskip(NEXT) | instid1(VALU_DEP_1)
	v_add_co_u32 v3, s5, s0, v7
	v_add_co_ci_u32_e64 v4, null, s4, 0, s5
	s_mov_b32 s5, 0
	s_delay_alu instid0(VALU_DEP_2) | instskip(NEXT) | instid1(VALU_DEP_2)
	v_add_co_u32 v5, vcc_lo, 0x1000, v3
	v_add_co_ci_u32_e32 v6, vcc_lo, 0, v4, vcc_lo
	s_clause 0xa
	flat_load_b32 v8, v[3:4]
	flat_load_b32 v9, v[3:4] offset:512
	flat_load_b32 v10, v[3:4] offset:1024
	;; [unrolled: 1-line block ×7, first 2 shown]
	flat_load_b32 v4, v[5:6]
	flat_load_b32 v19, v[5:6] offset:512
	flat_load_b32 v5, v[5:6] offset:1024
	s_waitcnt vmcnt(9) lgkmcnt(9)
	ds_store_2addr_stride64_b32 v7, v8, v9 offset1:2
	s_waitcnt vmcnt(7) lgkmcnt(8)
	ds_store_2addr_stride64_b32 v7, v10, v11 offset0:4 offset1:6
	s_waitcnt vmcnt(5) lgkmcnt(7)
	ds_store_2addr_stride64_b32 v7, v12, v17 offset0:8 offset1:10
	;; [unrolled: 2-line block ×4, first 2 shown]
	s_waitcnt vmcnt(0) lgkmcnt(5)
	ds_store_b32 v7, v5 offset:5120
	s_waitcnt lgkmcnt(0)
	s_barrier
.LBB947_32:
	s_and_not1_b32 vcc_lo, exec_lo, s5
	s_cbranch_vccnz .LBB947_56
; %bb.33:
	s_mov_b32 s5, exec_lo
                                        ; implicit-def: $vgpr3
	v_cmpx_gt_u32_e64 s21, v0
	s_cbranch_execz .LBB947_35
; %bb.34:
	v_lshlrev_b32_e32 v3, 2, v0
	s_delay_alu instid0(VALU_DEP_1) | instskip(NEXT) | instid1(VALU_DEP_1)
	v_add_co_u32 v3, s8, s0, v3
	v_add_co_ci_u32_e64 v4, null, s4, 0, s8
	flat_load_b32 v3, v[3:4]
.LBB947_35:
	s_or_b32 exec_lo, exec_lo, s5
	v_or_b32_e32 v4, 0x80, v0
	s_delay_alu instid0(VALU_DEP_1)
	v_cmp_gt_u32_e32 vcc_lo, s21, v4
                                        ; implicit-def: $vgpr4
	s_and_saveexec_b32 s5, vcc_lo
	s_cbranch_execz .LBB947_37
; %bb.36:
	v_lshlrev_b32_e32 v4, 2, v0
	s_delay_alu instid0(VALU_DEP_1) | instskip(NEXT) | instid1(VALU_DEP_1)
	v_add_co_u32 v4, s8, s0, v4
	v_add_co_ci_u32_e64 v5, null, s4, 0, s8
	flat_load_b32 v4, v[4:5] offset:512
.LBB947_37:
	s_or_b32 exec_lo, exec_lo, s5
	v_or_b32_e32 v5, 0x100, v0
	s_delay_alu instid0(VALU_DEP_1)
	v_cmp_gt_u32_e32 vcc_lo, s21, v5
                                        ; implicit-def: $vgpr5
	s_and_saveexec_b32 s5, vcc_lo
	s_cbranch_execz .LBB947_39
; %bb.38:
	v_lshlrev_b32_e32 v5, 2, v0
	s_delay_alu instid0(VALU_DEP_1) | instskip(NEXT) | instid1(VALU_DEP_1)
	v_add_co_u32 v5, s8, s0, v5
	v_add_co_ci_u32_e64 v6, null, s4, 0, s8
	flat_load_b32 v5, v[5:6] offset:1024
.LBB947_39:
	s_or_b32 exec_lo, exec_lo, s5
	v_or_b32_e32 v6, 0x180, v0
	s_delay_alu instid0(VALU_DEP_1)
	v_cmp_gt_u32_e32 vcc_lo, s21, v6
                                        ; implicit-def: $vgpr6
	s_and_saveexec_b32 s5, vcc_lo
	s_cbranch_execz .LBB947_41
; %bb.40:
	v_lshlrev_b32_e32 v6, 2, v0
	s_delay_alu instid0(VALU_DEP_1) | instskip(NEXT) | instid1(VALU_DEP_1)
	v_add_co_u32 v6, s8, s0, v6
	v_add_co_ci_u32_e64 v7, null, s4, 0, s8
	flat_load_b32 v6, v[6:7] offset:1536
.LBB947_41:
	s_or_b32 exec_lo, exec_lo, s5
	v_or_b32_e32 v7, 0x200, v0
	s_delay_alu instid0(VALU_DEP_1)
	v_cmp_gt_u32_e32 vcc_lo, s21, v7
                                        ; implicit-def: $vgpr7
	s_and_saveexec_b32 s5, vcc_lo
	s_cbranch_execz .LBB947_43
; %bb.42:
	v_lshlrev_b32_e32 v7, 2, v0
	s_delay_alu instid0(VALU_DEP_1) | instskip(NEXT) | instid1(VALU_DEP_1)
	v_add_co_u32 v7, s8, s0, v7
	v_add_co_ci_u32_e64 v8, null, s4, 0, s8
	flat_load_b32 v7, v[7:8] offset:2048
.LBB947_43:
	s_or_b32 exec_lo, exec_lo, s5
	v_or_b32_e32 v8, 0x280, v0
	s_delay_alu instid0(VALU_DEP_1)
	v_cmp_gt_u32_e32 vcc_lo, s21, v8
                                        ; implicit-def: $vgpr8
	s_and_saveexec_b32 s5, vcc_lo
	s_cbranch_execz .LBB947_45
; %bb.44:
	v_lshlrev_b32_e32 v8, 2, v0
	s_delay_alu instid0(VALU_DEP_1) | instskip(NEXT) | instid1(VALU_DEP_1)
	v_add_co_u32 v8, s8, s0, v8
	v_add_co_ci_u32_e64 v9, null, s4, 0, s8
	flat_load_b32 v8, v[8:9] offset:2560
.LBB947_45:
	s_or_b32 exec_lo, exec_lo, s5
	v_or_b32_e32 v9, 0x300, v0
	s_delay_alu instid0(VALU_DEP_1)
	v_cmp_gt_u32_e32 vcc_lo, s21, v9
                                        ; implicit-def: $vgpr9
	s_and_saveexec_b32 s5, vcc_lo
	s_cbranch_execz .LBB947_47
; %bb.46:
	v_lshlrev_b32_e32 v9, 2, v0
	s_delay_alu instid0(VALU_DEP_1) | instskip(NEXT) | instid1(VALU_DEP_1)
	v_add_co_u32 v9, s8, s0, v9
	v_add_co_ci_u32_e64 v10, null, s4, 0, s8
	flat_load_b32 v9, v[9:10] offset:3072
.LBB947_47:
	s_or_b32 exec_lo, exec_lo, s5
	v_or_b32_e32 v10, 0x380, v0
	s_delay_alu instid0(VALU_DEP_1)
	v_cmp_gt_u32_e32 vcc_lo, s21, v10
                                        ; implicit-def: $vgpr10
	s_and_saveexec_b32 s5, vcc_lo
	s_cbranch_execz .LBB947_49
; %bb.48:
	v_lshlrev_b32_e32 v10, 2, v0
	s_delay_alu instid0(VALU_DEP_1) | instskip(NEXT) | instid1(VALU_DEP_1)
	v_add_co_u32 v10, s8, s0, v10
	v_add_co_ci_u32_e64 v11, null, s4, 0, s8
	flat_load_b32 v10, v[10:11] offset:3584
.LBB947_49:
	s_or_b32 exec_lo, exec_lo, s5
	v_or_b32_e32 v12, 0x400, v0
	s_mov_b32 s5, exec_lo
                                        ; implicit-def: $vgpr11
	s_delay_alu instid0(VALU_DEP_1)
	v_cmpx_gt_u32_e64 s21, v12
	s_cbranch_execz .LBB947_51
; %bb.50:
	v_lshlrev_b32_e32 v11, 2, v12
	s_delay_alu instid0(VALU_DEP_1) | instskip(NEXT) | instid1(VALU_DEP_1)
	v_add_co_u32 v11, s8, s0, v11
	v_add_co_ci_u32_e64 v12, null, s4, 0, s8
	flat_load_b32 v11, v[11:12]
.LBB947_51:
	s_or_b32 exec_lo, exec_lo, s5
	v_or_b32_e32 v17, 0x480, v0
	s_mov_b32 s5, exec_lo
                                        ; implicit-def: $vgpr12
	s_delay_alu instid0(VALU_DEP_1)
	v_cmpx_gt_u32_e64 s21, v17
	s_cbranch_execz .LBB947_53
; %bb.52:
	v_lshlrev_b32_e32 v12, 2, v17
	s_delay_alu instid0(VALU_DEP_1) | instskip(NEXT) | instid1(VALU_DEP_1)
	v_add_co_u32 v17, s8, s0, v12
	v_add_co_ci_u32_e64 v18, null, s4, 0, s8
	flat_load_b32 v12, v[17:18]
.LBB947_53:
	s_or_b32 exec_lo, exec_lo, s5
	v_or_b32_e32 v18, 0x500, v0
	s_mov_b32 s5, exec_lo
                                        ; implicit-def: $vgpr17
	s_delay_alu instid0(VALU_DEP_1)
	v_cmpx_gt_u32_e64 s21, v18
	s_cbranch_execz .LBB947_55
; %bb.54:
	v_lshlrev_b32_e32 v17, 2, v18
	s_delay_alu instid0(VALU_DEP_1) | instskip(NEXT) | instid1(VALU_DEP_1)
	v_add_co_u32 v17, s0, s0, v17
	v_add_co_ci_u32_e64 v18, null, s4, 0, s0
	flat_load_b32 v17, v[17:18]
.LBB947_55:
	s_or_b32 exec_lo, exec_lo, s5
	v_mad_i32_i24 v2, 0xffffffee, v0, v2
	s_waitcnt vmcnt(0) lgkmcnt(0)
	ds_store_2addr_stride64_b32 v2, v3, v4 offset1:2
	ds_store_2addr_stride64_b32 v2, v5, v6 offset0:4 offset1:6
	ds_store_2addr_stride64_b32 v2, v7, v8 offset0:8 offset1:10
	;; [unrolled: 1-line block ×4, first 2 shown]
	ds_store_b32 v2, v17 offset:5120
	s_waitcnt lgkmcnt(0)
	s_barrier
.LBB947_56:
	v_lshlrev_b32_e32 v46, 2, v1
	buffer_gl0_inv
	s_cmp_lg_u32 s20, 0
	v_lshrrev_b32_e32 v44, 16, v13
	s_cselect_b32 s23, -1, 0
	ds_load_2addr_b32 v[30:31], v46 offset1:1
	ds_load_2addr_b32 v[28:29], v46 offset0:2 offset1:3
	ds_load_2addr_b32 v[26:27], v46 offset0:4 offset1:5
	;; [unrolled: 1-line block ×4, first 2 shown]
	ds_load_b32 v38, v46 offset:40
	s_cmp_lg_u64 s[6:7], 0
	v_lshrrev_b32_e32 v43, 16, v14
	s_cselect_b32 s0, -1, 0
	v_lshrrev_b32_e32 v42, 16, v15
	v_lshrrev_b32_e32 v41, 16, v16
	v_add_nc_u32_e32 v5, 1, v1
	v_add_nc_u32_e32 v6, 2, v1
	;; [unrolled: 1-line block ×10, first 2 shown]
	s_or_b32 s0, s0, s23
	s_mov_b32 s24, 0
	s_and_b32 vcc_lo, exec_lo, s0
	s_waitcnt lgkmcnt(0)
	s_barrier
	buffer_gl0_inv
	s_cbranch_vccz .LBB947_61
; %bb.57:
	v_add_co_u32 v17, s0, -2, s10
	s_delay_alu instid0(VALU_DEP_1)
	v_add_co_ci_u32_e64 v18, null, -1, s1, s0
	s_mov_b32 s1, -1
	s_and_b32 vcc_lo, exec_lo, s15
	flat_load_u16 v17, v[17:18]
	v_lshlrev_b32_e32 v18, 1, v0
	ds_store_b16 v18, v35
	s_cbranch_vccz .LBB947_63
; %bb.58:
	s_waitcnt vmcnt(0) lgkmcnt(1)
	v_mov_b32_e32 v19, v17
	s_waitcnt lgkmcnt(0)
	s_barrier
	buffer_gl0_inv
	s_and_saveexec_b32 s0, s3
	s_cbranch_execz .LBB947_60
; %bb.59:
	v_add_nc_u32_e32 v12, -2, v18
	ds_load_u16 v19, v12
.LBB947_60:
	s_or_b32 exec_lo, exec_lo, s0
	v_cmp_ne_u16_e32 vcc_lo, v16, v41
	s_waitcnt lgkmcnt(0)
	v_cmp_ne_u16_e64 s0, v19, v13
	v_cndmask_b32_e64 v12, 0, 1, vcc_lo
	v_cmp_ne_u16_e32 vcc_lo, v42, v16
	s_delay_alu instid0(VALU_DEP_2) | instskip(SKIP_2) | instid1(VALU_DEP_2)
	v_lshlrev_b16 v12, 8, v12
	v_cndmask_b32_e64 v32, 0, 1, vcc_lo
	v_cmp_ne_u16_e32 vcc_lo, v15, v42
	v_or_b32_e32 v32, v32, v12
	v_cndmask_b32_e64 v33, 0, 1, vcc_lo
	v_cmp_ne_u16_e32 vcc_lo, v43, v15
	s_delay_alu instid0(VALU_DEP_2) | instskip(SKIP_2) | instid1(VALU_DEP_2)
	v_lshlrev_b16 v33, 8, v33
	v_cndmask_b32_e64 v34, 0, 1, vcc_lo
	v_cmp_ne_u16_e32 vcc_lo, v14, v43
	v_or_b32_e32 v33, v34, v33
	v_cndmask_b32_e64 v36, 0, 1, vcc_lo
	v_cmp_ne_u16_e32 vcc_lo, v44, v14
	s_delay_alu instid0(VALU_DEP_3) | instskip(NEXT) | instid1(VALU_DEP_3)
	v_and_b32_e32 v33, 0xffff, v33
	v_lshlrev_b16 v47, 8, v36
	v_cndmask_b32_e64 v37, 0, 1, vcc_lo
	v_cmp_ne_u16_e32 vcc_lo, v13, v44
	s_delay_alu instid0(VALU_DEP_2) | instskip(SKIP_3) | instid1(VALU_DEP_4)
	v_or_b32_e32 v37, v37, v47
	v_cndmask_b32_e64 v45, 0, 1, vcc_lo
	v_cmp_ne_u16_e32 vcc_lo, v39, v35
	v_lshlrev_b32_e32 v47, 16, v32
	v_lshlrev_b32_e32 v37, 16, v37
	s_delay_alu instid0(VALU_DEP_4) | instskip(SKIP_3) | instid1(VALU_DEP_4)
	v_lshlrev_b16 v45, 8, v45
	v_cndmask_b32_e64 v36, 0, 1, vcc_lo
	v_cmp_ne_u16_e32 vcc_lo, v40, v39
	v_or_b32_e32 v33, v33, v47
	v_and_b32_e32 v45, 0xffff, v45
	v_cndmask_b32_e64 v12, 0, 1, vcc_lo
	v_cmp_ne_u16_e32 vcc_lo, v41, v40
	s_delay_alu instid0(VALU_DEP_3)
	v_or_b32_e32 v32, v45, v37
	v_cndmask_b32_e64 v34, 0, 1, vcc_lo
	s_branch .LBB947_67
.LBB947_61:
                                        ; implicit-def: $sgpr0
                                        ; implicit-def: $vgpr36
                                        ; implicit-def: $vgpr12
                                        ; implicit-def: $vgpr34
                                        ; implicit-def: $vgpr33
	s_branch .LBB947_68
.LBB947_62:
                                        ; implicit-def: $vgpr17_vgpr18_vgpr19
	s_and_saveexec_b32 s1, s24
	s_cbranch_execnz .LBB947_76
	s_branch .LBB947_77
.LBB947_63:
                                        ; implicit-def: $sgpr0
                                        ; implicit-def: $vgpr36
                                        ; implicit-def: $vgpr12
                                        ; implicit-def: $vgpr34
                                        ; implicit-def: $vgpr33
	s_and_b32 vcc_lo, exec_lo, s1
	s_cbranch_vccz .LBB947_67
; %bb.64:
	s_waitcnt vmcnt(0) lgkmcnt(0)
	s_barrier
	buffer_gl0_inv
	s_and_saveexec_b32 s0, s3
	s_cbranch_execz .LBB947_66
; %bb.65:
	v_add_nc_u32_e32 v12, -2, v18
	ds_load_u16 v17, v12
.LBB947_66:
	s_or_b32 exec_lo, exec_lo, s0
	v_cmp_gt_u32_e32 vcc_lo, s21, v9
	v_cmp_ne_u16_e64 s0, v39, v35
	v_cmp_gt_u32_e64 s1, s21, v10
	v_cmp_ne_u16_e64 s4, v40, v39
	v_cmp_gt_u32_e64 s5, s21, v5
	v_cmp_ne_u16_e64 s6, v13, v44
	s_and_b32 s0, vcc_lo, s0
	v_cmp_gt_u32_e32 vcc_lo, s21, v2
	v_cndmask_b32_e64 v36, 0, 1, s0
	v_cmp_ne_u16_e64 s0, v16, v41
	s_and_b32 s1, s1, s4
	v_cmp_ne_u16_e64 s4, v42, v16
	v_cndmask_b32_e64 v12, 0, 1, s1
	v_cmp_gt_u32_e64 s1, s21, v4
	s_and_b32 s0, vcc_lo, s0
	v_cmp_gt_u32_e32 vcc_lo, s21, v7
	v_cndmask_b32_e64 v18, 0, 1, s0
	v_cmp_ne_u16_e64 s0, v15, v42
	s_and_b32 s1, s1, s4
	v_cmp_ne_u16_e64 s4, v14, v43
	v_cndmask_b32_e64 v19, 0, 1, s1
	v_cmp_gt_u32_e64 s1, s21, v3
	;; [unrolled: 8-line block ×3, first 2 shown]
	s_and_b32 s0, vcc_lo, s0
	v_lshlrev_b16 v32, 8, v32
	v_cndmask_b32_e64 v34, 0, 1, s0
	v_lshlrev_b16 v33, 8, v33
	s_and_b32 s0, s1, s4
	v_lshlrev_b16 v18, 8, v18
	v_cndmask_b32_e64 v37, 0, 1, s0
	s_and_b32 s0, s5, s6
	v_or_b32_e32 v32, v34, v32
	v_cndmask_b32_e64 v45, 0, 1, s0
	v_or_b32_e32 v18, v19, v18
	v_or_b32_e32 v33, v37, v33
	v_cmp_gt_u32_e32 vcc_lo, s21, v11
	v_cmp_ne_u16_e64 s0, v41, v40
	v_lshlrev_b16 v37, 8, v45
	v_lshlrev_b32_e32 v18, 16, v18
	v_lshlrev_b32_e32 v19, 16, v33
	s_delay_alu instid0(VALU_DEP_4) | instskip(NEXT) | instid1(VALU_DEP_3)
	s_and_b32 s0, vcc_lo, s0
	v_and_b32_e32 v33, 0xffff, v37
	v_and_b32_e32 v37, 0xffff, v32
	v_cndmask_b32_e64 v34, 0, 1, s0
	v_cmp_gt_u32_e32 vcc_lo, s21, v1
	s_waitcnt lgkmcnt(0)
	v_cmp_ne_u16_e64 s0, v17, v13
	v_or_b32_e32 v32, v33, v19
	v_or_b32_e32 v33, v37, v18
	s_delay_alu instid0(VALU_DEP_3)
	s_and_b32 s0, vcc_lo, s0
.LBB947_67:
	s_mov_b32 s24, -1
	s_cbranch_execnz .LBB947_62
.LBB947_68:
	v_mad_i32_i24 v37, 0xffffffd6, v0, v46
	v_cmp_ne_u16_e64 s0, v39, v35
	v_cmp_ne_u16_e64 s9, v40, v39
	;; [unrolled: 1-line block ×10, first 2 shown]
	s_and_b32 vcc_lo, exec_lo, s15
	ds_store_b16 v37, v35
	s_cbranch_vccz .LBB947_72
; %bb.69:
	s_waitcnt vmcnt(0) lgkmcnt(2)
	v_cndmask_b32_e64 v17, 0, 1, s11
	v_cndmask_b32_e64 v12, 0, 1, s9
	;; [unrolled: 1-line block ×5, first 2 shown]
	v_lshlrev_b16 v17, 8, v17
	v_cndmask_b32_e64 v45, 0, 1, s4
	v_cndmask_b32_e64 v34, 0, 1, s10
	;; [unrolled: 1-line block ×4, first 2 shown]
	v_lshlrev_b16 v18, 8, v18
	v_lshlrev_b16 v47, 8, v12
	v_or_b32_e32 v17, v32, v17
	v_lshlrev_b16 v32, 8, v33
	v_lshlrev_b16 v33, 8, v45
	v_or_b32_e32 v18, v19, v18
	v_or_b32_e32 v19, v34, v47
	v_and_b32_e32 v17, 0xffff, v17
	v_or_b32_e32 v32, v36, v32
	v_or_b32_e32 v33, 1, v33
	v_lshlrev_b32_e32 v18, 16, v18
	v_and_b32_e32 v19, 0xffff, v19
	v_cndmask_b32_e64 v36, 0, 1, s0
	v_lshlrev_b32_e32 v32, 16, v32
	v_and_b32_e32 v45, 0xffff, v33
	v_or_b32_e32 v33, v17, v18
	s_waitcnt lgkmcnt(0)
	v_lshl_or_b32 v19, v36, 16, v19
	s_barrier
	v_or_b32_e32 v32, v45, v32
	buffer_gl0_inv
                                        ; implicit-def: $sgpr0
	s_and_saveexec_b32 s1, s3
	s_delay_alu instid0(SALU_CYCLE_1)
	s_xor_b32 s1, exec_lo, s1
	s_cbranch_execz .LBB947_71
; %bb.70:
	v_add_nc_u32_e32 v17, -2, v37
	s_or_b32 s24, s24, exec_lo
	ds_load_u16 v17, v17
	s_waitcnt lgkmcnt(0)
	v_cmp_ne_u16_e32 vcc_lo, v17, v13
                                        ; implicit-def: $vgpr17_vgpr18_vgpr19
	s_and_b32 s0, vcc_lo, exec_lo
.LBB947_71:
	s_or_b32 exec_lo, exec_lo, s1
	s_branch .LBB947_75
.LBB947_72:
                                        ; implicit-def: $sgpr0
                                        ; implicit-def: $vgpr36
                                        ; implicit-def: $vgpr12
                                        ; implicit-def: $vgpr34
                                        ; implicit-def: $vgpr33
                                        ; implicit-def: $vgpr17_vgpr18_vgpr19
	s_cbranch_execz .LBB947_75
; %bb.73:
	v_cmp_gt_u32_e32 vcc_lo, s21, v10
	v_cmp_ne_u16_e64 s0, v40, v39
	v_cmp_gt_u32_e64 s5, s21, v11
	v_cmp_ne_u16_e64 s6, v41, v40
	v_cmp_gt_u32_e64 s1, s21, v9
	v_cmp_ne_u16_e64 s4, v39, v35
	s_and_b32 s0, vcc_lo, s0
	v_cmp_gt_u32_e32 vcc_lo, s21, v2
	v_cndmask_b32_e64 v12, 0, 1, s0
	v_cmp_ne_u16_e64 s0, v16, v41
	s_and_b32 s5, s5, s6
	v_cmp_ne_u16_e64 s6, v42, v16
	v_cndmask_b32_e64 v34, 0, 1, s5
	v_cmp_gt_u32_e64 s5, s21, v4
	s_and_b32 s0, vcc_lo, s0
	v_cmp_gt_u32_e32 vcc_lo, s21, v7
	s_waitcnt vmcnt(0) lgkmcnt(2)
	v_cndmask_b32_e64 v17, 0, 1, s0
	v_cmp_ne_u16_e64 s0, v15, v42
	s_and_b32 s5, s5, s6
	v_cmp_ne_u16_e64 s6, v43, v15
	v_cndmask_b32_e64 v18, 0, 1, s5
	v_cmp_gt_u32_e64 s5, s21, v8
	s_and_b32 s0, vcc_lo, s0
	v_cmp_gt_u32_e32 vcc_lo, s21, v3
	v_cndmask_b32_e64 v19, 0, 1, s0
	v_cmp_ne_u16_e64 s0, v14, v43
	s_and_b32 s5, s5, s6
	v_cmp_ne_u16_e64 s6, v44, v14
	v_cndmask_b32_e64 v32, 0, 1, s5
	v_cmp_gt_u32_e64 s5, s21, v6
	s_and_b32 s0, vcc_lo, s0
	v_cmp_gt_u32_e32 vcc_lo, s21, v5
	v_cndmask_b32_e64 v33, 0, 1, s0
	v_cmp_ne_u16_e64 s0, v13, v44
	v_lshlrev_b16 v19, 8, v19
	v_lshlrev_b16 v17, 8, v17
	s_and_b32 s5, s5, s6
	v_lshlrev_b16 v47, 8, v12
	s_and_b32 s0, vcc_lo, s0
	v_cndmask_b32_e64 v36, 0, 1, s5
	v_cndmask_b32_e64 v45, 0, 1, s0
	v_or_b32_e32 v19, v32, v19
	v_or_b32_e32 v17, v18, v17
	v_lshlrev_b16 v18, 8, v33
	v_or_b32_e32 v33, v34, v47
	v_lshlrev_b16 v32, 8, v45
	s_and_b32 s0, s1, s4
	v_and_b32_e32 v19, 0xffff, v19
	v_or_b32_e32 v18, v36, v18
	v_lshlrev_b32_e32 v17, 16, v17
	v_or_b32_e32 v32, 1, v32
	v_and_b32_e32 v45, 0xffff, v33
	v_cndmask_b32_e64 v36, 0, 1, s0
	v_lshlrev_b32_e32 v18, 16, v18
	v_or_b32_e32 v33, v19, v17
	v_and_b32_e32 v32, 0xffff, v32
	s_waitcnt lgkmcnt(0)
	v_lshl_or_b32 v19, v36, 16, v45
	s_barrier
	buffer_gl0_inv
	v_or_b32_e32 v32, v32, v18
                                        ; implicit-def: $sgpr0
	s_and_saveexec_b32 s1, s3
	s_cbranch_execz .LBB947_216
; %bb.74:
	v_add_nc_u32_e32 v17, -2, v37
	v_cmp_gt_u32_e32 vcc_lo, s21, v1
	s_or_b32 s24, s24, exec_lo
	ds_load_u16 v17, v17
	s_waitcnt lgkmcnt(0)
	v_cmp_ne_u16_e64 s0, v17, v13
                                        ; implicit-def: $vgpr17_vgpr18_vgpr19
	s_delay_alu instid0(VALU_DEP_1) | instskip(NEXT) | instid1(SALU_CYCLE_1)
	s_and_b32 s0, vcc_lo, s0
	s_and_b32 s0, s0, exec_lo
	s_or_b32 exec_lo, exec_lo, s1
.LBB947_75:
	s_and_saveexec_b32 s1, s24
	s_cbranch_execz .LBB947_77
.LBB947_76:
	v_lshrrev_b32_e32 v18, 24, v32
	v_lshrrev_b32_e32 v19, 16, v32
	;; [unrolled: 1-line block ×3, first 2 shown]
	s_waitcnt vmcnt(0) lgkmcnt(1)
	v_cndmask_b32_e64 v17, 0, 1, s0
	v_lshlrev_b16 v12, 8, v12
	v_and_b32_e32 v34, 0xff, v34
	v_lshlrev_b16 v18, 8, v18
	v_and_b32_e32 v19, 0xff, v19
	;; [unrolled: 2-line block ×3, first 2 shown]
	v_or_b32_e32 v12, v34, v12
	s_delay_alu instid0(VALU_DEP_4) | instskip(NEXT) | instid1(VALU_DEP_4)
	v_or_b32_e32 v18, v19, v18
	v_or_b32_e32 v17, v17, v32
	s_delay_alu instid0(VALU_DEP_4) | instskip(NEXT) | instid1(VALU_DEP_4)
	v_lshlrev_b32_e32 v19, 16, v36
	v_and_b32_e32 v12, 0xffff, v12
	s_delay_alu instid0(VALU_DEP_4) | instskip(NEXT) | instid1(VALU_DEP_4)
	v_lshlrev_b32_e32 v18, 16, v18
	v_and_b32_e32 v17, 0xffff, v17
	s_delay_alu instid0(VALU_DEP_3) | instskip(NEXT) | instid1(VALU_DEP_2)
	v_or_b32_e32 v19, v12, v19
	v_or_b32_e32 v32, v17, v18
.LBB947_77:
	s_or_b32 exec_lo, exec_lo, s1
	s_delay_alu instid0(SALU_CYCLE_1)
	s_and_not1_b32 vcc_lo, exec_lo, s22
	s_cbranch_vccnz .LBB947_79
; %bb.78:
	v_cmp_gt_u32_e32 vcc_lo, s21, v1
	v_cmp_gt_u32_e64 s0, s21, v5
	v_cmp_gt_u32_e64 s3, s21, v6
	v_and_b32_e32 v5, 0xffffff00, v33
	v_cmp_gt_u32_e64 s1, s21, v10
	v_dual_cndmask_b32 v1, 0, v32 :: v_dual_and_b32 v12, 0xff000000, v19
	v_cmp_gt_u32_e32 vcc_lo, s21, v11
	v_cmp_gt_u32_e64 s5, s21, v3
	v_cmp_gt_u32_e64 s4, s21, v9
	s_delay_alu instid0(VALU_DEP_4) | instskip(SKIP_1) | instid1(VALU_DEP_2)
	v_and_b32_e32 v1, 0xff, v1
	v_cndmask_b32_e32 v11, v12, v19, vcc_lo
	v_cndmask_b32_e64 v1, v1, v32, s0
	v_cmp_gt_u32_e64 s0, s21, v8
	s_delay_alu instid0(VALU_DEP_3) | instskip(NEXT) | instid1(VALU_DEP_3)
	v_and_b32_e32 v11, 0xff0000ff, v11
	v_and_b32_e32 v1, 0xffff, v1
	s_delay_alu instid0(VALU_DEP_3) | instskip(NEXT) | instid1(VALU_DEP_3)
	v_cndmask_b32_e64 v5, v5, v33, s0
	v_cndmask_b32_e64 v8, v11, v19, s1
	s_or_b32 s1, s4, s1
	s_delay_alu instid0(VALU_DEP_3) | instskip(NEXT) | instid1(VALU_DEP_3)
	v_cndmask_b32_e64 v1, v1, v32, s3
	v_and_b32_e32 v5, 0xffff00ff, v5
	s_delay_alu instid0(VALU_DEP_3) | instskip(SKIP_1) | instid1(VALU_DEP_4)
	v_and_b32_e32 v6, 0xff00ffff, v8
	v_cmp_gt_u32_e64 s3, s21, v7
	v_and_b32_e32 v1, 0xffffff, v1
	s_delay_alu instid0(VALU_DEP_3) | instskip(NEXT) | instid1(VALU_DEP_3)
	v_cndmask_b32_e64 v6, v6, v19, s4
	v_cndmask_b32_e64 v5, v5, v33, s3
	s_delay_alu instid0(VALU_DEP_3) | instskip(NEXT) | instid1(VALU_DEP_2)
	v_cndmask_b32_e64 v1, v1, v32, s5
	v_and_b32_e32 v3, 0xff00ffff, v5
	s_delay_alu instid0(VALU_DEP_4) | instskip(NEXT) | instid1(VALU_DEP_3)
	v_lshrrev_b32_e32 v5, 8, v6
	v_cndmask_b32_e64 v1, v1, v32, s0
	v_cmp_gt_u32_e64 s0, s21, v4
	s_delay_alu instid0(VALU_DEP_3) | instskip(NEXT) | instid1(VALU_DEP_3)
	v_lshlrev_b16 v5, 8, v5
	v_cndmask_b32_e64 v1, v1, v32, s3
	v_cmp_gt_u32_e64 s3, s21, v2
	s_delay_alu instid0(VALU_DEP_4) | instskip(NEXT) | instid1(VALU_DEP_3)
	v_cndmask_b32_e64 v3, v3, v33, s0
	v_cndmask_b32_e64 v1, v1, v32, s0
	s_or_b32 s0, s1, vcc_lo
	s_delay_alu instid0(VALU_DEP_3) | instid1(SALU_CYCLE_1)
	s_or_b32 vcc_lo, s0, s3
	s_delay_alu instid0(VALU_DEP_1) | instskip(NEXT) | instid1(VALU_DEP_1)
	v_dual_cndmask_b32 v1, v1, v32 :: v_dual_and_b32 v2, 0xffffff, v3
	v_dual_cndmask_b32 v33, v2, v33 :: v_dual_and_b32 v4, 0xff, v6
	s_delay_alu instid0(VALU_DEP_2) | instskip(NEXT) | instid1(VALU_DEP_2)
	v_perm_b32 v32, v1, v1, 0x3020104
	v_or_b32_e32 v3, v4, v5
	s_delay_alu instid0(VALU_DEP_1) | instskip(NEXT) | instid1(VALU_DEP_1)
	v_and_b32_e32 v2, 0xffff, v3
	v_and_or_b32 v19, 0xff0000, v6, v2
.LBB947_79:
	s_delay_alu instid0(VALU_DEP_1)
	v_and_b32_e32 v47, 0xff, v32
	v_bfe_u32 v48, v32, 8, 8
	v_alignbit_b32 v1, v33, v32, 24
	v_bfe_u32 v49, v32, 16, 8
	v_and_b32_e32 v50, 0xff, v33
	v_bfe_u32 v52, v33, 8, 8
	v_bfe_u32 v53, v33, 16, 8
	v_and_b32_e32 v51, 0xff, v1
	v_add3_u32 v1, v48, v47, v49
	v_lshrrev_b32_e32 v45, 24, v33
	v_mbcnt_lo_u32_b32 v56, -1, 0
	v_and_b32_e32 v54, 0xff, v19
	v_bfe_u32 v55, v19, 8, 8
	v_add3_u32 v1, v1, v51, v50
	v_bfe_u32 v3, v19, 16, 8
	v_and_b32_e32 v2, 15, v56
	v_or_b32_e32 v4, 31, v0
	v_and_b32_e32 v5, 16, v56
	v_add3_u32 v1, v1, v52, v53
	v_lshrrev_b32_e32 v57, 5, v0
	v_cmp_eq_u32_e64 s6, 0, v2
	v_cmp_lt_u32_e64 s5, 1, v2
	v_cmp_lt_u32_e64 s4, 3, v2
	v_add3_u32 v1, v1, v45, v54
	v_cmp_lt_u32_e64 s3, 7, v2
	v_cmp_eq_u32_e64 s1, 0, v5
	v_cmp_eq_u32_e64 s0, v4, v0
	s_and_b32 vcc_lo, exec_lo, s23
	v_add3_u32 v58, v1, v55, v3
	s_mov_b32 s7, -1
	s_waitcnt vmcnt(0) lgkmcnt(0)
	s_barrier
	buffer_gl0_inv
	s_cbranch_vccz .LBB947_105
; %bb.80:
	v_mov_b32_dpp v1, v58 row_shr:1 row_mask:0xf bank_mask:0xf
	s_delay_alu instid0(VALU_DEP_1) | instskip(NEXT) | instid1(VALU_DEP_1)
	v_cndmask_b32_e64 v1, v1, 0, s6
	v_add_nc_u32_e32 v1, v1, v58
	s_delay_alu instid0(VALU_DEP_1) | instskip(NEXT) | instid1(VALU_DEP_1)
	v_mov_b32_dpp v2, v1 row_shr:2 row_mask:0xf bank_mask:0xf
	v_cndmask_b32_e64 v2, 0, v2, s5
	s_delay_alu instid0(VALU_DEP_1) | instskip(NEXT) | instid1(VALU_DEP_1)
	v_add_nc_u32_e32 v1, v1, v2
	v_mov_b32_dpp v2, v1 row_shr:4 row_mask:0xf bank_mask:0xf
	s_delay_alu instid0(VALU_DEP_1) | instskip(NEXT) | instid1(VALU_DEP_1)
	v_cndmask_b32_e64 v2, 0, v2, s4
	v_add_nc_u32_e32 v1, v1, v2
	s_delay_alu instid0(VALU_DEP_1) | instskip(NEXT) | instid1(VALU_DEP_1)
	v_mov_b32_dpp v2, v1 row_shr:8 row_mask:0xf bank_mask:0xf
	v_cndmask_b32_e64 v2, 0, v2, s3
	s_delay_alu instid0(VALU_DEP_1) | instskip(SKIP_3) | instid1(VALU_DEP_1)
	v_add_nc_u32_e32 v1, v1, v2
	ds_swizzle_b32 v2, v1 offset:swizzle(BROADCAST,32,15)
	s_waitcnt lgkmcnt(0)
	v_cndmask_b32_e64 v2, v2, 0, s1
	v_add_nc_u32_e32 v1, v1, v2
	s_and_saveexec_b32 s7, s0
	s_cbranch_execz .LBB947_82
; %bb.81:
	v_lshlrev_b32_e32 v2, 2, v57
	ds_store_b32 v2, v1
.LBB947_82:
	s_or_b32 exec_lo, exec_lo, s7
	s_delay_alu instid0(SALU_CYCLE_1)
	s_mov_b32 s7, exec_lo
	s_waitcnt lgkmcnt(0)
	s_barrier
	buffer_gl0_inv
	v_cmpx_gt_u32_e32 4, v0
	s_cbranch_execz .LBB947_84
; %bb.83:
	v_and_b32_e32 v4, 3, v56
	s_delay_alu instid0(VALU_DEP_1) | instskip(SKIP_4) | instid1(VALU_DEP_1)
	v_cmp_ne_u32_e32 vcc_lo, 0, v4
	v_lshlrev_b32_e32 v2, 2, v0
	ds_load_b32 v3, v2
	s_waitcnt lgkmcnt(0)
	v_mov_b32_dpp v5, v3 row_shr:1 row_mask:0xf bank_mask:0xf
	v_cndmask_b32_e32 v5, 0, v5, vcc_lo
	v_cmp_lt_u32_e32 vcc_lo, 1, v4
	s_delay_alu instid0(VALU_DEP_2) | instskip(NEXT) | instid1(VALU_DEP_1)
	v_add_nc_u32_e32 v3, v5, v3
	v_mov_b32_dpp v5, v3 row_shr:2 row_mask:0xf bank_mask:0xf
	s_delay_alu instid0(VALU_DEP_1) | instskip(NEXT) | instid1(VALU_DEP_1)
	v_cndmask_b32_e32 v4, 0, v5, vcc_lo
	v_add_nc_u32_e32 v3, v3, v4
	ds_store_b32 v2, v3
.LBB947_84:
	s_or_b32 exec_lo, exec_lo, s7
	v_cmp_gt_u32_e32 vcc_lo, 32, v0
	s_mov_b32 s8, exec_lo
	s_waitcnt lgkmcnt(0)
	s_barrier
	buffer_gl0_inv
                                        ; implicit-def: $vgpr9
	v_cmpx_lt_u32_e32 31, v0
	s_cbranch_execz .LBB947_86
; %bb.85:
	v_lshl_add_u32 v2, v57, 2, -4
	ds_load_b32 v9, v2
	s_waitcnt lgkmcnt(0)
	v_add_nc_u32_e32 v1, v9, v1
.LBB947_86:
	s_or_b32 exec_lo, exec_lo, s8
	v_add_nc_u32_e32 v2, -1, v56
	s_delay_alu instid0(VALU_DEP_1) | instskip(NEXT) | instid1(VALU_DEP_1)
	v_cmp_gt_i32_e64 s7, 0, v2
	v_cndmask_b32_e64 v2, v2, v56, s7
	v_cmp_eq_u32_e64 s7, 0, v56
	s_delay_alu instid0(VALU_DEP_2)
	v_lshlrev_b32_e32 v2, 2, v2
	ds_bpermute_b32 v10, v2, v1
	s_and_saveexec_b32 s8, vcc_lo
	s_cbranch_execz .LBB947_104
; %bb.87:
	v_mov_b32_e32 v5, 0
	ds_load_b32 v1, v5 offset:12
	s_and_saveexec_b32 s9, s7
	s_cbranch_execz .LBB947_89
; %bb.88:
	s_add_i32 s10, s20, 32
	s_mov_b32 s11, 0
	v_mov_b32_e32 v2, 1
	s_lshl_b64 s[10:11], s[10:11], 3
	s_delay_alu instid0(SALU_CYCLE_1)
	s_add_u32 s10, s18, s10
	s_addc_u32 s11, s19, s11
	s_waitcnt lgkmcnt(0)
	global_store_b64 v5, v[1:2], s[10:11]
.LBB947_89:
	s_or_b32 exec_lo, exec_lo, s9
	v_xad_u32 v3, v56, -1, s20
	s_mov_b32 s10, 0
	s_mov_b32 s9, exec_lo
	s_delay_alu instid0(VALU_DEP_1) | instskip(NEXT) | instid1(VALU_DEP_1)
	v_add_nc_u32_e32 v4, 32, v3
	v_lshlrev_b64 v[4:5], 3, v[4:5]
	s_delay_alu instid0(VALU_DEP_1) | instskip(NEXT) | instid1(VALU_DEP_2)
	v_add_co_u32 v7, vcc_lo, s18, v4
	v_add_co_ci_u32_e32 v8, vcc_lo, s19, v5, vcc_lo
	global_load_b64 v[5:6], v[7:8], off glc
	s_waitcnt vmcnt(0)
	v_and_b32_e32 v2, 0xff, v6
	s_delay_alu instid0(VALU_DEP_1)
	v_cmpx_eq_u16_e32 0, v2
	s_cbranch_execz .LBB947_92
.LBB947_90:                             ; =>This Inner Loop Header: Depth=1
	global_load_b64 v[5:6], v[7:8], off glc
	s_waitcnt vmcnt(0)
	v_and_b32_e32 v2, 0xff, v6
	s_delay_alu instid0(VALU_DEP_1) | instskip(SKIP_1) | instid1(SALU_CYCLE_1)
	v_cmp_ne_u16_e32 vcc_lo, 0, v2
	s_or_b32 s10, vcc_lo, s10
	s_and_not1_b32 exec_lo, exec_lo, s10
	s_cbranch_execnz .LBB947_90
; %bb.91:
	s_or_b32 exec_lo, exec_lo, s10
.LBB947_92:
	s_delay_alu instid0(SALU_CYCLE_1)
	s_or_b32 exec_lo, exec_lo, s9
	v_cmp_ne_u32_e32 vcc_lo, 31, v56
	v_lshlrev_b32_e64 v12, v56, -1
	v_add_nc_u32_e32 v18, 2, v56
	v_add_nc_u32_e32 v36, 4, v56
	;; [unrolled: 1-line block ×3, first 2 shown]
	v_add_co_ci_u32_e32 v2, vcc_lo, 0, v56, vcc_lo
	v_add_nc_u32_e32 v61, 16, v56
	s_delay_alu instid0(VALU_DEP_2)
	v_lshlrev_b32_e32 v11, 2, v2
	v_and_b32_e32 v2, 0xff, v6
	ds_bpermute_b32 v4, v11, v5
	v_cmp_eq_u16_e32 vcc_lo, 2, v2
	v_and_or_b32 v2, vcc_lo, v12, 0x80000000
	v_cmp_gt_u32_e32 vcc_lo, 30, v56
	s_delay_alu instid0(VALU_DEP_2) | instskip(SKIP_1) | instid1(VALU_DEP_2)
	v_ctz_i32_b32_e32 v2, v2
	v_cndmask_b32_e64 v7, 0, 1, vcc_lo
	v_cmp_lt_u32_e32 vcc_lo, v56, v2
	s_waitcnt lgkmcnt(0)
	s_delay_alu instid0(VALU_DEP_2) | instskip(NEXT) | instid1(VALU_DEP_1)
	v_dual_cndmask_b32 v4, 0, v4 :: v_dual_lshlrev_b32 v7, 1, v7
	v_add_lshl_u32 v17, v7, v56, 2
	v_cmp_gt_u32_e32 vcc_lo, 28, v56
	s_delay_alu instid0(VALU_DEP_3) | instskip(SKIP_4) | instid1(VALU_DEP_1)
	v_add_nc_u32_e32 v4, v4, v5
	v_cndmask_b32_e64 v7, 0, 1, vcc_lo
	v_cmp_le_u32_e32 vcc_lo, v18, v2
	ds_bpermute_b32 v5, v17, v4
	v_lshlrev_b32_e32 v7, 2, v7
	v_add_lshl_u32 v34, v7, v56, 2
	s_waitcnt lgkmcnt(0)
	v_cndmask_b32_e32 v5, 0, v5, vcc_lo
	v_cmp_gt_u32_e32 vcc_lo, 24, v56
	s_delay_alu instid0(VALU_DEP_2) | instskip(SKIP_4) | instid1(VALU_DEP_1)
	v_add_nc_u32_e32 v4, v4, v5
	v_cndmask_b32_e64 v7, 0, 1, vcc_lo
	v_cmp_le_u32_e32 vcc_lo, v36, v2
	ds_bpermute_b32 v5, v34, v4
	v_lshlrev_b32_e32 v7, 3, v7
	v_add_lshl_u32 v37, v7, v56, 2
	s_waitcnt lgkmcnt(0)
	v_cndmask_b32_e32 v5, 0, v5, vcc_lo
	v_cmp_gt_u32_e32 vcc_lo, 16, v56
	s_delay_alu instid0(VALU_DEP_2) | instskip(SKIP_4) | instid1(VALU_DEP_1)
	v_add_nc_u32_e32 v4, v4, v5
	v_cndmask_b32_e64 v7, 0, 1, vcc_lo
	v_cmp_le_u32_e32 vcc_lo, v59, v2
	ds_bpermute_b32 v5, v37, v4
	v_lshlrev_b32_e32 v7, 4, v7
	v_add_lshl_u32 v60, v7, v56, 2
	s_waitcnt lgkmcnt(0)
	v_cndmask_b32_e32 v5, 0, v5, vcc_lo
	v_cmp_le_u32_e32 vcc_lo, v61, v2
	s_delay_alu instid0(VALU_DEP_2) | instskip(SKIP_3) | instid1(VALU_DEP_1)
	v_add_nc_u32_e32 v4, v4, v5
	ds_bpermute_b32 v5, v60, v4
	s_waitcnt lgkmcnt(0)
	v_cndmask_b32_e32 v2, 0, v5, vcc_lo
	v_dual_mov_b32 v4, 0 :: v_dual_add_nc_u32 v5, v4, v2
	s_branch .LBB947_94
.LBB947_93:                             ;   in Loop: Header=BB947_94 Depth=1
	s_or_b32 exec_lo, exec_lo, s9
	ds_bpermute_b32 v8, v11, v5
	v_and_b32_e32 v7, 0xff, v6
	v_subrev_nc_u32_e32 v3, 32, v3
	s_delay_alu instid0(VALU_DEP_2) | instskip(SKIP_1) | instid1(VALU_DEP_1)
	v_cmp_eq_u16_e32 vcc_lo, 2, v7
	v_and_or_b32 v7, vcc_lo, v12, 0x80000000
	v_ctz_i32_b32_e32 v7, v7
	s_delay_alu instid0(VALU_DEP_1) | instskip(SKIP_3) | instid1(VALU_DEP_2)
	v_cmp_lt_u32_e32 vcc_lo, v56, v7
	s_waitcnt lgkmcnt(0)
	v_cndmask_b32_e32 v8, 0, v8, vcc_lo
	v_cmp_le_u32_e32 vcc_lo, v18, v7
	v_add_nc_u32_e32 v5, v8, v5
	ds_bpermute_b32 v8, v17, v5
	s_waitcnt lgkmcnt(0)
	v_cndmask_b32_e32 v8, 0, v8, vcc_lo
	v_cmp_le_u32_e32 vcc_lo, v36, v7
	s_delay_alu instid0(VALU_DEP_2) | instskip(SKIP_4) | instid1(VALU_DEP_2)
	v_add_nc_u32_e32 v5, v5, v8
	ds_bpermute_b32 v8, v34, v5
	s_waitcnt lgkmcnt(0)
	v_cndmask_b32_e32 v8, 0, v8, vcc_lo
	v_cmp_le_u32_e32 vcc_lo, v59, v7
	v_add_nc_u32_e32 v5, v5, v8
	ds_bpermute_b32 v8, v37, v5
	s_waitcnt lgkmcnt(0)
	v_cndmask_b32_e32 v8, 0, v8, vcc_lo
	v_cmp_le_u32_e32 vcc_lo, v61, v7
	s_delay_alu instid0(VALU_DEP_2) | instskip(SKIP_3) | instid1(VALU_DEP_1)
	v_add_nc_u32_e32 v5, v5, v8
	ds_bpermute_b32 v8, v60, v5
	s_waitcnt lgkmcnt(0)
	v_cndmask_b32_e32 v7, 0, v8, vcc_lo
	v_add3_u32 v5, v7, v2, v5
.LBB947_94:                             ; =>This Loop Header: Depth=1
                                        ;     Child Loop BB947_97 Depth 2
	v_and_b32_e32 v2, 0xff, v6
	s_delay_alu instid0(VALU_DEP_1) | instskip(SKIP_2) | instid1(VALU_DEP_1)
	v_cmp_ne_u16_e32 vcc_lo, 2, v2
	v_cndmask_b32_e64 v2, 0, 1, vcc_lo
	;;#ASMSTART
	;;#ASMEND
	v_cmp_ne_u32_e32 vcc_lo, 0, v2
	v_mov_b32_e32 v2, v5
	s_cmp_lg_u32 vcc_lo, exec_lo
	s_cbranch_scc1 .LBB947_99
; %bb.95:                               ;   in Loop: Header=BB947_94 Depth=1
	v_lshlrev_b64 v[5:6], 3, v[3:4]
	s_mov_b32 s9, exec_lo
	s_delay_alu instid0(VALU_DEP_1) | instskip(NEXT) | instid1(VALU_DEP_2)
	v_add_co_u32 v7, vcc_lo, s18, v5
	v_add_co_ci_u32_e32 v8, vcc_lo, s19, v6, vcc_lo
	global_load_b64 v[5:6], v[7:8], off glc
	s_waitcnt vmcnt(0)
	v_and_b32_e32 v62, 0xff, v6
	s_delay_alu instid0(VALU_DEP_1)
	v_cmpx_eq_u16_e32 0, v62
	s_cbranch_execz .LBB947_93
; %bb.96:                               ;   in Loop: Header=BB947_94 Depth=1
	s_mov_b32 s10, 0
.LBB947_97:                             ;   Parent Loop BB947_94 Depth=1
                                        ; =>  This Inner Loop Header: Depth=2
	global_load_b64 v[5:6], v[7:8], off glc
	s_waitcnt vmcnt(0)
	v_and_b32_e32 v62, 0xff, v6
	s_delay_alu instid0(VALU_DEP_1) | instskip(SKIP_1) | instid1(SALU_CYCLE_1)
	v_cmp_ne_u16_e32 vcc_lo, 0, v62
	s_or_b32 s10, vcc_lo, s10
	s_and_not1_b32 exec_lo, exec_lo, s10
	s_cbranch_execnz .LBB947_97
; %bb.98:                               ;   in Loop: Header=BB947_94 Depth=1
	s_or_b32 exec_lo, exec_lo, s10
	s_branch .LBB947_93
.LBB947_99:                             ;   in Loop: Header=BB947_94 Depth=1
                                        ; implicit-def: $vgpr5
                                        ; implicit-def: $vgpr6
	s_cbranch_execz .LBB947_94
; %bb.100:
	s_and_saveexec_b32 s9, s7
	s_cbranch_execz .LBB947_102
; %bb.101:
	s_add_i32 s10, s20, 32
	s_mov_b32 s11, 0
	v_dual_mov_b32 v4, 2 :: v_dual_add_nc_u32 v3, v2, v1
	s_lshl_b64 s[10:11], s[10:11], 3
	v_mov_b32_e32 v5, 0
	s_add_u32 s10, s18, s10
	s_addc_u32 s11, s19, s11
	global_store_b64 v5, v[3:4], s[10:11]
	ds_store_b64 v5, v[1:2] offset:5632
.LBB947_102:
	s_or_b32 exec_lo, exec_lo, s9
	s_delay_alu instid0(SALU_CYCLE_1)
	s_and_b32 exec_lo, exec_lo, s2
	s_cbranch_execz .LBB947_104
; %bb.103:
	v_mov_b32_e32 v1, 0
	ds_store_b32 v1, v2 offset:12
.LBB947_104:
	s_or_b32 exec_lo, exec_lo, s8
	s_waitcnt lgkmcnt(0)
	v_cndmask_b32_e64 v3, v10, v9, s7
	s_waitcnt_vscnt null, 0x0
	s_barrier
	buffer_gl0_inv
	v_cndmask_b32_e64 v3, v3, 0, s2
	v_mov_b32_e32 v1, 0
	ds_load_b32 v2, v1 offset:12
	s_waitcnt lgkmcnt(0)
	s_barrier
	buffer_gl0_inv
	v_add_nc_u32_e32 v2, v2, v3
	ds_load_b64 v[17:18], v1 offset:5632
	v_add_nc_u32_e32 v3, v2, v47
	s_delay_alu instid0(VALU_DEP_1) | instskip(SKIP_1) | instid1(VALU_DEP_1)
	v_add_nc_u32_e32 v4, v3, v48
	s_waitcnt lgkmcnt(0)
	v_dual_mov_b32 v34, v18 :: v_dual_add_nc_u32 v5, v4, v49
	s_delay_alu instid0(VALU_DEP_1) | instskip(NEXT) | instid1(VALU_DEP_1)
	v_add_nc_u32_e32 v6, v5, v51
	v_add_nc_u32_e32 v7, v6, v50
	s_delay_alu instid0(VALU_DEP_1) | instskip(NEXT) | instid1(VALU_DEP_1)
	v_add_nc_u32_e32 v8, v7, v52
	v_add_nc_u32_e32 v9, v8, v53
	;; [unrolled: 3-line block ×3, first 2 shown]
	s_delay_alu instid0(VALU_DEP_1)
	v_add_nc_u32_e32 v12, v11, v55
	v_lshrrev_b64 v[36:37], 24, v[32:33]
	s_branch .LBB947_115
.LBB947_105:
                                        ; implicit-def: $vgpr34
                                        ; implicit-def: $vgpr2_vgpr3_vgpr4_vgpr5_vgpr6_vgpr7_vgpr8_vgpr9_vgpr10_vgpr11_vgpr12
                                        ; implicit-def: $vgpr17
	v_lshrrev_b64 v[36:37], 24, v[32:33]
	s_and_b32 vcc_lo, exec_lo, s7
	s_cbranch_vccz .LBB947_115
; %bb.106:
	v_mov_b32_dpp v1, v58 row_shr:1 row_mask:0xf bank_mask:0xf
	s_delay_alu instid0(VALU_DEP_1) | instskip(NEXT) | instid1(VALU_DEP_1)
	v_cndmask_b32_e64 v1, v1, 0, s6
	v_add_nc_u32_e32 v1, v1, v58
	s_delay_alu instid0(VALU_DEP_1) | instskip(NEXT) | instid1(VALU_DEP_1)
	v_mov_b32_dpp v2, v1 row_shr:2 row_mask:0xf bank_mask:0xf
	v_cndmask_b32_e64 v2, 0, v2, s5
	s_delay_alu instid0(VALU_DEP_1) | instskip(NEXT) | instid1(VALU_DEP_1)
	v_add_nc_u32_e32 v1, v1, v2
	v_mov_b32_dpp v2, v1 row_shr:4 row_mask:0xf bank_mask:0xf
	s_delay_alu instid0(VALU_DEP_1) | instskip(NEXT) | instid1(VALU_DEP_1)
	v_cndmask_b32_e64 v2, 0, v2, s4
	v_add_nc_u32_e32 v1, v1, v2
	s_delay_alu instid0(VALU_DEP_1) | instskip(NEXT) | instid1(VALU_DEP_1)
	v_mov_b32_dpp v2, v1 row_shr:8 row_mask:0xf bank_mask:0xf
	v_cndmask_b32_e64 v2, 0, v2, s3
	s_delay_alu instid0(VALU_DEP_1) | instskip(SKIP_3) | instid1(VALU_DEP_1)
	v_add_nc_u32_e32 v1, v1, v2
	ds_swizzle_b32 v2, v1 offset:swizzle(BROADCAST,32,15)
	s_waitcnt lgkmcnt(0)
	v_cndmask_b32_e64 v2, v2, 0, s1
	v_add_nc_u32_e32 v1, v1, v2
	s_and_saveexec_b32 s1, s0
	s_cbranch_execz .LBB947_108
; %bb.107:
	v_lshlrev_b32_e32 v2, 2, v57
	ds_store_b32 v2, v1
.LBB947_108:
	s_or_b32 exec_lo, exec_lo, s1
	s_delay_alu instid0(SALU_CYCLE_1)
	s_mov_b32 s0, exec_lo
	s_waitcnt lgkmcnt(0)
	s_barrier
	buffer_gl0_inv
	v_cmpx_gt_u32_e32 4, v0
	s_cbranch_execz .LBB947_110
; %bb.109:
	v_mad_i32_i24 v2, 0xffffffd8, v0, v46
	ds_load_b32 v3, v2
	s_waitcnt lgkmcnt(0)
	v_mov_b32_dpp v5, v3 row_shr:1 row_mask:0xf bank_mask:0xf
	v_and_b32_e32 v4, 3, v56
	s_delay_alu instid0(VALU_DEP_1) | instskip(NEXT) | instid1(VALU_DEP_3)
	v_cmp_ne_u32_e32 vcc_lo, 0, v4
	v_cndmask_b32_e32 v5, 0, v5, vcc_lo
	v_cmp_lt_u32_e32 vcc_lo, 1, v4
	s_delay_alu instid0(VALU_DEP_2) | instskip(NEXT) | instid1(VALU_DEP_1)
	v_add_nc_u32_e32 v3, v5, v3
	v_mov_b32_dpp v5, v3 row_shr:2 row_mask:0xf bank_mask:0xf
	s_delay_alu instid0(VALU_DEP_1) | instskip(NEXT) | instid1(VALU_DEP_1)
	v_cndmask_b32_e32 v4, 0, v5, vcc_lo
	v_add_nc_u32_e32 v3, v3, v4
	ds_store_b32 v2, v3
.LBB947_110:
	s_or_b32 exec_lo, exec_lo, s0
	v_dual_mov_b32 v3, 0 :: v_dual_mov_b32 v2, 0
	s_mov_b32 s0, exec_lo
	s_waitcnt lgkmcnt(0)
	s_barrier
	buffer_gl0_inv
	v_cmpx_lt_u32_e32 31, v0
	s_cbranch_execz .LBB947_112
; %bb.111:
	v_lshl_add_u32 v2, v57, 2, -4
	ds_load_b32 v2, v2
.LBB947_112:
	s_or_b32 exec_lo, exec_lo, s0
	v_add_nc_u32_e32 v4, -1, v56
	ds_load_b32 v17, v3 offset:12
	s_waitcnt lgkmcnt(1)
	v_add_nc_u32_e32 v1, v2, v1
	v_cmp_gt_i32_e32 vcc_lo, 0, v4
	v_cndmask_b32_e32 v4, v4, v56, vcc_lo
	s_delay_alu instid0(VALU_DEP_1)
	v_lshlrev_b32_e32 v4, 2, v4
	ds_bpermute_b32 v1, v4, v1
	s_and_saveexec_b32 s0, s2
	s_cbranch_execz .LBB947_114
; %bb.113:
	v_dual_mov_b32 v3, 0 :: v_dual_mov_b32 v18, 2
	s_waitcnt lgkmcnt(1)
	global_store_b64 v3, v[17:18], s[18:19] offset:256
.LBB947_114:
	s_or_b32 exec_lo, exec_lo, s0
	v_cmp_eq_u32_e32 vcc_lo, 0, v56
	s_waitcnt lgkmcnt(0)
	s_waitcnt_vscnt null, 0x0
	s_barrier
	buffer_gl0_inv
	v_dual_mov_b32 v34, 0 :: v_dual_cndmask_b32 v1, v1, v2
	s_delay_alu instid0(VALU_DEP_1) | instskip(NEXT) | instid1(VALU_DEP_1)
	v_cndmask_b32_e64 v2, v1, 0, s2
	v_add_nc_u32_e32 v3, v2, v47
	s_delay_alu instid0(VALU_DEP_1) | instskip(NEXT) | instid1(VALU_DEP_1)
	v_add_nc_u32_e32 v4, v3, v48
	v_add_nc_u32_e32 v5, v4, v49
	s_delay_alu instid0(VALU_DEP_1) | instskip(NEXT) | instid1(VALU_DEP_1)
	v_add_nc_u32_e32 v6, v5, v51
	;; [unrolled: 3-line block ×4, first 2 shown]
	v_add_nc_u32_e32 v11, v10, v54
	s_delay_alu instid0(VALU_DEP_1)
	v_add_nc_u32_e32 v12, v11, v55
.LBB947_115:
	v_cmp_gt_u32_e32 vcc_lo, 0x81, v17
	v_lshrrev_b32_e32 v18, 16, v19
	v_lshrrev_b32_e32 v48, 16, v32
	;; [unrolled: 1-line block ×6, first 2 shown]
	v_cmp_lt_u32_e64 s0, 0x80, v17
	s_mov_b32 s1, -1
	s_cbranch_vccz .LBB947_150
; %bb.116:
	v_lshlrev_b64 v[52:53], 1, v[20:21]
	v_add_nc_u32_e32 v51, v34, v17
	s_delay_alu instid0(VALU_DEP_1) | instskip(NEXT) | instid1(VALU_DEP_3)
	v_cmp_lt_u32_e32 vcc_lo, v2, v51
	v_add_co_u32 v1, s1, s16, v52
	s_delay_alu instid0(VALU_DEP_1) | instskip(SKIP_1) | instid1(SALU_CYCLE_1)
	v_add_co_ci_u32_e64 v50, s1, s17, v53, s1
	s_or_b32 s3, s15, vcc_lo
	s_and_saveexec_b32 s1, s3
	s_cbranch_execz .LBB947_119
; %bb.117:
	v_and_b32_e32 v52, 1, v32
	s_delay_alu instid0(VALU_DEP_1)
	v_cmp_eq_u32_e32 vcc_lo, 1, v52
	s_and_b32 exec_lo, exec_lo, vcc_lo
	s_cbranch_execz .LBB947_119
; %bb.118:
	v_dual_mov_b32 v53, 0 :: v_dual_mov_b32 v52, v2
	s_delay_alu instid0(VALU_DEP_1) | instskip(NEXT) | instid1(VALU_DEP_1)
	v_lshlrev_b64 v[52:53], 1, v[52:53]
	v_add_co_u32 v52, vcc_lo, v1, v52
	s_delay_alu instid0(VALU_DEP_2)
	v_add_co_ci_u32_e32 v53, vcc_lo, v50, v53, vcc_lo
	global_store_b16 v[52:53], v13, off
.LBB947_119:
	s_or_b32 exec_lo, exec_lo, s1
	v_cmp_lt_u32_e32 vcc_lo, v3, v51
	s_or_b32 s3, s15, vcc_lo
	s_delay_alu instid0(SALU_CYCLE_1)
	s_and_saveexec_b32 s1, s3
	s_cbranch_execz .LBB947_122
; %bb.120:
	v_and_b32_e32 v52, 1, v49
	s_delay_alu instid0(VALU_DEP_1)
	v_cmp_eq_u32_e32 vcc_lo, 1, v52
	s_and_b32 exec_lo, exec_lo, vcc_lo
	s_cbranch_execz .LBB947_122
; %bb.121:
	v_dual_mov_b32 v53, 0 :: v_dual_mov_b32 v52, v3
	s_delay_alu instid0(VALU_DEP_1) | instskip(NEXT) | instid1(VALU_DEP_1)
	v_lshlrev_b64 v[52:53], 1, v[52:53]
	v_add_co_u32 v52, vcc_lo, v1, v52
	s_delay_alu instid0(VALU_DEP_2)
	v_add_co_ci_u32_e32 v53, vcc_lo, v50, v53, vcc_lo
	global_store_b16 v[52:53], v44, off
.LBB947_122:
	s_or_b32 exec_lo, exec_lo, s1
	v_cmp_lt_u32_e32 vcc_lo, v4, v51
	s_or_b32 s3, s15, vcc_lo
	s_delay_alu instid0(SALU_CYCLE_1)
	;; [unrolled: 21-line block ×10, first 2 shown]
	s_and_saveexec_b32 s1, s3
	s_cbranch_execz .LBB947_149
; %bb.147:
	v_and_b32_e32 v51, 1, v18
	s_delay_alu instid0(VALU_DEP_1)
	v_cmp_eq_u32_e32 vcc_lo, 1, v51
	s_and_b32 exec_lo, exec_lo, vcc_lo
	s_cbranch_execz .LBB947_149
; %bb.148:
	v_dual_mov_b32 v52, 0 :: v_dual_mov_b32 v51, v12
	s_delay_alu instid0(VALU_DEP_1) | instskip(NEXT) | instid1(VALU_DEP_1)
	v_lshlrev_b64 v[51:52], 1, v[51:52]
	v_add_co_u32 v51, vcc_lo, v1, v51
	s_delay_alu instid0(VALU_DEP_2)
	v_add_co_ci_u32_e32 v52, vcc_lo, v50, v52, vcc_lo
	global_store_b16 v[51:52], v35, off
.LBB947_149:
	s_or_b32 exec_lo, exec_lo, s1
	s_mov_b32 s1, 0
.LBB947_150:
	v_and_b32_e32 v32, 1, v32
	s_and_b32 vcc_lo, exec_lo, s1
	s_delay_alu instid0(VALU_DEP_1)
	v_cmp_eq_u32_e64 s1, 1, v32
	s_cbranch_vccz .LBB947_189
; %bb.151:
	s_delay_alu instid0(VALU_DEP_1)
	s_and_saveexec_b32 s3, s1
	s_cbranch_execz .LBB947_153
; %bb.152:
	v_sub_nc_u32_e32 v1, v2, v34
	s_delay_alu instid0(VALU_DEP_1)
	v_lshlrev_b32_e32 v1, 1, v1
	ds_store_b16 v1, v13
.LBB947_153:
	s_or_b32 exec_lo, exec_lo, s3
	v_and_b32_e32 v1, 1, v49
	s_mov_b32 s1, exec_lo
	s_delay_alu instid0(VALU_DEP_1)
	v_cmpx_eq_u32_e32 1, v1
	s_cbranch_execz .LBB947_155
; %bb.154:
	v_sub_nc_u32_e32 v1, v3, v34
	s_delay_alu instid0(VALU_DEP_1)
	v_lshlrev_b32_e32 v1, 1, v1
	ds_store_b16 v1, v44
.LBB947_155:
	s_or_b32 exec_lo, exec_lo, s1
	v_and_b32_e32 v1, 1, v48
	s_mov_b32 s1, exec_lo
	s_delay_alu instid0(VALU_DEP_1)
	v_cmpx_eq_u32_e32 1, v1
	;; [unrolled: 12-line block ×10, first 2 shown]
	s_cbranch_execz .LBB947_173
; %bb.172:
	v_sub_nc_u32_e32 v1, v12, v34
	s_delay_alu instid0(VALU_DEP_1)
	v_lshlrev_b32_e32 v1, 1, v1
	ds_store_b16 v1, v35
.LBB947_173:
	s_or_b32 exec_lo, exec_lo, s1
	s_delay_alu instid0(SALU_CYCLE_1)
	s_mov_b32 s4, exec_lo
	s_waitcnt lgkmcnt(0)
	s_waitcnt_vscnt null, 0x0
	s_barrier
	buffer_gl0_inv
	v_cmpx_lt_u32_e64 v0, v17
	s_cbranch_execz .LBB947_188
; %bb.174:
	v_mov_b32_e32 v35, 0
	v_lshlrev_b64 v[13:14], 1, v[20:21]
	v_xad_u32 v1, v0, -1, v17
	s_mov_b32 s3, -1
	s_mov_b32 s5, exec_lo
	v_lshlrev_b64 v[15:16], 1, v[34:35]
	s_delay_alu instid0(VALU_DEP_3) | instskip(SKIP_1) | instid1(VALU_DEP_2)
	v_add_co_u32 v13, vcc_lo, s16, v13
	v_add_co_ci_u32_e32 v14, vcc_lo, s17, v14, vcc_lo
	v_add_co_u32 v35, vcc_lo, v13, v15
	s_delay_alu instid0(VALU_DEP_2)
	v_add_co_ci_u32_e32 v39, vcc_lo, v14, v16, vcc_lo
	v_cmp_gt_u32_e32 vcc_lo, 0xc80, v1
	v_cmpx_lt_u32_e32 0xc7f, v1
	s_cbranch_execz .LBB947_185
; %bb.175:
	v_sub_nc_u32_e32 v13, v0, v17
	s_mov_b32 s6, exec_lo
	s_delay_alu instid0(VALU_DEP_1) | instskip(NEXT) | instid1(VALU_DEP_1)
	v_or_b32_e32 v13, 0x7f, v13
	v_cmpx_ge_u32_e64 v13, v0
	s_cbranch_execz .LBB947_184
; %bb.176:
	v_lshrrev_b32_e32 v40, 7, v1
	v_or_b32_e32 v1, 0x80, v0
	v_dual_mov_b32 v50, 0 :: v_dual_lshlrev_b32 v41, 1, v0
	s_delay_alu instid0(VALU_DEP_3) | instskip(NEXT) | instid1(VALU_DEP_1)
	v_add_nc_u32_e32 v13, -1, v40
	v_lshrrev_b32_e32 v14, 1, v13
	v_cmp_lt_u32_e64 s1, 13, v13
	s_delay_alu instid0(VALU_DEP_2) | instskip(SKIP_1) | instid1(VALU_DEP_3)
	v_add_nc_u32_e32 v42, 1, v14
	v_dual_mov_b32 v14, v1 :: v_dual_mov_b32 v13, v0
	s_and_saveexec_b32 s3, s1
	s_cbranch_execz .LBB947_180
; %bb.177:
	s_delay_alu instid0(VALU_DEP_2)
	v_dual_mov_b32 v14, v1 :: v_dual_and_b32 v43, -8, v42
	v_mov_b32_e32 v16, 0
	v_dual_mov_b32 v44, v41 :: v_dual_mov_b32 v13, v0
	s_mov_b32 s7, 0
	s_mov_b32 s8, 0
.LBB947_178:                            ; =>This Inner Loop Header: Depth=1
	s_delay_alu instid0(VALU_DEP_1) | instskip(SKIP_2) | instid1(VALU_DEP_3)
	v_dual_mov_b32 v15, v13 :: v_dual_mov_b32 v52, v16
	v_add_nc_u32_e32 v43, -8, v43
	v_dual_mov_b32 v54, v16 :: v_dual_add_nc_u32 v51, 0x100, v14
	v_lshlrev_b64 v[65:66], 1, v[15:16]
	v_dual_mov_b32 v56, v16 :: v_dual_add_nc_u32 v53, 0x200, v14
	s_delay_alu instid0(VALU_DEP_4) | instskip(NEXT) | instid1(VALU_DEP_4)
	v_cmp_eq_u32_e64 s1, 0, v43
	v_lshlrev_b64 v[51:52], 1, v[51:52]
	v_dual_mov_b32 v58, v16 :: v_dual_add_nc_u32 v55, 0x300, v14
	s_add_i32 s8, s8, 16
	v_lshlrev_b64 v[53:54], 1, v[53:54]
	s_or_b32 s7, s1, s7
	v_add_co_u32 v65, s1, v35, v65
	v_dual_mov_b32 v60, v16 :: v_dual_add_nc_u32 v57, 0x400, v14
	v_add_co_ci_u32_e64 v66, s1, v39, v66, s1
	v_lshlrev_b64 v[55:56], 1, v[55:56]
	v_add_co_u32 v51, s1, v35, v51
	v_dual_mov_b32 v62, v16 :: v_dual_add_nc_u32 v59, 0x500, v14
	v_add_co_ci_u32_e64 v52, s1, v39, v52, s1
	v_lshlrev_b64 v[57:58], 1, v[57:58]
	;; [unrolled: 4-line block ×3, first 2 shown]
	v_add_co_u32 v55, s1, v35, v55
	v_dual_mov_b32 v50, s8 :: v_dual_add_nc_u32 v63, 0x700, v14
	ds_load_u16 v1, v44
	ds_load_u16 v71, v44 offset:256
	ds_load_u16 v72, v44 offset:512
	;; [unrolled: 1-line block ×15, first 2 shown]
	v_dual_mov_b32 v15, v14 :: v_dual_add_nc_u32 v44, 0x1000, v44
	v_add_co_ci_u32_e64 v56, s1, v39, v56, s1
	v_lshlrev_b64 v[61:62], 1, v[61:62]
	v_add_co_u32 v57, s1, v35, v57
	s_delay_alu instid0(VALU_DEP_1)
	v_add_co_ci_u32_e64 v58, s1, v39, v58, s1
	v_lshlrev_b64 v[63:64], 1, v[63:64]
	v_add_co_u32 v59, s1, v35, v59
	v_lshlrev_b64 v[67:68], 1, v[15:16]
	v_add_nc_u32_e32 v15, 0x100, v13
	v_add_co_ci_u32_e64 v60, s1, v39, v60, s1
	v_add_co_u32 v61, s1, v35, v61
	s_delay_alu instid0(VALU_DEP_1)
	v_add_co_ci_u32_e64 v62, s1, v39, v62, s1
	v_add_co_u32 v63, s1, v35, v63
	v_lshlrev_b64 v[69:70], 1, v[15:16]
	v_add_nc_u32_e32 v15, 0x200, v13
	v_add_co_ci_u32_e64 v64, s1, v39, v64, s1
	v_add_co_u32 v67, s1, v35, v67
	s_delay_alu instid0(VALU_DEP_1)
	v_add_co_ci_u32_e64 v68, s1, v39, v68, s1
	s_waitcnt lgkmcnt(15)
	global_store_b16 v[65:66], v1, off
	v_lshlrev_b64 v[65:66], 1, v[15:16]
	v_add_nc_u32_e32 v15, 0x300, v13
	v_add_co_u32 v69, s1, v35, v69
	s_delay_alu instid0(VALU_DEP_1)
	v_add_co_ci_u32_e64 v70, s1, v39, v70, s1
	s_waitcnt lgkmcnt(14)
	global_store_b16 v[67:68], v71, off
	v_lshlrev_b64 v[67:68], 1, v[15:16]
	v_add_nc_u32_e32 v15, 0x400, v13
	s_waitcnt lgkmcnt(13)
	global_store_b16 v[69:70], v72, off
	s_waitcnt lgkmcnt(12)
	global_store_b16 v[51:52], v73, off
	v_add_co_u32 v51, s1, v35, v65
	s_delay_alu instid0(VALU_DEP_1) | instskip(SKIP_3) | instid1(VALU_DEP_1)
	v_add_co_ci_u32_e64 v52, s1, v39, v66, s1
	v_lshlrev_b64 v[65:66], 1, v[15:16]
	v_add_nc_u32_e32 v15, 0x500, v13
	v_add_co_u32 v67, s1, v35, v67
	v_add_co_ci_u32_e64 v68, s1, v39, v68, s1
	s_waitcnt lgkmcnt(11)
	global_store_b16 v[51:52], v74, off
	s_waitcnt lgkmcnt(10)
	global_store_b16 v[53:54], v75, off
	v_lshlrev_b64 v[51:52], 1, v[15:16]
	v_add_nc_u32_e32 v15, 0x600, v13
	v_add_co_u32 v53, s1, v35, v65
	s_waitcnt lgkmcnt(9)
	global_store_b16 v[67:68], v76, off
	s_waitcnt lgkmcnt(8)
	global_store_b16 v[55:56], v77, off
	v_add_co_ci_u32_e64 v54, s1, v39, v66, s1
	v_lshlrev_b64 v[55:56], 1, v[15:16]
	v_add_nc_u32_e32 v15, 0x700, v13
	v_add_co_u32 v51, s1, v35, v51
	s_delay_alu instid0(VALU_DEP_1)
	v_add_co_ci_u32_e64 v52, s1, v39, v52, s1
	s_waitcnt lgkmcnt(7)
	global_store_b16 v[53:54], v78, off
	s_waitcnt lgkmcnt(6)
	global_store_b16 v[57:58], v79, off
	v_lshlrev_b64 v[53:54], 1, v[15:16]
	v_add_nc_u32_e32 v14, 0x800, v14
	s_waitcnt lgkmcnt(5)
	global_store_b16 v[51:52], v80, off
	v_add_co_u32 v51, s1, v35, v55
	v_add_nc_u32_e32 v13, 0x800, v13
	v_add_co_ci_u32_e64 v52, s1, v39, v56, s1
	v_add_co_u32 v53, s1, v35, v53
	s_delay_alu instid0(VALU_DEP_1)
	v_add_co_ci_u32_e64 v54, s1, v39, v54, s1
	s_waitcnt lgkmcnt(4)
	global_store_b16 v[59:60], v81, off
	s_waitcnt lgkmcnt(3)
	global_store_b16 v[51:52], v82, off
	s_waitcnt lgkmcnt(2)
	global_store_b16 v[61:62], v83, off
	s_waitcnt lgkmcnt(1)
	global_store_b16 v[53:54], v84, off
	s_waitcnt lgkmcnt(0)
	global_store_b16 v[63:64], v85, off
	s_and_not1_b32 exec_lo, exec_lo, s7
	s_cbranch_execnz .LBB947_178
; %bb.179:
	s_or_b32 exec_lo, exec_lo, s7
.LBB947_180:
	s_delay_alu instid0(SALU_CYCLE_1) | instskip(SKIP_3) | instid1(VALU_DEP_1)
	s_or_b32 exec_lo, exec_lo, s3
	v_and_b32_e32 v1, 7, v42
	s_mov_b32 s8, 0
	s_mov_b32 s7, exec_lo
	v_cmpx_ne_u32_e32 0, v1
	s_cbranch_execz .LBB947_183
; %bb.181:
	v_lshl_or_b32 v41, v50, 8, v41
	v_mov_b32_e32 v16, 0
	s_set_inst_prefetch_distance 0x1
	.p2align	6
.LBB947_182:                            ; =>This Inner Loop Header: Depth=1
	v_mov_b32_e32 v15, v13
	ds_load_u16 v44, v41
	ds_load_u16 v52, v41 offset:256
	v_add_nc_u32_e32 v1, -1, v1
	v_add_nc_u32_e32 v13, 0x100, v13
	v_add_nc_u32_e32 v41, 0x200, v41
	v_lshlrev_b64 v[42:43], 1, v[15:16]
	v_dual_mov_b32 v15, v14 :: v_dual_add_nc_u32 v14, 0x100, v14
	v_cmp_eq_u32_e64 s1, 0, v1
	s_delay_alu instid0(VALU_DEP_2) | instskip(NEXT) | instid1(VALU_DEP_4)
	v_lshlrev_b64 v[50:51], 1, v[15:16]
	v_add_co_u32 v42, s3, v35, v42
	s_delay_alu instid0(VALU_DEP_1) | instskip(NEXT) | instid1(VALU_DEP_4)
	v_add_co_ci_u32_e64 v43, s3, v39, v43, s3
	s_or_b32 s8, s1, s8
	s_delay_alu instid0(VALU_DEP_3) | instskip(NEXT) | instid1(VALU_DEP_1)
	v_add_co_u32 v50, s3, v35, v50
	v_add_co_ci_u32_e64 v51, s3, v39, v51, s3
	s_waitcnt lgkmcnt(1)
	global_store_b16 v[42:43], v44, off
	s_waitcnt lgkmcnt(0)
	global_store_b16 v[50:51], v52, off
	s_and_not1_b32 exec_lo, exec_lo, s8
	s_cbranch_execnz .LBB947_182
.LBB947_183:
	s_set_inst_prefetch_distance 0x2
	s_or_b32 exec_lo, exec_lo, s7
	v_add_nc_u32_e32 v1, 1, v40
	s_delay_alu instid0(VALU_DEP_1) | instskip(NEXT) | instid1(VALU_DEP_1)
	v_and_b32_e32 v13, 0x3fffffe, v1
	v_cmp_ne_u32_e64 s1, v1, v13
	v_lshl_or_b32 v0, v13, 7, v0
	s_delay_alu instid0(VALU_DEP_2)
	s_or_not1_b32 s3, s1, exec_lo
.LBB947_184:
	s_or_b32 exec_lo, exec_lo, s6
	s_delay_alu instid0(SALU_CYCLE_1) | instskip(SKIP_1) | instid1(SALU_CYCLE_1)
	s_and_not1_b32 s1, vcc_lo, exec_lo
	s_and_b32 s3, s3, exec_lo
	s_or_b32 vcc_lo, s1, s3
.LBB947_185:
	s_or_b32 exec_lo, exec_lo, s5
	s_delay_alu instid0(SALU_CYCLE_1)
	s_and_b32 exec_lo, exec_lo, vcc_lo
	s_cbranch_execz .LBB947_188
; %bb.186:
	v_lshlrev_b32_e32 v13, 1, v0
	v_mov_b32_e32 v1, 0
	s_mov_b32 s3, 0
	.p2align	6
.LBB947_187:                            ; =>This Inner Loop Header: Depth=1
	ds_load_u16 v16, v13
	v_lshlrev_b64 v[14:15], 1, v[0:1]
	v_add_nc_u32_e32 v0, 0x80, v0
	v_add_nc_u32_e32 v13, 0x100, v13
	s_delay_alu instid0(VALU_DEP_2) | instskip(NEXT) | instid1(VALU_DEP_4)
	v_cmp_ge_u32_e32 vcc_lo, v0, v17
	v_add_co_u32 v14, s1, v35, v14
	s_delay_alu instid0(VALU_DEP_1)
	v_add_co_ci_u32_e64 v15, s1, v39, v15, s1
	s_or_b32 s3, vcc_lo, s3
	s_waitcnt lgkmcnt(0)
	global_store_b16 v[14:15], v16, off
	s_and_not1_b32 exec_lo, exec_lo, s3
	s_cbranch_execnz .LBB947_187
.LBB947_188:
	s_or_b32 exec_lo, exec_lo, s4
.LBB947_189:
	s_delay_alu instid0(SALU_CYCLE_1)
	s_and_not1_b32 vcc_lo, exec_lo, s0
	s_waitcnt_vscnt null, 0x0
	s_barrier
	buffer_gl0_inv
	s_cbranch_vccz .LBB947_192
; %bb.190:
	s_and_b32 s0, s2, s14
	s_delay_alu instid0(SALU_CYCLE_1)
	s_and_saveexec_b32 s1, s0
	s_cbranch_execnz .LBB947_215
.LBB947_191:
	s_endpgm
.LBB947_192:
	s_mov_b32 s0, exec_lo
	v_cmpx_eq_u32_e32 1, v32
	s_cbranch_execz .LBB947_194
; %bb.193:
	v_sub_nc_u32_e32 v0, v2, v34
	s_delay_alu instid0(VALU_DEP_1)
	v_lshlrev_b32_e32 v0, 2, v0
	ds_store_b32 v0, v30
.LBB947_194:
	s_or_b32 exec_lo, exec_lo, s0
	v_and_b32_e32 v0, 1, v49
	s_mov_b32 s0, exec_lo
	s_delay_alu instid0(VALU_DEP_1)
	v_cmpx_eq_u32_e32 1, v0
	s_cbranch_execz .LBB947_196
; %bb.195:
	v_sub_nc_u32_e32 v0, v3, v34
	s_delay_alu instid0(VALU_DEP_1)
	v_lshlrev_b32_e32 v0, 2, v0
	ds_store_b32 v0, v31
.LBB947_196:
	s_or_b32 exec_lo, exec_lo, s0
	v_and_b32_e32 v0, 1, v48
	s_mov_b32 s0, exec_lo
	s_delay_alu instid0(VALU_DEP_1)
	;; [unrolled: 12-line block ×10, first 2 shown]
	v_cmpx_eq_u32_e32 1, v0
	s_cbranch_execz .LBB947_214
; %bb.213:
	v_sub_nc_u32_e32 v0, v12, v34
	s_delay_alu instid0(VALU_DEP_1)
	v_lshlrev_b32_e32 v0, 2, v0
	ds_store_b32 v0, v38
.LBB947_214:
	s_or_b32 exec_lo, exec_lo, s0
	s_waitcnt lgkmcnt(0)
	s_barrier
	buffer_gl0_inv
	s_and_b32 s0, s2, s14
	s_delay_alu instid0(SALU_CYCLE_1)
	s_and_saveexec_b32 s1, s0
	s_cbranch_execz .LBB947_191
.LBB947_215:
	v_add_co_u32 v0, vcc_lo, v20, v17
	v_add_co_ci_u32_e32 v1, vcc_lo, 0, v21, vcc_lo
	v_mov_b32_e32 v2, 0
	s_delay_alu instid0(VALU_DEP_3) | instskip(NEXT) | instid1(VALU_DEP_3)
	v_add_co_u32 v0, vcc_lo, v0, v34
	v_add_co_ci_u32_e32 v1, vcc_lo, 0, v1, vcc_lo
	global_store_b64 v2, v[0:1], s[12:13]
	s_nop 0
	s_sendmsg sendmsg(MSG_DEALLOC_VGPRS)
	s_endpgm
.LBB947_216:
	s_or_b32 exec_lo, exec_lo, s1
	s_and_saveexec_b32 s1, s24
	s_cbranch_execnz .LBB947_76
	s_branch .LBB947_77
	.section	.rodata,"a",@progbits
	.p2align	6, 0x0
	.amdhsa_kernel _ZN7rocprim17ROCPRIM_400000_NS6detail17trampoline_kernelINS0_14default_configENS1_25partition_config_selectorILNS1_17partition_subalgoE9EtjbEEZZNS1_14partition_implILS5_9ELb0ES3_jN6thrust23THRUST_200600_302600_NS6detail15normal_iteratorINS9_10device_ptrItEEEENSB_INSC_IjEEEEPNS0_10empty_typeENS0_5tupleIJSE_SH_EEENSJ_IJNS9_16discard_iteratorINS9_11use_defaultEEESI_EEENS0_18inequality_wrapperINS9_8equal_toItEEEEPmJSH_EEE10hipError_tPvRmT3_T4_T5_T6_T7_T9_mT8_P12ihipStream_tbDpT10_ENKUlT_T0_E_clISt17integral_constantIbLb0EES1C_IbLb1EEEEDaS18_S19_EUlS18_E_NS1_11comp_targetILNS1_3genE9ELNS1_11target_archE1100ELNS1_3gpuE3ELNS1_3repE0EEENS1_30default_config_static_selectorELNS0_4arch9wavefront6targetE0EEEvT1_
		.amdhsa_group_segment_fixed_size 5640
		.amdhsa_private_segment_fixed_size 0
		.amdhsa_kernarg_size 136
		.amdhsa_user_sgpr_count 15
		.amdhsa_user_sgpr_dispatch_ptr 0
		.amdhsa_user_sgpr_queue_ptr 0
		.amdhsa_user_sgpr_kernarg_segment_ptr 1
		.amdhsa_user_sgpr_dispatch_id 0
		.amdhsa_user_sgpr_private_segment_size 0
		.amdhsa_wavefront_size32 1
		.amdhsa_uses_dynamic_stack 0
		.amdhsa_enable_private_segment 0
		.amdhsa_system_sgpr_workgroup_id_x 1
		.amdhsa_system_sgpr_workgroup_id_y 0
		.amdhsa_system_sgpr_workgroup_id_z 0
		.amdhsa_system_sgpr_workgroup_info 0
		.amdhsa_system_vgpr_workitem_id 0
		.amdhsa_next_free_vgpr 86
		.amdhsa_next_free_sgpr 26
		.amdhsa_reserve_vcc 1
		.amdhsa_float_round_mode_32 0
		.amdhsa_float_round_mode_16_64 0
		.amdhsa_float_denorm_mode_32 3
		.amdhsa_float_denorm_mode_16_64 3
		.amdhsa_dx10_clamp 1
		.amdhsa_ieee_mode 1
		.amdhsa_fp16_overflow 0
		.amdhsa_workgroup_processor_mode 1
		.amdhsa_memory_ordered 1
		.amdhsa_forward_progress 0
		.amdhsa_shared_vgpr_count 0
		.amdhsa_exception_fp_ieee_invalid_op 0
		.amdhsa_exception_fp_denorm_src 0
		.amdhsa_exception_fp_ieee_div_zero 0
		.amdhsa_exception_fp_ieee_overflow 0
		.amdhsa_exception_fp_ieee_underflow 0
		.amdhsa_exception_fp_ieee_inexact 0
		.amdhsa_exception_int_div_zero 0
	.end_amdhsa_kernel
	.section	.text._ZN7rocprim17ROCPRIM_400000_NS6detail17trampoline_kernelINS0_14default_configENS1_25partition_config_selectorILNS1_17partition_subalgoE9EtjbEEZZNS1_14partition_implILS5_9ELb0ES3_jN6thrust23THRUST_200600_302600_NS6detail15normal_iteratorINS9_10device_ptrItEEEENSB_INSC_IjEEEEPNS0_10empty_typeENS0_5tupleIJSE_SH_EEENSJ_IJNS9_16discard_iteratorINS9_11use_defaultEEESI_EEENS0_18inequality_wrapperINS9_8equal_toItEEEEPmJSH_EEE10hipError_tPvRmT3_T4_T5_T6_T7_T9_mT8_P12ihipStream_tbDpT10_ENKUlT_T0_E_clISt17integral_constantIbLb0EES1C_IbLb1EEEEDaS18_S19_EUlS18_E_NS1_11comp_targetILNS1_3genE9ELNS1_11target_archE1100ELNS1_3gpuE3ELNS1_3repE0EEENS1_30default_config_static_selectorELNS0_4arch9wavefront6targetE0EEEvT1_,"axG",@progbits,_ZN7rocprim17ROCPRIM_400000_NS6detail17trampoline_kernelINS0_14default_configENS1_25partition_config_selectorILNS1_17partition_subalgoE9EtjbEEZZNS1_14partition_implILS5_9ELb0ES3_jN6thrust23THRUST_200600_302600_NS6detail15normal_iteratorINS9_10device_ptrItEEEENSB_INSC_IjEEEEPNS0_10empty_typeENS0_5tupleIJSE_SH_EEENSJ_IJNS9_16discard_iteratorINS9_11use_defaultEEESI_EEENS0_18inequality_wrapperINS9_8equal_toItEEEEPmJSH_EEE10hipError_tPvRmT3_T4_T5_T6_T7_T9_mT8_P12ihipStream_tbDpT10_ENKUlT_T0_E_clISt17integral_constantIbLb0EES1C_IbLb1EEEEDaS18_S19_EUlS18_E_NS1_11comp_targetILNS1_3genE9ELNS1_11target_archE1100ELNS1_3gpuE3ELNS1_3repE0EEENS1_30default_config_static_selectorELNS0_4arch9wavefront6targetE0EEEvT1_,comdat
.Lfunc_end947:
	.size	_ZN7rocprim17ROCPRIM_400000_NS6detail17trampoline_kernelINS0_14default_configENS1_25partition_config_selectorILNS1_17partition_subalgoE9EtjbEEZZNS1_14partition_implILS5_9ELb0ES3_jN6thrust23THRUST_200600_302600_NS6detail15normal_iteratorINS9_10device_ptrItEEEENSB_INSC_IjEEEEPNS0_10empty_typeENS0_5tupleIJSE_SH_EEENSJ_IJNS9_16discard_iteratorINS9_11use_defaultEEESI_EEENS0_18inequality_wrapperINS9_8equal_toItEEEEPmJSH_EEE10hipError_tPvRmT3_T4_T5_T6_T7_T9_mT8_P12ihipStream_tbDpT10_ENKUlT_T0_E_clISt17integral_constantIbLb0EES1C_IbLb1EEEEDaS18_S19_EUlS18_E_NS1_11comp_targetILNS1_3genE9ELNS1_11target_archE1100ELNS1_3gpuE3ELNS1_3repE0EEENS1_30default_config_static_selectorELNS0_4arch9wavefront6targetE0EEEvT1_, .Lfunc_end947-_ZN7rocprim17ROCPRIM_400000_NS6detail17trampoline_kernelINS0_14default_configENS1_25partition_config_selectorILNS1_17partition_subalgoE9EtjbEEZZNS1_14partition_implILS5_9ELb0ES3_jN6thrust23THRUST_200600_302600_NS6detail15normal_iteratorINS9_10device_ptrItEEEENSB_INSC_IjEEEEPNS0_10empty_typeENS0_5tupleIJSE_SH_EEENSJ_IJNS9_16discard_iteratorINS9_11use_defaultEEESI_EEENS0_18inequality_wrapperINS9_8equal_toItEEEEPmJSH_EEE10hipError_tPvRmT3_T4_T5_T6_T7_T9_mT8_P12ihipStream_tbDpT10_ENKUlT_T0_E_clISt17integral_constantIbLb0EES1C_IbLb1EEEEDaS18_S19_EUlS18_E_NS1_11comp_targetILNS1_3genE9ELNS1_11target_archE1100ELNS1_3gpuE3ELNS1_3repE0EEENS1_30default_config_static_selectorELNS0_4arch9wavefront6targetE0EEEvT1_
                                        ; -- End function
	.section	.AMDGPU.csdata,"",@progbits
; Kernel info:
; codeLenInByte = 10820
; NumSgprs: 28
; NumVgprs: 86
; ScratchSize: 0
; MemoryBound: 0
; FloatMode: 240
; IeeeMode: 1
; LDSByteSize: 5640 bytes/workgroup (compile time only)
; SGPRBlocks: 3
; VGPRBlocks: 10
; NumSGPRsForWavesPerEU: 28
; NumVGPRsForWavesPerEU: 86
; Occupancy: 16
; WaveLimiterHint : 1
; COMPUTE_PGM_RSRC2:SCRATCH_EN: 0
; COMPUTE_PGM_RSRC2:USER_SGPR: 15
; COMPUTE_PGM_RSRC2:TRAP_HANDLER: 0
; COMPUTE_PGM_RSRC2:TGID_X_EN: 1
; COMPUTE_PGM_RSRC2:TGID_Y_EN: 0
; COMPUTE_PGM_RSRC2:TGID_Z_EN: 0
; COMPUTE_PGM_RSRC2:TIDIG_COMP_CNT: 0
	.section	.text._ZN7rocprim17ROCPRIM_400000_NS6detail17trampoline_kernelINS0_14default_configENS1_25partition_config_selectorILNS1_17partition_subalgoE9EtjbEEZZNS1_14partition_implILS5_9ELb0ES3_jN6thrust23THRUST_200600_302600_NS6detail15normal_iteratorINS9_10device_ptrItEEEENSB_INSC_IjEEEEPNS0_10empty_typeENS0_5tupleIJSE_SH_EEENSJ_IJNS9_16discard_iteratorINS9_11use_defaultEEESI_EEENS0_18inequality_wrapperINS9_8equal_toItEEEEPmJSH_EEE10hipError_tPvRmT3_T4_T5_T6_T7_T9_mT8_P12ihipStream_tbDpT10_ENKUlT_T0_E_clISt17integral_constantIbLb0EES1C_IbLb1EEEEDaS18_S19_EUlS18_E_NS1_11comp_targetILNS1_3genE8ELNS1_11target_archE1030ELNS1_3gpuE2ELNS1_3repE0EEENS1_30default_config_static_selectorELNS0_4arch9wavefront6targetE0EEEvT1_,"axG",@progbits,_ZN7rocprim17ROCPRIM_400000_NS6detail17trampoline_kernelINS0_14default_configENS1_25partition_config_selectorILNS1_17partition_subalgoE9EtjbEEZZNS1_14partition_implILS5_9ELb0ES3_jN6thrust23THRUST_200600_302600_NS6detail15normal_iteratorINS9_10device_ptrItEEEENSB_INSC_IjEEEEPNS0_10empty_typeENS0_5tupleIJSE_SH_EEENSJ_IJNS9_16discard_iteratorINS9_11use_defaultEEESI_EEENS0_18inequality_wrapperINS9_8equal_toItEEEEPmJSH_EEE10hipError_tPvRmT3_T4_T5_T6_T7_T9_mT8_P12ihipStream_tbDpT10_ENKUlT_T0_E_clISt17integral_constantIbLb0EES1C_IbLb1EEEEDaS18_S19_EUlS18_E_NS1_11comp_targetILNS1_3genE8ELNS1_11target_archE1030ELNS1_3gpuE2ELNS1_3repE0EEENS1_30default_config_static_selectorELNS0_4arch9wavefront6targetE0EEEvT1_,comdat
	.protected	_ZN7rocprim17ROCPRIM_400000_NS6detail17trampoline_kernelINS0_14default_configENS1_25partition_config_selectorILNS1_17partition_subalgoE9EtjbEEZZNS1_14partition_implILS5_9ELb0ES3_jN6thrust23THRUST_200600_302600_NS6detail15normal_iteratorINS9_10device_ptrItEEEENSB_INSC_IjEEEEPNS0_10empty_typeENS0_5tupleIJSE_SH_EEENSJ_IJNS9_16discard_iteratorINS9_11use_defaultEEESI_EEENS0_18inequality_wrapperINS9_8equal_toItEEEEPmJSH_EEE10hipError_tPvRmT3_T4_T5_T6_T7_T9_mT8_P12ihipStream_tbDpT10_ENKUlT_T0_E_clISt17integral_constantIbLb0EES1C_IbLb1EEEEDaS18_S19_EUlS18_E_NS1_11comp_targetILNS1_3genE8ELNS1_11target_archE1030ELNS1_3gpuE2ELNS1_3repE0EEENS1_30default_config_static_selectorELNS0_4arch9wavefront6targetE0EEEvT1_ ; -- Begin function _ZN7rocprim17ROCPRIM_400000_NS6detail17trampoline_kernelINS0_14default_configENS1_25partition_config_selectorILNS1_17partition_subalgoE9EtjbEEZZNS1_14partition_implILS5_9ELb0ES3_jN6thrust23THRUST_200600_302600_NS6detail15normal_iteratorINS9_10device_ptrItEEEENSB_INSC_IjEEEEPNS0_10empty_typeENS0_5tupleIJSE_SH_EEENSJ_IJNS9_16discard_iteratorINS9_11use_defaultEEESI_EEENS0_18inequality_wrapperINS9_8equal_toItEEEEPmJSH_EEE10hipError_tPvRmT3_T4_T5_T6_T7_T9_mT8_P12ihipStream_tbDpT10_ENKUlT_T0_E_clISt17integral_constantIbLb0EES1C_IbLb1EEEEDaS18_S19_EUlS18_E_NS1_11comp_targetILNS1_3genE8ELNS1_11target_archE1030ELNS1_3gpuE2ELNS1_3repE0EEENS1_30default_config_static_selectorELNS0_4arch9wavefront6targetE0EEEvT1_
	.globl	_ZN7rocprim17ROCPRIM_400000_NS6detail17trampoline_kernelINS0_14default_configENS1_25partition_config_selectorILNS1_17partition_subalgoE9EtjbEEZZNS1_14partition_implILS5_9ELb0ES3_jN6thrust23THRUST_200600_302600_NS6detail15normal_iteratorINS9_10device_ptrItEEEENSB_INSC_IjEEEEPNS0_10empty_typeENS0_5tupleIJSE_SH_EEENSJ_IJNS9_16discard_iteratorINS9_11use_defaultEEESI_EEENS0_18inequality_wrapperINS9_8equal_toItEEEEPmJSH_EEE10hipError_tPvRmT3_T4_T5_T6_T7_T9_mT8_P12ihipStream_tbDpT10_ENKUlT_T0_E_clISt17integral_constantIbLb0EES1C_IbLb1EEEEDaS18_S19_EUlS18_E_NS1_11comp_targetILNS1_3genE8ELNS1_11target_archE1030ELNS1_3gpuE2ELNS1_3repE0EEENS1_30default_config_static_selectorELNS0_4arch9wavefront6targetE0EEEvT1_
	.p2align	8
	.type	_ZN7rocprim17ROCPRIM_400000_NS6detail17trampoline_kernelINS0_14default_configENS1_25partition_config_selectorILNS1_17partition_subalgoE9EtjbEEZZNS1_14partition_implILS5_9ELb0ES3_jN6thrust23THRUST_200600_302600_NS6detail15normal_iteratorINS9_10device_ptrItEEEENSB_INSC_IjEEEEPNS0_10empty_typeENS0_5tupleIJSE_SH_EEENSJ_IJNS9_16discard_iteratorINS9_11use_defaultEEESI_EEENS0_18inequality_wrapperINS9_8equal_toItEEEEPmJSH_EEE10hipError_tPvRmT3_T4_T5_T6_T7_T9_mT8_P12ihipStream_tbDpT10_ENKUlT_T0_E_clISt17integral_constantIbLb0EES1C_IbLb1EEEEDaS18_S19_EUlS18_E_NS1_11comp_targetILNS1_3genE8ELNS1_11target_archE1030ELNS1_3gpuE2ELNS1_3repE0EEENS1_30default_config_static_selectorELNS0_4arch9wavefront6targetE0EEEvT1_,@function
_ZN7rocprim17ROCPRIM_400000_NS6detail17trampoline_kernelINS0_14default_configENS1_25partition_config_selectorILNS1_17partition_subalgoE9EtjbEEZZNS1_14partition_implILS5_9ELb0ES3_jN6thrust23THRUST_200600_302600_NS6detail15normal_iteratorINS9_10device_ptrItEEEENSB_INSC_IjEEEEPNS0_10empty_typeENS0_5tupleIJSE_SH_EEENSJ_IJNS9_16discard_iteratorINS9_11use_defaultEEESI_EEENS0_18inequality_wrapperINS9_8equal_toItEEEEPmJSH_EEE10hipError_tPvRmT3_T4_T5_T6_T7_T9_mT8_P12ihipStream_tbDpT10_ENKUlT_T0_E_clISt17integral_constantIbLb0EES1C_IbLb1EEEEDaS18_S19_EUlS18_E_NS1_11comp_targetILNS1_3genE8ELNS1_11target_archE1030ELNS1_3gpuE2ELNS1_3repE0EEENS1_30default_config_static_selectorELNS0_4arch9wavefront6targetE0EEEvT1_: ; @_ZN7rocprim17ROCPRIM_400000_NS6detail17trampoline_kernelINS0_14default_configENS1_25partition_config_selectorILNS1_17partition_subalgoE9EtjbEEZZNS1_14partition_implILS5_9ELb0ES3_jN6thrust23THRUST_200600_302600_NS6detail15normal_iteratorINS9_10device_ptrItEEEENSB_INSC_IjEEEEPNS0_10empty_typeENS0_5tupleIJSE_SH_EEENSJ_IJNS9_16discard_iteratorINS9_11use_defaultEEESI_EEENS0_18inequality_wrapperINS9_8equal_toItEEEEPmJSH_EEE10hipError_tPvRmT3_T4_T5_T6_T7_T9_mT8_P12ihipStream_tbDpT10_ENKUlT_T0_E_clISt17integral_constantIbLb0EES1C_IbLb1EEEEDaS18_S19_EUlS18_E_NS1_11comp_targetILNS1_3genE8ELNS1_11target_archE1030ELNS1_3gpuE2ELNS1_3repE0EEENS1_30default_config_static_selectorELNS0_4arch9wavefront6targetE0EEEvT1_
; %bb.0:
	.section	.rodata,"a",@progbits
	.p2align	6, 0x0
	.amdhsa_kernel _ZN7rocprim17ROCPRIM_400000_NS6detail17trampoline_kernelINS0_14default_configENS1_25partition_config_selectorILNS1_17partition_subalgoE9EtjbEEZZNS1_14partition_implILS5_9ELb0ES3_jN6thrust23THRUST_200600_302600_NS6detail15normal_iteratorINS9_10device_ptrItEEEENSB_INSC_IjEEEEPNS0_10empty_typeENS0_5tupleIJSE_SH_EEENSJ_IJNS9_16discard_iteratorINS9_11use_defaultEEESI_EEENS0_18inequality_wrapperINS9_8equal_toItEEEEPmJSH_EEE10hipError_tPvRmT3_T4_T5_T6_T7_T9_mT8_P12ihipStream_tbDpT10_ENKUlT_T0_E_clISt17integral_constantIbLb0EES1C_IbLb1EEEEDaS18_S19_EUlS18_E_NS1_11comp_targetILNS1_3genE8ELNS1_11target_archE1030ELNS1_3gpuE2ELNS1_3repE0EEENS1_30default_config_static_selectorELNS0_4arch9wavefront6targetE0EEEvT1_
		.amdhsa_group_segment_fixed_size 0
		.amdhsa_private_segment_fixed_size 0
		.amdhsa_kernarg_size 136
		.amdhsa_user_sgpr_count 15
		.amdhsa_user_sgpr_dispatch_ptr 0
		.amdhsa_user_sgpr_queue_ptr 0
		.amdhsa_user_sgpr_kernarg_segment_ptr 1
		.amdhsa_user_sgpr_dispatch_id 0
		.amdhsa_user_sgpr_private_segment_size 0
		.amdhsa_wavefront_size32 1
		.amdhsa_uses_dynamic_stack 0
		.amdhsa_enable_private_segment 0
		.amdhsa_system_sgpr_workgroup_id_x 1
		.amdhsa_system_sgpr_workgroup_id_y 0
		.amdhsa_system_sgpr_workgroup_id_z 0
		.amdhsa_system_sgpr_workgroup_info 0
		.amdhsa_system_vgpr_workitem_id 0
		.amdhsa_next_free_vgpr 1
		.amdhsa_next_free_sgpr 1
		.amdhsa_reserve_vcc 0
		.amdhsa_float_round_mode_32 0
		.amdhsa_float_round_mode_16_64 0
		.amdhsa_float_denorm_mode_32 3
		.amdhsa_float_denorm_mode_16_64 3
		.amdhsa_dx10_clamp 1
		.amdhsa_ieee_mode 1
		.amdhsa_fp16_overflow 0
		.amdhsa_workgroup_processor_mode 1
		.amdhsa_memory_ordered 1
		.amdhsa_forward_progress 0
		.amdhsa_shared_vgpr_count 0
		.amdhsa_exception_fp_ieee_invalid_op 0
		.amdhsa_exception_fp_denorm_src 0
		.amdhsa_exception_fp_ieee_div_zero 0
		.amdhsa_exception_fp_ieee_overflow 0
		.amdhsa_exception_fp_ieee_underflow 0
		.amdhsa_exception_fp_ieee_inexact 0
		.amdhsa_exception_int_div_zero 0
	.end_amdhsa_kernel
	.section	.text._ZN7rocprim17ROCPRIM_400000_NS6detail17trampoline_kernelINS0_14default_configENS1_25partition_config_selectorILNS1_17partition_subalgoE9EtjbEEZZNS1_14partition_implILS5_9ELb0ES3_jN6thrust23THRUST_200600_302600_NS6detail15normal_iteratorINS9_10device_ptrItEEEENSB_INSC_IjEEEEPNS0_10empty_typeENS0_5tupleIJSE_SH_EEENSJ_IJNS9_16discard_iteratorINS9_11use_defaultEEESI_EEENS0_18inequality_wrapperINS9_8equal_toItEEEEPmJSH_EEE10hipError_tPvRmT3_T4_T5_T6_T7_T9_mT8_P12ihipStream_tbDpT10_ENKUlT_T0_E_clISt17integral_constantIbLb0EES1C_IbLb1EEEEDaS18_S19_EUlS18_E_NS1_11comp_targetILNS1_3genE8ELNS1_11target_archE1030ELNS1_3gpuE2ELNS1_3repE0EEENS1_30default_config_static_selectorELNS0_4arch9wavefront6targetE0EEEvT1_,"axG",@progbits,_ZN7rocprim17ROCPRIM_400000_NS6detail17trampoline_kernelINS0_14default_configENS1_25partition_config_selectorILNS1_17partition_subalgoE9EtjbEEZZNS1_14partition_implILS5_9ELb0ES3_jN6thrust23THRUST_200600_302600_NS6detail15normal_iteratorINS9_10device_ptrItEEEENSB_INSC_IjEEEEPNS0_10empty_typeENS0_5tupleIJSE_SH_EEENSJ_IJNS9_16discard_iteratorINS9_11use_defaultEEESI_EEENS0_18inequality_wrapperINS9_8equal_toItEEEEPmJSH_EEE10hipError_tPvRmT3_T4_T5_T6_T7_T9_mT8_P12ihipStream_tbDpT10_ENKUlT_T0_E_clISt17integral_constantIbLb0EES1C_IbLb1EEEEDaS18_S19_EUlS18_E_NS1_11comp_targetILNS1_3genE8ELNS1_11target_archE1030ELNS1_3gpuE2ELNS1_3repE0EEENS1_30default_config_static_selectorELNS0_4arch9wavefront6targetE0EEEvT1_,comdat
.Lfunc_end948:
	.size	_ZN7rocprim17ROCPRIM_400000_NS6detail17trampoline_kernelINS0_14default_configENS1_25partition_config_selectorILNS1_17partition_subalgoE9EtjbEEZZNS1_14partition_implILS5_9ELb0ES3_jN6thrust23THRUST_200600_302600_NS6detail15normal_iteratorINS9_10device_ptrItEEEENSB_INSC_IjEEEEPNS0_10empty_typeENS0_5tupleIJSE_SH_EEENSJ_IJNS9_16discard_iteratorINS9_11use_defaultEEESI_EEENS0_18inequality_wrapperINS9_8equal_toItEEEEPmJSH_EEE10hipError_tPvRmT3_T4_T5_T6_T7_T9_mT8_P12ihipStream_tbDpT10_ENKUlT_T0_E_clISt17integral_constantIbLb0EES1C_IbLb1EEEEDaS18_S19_EUlS18_E_NS1_11comp_targetILNS1_3genE8ELNS1_11target_archE1030ELNS1_3gpuE2ELNS1_3repE0EEENS1_30default_config_static_selectorELNS0_4arch9wavefront6targetE0EEEvT1_, .Lfunc_end948-_ZN7rocprim17ROCPRIM_400000_NS6detail17trampoline_kernelINS0_14default_configENS1_25partition_config_selectorILNS1_17partition_subalgoE9EtjbEEZZNS1_14partition_implILS5_9ELb0ES3_jN6thrust23THRUST_200600_302600_NS6detail15normal_iteratorINS9_10device_ptrItEEEENSB_INSC_IjEEEEPNS0_10empty_typeENS0_5tupleIJSE_SH_EEENSJ_IJNS9_16discard_iteratorINS9_11use_defaultEEESI_EEENS0_18inequality_wrapperINS9_8equal_toItEEEEPmJSH_EEE10hipError_tPvRmT3_T4_T5_T6_T7_T9_mT8_P12ihipStream_tbDpT10_ENKUlT_T0_E_clISt17integral_constantIbLb0EES1C_IbLb1EEEEDaS18_S19_EUlS18_E_NS1_11comp_targetILNS1_3genE8ELNS1_11target_archE1030ELNS1_3gpuE2ELNS1_3repE0EEENS1_30default_config_static_selectorELNS0_4arch9wavefront6targetE0EEEvT1_
                                        ; -- End function
	.section	.AMDGPU.csdata,"",@progbits
; Kernel info:
; codeLenInByte = 0
; NumSgprs: 0
; NumVgprs: 0
; ScratchSize: 0
; MemoryBound: 0
; FloatMode: 240
; IeeeMode: 1
; LDSByteSize: 0 bytes/workgroup (compile time only)
; SGPRBlocks: 0
; VGPRBlocks: 0
; NumSGPRsForWavesPerEU: 1
; NumVGPRsForWavesPerEU: 1
; Occupancy: 16
; WaveLimiterHint : 0
; COMPUTE_PGM_RSRC2:SCRATCH_EN: 0
; COMPUTE_PGM_RSRC2:USER_SGPR: 15
; COMPUTE_PGM_RSRC2:TRAP_HANDLER: 0
; COMPUTE_PGM_RSRC2:TGID_X_EN: 1
; COMPUTE_PGM_RSRC2:TGID_Y_EN: 0
; COMPUTE_PGM_RSRC2:TGID_Z_EN: 0
; COMPUTE_PGM_RSRC2:TIDIG_COMP_CNT: 0
	.section	.text._ZN7rocprim17ROCPRIM_400000_NS6detail17trampoline_kernelINS0_14default_configENS1_25partition_config_selectorILNS1_17partition_subalgoE9EtjbEEZZNS1_14partition_implILS5_9ELb0ES3_jN6thrust23THRUST_200600_302600_NS6detail15normal_iteratorINS9_10device_ptrItEEEENSB_INSC_IjEEEEPNS0_10empty_typeENS0_5tupleIJNS9_16discard_iteratorINS9_11use_defaultEEESH_EEENSJ_IJSG_SI_EEENS0_18inequality_wrapperINS9_8equal_toItEEEEPmJSH_EEE10hipError_tPvRmT3_T4_T5_T6_T7_T9_mT8_P12ihipStream_tbDpT10_ENKUlT_T0_E_clISt17integral_constantIbLb0EES1D_EEDaS18_S19_EUlS18_E_NS1_11comp_targetILNS1_3genE0ELNS1_11target_archE4294967295ELNS1_3gpuE0ELNS1_3repE0EEENS1_30default_config_static_selectorELNS0_4arch9wavefront6targetE0EEEvT1_,"axG",@progbits,_ZN7rocprim17ROCPRIM_400000_NS6detail17trampoline_kernelINS0_14default_configENS1_25partition_config_selectorILNS1_17partition_subalgoE9EtjbEEZZNS1_14partition_implILS5_9ELb0ES3_jN6thrust23THRUST_200600_302600_NS6detail15normal_iteratorINS9_10device_ptrItEEEENSB_INSC_IjEEEEPNS0_10empty_typeENS0_5tupleIJNS9_16discard_iteratorINS9_11use_defaultEEESH_EEENSJ_IJSG_SI_EEENS0_18inequality_wrapperINS9_8equal_toItEEEEPmJSH_EEE10hipError_tPvRmT3_T4_T5_T6_T7_T9_mT8_P12ihipStream_tbDpT10_ENKUlT_T0_E_clISt17integral_constantIbLb0EES1D_EEDaS18_S19_EUlS18_E_NS1_11comp_targetILNS1_3genE0ELNS1_11target_archE4294967295ELNS1_3gpuE0ELNS1_3repE0EEENS1_30default_config_static_selectorELNS0_4arch9wavefront6targetE0EEEvT1_,comdat
	.protected	_ZN7rocprim17ROCPRIM_400000_NS6detail17trampoline_kernelINS0_14default_configENS1_25partition_config_selectorILNS1_17partition_subalgoE9EtjbEEZZNS1_14partition_implILS5_9ELb0ES3_jN6thrust23THRUST_200600_302600_NS6detail15normal_iteratorINS9_10device_ptrItEEEENSB_INSC_IjEEEEPNS0_10empty_typeENS0_5tupleIJNS9_16discard_iteratorINS9_11use_defaultEEESH_EEENSJ_IJSG_SI_EEENS0_18inequality_wrapperINS9_8equal_toItEEEEPmJSH_EEE10hipError_tPvRmT3_T4_T5_T6_T7_T9_mT8_P12ihipStream_tbDpT10_ENKUlT_T0_E_clISt17integral_constantIbLb0EES1D_EEDaS18_S19_EUlS18_E_NS1_11comp_targetILNS1_3genE0ELNS1_11target_archE4294967295ELNS1_3gpuE0ELNS1_3repE0EEENS1_30default_config_static_selectorELNS0_4arch9wavefront6targetE0EEEvT1_ ; -- Begin function _ZN7rocprim17ROCPRIM_400000_NS6detail17trampoline_kernelINS0_14default_configENS1_25partition_config_selectorILNS1_17partition_subalgoE9EtjbEEZZNS1_14partition_implILS5_9ELb0ES3_jN6thrust23THRUST_200600_302600_NS6detail15normal_iteratorINS9_10device_ptrItEEEENSB_INSC_IjEEEEPNS0_10empty_typeENS0_5tupleIJNS9_16discard_iteratorINS9_11use_defaultEEESH_EEENSJ_IJSG_SI_EEENS0_18inequality_wrapperINS9_8equal_toItEEEEPmJSH_EEE10hipError_tPvRmT3_T4_T5_T6_T7_T9_mT8_P12ihipStream_tbDpT10_ENKUlT_T0_E_clISt17integral_constantIbLb0EES1D_EEDaS18_S19_EUlS18_E_NS1_11comp_targetILNS1_3genE0ELNS1_11target_archE4294967295ELNS1_3gpuE0ELNS1_3repE0EEENS1_30default_config_static_selectorELNS0_4arch9wavefront6targetE0EEEvT1_
	.globl	_ZN7rocprim17ROCPRIM_400000_NS6detail17trampoline_kernelINS0_14default_configENS1_25partition_config_selectorILNS1_17partition_subalgoE9EtjbEEZZNS1_14partition_implILS5_9ELb0ES3_jN6thrust23THRUST_200600_302600_NS6detail15normal_iteratorINS9_10device_ptrItEEEENSB_INSC_IjEEEEPNS0_10empty_typeENS0_5tupleIJNS9_16discard_iteratorINS9_11use_defaultEEESH_EEENSJ_IJSG_SI_EEENS0_18inequality_wrapperINS9_8equal_toItEEEEPmJSH_EEE10hipError_tPvRmT3_T4_T5_T6_T7_T9_mT8_P12ihipStream_tbDpT10_ENKUlT_T0_E_clISt17integral_constantIbLb0EES1D_EEDaS18_S19_EUlS18_E_NS1_11comp_targetILNS1_3genE0ELNS1_11target_archE4294967295ELNS1_3gpuE0ELNS1_3repE0EEENS1_30default_config_static_selectorELNS0_4arch9wavefront6targetE0EEEvT1_
	.p2align	8
	.type	_ZN7rocprim17ROCPRIM_400000_NS6detail17trampoline_kernelINS0_14default_configENS1_25partition_config_selectorILNS1_17partition_subalgoE9EtjbEEZZNS1_14partition_implILS5_9ELb0ES3_jN6thrust23THRUST_200600_302600_NS6detail15normal_iteratorINS9_10device_ptrItEEEENSB_INSC_IjEEEEPNS0_10empty_typeENS0_5tupleIJNS9_16discard_iteratorINS9_11use_defaultEEESH_EEENSJ_IJSG_SI_EEENS0_18inequality_wrapperINS9_8equal_toItEEEEPmJSH_EEE10hipError_tPvRmT3_T4_T5_T6_T7_T9_mT8_P12ihipStream_tbDpT10_ENKUlT_T0_E_clISt17integral_constantIbLb0EES1D_EEDaS18_S19_EUlS18_E_NS1_11comp_targetILNS1_3genE0ELNS1_11target_archE4294967295ELNS1_3gpuE0ELNS1_3repE0EEENS1_30default_config_static_selectorELNS0_4arch9wavefront6targetE0EEEvT1_,@function
_ZN7rocprim17ROCPRIM_400000_NS6detail17trampoline_kernelINS0_14default_configENS1_25partition_config_selectorILNS1_17partition_subalgoE9EtjbEEZZNS1_14partition_implILS5_9ELb0ES3_jN6thrust23THRUST_200600_302600_NS6detail15normal_iteratorINS9_10device_ptrItEEEENSB_INSC_IjEEEEPNS0_10empty_typeENS0_5tupleIJNS9_16discard_iteratorINS9_11use_defaultEEESH_EEENSJ_IJSG_SI_EEENS0_18inequality_wrapperINS9_8equal_toItEEEEPmJSH_EEE10hipError_tPvRmT3_T4_T5_T6_T7_T9_mT8_P12ihipStream_tbDpT10_ENKUlT_T0_E_clISt17integral_constantIbLb0EES1D_EEDaS18_S19_EUlS18_E_NS1_11comp_targetILNS1_3genE0ELNS1_11target_archE4294967295ELNS1_3gpuE0ELNS1_3repE0EEENS1_30default_config_static_selectorELNS0_4arch9wavefront6targetE0EEEvT1_: ; @_ZN7rocprim17ROCPRIM_400000_NS6detail17trampoline_kernelINS0_14default_configENS1_25partition_config_selectorILNS1_17partition_subalgoE9EtjbEEZZNS1_14partition_implILS5_9ELb0ES3_jN6thrust23THRUST_200600_302600_NS6detail15normal_iteratorINS9_10device_ptrItEEEENSB_INSC_IjEEEEPNS0_10empty_typeENS0_5tupleIJNS9_16discard_iteratorINS9_11use_defaultEEESH_EEENSJ_IJSG_SI_EEENS0_18inequality_wrapperINS9_8equal_toItEEEEPmJSH_EEE10hipError_tPvRmT3_T4_T5_T6_T7_T9_mT8_P12ihipStream_tbDpT10_ENKUlT_T0_E_clISt17integral_constantIbLb0EES1D_EEDaS18_S19_EUlS18_E_NS1_11comp_targetILNS1_3genE0ELNS1_11target_archE4294967295ELNS1_3gpuE0ELNS1_3repE0EEENS1_30default_config_static_selectorELNS0_4arch9wavefront6targetE0EEEvT1_
; %bb.0:
	.section	.rodata,"a",@progbits
	.p2align	6, 0x0
	.amdhsa_kernel _ZN7rocprim17ROCPRIM_400000_NS6detail17trampoline_kernelINS0_14default_configENS1_25partition_config_selectorILNS1_17partition_subalgoE9EtjbEEZZNS1_14partition_implILS5_9ELb0ES3_jN6thrust23THRUST_200600_302600_NS6detail15normal_iteratorINS9_10device_ptrItEEEENSB_INSC_IjEEEEPNS0_10empty_typeENS0_5tupleIJNS9_16discard_iteratorINS9_11use_defaultEEESH_EEENSJ_IJSG_SI_EEENS0_18inequality_wrapperINS9_8equal_toItEEEEPmJSH_EEE10hipError_tPvRmT3_T4_T5_T6_T7_T9_mT8_P12ihipStream_tbDpT10_ENKUlT_T0_E_clISt17integral_constantIbLb0EES1D_EEDaS18_S19_EUlS18_E_NS1_11comp_targetILNS1_3genE0ELNS1_11target_archE4294967295ELNS1_3gpuE0ELNS1_3repE0EEENS1_30default_config_static_selectorELNS0_4arch9wavefront6targetE0EEEvT1_
		.amdhsa_group_segment_fixed_size 0
		.amdhsa_private_segment_fixed_size 0
		.amdhsa_kernarg_size 120
		.amdhsa_user_sgpr_count 15
		.amdhsa_user_sgpr_dispatch_ptr 0
		.amdhsa_user_sgpr_queue_ptr 0
		.amdhsa_user_sgpr_kernarg_segment_ptr 1
		.amdhsa_user_sgpr_dispatch_id 0
		.amdhsa_user_sgpr_private_segment_size 0
		.amdhsa_wavefront_size32 1
		.amdhsa_uses_dynamic_stack 0
		.amdhsa_enable_private_segment 0
		.amdhsa_system_sgpr_workgroup_id_x 1
		.amdhsa_system_sgpr_workgroup_id_y 0
		.amdhsa_system_sgpr_workgroup_id_z 0
		.amdhsa_system_sgpr_workgroup_info 0
		.amdhsa_system_vgpr_workitem_id 0
		.amdhsa_next_free_vgpr 1
		.amdhsa_next_free_sgpr 1
		.amdhsa_reserve_vcc 0
		.amdhsa_float_round_mode_32 0
		.amdhsa_float_round_mode_16_64 0
		.amdhsa_float_denorm_mode_32 3
		.amdhsa_float_denorm_mode_16_64 3
		.amdhsa_dx10_clamp 1
		.amdhsa_ieee_mode 1
		.amdhsa_fp16_overflow 0
		.amdhsa_workgroup_processor_mode 1
		.amdhsa_memory_ordered 1
		.amdhsa_forward_progress 0
		.amdhsa_shared_vgpr_count 0
		.amdhsa_exception_fp_ieee_invalid_op 0
		.amdhsa_exception_fp_denorm_src 0
		.amdhsa_exception_fp_ieee_div_zero 0
		.amdhsa_exception_fp_ieee_overflow 0
		.amdhsa_exception_fp_ieee_underflow 0
		.amdhsa_exception_fp_ieee_inexact 0
		.amdhsa_exception_int_div_zero 0
	.end_amdhsa_kernel
	.section	.text._ZN7rocprim17ROCPRIM_400000_NS6detail17trampoline_kernelINS0_14default_configENS1_25partition_config_selectorILNS1_17partition_subalgoE9EtjbEEZZNS1_14partition_implILS5_9ELb0ES3_jN6thrust23THRUST_200600_302600_NS6detail15normal_iteratorINS9_10device_ptrItEEEENSB_INSC_IjEEEEPNS0_10empty_typeENS0_5tupleIJNS9_16discard_iteratorINS9_11use_defaultEEESH_EEENSJ_IJSG_SI_EEENS0_18inequality_wrapperINS9_8equal_toItEEEEPmJSH_EEE10hipError_tPvRmT3_T4_T5_T6_T7_T9_mT8_P12ihipStream_tbDpT10_ENKUlT_T0_E_clISt17integral_constantIbLb0EES1D_EEDaS18_S19_EUlS18_E_NS1_11comp_targetILNS1_3genE0ELNS1_11target_archE4294967295ELNS1_3gpuE0ELNS1_3repE0EEENS1_30default_config_static_selectorELNS0_4arch9wavefront6targetE0EEEvT1_,"axG",@progbits,_ZN7rocprim17ROCPRIM_400000_NS6detail17trampoline_kernelINS0_14default_configENS1_25partition_config_selectorILNS1_17partition_subalgoE9EtjbEEZZNS1_14partition_implILS5_9ELb0ES3_jN6thrust23THRUST_200600_302600_NS6detail15normal_iteratorINS9_10device_ptrItEEEENSB_INSC_IjEEEEPNS0_10empty_typeENS0_5tupleIJNS9_16discard_iteratorINS9_11use_defaultEEESH_EEENSJ_IJSG_SI_EEENS0_18inequality_wrapperINS9_8equal_toItEEEEPmJSH_EEE10hipError_tPvRmT3_T4_T5_T6_T7_T9_mT8_P12ihipStream_tbDpT10_ENKUlT_T0_E_clISt17integral_constantIbLb0EES1D_EEDaS18_S19_EUlS18_E_NS1_11comp_targetILNS1_3genE0ELNS1_11target_archE4294967295ELNS1_3gpuE0ELNS1_3repE0EEENS1_30default_config_static_selectorELNS0_4arch9wavefront6targetE0EEEvT1_,comdat
.Lfunc_end949:
	.size	_ZN7rocprim17ROCPRIM_400000_NS6detail17trampoline_kernelINS0_14default_configENS1_25partition_config_selectorILNS1_17partition_subalgoE9EtjbEEZZNS1_14partition_implILS5_9ELb0ES3_jN6thrust23THRUST_200600_302600_NS6detail15normal_iteratorINS9_10device_ptrItEEEENSB_INSC_IjEEEEPNS0_10empty_typeENS0_5tupleIJNS9_16discard_iteratorINS9_11use_defaultEEESH_EEENSJ_IJSG_SI_EEENS0_18inequality_wrapperINS9_8equal_toItEEEEPmJSH_EEE10hipError_tPvRmT3_T4_T5_T6_T7_T9_mT8_P12ihipStream_tbDpT10_ENKUlT_T0_E_clISt17integral_constantIbLb0EES1D_EEDaS18_S19_EUlS18_E_NS1_11comp_targetILNS1_3genE0ELNS1_11target_archE4294967295ELNS1_3gpuE0ELNS1_3repE0EEENS1_30default_config_static_selectorELNS0_4arch9wavefront6targetE0EEEvT1_, .Lfunc_end949-_ZN7rocprim17ROCPRIM_400000_NS6detail17trampoline_kernelINS0_14default_configENS1_25partition_config_selectorILNS1_17partition_subalgoE9EtjbEEZZNS1_14partition_implILS5_9ELb0ES3_jN6thrust23THRUST_200600_302600_NS6detail15normal_iteratorINS9_10device_ptrItEEEENSB_INSC_IjEEEEPNS0_10empty_typeENS0_5tupleIJNS9_16discard_iteratorINS9_11use_defaultEEESH_EEENSJ_IJSG_SI_EEENS0_18inequality_wrapperINS9_8equal_toItEEEEPmJSH_EEE10hipError_tPvRmT3_T4_T5_T6_T7_T9_mT8_P12ihipStream_tbDpT10_ENKUlT_T0_E_clISt17integral_constantIbLb0EES1D_EEDaS18_S19_EUlS18_E_NS1_11comp_targetILNS1_3genE0ELNS1_11target_archE4294967295ELNS1_3gpuE0ELNS1_3repE0EEENS1_30default_config_static_selectorELNS0_4arch9wavefront6targetE0EEEvT1_
                                        ; -- End function
	.section	.AMDGPU.csdata,"",@progbits
; Kernel info:
; codeLenInByte = 0
; NumSgprs: 0
; NumVgprs: 0
; ScratchSize: 0
; MemoryBound: 0
; FloatMode: 240
; IeeeMode: 1
; LDSByteSize: 0 bytes/workgroup (compile time only)
; SGPRBlocks: 0
; VGPRBlocks: 0
; NumSGPRsForWavesPerEU: 1
; NumVGPRsForWavesPerEU: 1
; Occupancy: 16
; WaveLimiterHint : 0
; COMPUTE_PGM_RSRC2:SCRATCH_EN: 0
; COMPUTE_PGM_RSRC2:USER_SGPR: 15
; COMPUTE_PGM_RSRC2:TRAP_HANDLER: 0
; COMPUTE_PGM_RSRC2:TGID_X_EN: 1
; COMPUTE_PGM_RSRC2:TGID_Y_EN: 0
; COMPUTE_PGM_RSRC2:TGID_Z_EN: 0
; COMPUTE_PGM_RSRC2:TIDIG_COMP_CNT: 0
	.section	.text._ZN7rocprim17ROCPRIM_400000_NS6detail17trampoline_kernelINS0_14default_configENS1_25partition_config_selectorILNS1_17partition_subalgoE9EtjbEEZZNS1_14partition_implILS5_9ELb0ES3_jN6thrust23THRUST_200600_302600_NS6detail15normal_iteratorINS9_10device_ptrItEEEENSB_INSC_IjEEEEPNS0_10empty_typeENS0_5tupleIJNS9_16discard_iteratorINS9_11use_defaultEEESH_EEENSJ_IJSG_SI_EEENS0_18inequality_wrapperINS9_8equal_toItEEEEPmJSH_EEE10hipError_tPvRmT3_T4_T5_T6_T7_T9_mT8_P12ihipStream_tbDpT10_ENKUlT_T0_E_clISt17integral_constantIbLb0EES1D_EEDaS18_S19_EUlS18_E_NS1_11comp_targetILNS1_3genE5ELNS1_11target_archE942ELNS1_3gpuE9ELNS1_3repE0EEENS1_30default_config_static_selectorELNS0_4arch9wavefront6targetE0EEEvT1_,"axG",@progbits,_ZN7rocprim17ROCPRIM_400000_NS6detail17trampoline_kernelINS0_14default_configENS1_25partition_config_selectorILNS1_17partition_subalgoE9EtjbEEZZNS1_14partition_implILS5_9ELb0ES3_jN6thrust23THRUST_200600_302600_NS6detail15normal_iteratorINS9_10device_ptrItEEEENSB_INSC_IjEEEEPNS0_10empty_typeENS0_5tupleIJNS9_16discard_iteratorINS9_11use_defaultEEESH_EEENSJ_IJSG_SI_EEENS0_18inequality_wrapperINS9_8equal_toItEEEEPmJSH_EEE10hipError_tPvRmT3_T4_T5_T6_T7_T9_mT8_P12ihipStream_tbDpT10_ENKUlT_T0_E_clISt17integral_constantIbLb0EES1D_EEDaS18_S19_EUlS18_E_NS1_11comp_targetILNS1_3genE5ELNS1_11target_archE942ELNS1_3gpuE9ELNS1_3repE0EEENS1_30default_config_static_selectorELNS0_4arch9wavefront6targetE0EEEvT1_,comdat
	.protected	_ZN7rocprim17ROCPRIM_400000_NS6detail17trampoline_kernelINS0_14default_configENS1_25partition_config_selectorILNS1_17partition_subalgoE9EtjbEEZZNS1_14partition_implILS5_9ELb0ES3_jN6thrust23THRUST_200600_302600_NS6detail15normal_iteratorINS9_10device_ptrItEEEENSB_INSC_IjEEEEPNS0_10empty_typeENS0_5tupleIJNS9_16discard_iteratorINS9_11use_defaultEEESH_EEENSJ_IJSG_SI_EEENS0_18inequality_wrapperINS9_8equal_toItEEEEPmJSH_EEE10hipError_tPvRmT3_T4_T5_T6_T7_T9_mT8_P12ihipStream_tbDpT10_ENKUlT_T0_E_clISt17integral_constantIbLb0EES1D_EEDaS18_S19_EUlS18_E_NS1_11comp_targetILNS1_3genE5ELNS1_11target_archE942ELNS1_3gpuE9ELNS1_3repE0EEENS1_30default_config_static_selectorELNS0_4arch9wavefront6targetE0EEEvT1_ ; -- Begin function _ZN7rocprim17ROCPRIM_400000_NS6detail17trampoline_kernelINS0_14default_configENS1_25partition_config_selectorILNS1_17partition_subalgoE9EtjbEEZZNS1_14partition_implILS5_9ELb0ES3_jN6thrust23THRUST_200600_302600_NS6detail15normal_iteratorINS9_10device_ptrItEEEENSB_INSC_IjEEEEPNS0_10empty_typeENS0_5tupleIJNS9_16discard_iteratorINS9_11use_defaultEEESH_EEENSJ_IJSG_SI_EEENS0_18inequality_wrapperINS9_8equal_toItEEEEPmJSH_EEE10hipError_tPvRmT3_T4_T5_T6_T7_T9_mT8_P12ihipStream_tbDpT10_ENKUlT_T0_E_clISt17integral_constantIbLb0EES1D_EEDaS18_S19_EUlS18_E_NS1_11comp_targetILNS1_3genE5ELNS1_11target_archE942ELNS1_3gpuE9ELNS1_3repE0EEENS1_30default_config_static_selectorELNS0_4arch9wavefront6targetE0EEEvT1_
	.globl	_ZN7rocprim17ROCPRIM_400000_NS6detail17trampoline_kernelINS0_14default_configENS1_25partition_config_selectorILNS1_17partition_subalgoE9EtjbEEZZNS1_14partition_implILS5_9ELb0ES3_jN6thrust23THRUST_200600_302600_NS6detail15normal_iteratorINS9_10device_ptrItEEEENSB_INSC_IjEEEEPNS0_10empty_typeENS0_5tupleIJNS9_16discard_iteratorINS9_11use_defaultEEESH_EEENSJ_IJSG_SI_EEENS0_18inequality_wrapperINS9_8equal_toItEEEEPmJSH_EEE10hipError_tPvRmT3_T4_T5_T6_T7_T9_mT8_P12ihipStream_tbDpT10_ENKUlT_T0_E_clISt17integral_constantIbLb0EES1D_EEDaS18_S19_EUlS18_E_NS1_11comp_targetILNS1_3genE5ELNS1_11target_archE942ELNS1_3gpuE9ELNS1_3repE0EEENS1_30default_config_static_selectorELNS0_4arch9wavefront6targetE0EEEvT1_
	.p2align	8
	.type	_ZN7rocprim17ROCPRIM_400000_NS6detail17trampoline_kernelINS0_14default_configENS1_25partition_config_selectorILNS1_17partition_subalgoE9EtjbEEZZNS1_14partition_implILS5_9ELb0ES3_jN6thrust23THRUST_200600_302600_NS6detail15normal_iteratorINS9_10device_ptrItEEEENSB_INSC_IjEEEEPNS0_10empty_typeENS0_5tupleIJNS9_16discard_iteratorINS9_11use_defaultEEESH_EEENSJ_IJSG_SI_EEENS0_18inequality_wrapperINS9_8equal_toItEEEEPmJSH_EEE10hipError_tPvRmT3_T4_T5_T6_T7_T9_mT8_P12ihipStream_tbDpT10_ENKUlT_T0_E_clISt17integral_constantIbLb0EES1D_EEDaS18_S19_EUlS18_E_NS1_11comp_targetILNS1_3genE5ELNS1_11target_archE942ELNS1_3gpuE9ELNS1_3repE0EEENS1_30default_config_static_selectorELNS0_4arch9wavefront6targetE0EEEvT1_,@function
_ZN7rocprim17ROCPRIM_400000_NS6detail17trampoline_kernelINS0_14default_configENS1_25partition_config_selectorILNS1_17partition_subalgoE9EtjbEEZZNS1_14partition_implILS5_9ELb0ES3_jN6thrust23THRUST_200600_302600_NS6detail15normal_iteratorINS9_10device_ptrItEEEENSB_INSC_IjEEEEPNS0_10empty_typeENS0_5tupleIJNS9_16discard_iteratorINS9_11use_defaultEEESH_EEENSJ_IJSG_SI_EEENS0_18inequality_wrapperINS9_8equal_toItEEEEPmJSH_EEE10hipError_tPvRmT3_T4_T5_T6_T7_T9_mT8_P12ihipStream_tbDpT10_ENKUlT_T0_E_clISt17integral_constantIbLb0EES1D_EEDaS18_S19_EUlS18_E_NS1_11comp_targetILNS1_3genE5ELNS1_11target_archE942ELNS1_3gpuE9ELNS1_3repE0EEENS1_30default_config_static_selectorELNS0_4arch9wavefront6targetE0EEEvT1_: ; @_ZN7rocprim17ROCPRIM_400000_NS6detail17trampoline_kernelINS0_14default_configENS1_25partition_config_selectorILNS1_17partition_subalgoE9EtjbEEZZNS1_14partition_implILS5_9ELb0ES3_jN6thrust23THRUST_200600_302600_NS6detail15normal_iteratorINS9_10device_ptrItEEEENSB_INSC_IjEEEEPNS0_10empty_typeENS0_5tupleIJNS9_16discard_iteratorINS9_11use_defaultEEESH_EEENSJ_IJSG_SI_EEENS0_18inequality_wrapperINS9_8equal_toItEEEEPmJSH_EEE10hipError_tPvRmT3_T4_T5_T6_T7_T9_mT8_P12ihipStream_tbDpT10_ENKUlT_T0_E_clISt17integral_constantIbLb0EES1D_EEDaS18_S19_EUlS18_E_NS1_11comp_targetILNS1_3genE5ELNS1_11target_archE942ELNS1_3gpuE9ELNS1_3repE0EEENS1_30default_config_static_selectorELNS0_4arch9wavefront6targetE0EEEvT1_
; %bb.0:
	.section	.rodata,"a",@progbits
	.p2align	6, 0x0
	.amdhsa_kernel _ZN7rocprim17ROCPRIM_400000_NS6detail17trampoline_kernelINS0_14default_configENS1_25partition_config_selectorILNS1_17partition_subalgoE9EtjbEEZZNS1_14partition_implILS5_9ELb0ES3_jN6thrust23THRUST_200600_302600_NS6detail15normal_iteratorINS9_10device_ptrItEEEENSB_INSC_IjEEEEPNS0_10empty_typeENS0_5tupleIJNS9_16discard_iteratorINS9_11use_defaultEEESH_EEENSJ_IJSG_SI_EEENS0_18inequality_wrapperINS9_8equal_toItEEEEPmJSH_EEE10hipError_tPvRmT3_T4_T5_T6_T7_T9_mT8_P12ihipStream_tbDpT10_ENKUlT_T0_E_clISt17integral_constantIbLb0EES1D_EEDaS18_S19_EUlS18_E_NS1_11comp_targetILNS1_3genE5ELNS1_11target_archE942ELNS1_3gpuE9ELNS1_3repE0EEENS1_30default_config_static_selectorELNS0_4arch9wavefront6targetE0EEEvT1_
		.amdhsa_group_segment_fixed_size 0
		.amdhsa_private_segment_fixed_size 0
		.amdhsa_kernarg_size 120
		.amdhsa_user_sgpr_count 15
		.amdhsa_user_sgpr_dispatch_ptr 0
		.amdhsa_user_sgpr_queue_ptr 0
		.amdhsa_user_sgpr_kernarg_segment_ptr 1
		.amdhsa_user_sgpr_dispatch_id 0
		.amdhsa_user_sgpr_private_segment_size 0
		.amdhsa_wavefront_size32 1
		.amdhsa_uses_dynamic_stack 0
		.amdhsa_enable_private_segment 0
		.amdhsa_system_sgpr_workgroup_id_x 1
		.amdhsa_system_sgpr_workgroup_id_y 0
		.amdhsa_system_sgpr_workgroup_id_z 0
		.amdhsa_system_sgpr_workgroup_info 0
		.amdhsa_system_vgpr_workitem_id 0
		.amdhsa_next_free_vgpr 1
		.amdhsa_next_free_sgpr 1
		.amdhsa_reserve_vcc 0
		.amdhsa_float_round_mode_32 0
		.amdhsa_float_round_mode_16_64 0
		.amdhsa_float_denorm_mode_32 3
		.amdhsa_float_denorm_mode_16_64 3
		.amdhsa_dx10_clamp 1
		.amdhsa_ieee_mode 1
		.amdhsa_fp16_overflow 0
		.amdhsa_workgroup_processor_mode 1
		.amdhsa_memory_ordered 1
		.amdhsa_forward_progress 0
		.amdhsa_shared_vgpr_count 0
		.amdhsa_exception_fp_ieee_invalid_op 0
		.amdhsa_exception_fp_denorm_src 0
		.amdhsa_exception_fp_ieee_div_zero 0
		.amdhsa_exception_fp_ieee_overflow 0
		.amdhsa_exception_fp_ieee_underflow 0
		.amdhsa_exception_fp_ieee_inexact 0
		.amdhsa_exception_int_div_zero 0
	.end_amdhsa_kernel
	.section	.text._ZN7rocprim17ROCPRIM_400000_NS6detail17trampoline_kernelINS0_14default_configENS1_25partition_config_selectorILNS1_17partition_subalgoE9EtjbEEZZNS1_14partition_implILS5_9ELb0ES3_jN6thrust23THRUST_200600_302600_NS6detail15normal_iteratorINS9_10device_ptrItEEEENSB_INSC_IjEEEEPNS0_10empty_typeENS0_5tupleIJNS9_16discard_iteratorINS9_11use_defaultEEESH_EEENSJ_IJSG_SI_EEENS0_18inequality_wrapperINS9_8equal_toItEEEEPmJSH_EEE10hipError_tPvRmT3_T4_T5_T6_T7_T9_mT8_P12ihipStream_tbDpT10_ENKUlT_T0_E_clISt17integral_constantIbLb0EES1D_EEDaS18_S19_EUlS18_E_NS1_11comp_targetILNS1_3genE5ELNS1_11target_archE942ELNS1_3gpuE9ELNS1_3repE0EEENS1_30default_config_static_selectorELNS0_4arch9wavefront6targetE0EEEvT1_,"axG",@progbits,_ZN7rocprim17ROCPRIM_400000_NS6detail17trampoline_kernelINS0_14default_configENS1_25partition_config_selectorILNS1_17partition_subalgoE9EtjbEEZZNS1_14partition_implILS5_9ELb0ES3_jN6thrust23THRUST_200600_302600_NS6detail15normal_iteratorINS9_10device_ptrItEEEENSB_INSC_IjEEEEPNS0_10empty_typeENS0_5tupleIJNS9_16discard_iteratorINS9_11use_defaultEEESH_EEENSJ_IJSG_SI_EEENS0_18inequality_wrapperINS9_8equal_toItEEEEPmJSH_EEE10hipError_tPvRmT3_T4_T5_T6_T7_T9_mT8_P12ihipStream_tbDpT10_ENKUlT_T0_E_clISt17integral_constantIbLb0EES1D_EEDaS18_S19_EUlS18_E_NS1_11comp_targetILNS1_3genE5ELNS1_11target_archE942ELNS1_3gpuE9ELNS1_3repE0EEENS1_30default_config_static_selectorELNS0_4arch9wavefront6targetE0EEEvT1_,comdat
.Lfunc_end950:
	.size	_ZN7rocprim17ROCPRIM_400000_NS6detail17trampoline_kernelINS0_14default_configENS1_25partition_config_selectorILNS1_17partition_subalgoE9EtjbEEZZNS1_14partition_implILS5_9ELb0ES3_jN6thrust23THRUST_200600_302600_NS6detail15normal_iteratorINS9_10device_ptrItEEEENSB_INSC_IjEEEEPNS0_10empty_typeENS0_5tupleIJNS9_16discard_iteratorINS9_11use_defaultEEESH_EEENSJ_IJSG_SI_EEENS0_18inequality_wrapperINS9_8equal_toItEEEEPmJSH_EEE10hipError_tPvRmT3_T4_T5_T6_T7_T9_mT8_P12ihipStream_tbDpT10_ENKUlT_T0_E_clISt17integral_constantIbLb0EES1D_EEDaS18_S19_EUlS18_E_NS1_11comp_targetILNS1_3genE5ELNS1_11target_archE942ELNS1_3gpuE9ELNS1_3repE0EEENS1_30default_config_static_selectorELNS0_4arch9wavefront6targetE0EEEvT1_, .Lfunc_end950-_ZN7rocprim17ROCPRIM_400000_NS6detail17trampoline_kernelINS0_14default_configENS1_25partition_config_selectorILNS1_17partition_subalgoE9EtjbEEZZNS1_14partition_implILS5_9ELb0ES3_jN6thrust23THRUST_200600_302600_NS6detail15normal_iteratorINS9_10device_ptrItEEEENSB_INSC_IjEEEEPNS0_10empty_typeENS0_5tupleIJNS9_16discard_iteratorINS9_11use_defaultEEESH_EEENSJ_IJSG_SI_EEENS0_18inequality_wrapperINS9_8equal_toItEEEEPmJSH_EEE10hipError_tPvRmT3_T4_T5_T6_T7_T9_mT8_P12ihipStream_tbDpT10_ENKUlT_T0_E_clISt17integral_constantIbLb0EES1D_EEDaS18_S19_EUlS18_E_NS1_11comp_targetILNS1_3genE5ELNS1_11target_archE942ELNS1_3gpuE9ELNS1_3repE0EEENS1_30default_config_static_selectorELNS0_4arch9wavefront6targetE0EEEvT1_
                                        ; -- End function
	.section	.AMDGPU.csdata,"",@progbits
; Kernel info:
; codeLenInByte = 0
; NumSgprs: 0
; NumVgprs: 0
; ScratchSize: 0
; MemoryBound: 0
; FloatMode: 240
; IeeeMode: 1
; LDSByteSize: 0 bytes/workgroup (compile time only)
; SGPRBlocks: 0
; VGPRBlocks: 0
; NumSGPRsForWavesPerEU: 1
; NumVGPRsForWavesPerEU: 1
; Occupancy: 16
; WaveLimiterHint : 0
; COMPUTE_PGM_RSRC2:SCRATCH_EN: 0
; COMPUTE_PGM_RSRC2:USER_SGPR: 15
; COMPUTE_PGM_RSRC2:TRAP_HANDLER: 0
; COMPUTE_PGM_RSRC2:TGID_X_EN: 1
; COMPUTE_PGM_RSRC2:TGID_Y_EN: 0
; COMPUTE_PGM_RSRC2:TGID_Z_EN: 0
; COMPUTE_PGM_RSRC2:TIDIG_COMP_CNT: 0
	.section	.text._ZN7rocprim17ROCPRIM_400000_NS6detail17trampoline_kernelINS0_14default_configENS1_25partition_config_selectorILNS1_17partition_subalgoE9EtjbEEZZNS1_14partition_implILS5_9ELb0ES3_jN6thrust23THRUST_200600_302600_NS6detail15normal_iteratorINS9_10device_ptrItEEEENSB_INSC_IjEEEEPNS0_10empty_typeENS0_5tupleIJNS9_16discard_iteratorINS9_11use_defaultEEESH_EEENSJ_IJSG_SI_EEENS0_18inequality_wrapperINS9_8equal_toItEEEEPmJSH_EEE10hipError_tPvRmT3_T4_T5_T6_T7_T9_mT8_P12ihipStream_tbDpT10_ENKUlT_T0_E_clISt17integral_constantIbLb0EES1D_EEDaS18_S19_EUlS18_E_NS1_11comp_targetILNS1_3genE4ELNS1_11target_archE910ELNS1_3gpuE8ELNS1_3repE0EEENS1_30default_config_static_selectorELNS0_4arch9wavefront6targetE0EEEvT1_,"axG",@progbits,_ZN7rocprim17ROCPRIM_400000_NS6detail17trampoline_kernelINS0_14default_configENS1_25partition_config_selectorILNS1_17partition_subalgoE9EtjbEEZZNS1_14partition_implILS5_9ELb0ES3_jN6thrust23THRUST_200600_302600_NS6detail15normal_iteratorINS9_10device_ptrItEEEENSB_INSC_IjEEEEPNS0_10empty_typeENS0_5tupleIJNS9_16discard_iteratorINS9_11use_defaultEEESH_EEENSJ_IJSG_SI_EEENS0_18inequality_wrapperINS9_8equal_toItEEEEPmJSH_EEE10hipError_tPvRmT3_T4_T5_T6_T7_T9_mT8_P12ihipStream_tbDpT10_ENKUlT_T0_E_clISt17integral_constantIbLb0EES1D_EEDaS18_S19_EUlS18_E_NS1_11comp_targetILNS1_3genE4ELNS1_11target_archE910ELNS1_3gpuE8ELNS1_3repE0EEENS1_30default_config_static_selectorELNS0_4arch9wavefront6targetE0EEEvT1_,comdat
	.protected	_ZN7rocprim17ROCPRIM_400000_NS6detail17trampoline_kernelINS0_14default_configENS1_25partition_config_selectorILNS1_17partition_subalgoE9EtjbEEZZNS1_14partition_implILS5_9ELb0ES3_jN6thrust23THRUST_200600_302600_NS6detail15normal_iteratorINS9_10device_ptrItEEEENSB_INSC_IjEEEEPNS0_10empty_typeENS0_5tupleIJNS9_16discard_iteratorINS9_11use_defaultEEESH_EEENSJ_IJSG_SI_EEENS0_18inequality_wrapperINS9_8equal_toItEEEEPmJSH_EEE10hipError_tPvRmT3_T4_T5_T6_T7_T9_mT8_P12ihipStream_tbDpT10_ENKUlT_T0_E_clISt17integral_constantIbLb0EES1D_EEDaS18_S19_EUlS18_E_NS1_11comp_targetILNS1_3genE4ELNS1_11target_archE910ELNS1_3gpuE8ELNS1_3repE0EEENS1_30default_config_static_selectorELNS0_4arch9wavefront6targetE0EEEvT1_ ; -- Begin function _ZN7rocprim17ROCPRIM_400000_NS6detail17trampoline_kernelINS0_14default_configENS1_25partition_config_selectorILNS1_17partition_subalgoE9EtjbEEZZNS1_14partition_implILS5_9ELb0ES3_jN6thrust23THRUST_200600_302600_NS6detail15normal_iteratorINS9_10device_ptrItEEEENSB_INSC_IjEEEEPNS0_10empty_typeENS0_5tupleIJNS9_16discard_iteratorINS9_11use_defaultEEESH_EEENSJ_IJSG_SI_EEENS0_18inequality_wrapperINS9_8equal_toItEEEEPmJSH_EEE10hipError_tPvRmT3_T4_T5_T6_T7_T9_mT8_P12ihipStream_tbDpT10_ENKUlT_T0_E_clISt17integral_constantIbLb0EES1D_EEDaS18_S19_EUlS18_E_NS1_11comp_targetILNS1_3genE4ELNS1_11target_archE910ELNS1_3gpuE8ELNS1_3repE0EEENS1_30default_config_static_selectorELNS0_4arch9wavefront6targetE0EEEvT1_
	.globl	_ZN7rocprim17ROCPRIM_400000_NS6detail17trampoline_kernelINS0_14default_configENS1_25partition_config_selectorILNS1_17partition_subalgoE9EtjbEEZZNS1_14partition_implILS5_9ELb0ES3_jN6thrust23THRUST_200600_302600_NS6detail15normal_iteratorINS9_10device_ptrItEEEENSB_INSC_IjEEEEPNS0_10empty_typeENS0_5tupleIJNS9_16discard_iteratorINS9_11use_defaultEEESH_EEENSJ_IJSG_SI_EEENS0_18inequality_wrapperINS9_8equal_toItEEEEPmJSH_EEE10hipError_tPvRmT3_T4_T5_T6_T7_T9_mT8_P12ihipStream_tbDpT10_ENKUlT_T0_E_clISt17integral_constantIbLb0EES1D_EEDaS18_S19_EUlS18_E_NS1_11comp_targetILNS1_3genE4ELNS1_11target_archE910ELNS1_3gpuE8ELNS1_3repE0EEENS1_30default_config_static_selectorELNS0_4arch9wavefront6targetE0EEEvT1_
	.p2align	8
	.type	_ZN7rocprim17ROCPRIM_400000_NS6detail17trampoline_kernelINS0_14default_configENS1_25partition_config_selectorILNS1_17partition_subalgoE9EtjbEEZZNS1_14partition_implILS5_9ELb0ES3_jN6thrust23THRUST_200600_302600_NS6detail15normal_iteratorINS9_10device_ptrItEEEENSB_INSC_IjEEEEPNS0_10empty_typeENS0_5tupleIJNS9_16discard_iteratorINS9_11use_defaultEEESH_EEENSJ_IJSG_SI_EEENS0_18inequality_wrapperINS9_8equal_toItEEEEPmJSH_EEE10hipError_tPvRmT3_T4_T5_T6_T7_T9_mT8_P12ihipStream_tbDpT10_ENKUlT_T0_E_clISt17integral_constantIbLb0EES1D_EEDaS18_S19_EUlS18_E_NS1_11comp_targetILNS1_3genE4ELNS1_11target_archE910ELNS1_3gpuE8ELNS1_3repE0EEENS1_30default_config_static_selectorELNS0_4arch9wavefront6targetE0EEEvT1_,@function
_ZN7rocprim17ROCPRIM_400000_NS6detail17trampoline_kernelINS0_14default_configENS1_25partition_config_selectorILNS1_17partition_subalgoE9EtjbEEZZNS1_14partition_implILS5_9ELb0ES3_jN6thrust23THRUST_200600_302600_NS6detail15normal_iteratorINS9_10device_ptrItEEEENSB_INSC_IjEEEEPNS0_10empty_typeENS0_5tupleIJNS9_16discard_iteratorINS9_11use_defaultEEESH_EEENSJ_IJSG_SI_EEENS0_18inequality_wrapperINS9_8equal_toItEEEEPmJSH_EEE10hipError_tPvRmT3_T4_T5_T6_T7_T9_mT8_P12ihipStream_tbDpT10_ENKUlT_T0_E_clISt17integral_constantIbLb0EES1D_EEDaS18_S19_EUlS18_E_NS1_11comp_targetILNS1_3genE4ELNS1_11target_archE910ELNS1_3gpuE8ELNS1_3repE0EEENS1_30default_config_static_selectorELNS0_4arch9wavefront6targetE0EEEvT1_: ; @_ZN7rocprim17ROCPRIM_400000_NS6detail17trampoline_kernelINS0_14default_configENS1_25partition_config_selectorILNS1_17partition_subalgoE9EtjbEEZZNS1_14partition_implILS5_9ELb0ES3_jN6thrust23THRUST_200600_302600_NS6detail15normal_iteratorINS9_10device_ptrItEEEENSB_INSC_IjEEEEPNS0_10empty_typeENS0_5tupleIJNS9_16discard_iteratorINS9_11use_defaultEEESH_EEENSJ_IJSG_SI_EEENS0_18inequality_wrapperINS9_8equal_toItEEEEPmJSH_EEE10hipError_tPvRmT3_T4_T5_T6_T7_T9_mT8_P12ihipStream_tbDpT10_ENKUlT_T0_E_clISt17integral_constantIbLb0EES1D_EEDaS18_S19_EUlS18_E_NS1_11comp_targetILNS1_3genE4ELNS1_11target_archE910ELNS1_3gpuE8ELNS1_3repE0EEENS1_30default_config_static_selectorELNS0_4arch9wavefront6targetE0EEEvT1_
; %bb.0:
	.section	.rodata,"a",@progbits
	.p2align	6, 0x0
	.amdhsa_kernel _ZN7rocprim17ROCPRIM_400000_NS6detail17trampoline_kernelINS0_14default_configENS1_25partition_config_selectorILNS1_17partition_subalgoE9EtjbEEZZNS1_14partition_implILS5_9ELb0ES3_jN6thrust23THRUST_200600_302600_NS6detail15normal_iteratorINS9_10device_ptrItEEEENSB_INSC_IjEEEEPNS0_10empty_typeENS0_5tupleIJNS9_16discard_iteratorINS9_11use_defaultEEESH_EEENSJ_IJSG_SI_EEENS0_18inequality_wrapperINS9_8equal_toItEEEEPmJSH_EEE10hipError_tPvRmT3_T4_T5_T6_T7_T9_mT8_P12ihipStream_tbDpT10_ENKUlT_T0_E_clISt17integral_constantIbLb0EES1D_EEDaS18_S19_EUlS18_E_NS1_11comp_targetILNS1_3genE4ELNS1_11target_archE910ELNS1_3gpuE8ELNS1_3repE0EEENS1_30default_config_static_selectorELNS0_4arch9wavefront6targetE0EEEvT1_
		.amdhsa_group_segment_fixed_size 0
		.amdhsa_private_segment_fixed_size 0
		.amdhsa_kernarg_size 120
		.amdhsa_user_sgpr_count 15
		.amdhsa_user_sgpr_dispatch_ptr 0
		.amdhsa_user_sgpr_queue_ptr 0
		.amdhsa_user_sgpr_kernarg_segment_ptr 1
		.amdhsa_user_sgpr_dispatch_id 0
		.amdhsa_user_sgpr_private_segment_size 0
		.amdhsa_wavefront_size32 1
		.amdhsa_uses_dynamic_stack 0
		.amdhsa_enable_private_segment 0
		.amdhsa_system_sgpr_workgroup_id_x 1
		.amdhsa_system_sgpr_workgroup_id_y 0
		.amdhsa_system_sgpr_workgroup_id_z 0
		.amdhsa_system_sgpr_workgroup_info 0
		.amdhsa_system_vgpr_workitem_id 0
		.amdhsa_next_free_vgpr 1
		.amdhsa_next_free_sgpr 1
		.amdhsa_reserve_vcc 0
		.amdhsa_float_round_mode_32 0
		.amdhsa_float_round_mode_16_64 0
		.amdhsa_float_denorm_mode_32 3
		.amdhsa_float_denorm_mode_16_64 3
		.amdhsa_dx10_clamp 1
		.amdhsa_ieee_mode 1
		.amdhsa_fp16_overflow 0
		.amdhsa_workgroup_processor_mode 1
		.amdhsa_memory_ordered 1
		.amdhsa_forward_progress 0
		.amdhsa_shared_vgpr_count 0
		.amdhsa_exception_fp_ieee_invalid_op 0
		.amdhsa_exception_fp_denorm_src 0
		.amdhsa_exception_fp_ieee_div_zero 0
		.amdhsa_exception_fp_ieee_overflow 0
		.amdhsa_exception_fp_ieee_underflow 0
		.amdhsa_exception_fp_ieee_inexact 0
		.amdhsa_exception_int_div_zero 0
	.end_amdhsa_kernel
	.section	.text._ZN7rocprim17ROCPRIM_400000_NS6detail17trampoline_kernelINS0_14default_configENS1_25partition_config_selectorILNS1_17partition_subalgoE9EtjbEEZZNS1_14partition_implILS5_9ELb0ES3_jN6thrust23THRUST_200600_302600_NS6detail15normal_iteratorINS9_10device_ptrItEEEENSB_INSC_IjEEEEPNS0_10empty_typeENS0_5tupleIJNS9_16discard_iteratorINS9_11use_defaultEEESH_EEENSJ_IJSG_SI_EEENS0_18inequality_wrapperINS9_8equal_toItEEEEPmJSH_EEE10hipError_tPvRmT3_T4_T5_T6_T7_T9_mT8_P12ihipStream_tbDpT10_ENKUlT_T0_E_clISt17integral_constantIbLb0EES1D_EEDaS18_S19_EUlS18_E_NS1_11comp_targetILNS1_3genE4ELNS1_11target_archE910ELNS1_3gpuE8ELNS1_3repE0EEENS1_30default_config_static_selectorELNS0_4arch9wavefront6targetE0EEEvT1_,"axG",@progbits,_ZN7rocprim17ROCPRIM_400000_NS6detail17trampoline_kernelINS0_14default_configENS1_25partition_config_selectorILNS1_17partition_subalgoE9EtjbEEZZNS1_14partition_implILS5_9ELb0ES3_jN6thrust23THRUST_200600_302600_NS6detail15normal_iteratorINS9_10device_ptrItEEEENSB_INSC_IjEEEEPNS0_10empty_typeENS0_5tupleIJNS9_16discard_iteratorINS9_11use_defaultEEESH_EEENSJ_IJSG_SI_EEENS0_18inequality_wrapperINS9_8equal_toItEEEEPmJSH_EEE10hipError_tPvRmT3_T4_T5_T6_T7_T9_mT8_P12ihipStream_tbDpT10_ENKUlT_T0_E_clISt17integral_constantIbLb0EES1D_EEDaS18_S19_EUlS18_E_NS1_11comp_targetILNS1_3genE4ELNS1_11target_archE910ELNS1_3gpuE8ELNS1_3repE0EEENS1_30default_config_static_selectorELNS0_4arch9wavefront6targetE0EEEvT1_,comdat
.Lfunc_end951:
	.size	_ZN7rocprim17ROCPRIM_400000_NS6detail17trampoline_kernelINS0_14default_configENS1_25partition_config_selectorILNS1_17partition_subalgoE9EtjbEEZZNS1_14partition_implILS5_9ELb0ES3_jN6thrust23THRUST_200600_302600_NS6detail15normal_iteratorINS9_10device_ptrItEEEENSB_INSC_IjEEEEPNS0_10empty_typeENS0_5tupleIJNS9_16discard_iteratorINS9_11use_defaultEEESH_EEENSJ_IJSG_SI_EEENS0_18inequality_wrapperINS9_8equal_toItEEEEPmJSH_EEE10hipError_tPvRmT3_T4_T5_T6_T7_T9_mT8_P12ihipStream_tbDpT10_ENKUlT_T0_E_clISt17integral_constantIbLb0EES1D_EEDaS18_S19_EUlS18_E_NS1_11comp_targetILNS1_3genE4ELNS1_11target_archE910ELNS1_3gpuE8ELNS1_3repE0EEENS1_30default_config_static_selectorELNS0_4arch9wavefront6targetE0EEEvT1_, .Lfunc_end951-_ZN7rocprim17ROCPRIM_400000_NS6detail17trampoline_kernelINS0_14default_configENS1_25partition_config_selectorILNS1_17partition_subalgoE9EtjbEEZZNS1_14partition_implILS5_9ELb0ES3_jN6thrust23THRUST_200600_302600_NS6detail15normal_iteratorINS9_10device_ptrItEEEENSB_INSC_IjEEEEPNS0_10empty_typeENS0_5tupleIJNS9_16discard_iteratorINS9_11use_defaultEEESH_EEENSJ_IJSG_SI_EEENS0_18inequality_wrapperINS9_8equal_toItEEEEPmJSH_EEE10hipError_tPvRmT3_T4_T5_T6_T7_T9_mT8_P12ihipStream_tbDpT10_ENKUlT_T0_E_clISt17integral_constantIbLb0EES1D_EEDaS18_S19_EUlS18_E_NS1_11comp_targetILNS1_3genE4ELNS1_11target_archE910ELNS1_3gpuE8ELNS1_3repE0EEENS1_30default_config_static_selectorELNS0_4arch9wavefront6targetE0EEEvT1_
                                        ; -- End function
	.section	.AMDGPU.csdata,"",@progbits
; Kernel info:
; codeLenInByte = 0
; NumSgprs: 0
; NumVgprs: 0
; ScratchSize: 0
; MemoryBound: 0
; FloatMode: 240
; IeeeMode: 1
; LDSByteSize: 0 bytes/workgroup (compile time only)
; SGPRBlocks: 0
; VGPRBlocks: 0
; NumSGPRsForWavesPerEU: 1
; NumVGPRsForWavesPerEU: 1
; Occupancy: 15
; WaveLimiterHint : 0
; COMPUTE_PGM_RSRC2:SCRATCH_EN: 0
; COMPUTE_PGM_RSRC2:USER_SGPR: 15
; COMPUTE_PGM_RSRC2:TRAP_HANDLER: 0
; COMPUTE_PGM_RSRC2:TGID_X_EN: 1
; COMPUTE_PGM_RSRC2:TGID_Y_EN: 0
; COMPUTE_PGM_RSRC2:TGID_Z_EN: 0
; COMPUTE_PGM_RSRC2:TIDIG_COMP_CNT: 0
	.section	.text._ZN7rocprim17ROCPRIM_400000_NS6detail17trampoline_kernelINS0_14default_configENS1_25partition_config_selectorILNS1_17partition_subalgoE9EtjbEEZZNS1_14partition_implILS5_9ELb0ES3_jN6thrust23THRUST_200600_302600_NS6detail15normal_iteratorINS9_10device_ptrItEEEENSB_INSC_IjEEEEPNS0_10empty_typeENS0_5tupleIJNS9_16discard_iteratorINS9_11use_defaultEEESH_EEENSJ_IJSG_SI_EEENS0_18inequality_wrapperINS9_8equal_toItEEEEPmJSH_EEE10hipError_tPvRmT3_T4_T5_T6_T7_T9_mT8_P12ihipStream_tbDpT10_ENKUlT_T0_E_clISt17integral_constantIbLb0EES1D_EEDaS18_S19_EUlS18_E_NS1_11comp_targetILNS1_3genE3ELNS1_11target_archE908ELNS1_3gpuE7ELNS1_3repE0EEENS1_30default_config_static_selectorELNS0_4arch9wavefront6targetE0EEEvT1_,"axG",@progbits,_ZN7rocprim17ROCPRIM_400000_NS6detail17trampoline_kernelINS0_14default_configENS1_25partition_config_selectorILNS1_17partition_subalgoE9EtjbEEZZNS1_14partition_implILS5_9ELb0ES3_jN6thrust23THRUST_200600_302600_NS6detail15normal_iteratorINS9_10device_ptrItEEEENSB_INSC_IjEEEEPNS0_10empty_typeENS0_5tupleIJNS9_16discard_iteratorINS9_11use_defaultEEESH_EEENSJ_IJSG_SI_EEENS0_18inequality_wrapperINS9_8equal_toItEEEEPmJSH_EEE10hipError_tPvRmT3_T4_T5_T6_T7_T9_mT8_P12ihipStream_tbDpT10_ENKUlT_T0_E_clISt17integral_constantIbLb0EES1D_EEDaS18_S19_EUlS18_E_NS1_11comp_targetILNS1_3genE3ELNS1_11target_archE908ELNS1_3gpuE7ELNS1_3repE0EEENS1_30default_config_static_selectorELNS0_4arch9wavefront6targetE0EEEvT1_,comdat
	.protected	_ZN7rocprim17ROCPRIM_400000_NS6detail17trampoline_kernelINS0_14default_configENS1_25partition_config_selectorILNS1_17partition_subalgoE9EtjbEEZZNS1_14partition_implILS5_9ELb0ES3_jN6thrust23THRUST_200600_302600_NS6detail15normal_iteratorINS9_10device_ptrItEEEENSB_INSC_IjEEEEPNS0_10empty_typeENS0_5tupleIJNS9_16discard_iteratorINS9_11use_defaultEEESH_EEENSJ_IJSG_SI_EEENS0_18inequality_wrapperINS9_8equal_toItEEEEPmJSH_EEE10hipError_tPvRmT3_T4_T5_T6_T7_T9_mT8_P12ihipStream_tbDpT10_ENKUlT_T0_E_clISt17integral_constantIbLb0EES1D_EEDaS18_S19_EUlS18_E_NS1_11comp_targetILNS1_3genE3ELNS1_11target_archE908ELNS1_3gpuE7ELNS1_3repE0EEENS1_30default_config_static_selectorELNS0_4arch9wavefront6targetE0EEEvT1_ ; -- Begin function _ZN7rocprim17ROCPRIM_400000_NS6detail17trampoline_kernelINS0_14default_configENS1_25partition_config_selectorILNS1_17partition_subalgoE9EtjbEEZZNS1_14partition_implILS5_9ELb0ES3_jN6thrust23THRUST_200600_302600_NS6detail15normal_iteratorINS9_10device_ptrItEEEENSB_INSC_IjEEEEPNS0_10empty_typeENS0_5tupleIJNS9_16discard_iteratorINS9_11use_defaultEEESH_EEENSJ_IJSG_SI_EEENS0_18inequality_wrapperINS9_8equal_toItEEEEPmJSH_EEE10hipError_tPvRmT3_T4_T5_T6_T7_T9_mT8_P12ihipStream_tbDpT10_ENKUlT_T0_E_clISt17integral_constantIbLb0EES1D_EEDaS18_S19_EUlS18_E_NS1_11comp_targetILNS1_3genE3ELNS1_11target_archE908ELNS1_3gpuE7ELNS1_3repE0EEENS1_30default_config_static_selectorELNS0_4arch9wavefront6targetE0EEEvT1_
	.globl	_ZN7rocprim17ROCPRIM_400000_NS6detail17trampoline_kernelINS0_14default_configENS1_25partition_config_selectorILNS1_17partition_subalgoE9EtjbEEZZNS1_14partition_implILS5_9ELb0ES3_jN6thrust23THRUST_200600_302600_NS6detail15normal_iteratorINS9_10device_ptrItEEEENSB_INSC_IjEEEEPNS0_10empty_typeENS0_5tupleIJNS9_16discard_iteratorINS9_11use_defaultEEESH_EEENSJ_IJSG_SI_EEENS0_18inequality_wrapperINS9_8equal_toItEEEEPmJSH_EEE10hipError_tPvRmT3_T4_T5_T6_T7_T9_mT8_P12ihipStream_tbDpT10_ENKUlT_T0_E_clISt17integral_constantIbLb0EES1D_EEDaS18_S19_EUlS18_E_NS1_11comp_targetILNS1_3genE3ELNS1_11target_archE908ELNS1_3gpuE7ELNS1_3repE0EEENS1_30default_config_static_selectorELNS0_4arch9wavefront6targetE0EEEvT1_
	.p2align	8
	.type	_ZN7rocprim17ROCPRIM_400000_NS6detail17trampoline_kernelINS0_14default_configENS1_25partition_config_selectorILNS1_17partition_subalgoE9EtjbEEZZNS1_14partition_implILS5_9ELb0ES3_jN6thrust23THRUST_200600_302600_NS6detail15normal_iteratorINS9_10device_ptrItEEEENSB_INSC_IjEEEEPNS0_10empty_typeENS0_5tupleIJNS9_16discard_iteratorINS9_11use_defaultEEESH_EEENSJ_IJSG_SI_EEENS0_18inequality_wrapperINS9_8equal_toItEEEEPmJSH_EEE10hipError_tPvRmT3_T4_T5_T6_T7_T9_mT8_P12ihipStream_tbDpT10_ENKUlT_T0_E_clISt17integral_constantIbLb0EES1D_EEDaS18_S19_EUlS18_E_NS1_11comp_targetILNS1_3genE3ELNS1_11target_archE908ELNS1_3gpuE7ELNS1_3repE0EEENS1_30default_config_static_selectorELNS0_4arch9wavefront6targetE0EEEvT1_,@function
_ZN7rocprim17ROCPRIM_400000_NS6detail17trampoline_kernelINS0_14default_configENS1_25partition_config_selectorILNS1_17partition_subalgoE9EtjbEEZZNS1_14partition_implILS5_9ELb0ES3_jN6thrust23THRUST_200600_302600_NS6detail15normal_iteratorINS9_10device_ptrItEEEENSB_INSC_IjEEEEPNS0_10empty_typeENS0_5tupleIJNS9_16discard_iteratorINS9_11use_defaultEEESH_EEENSJ_IJSG_SI_EEENS0_18inequality_wrapperINS9_8equal_toItEEEEPmJSH_EEE10hipError_tPvRmT3_T4_T5_T6_T7_T9_mT8_P12ihipStream_tbDpT10_ENKUlT_T0_E_clISt17integral_constantIbLb0EES1D_EEDaS18_S19_EUlS18_E_NS1_11comp_targetILNS1_3genE3ELNS1_11target_archE908ELNS1_3gpuE7ELNS1_3repE0EEENS1_30default_config_static_selectorELNS0_4arch9wavefront6targetE0EEEvT1_: ; @_ZN7rocprim17ROCPRIM_400000_NS6detail17trampoline_kernelINS0_14default_configENS1_25partition_config_selectorILNS1_17partition_subalgoE9EtjbEEZZNS1_14partition_implILS5_9ELb0ES3_jN6thrust23THRUST_200600_302600_NS6detail15normal_iteratorINS9_10device_ptrItEEEENSB_INSC_IjEEEEPNS0_10empty_typeENS0_5tupleIJNS9_16discard_iteratorINS9_11use_defaultEEESH_EEENSJ_IJSG_SI_EEENS0_18inequality_wrapperINS9_8equal_toItEEEEPmJSH_EEE10hipError_tPvRmT3_T4_T5_T6_T7_T9_mT8_P12ihipStream_tbDpT10_ENKUlT_T0_E_clISt17integral_constantIbLb0EES1D_EEDaS18_S19_EUlS18_E_NS1_11comp_targetILNS1_3genE3ELNS1_11target_archE908ELNS1_3gpuE7ELNS1_3repE0EEENS1_30default_config_static_selectorELNS0_4arch9wavefront6targetE0EEEvT1_
; %bb.0:
	.section	.rodata,"a",@progbits
	.p2align	6, 0x0
	.amdhsa_kernel _ZN7rocprim17ROCPRIM_400000_NS6detail17trampoline_kernelINS0_14default_configENS1_25partition_config_selectorILNS1_17partition_subalgoE9EtjbEEZZNS1_14partition_implILS5_9ELb0ES3_jN6thrust23THRUST_200600_302600_NS6detail15normal_iteratorINS9_10device_ptrItEEEENSB_INSC_IjEEEEPNS0_10empty_typeENS0_5tupleIJNS9_16discard_iteratorINS9_11use_defaultEEESH_EEENSJ_IJSG_SI_EEENS0_18inequality_wrapperINS9_8equal_toItEEEEPmJSH_EEE10hipError_tPvRmT3_T4_T5_T6_T7_T9_mT8_P12ihipStream_tbDpT10_ENKUlT_T0_E_clISt17integral_constantIbLb0EES1D_EEDaS18_S19_EUlS18_E_NS1_11comp_targetILNS1_3genE3ELNS1_11target_archE908ELNS1_3gpuE7ELNS1_3repE0EEENS1_30default_config_static_selectorELNS0_4arch9wavefront6targetE0EEEvT1_
		.amdhsa_group_segment_fixed_size 0
		.amdhsa_private_segment_fixed_size 0
		.amdhsa_kernarg_size 120
		.amdhsa_user_sgpr_count 15
		.amdhsa_user_sgpr_dispatch_ptr 0
		.amdhsa_user_sgpr_queue_ptr 0
		.amdhsa_user_sgpr_kernarg_segment_ptr 1
		.amdhsa_user_sgpr_dispatch_id 0
		.amdhsa_user_sgpr_private_segment_size 0
		.amdhsa_wavefront_size32 1
		.amdhsa_uses_dynamic_stack 0
		.amdhsa_enable_private_segment 0
		.amdhsa_system_sgpr_workgroup_id_x 1
		.amdhsa_system_sgpr_workgroup_id_y 0
		.amdhsa_system_sgpr_workgroup_id_z 0
		.amdhsa_system_sgpr_workgroup_info 0
		.amdhsa_system_vgpr_workitem_id 0
		.amdhsa_next_free_vgpr 1
		.amdhsa_next_free_sgpr 1
		.amdhsa_reserve_vcc 0
		.amdhsa_float_round_mode_32 0
		.amdhsa_float_round_mode_16_64 0
		.amdhsa_float_denorm_mode_32 3
		.amdhsa_float_denorm_mode_16_64 3
		.amdhsa_dx10_clamp 1
		.amdhsa_ieee_mode 1
		.amdhsa_fp16_overflow 0
		.amdhsa_workgroup_processor_mode 1
		.amdhsa_memory_ordered 1
		.amdhsa_forward_progress 0
		.amdhsa_shared_vgpr_count 0
		.amdhsa_exception_fp_ieee_invalid_op 0
		.amdhsa_exception_fp_denorm_src 0
		.amdhsa_exception_fp_ieee_div_zero 0
		.amdhsa_exception_fp_ieee_overflow 0
		.amdhsa_exception_fp_ieee_underflow 0
		.amdhsa_exception_fp_ieee_inexact 0
		.amdhsa_exception_int_div_zero 0
	.end_amdhsa_kernel
	.section	.text._ZN7rocprim17ROCPRIM_400000_NS6detail17trampoline_kernelINS0_14default_configENS1_25partition_config_selectorILNS1_17partition_subalgoE9EtjbEEZZNS1_14partition_implILS5_9ELb0ES3_jN6thrust23THRUST_200600_302600_NS6detail15normal_iteratorINS9_10device_ptrItEEEENSB_INSC_IjEEEEPNS0_10empty_typeENS0_5tupleIJNS9_16discard_iteratorINS9_11use_defaultEEESH_EEENSJ_IJSG_SI_EEENS0_18inequality_wrapperINS9_8equal_toItEEEEPmJSH_EEE10hipError_tPvRmT3_T4_T5_T6_T7_T9_mT8_P12ihipStream_tbDpT10_ENKUlT_T0_E_clISt17integral_constantIbLb0EES1D_EEDaS18_S19_EUlS18_E_NS1_11comp_targetILNS1_3genE3ELNS1_11target_archE908ELNS1_3gpuE7ELNS1_3repE0EEENS1_30default_config_static_selectorELNS0_4arch9wavefront6targetE0EEEvT1_,"axG",@progbits,_ZN7rocprim17ROCPRIM_400000_NS6detail17trampoline_kernelINS0_14default_configENS1_25partition_config_selectorILNS1_17partition_subalgoE9EtjbEEZZNS1_14partition_implILS5_9ELb0ES3_jN6thrust23THRUST_200600_302600_NS6detail15normal_iteratorINS9_10device_ptrItEEEENSB_INSC_IjEEEEPNS0_10empty_typeENS0_5tupleIJNS9_16discard_iteratorINS9_11use_defaultEEESH_EEENSJ_IJSG_SI_EEENS0_18inequality_wrapperINS9_8equal_toItEEEEPmJSH_EEE10hipError_tPvRmT3_T4_T5_T6_T7_T9_mT8_P12ihipStream_tbDpT10_ENKUlT_T0_E_clISt17integral_constantIbLb0EES1D_EEDaS18_S19_EUlS18_E_NS1_11comp_targetILNS1_3genE3ELNS1_11target_archE908ELNS1_3gpuE7ELNS1_3repE0EEENS1_30default_config_static_selectorELNS0_4arch9wavefront6targetE0EEEvT1_,comdat
.Lfunc_end952:
	.size	_ZN7rocprim17ROCPRIM_400000_NS6detail17trampoline_kernelINS0_14default_configENS1_25partition_config_selectorILNS1_17partition_subalgoE9EtjbEEZZNS1_14partition_implILS5_9ELb0ES3_jN6thrust23THRUST_200600_302600_NS6detail15normal_iteratorINS9_10device_ptrItEEEENSB_INSC_IjEEEEPNS0_10empty_typeENS0_5tupleIJNS9_16discard_iteratorINS9_11use_defaultEEESH_EEENSJ_IJSG_SI_EEENS0_18inequality_wrapperINS9_8equal_toItEEEEPmJSH_EEE10hipError_tPvRmT3_T4_T5_T6_T7_T9_mT8_P12ihipStream_tbDpT10_ENKUlT_T0_E_clISt17integral_constantIbLb0EES1D_EEDaS18_S19_EUlS18_E_NS1_11comp_targetILNS1_3genE3ELNS1_11target_archE908ELNS1_3gpuE7ELNS1_3repE0EEENS1_30default_config_static_selectorELNS0_4arch9wavefront6targetE0EEEvT1_, .Lfunc_end952-_ZN7rocprim17ROCPRIM_400000_NS6detail17trampoline_kernelINS0_14default_configENS1_25partition_config_selectorILNS1_17partition_subalgoE9EtjbEEZZNS1_14partition_implILS5_9ELb0ES3_jN6thrust23THRUST_200600_302600_NS6detail15normal_iteratorINS9_10device_ptrItEEEENSB_INSC_IjEEEEPNS0_10empty_typeENS0_5tupleIJNS9_16discard_iteratorINS9_11use_defaultEEESH_EEENSJ_IJSG_SI_EEENS0_18inequality_wrapperINS9_8equal_toItEEEEPmJSH_EEE10hipError_tPvRmT3_T4_T5_T6_T7_T9_mT8_P12ihipStream_tbDpT10_ENKUlT_T0_E_clISt17integral_constantIbLb0EES1D_EEDaS18_S19_EUlS18_E_NS1_11comp_targetILNS1_3genE3ELNS1_11target_archE908ELNS1_3gpuE7ELNS1_3repE0EEENS1_30default_config_static_selectorELNS0_4arch9wavefront6targetE0EEEvT1_
                                        ; -- End function
	.section	.AMDGPU.csdata,"",@progbits
; Kernel info:
; codeLenInByte = 0
; NumSgprs: 0
; NumVgprs: 0
; ScratchSize: 0
; MemoryBound: 0
; FloatMode: 240
; IeeeMode: 1
; LDSByteSize: 0 bytes/workgroup (compile time only)
; SGPRBlocks: 0
; VGPRBlocks: 0
; NumSGPRsForWavesPerEU: 1
; NumVGPRsForWavesPerEU: 1
; Occupancy: 16
; WaveLimiterHint : 0
; COMPUTE_PGM_RSRC2:SCRATCH_EN: 0
; COMPUTE_PGM_RSRC2:USER_SGPR: 15
; COMPUTE_PGM_RSRC2:TRAP_HANDLER: 0
; COMPUTE_PGM_RSRC2:TGID_X_EN: 1
; COMPUTE_PGM_RSRC2:TGID_Y_EN: 0
; COMPUTE_PGM_RSRC2:TGID_Z_EN: 0
; COMPUTE_PGM_RSRC2:TIDIG_COMP_CNT: 0
	.section	.text._ZN7rocprim17ROCPRIM_400000_NS6detail17trampoline_kernelINS0_14default_configENS1_25partition_config_selectorILNS1_17partition_subalgoE9EtjbEEZZNS1_14partition_implILS5_9ELb0ES3_jN6thrust23THRUST_200600_302600_NS6detail15normal_iteratorINS9_10device_ptrItEEEENSB_INSC_IjEEEEPNS0_10empty_typeENS0_5tupleIJNS9_16discard_iteratorINS9_11use_defaultEEESH_EEENSJ_IJSG_SI_EEENS0_18inequality_wrapperINS9_8equal_toItEEEEPmJSH_EEE10hipError_tPvRmT3_T4_T5_T6_T7_T9_mT8_P12ihipStream_tbDpT10_ENKUlT_T0_E_clISt17integral_constantIbLb0EES1D_EEDaS18_S19_EUlS18_E_NS1_11comp_targetILNS1_3genE2ELNS1_11target_archE906ELNS1_3gpuE6ELNS1_3repE0EEENS1_30default_config_static_selectorELNS0_4arch9wavefront6targetE0EEEvT1_,"axG",@progbits,_ZN7rocprim17ROCPRIM_400000_NS6detail17trampoline_kernelINS0_14default_configENS1_25partition_config_selectorILNS1_17partition_subalgoE9EtjbEEZZNS1_14partition_implILS5_9ELb0ES3_jN6thrust23THRUST_200600_302600_NS6detail15normal_iteratorINS9_10device_ptrItEEEENSB_INSC_IjEEEEPNS0_10empty_typeENS0_5tupleIJNS9_16discard_iteratorINS9_11use_defaultEEESH_EEENSJ_IJSG_SI_EEENS0_18inequality_wrapperINS9_8equal_toItEEEEPmJSH_EEE10hipError_tPvRmT3_T4_T5_T6_T7_T9_mT8_P12ihipStream_tbDpT10_ENKUlT_T0_E_clISt17integral_constantIbLb0EES1D_EEDaS18_S19_EUlS18_E_NS1_11comp_targetILNS1_3genE2ELNS1_11target_archE906ELNS1_3gpuE6ELNS1_3repE0EEENS1_30default_config_static_selectorELNS0_4arch9wavefront6targetE0EEEvT1_,comdat
	.protected	_ZN7rocprim17ROCPRIM_400000_NS6detail17trampoline_kernelINS0_14default_configENS1_25partition_config_selectorILNS1_17partition_subalgoE9EtjbEEZZNS1_14partition_implILS5_9ELb0ES3_jN6thrust23THRUST_200600_302600_NS6detail15normal_iteratorINS9_10device_ptrItEEEENSB_INSC_IjEEEEPNS0_10empty_typeENS0_5tupleIJNS9_16discard_iteratorINS9_11use_defaultEEESH_EEENSJ_IJSG_SI_EEENS0_18inequality_wrapperINS9_8equal_toItEEEEPmJSH_EEE10hipError_tPvRmT3_T4_T5_T6_T7_T9_mT8_P12ihipStream_tbDpT10_ENKUlT_T0_E_clISt17integral_constantIbLb0EES1D_EEDaS18_S19_EUlS18_E_NS1_11comp_targetILNS1_3genE2ELNS1_11target_archE906ELNS1_3gpuE6ELNS1_3repE0EEENS1_30default_config_static_selectorELNS0_4arch9wavefront6targetE0EEEvT1_ ; -- Begin function _ZN7rocprim17ROCPRIM_400000_NS6detail17trampoline_kernelINS0_14default_configENS1_25partition_config_selectorILNS1_17partition_subalgoE9EtjbEEZZNS1_14partition_implILS5_9ELb0ES3_jN6thrust23THRUST_200600_302600_NS6detail15normal_iteratorINS9_10device_ptrItEEEENSB_INSC_IjEEEEPNS0_10empty_typeENS0_5tupleIJNS9_16discard_iteratorINS9_11use_defaultEEESH_EEENSJ_IJSG_SI_EEENS0_18inequality_wrapperINS9_8equal_toItEEEEPmJSH_EEE10hipError_tPvRmT3_T4_T5_T6_T7_T9_mT8_P12ihipStream_tbDpT10_ENKUlT_T0_E_clISt17integral_constantIbLb0EES1D_EEDaS18_S19_EUlS18_E_NS1_11comp_targetILNS1_3genE2ELNS1_11target_archE906ELNS1_3gpuE6ELNS1_3repE0EEENS1_30default_config_static_selectorELNS0_4arch9wavefront6targetE0EEEvT1_
	.globl	_ZN7rocprim17ROCPRIM_400000_NS6detail17trampoline_kernelINS0_14default_configENS1_25partition_config_selectorILNS1_17partition_subalgoE9EtjbEEZZNS1_14partition_implILS5_9ELb0ES3_jN6thrust23THRUST_200600_302600_NS6detail15normal_iteratorINS9_10device_ptrItEEEENSB_INSC_IjEEEEPNS0_10empty_typeENS0_5tupleIJNS9_16discard_iteratorINS9_11use_defaultEEESH_EEENSJ_IJSG_SI_EEENS0_18inequality_wrapperINS9_8equal_toItEEEEPmJSH_EEE10hipError_tPvRmT3_T4_T5_T6_T7_T9_mT8_P12ihipStream_tbDpT10_ENKUlT_T0_E_clISt17integral_constantIbLb0EES1D_EEDaS18_S19_EUlS18_E_NS1_11comp_targetILNS1_3genE2ELNS1_11target_archE906ELNS1_3gpuE6ELNS1_3repE0EEENS1_30default_config_static_selectorELNS0_4arch9wavefront6targetE0EEEvT1_
	.p2align	8
	.type	_ZN7rocprim17ROCPRIM_400000_NS6detail17trampoline_kernelINS0_14default_configENS1_25partition_config_selectorILNS1_17partition_subalgoE9EtjbEEZZNS1_14partition_implILS5_9ELb0ES3_jN6thrust23THRUST_200600_302600_NS6detail15normal_iteratorINS9_10device_ptrItEEEENSB_INSC_IjEEEEPNS0_10empty_typeENS0_5tupleIJNS9_16discard_iteratorINS9_11use_defaultEEESH_EEENSJ_IJSG_SI_EEENS0_18inequality_wrapperINS9_8equal_toItEEEEPmJSH_EEE10hipError_tPvRmT3_T4_T5_T6_T7_T9_mT8_P12ihipStream_tbDpT10_ENKUlT_T0_E_clISt17integral_constantIbLb0EES1D_EEDaS18_S19_EUlS18_E_NS1_11comp_targetILNS1_3genE2ELNS1_11target_archE906ELNS1_3gpuE6ELNS1_3repE0EEENS1_30default_config_static_selectorELNS0_4arch9wavefront6targetE0EEEvT1_,@function
_ZN7rocprim17ROCPRIM_400000_NS6detail17trampoline_kernelINS0_14default_configENS1_25partition_config_selectorILNS1_17partition_subalgoE9EtjbEEZZNS1_14partition_implILS5_9ELb0ES3_jN6thrust23THRUST_200600_302600_NS6detail15normal_iteratorINS9_10device_ptrItEEEENSB_INSC_IjEEEEPNS0_10empty_typeENS0_5tupleIJNS9_16discard_iteratorINS9_11use_defaultEEESH_EEENSJ_IJSG_SI_EEENS0_18inequality_wrapperINS9_8equal_toItEEEEPmJSH_EEE10hipError_tPvRmT3_T4_T5_T6_T7_T9_mT8_P12ihipStream_tbDpT10_ENKUlT_T0_E_clISt17integral_constantIbLb0EES1D_EEDaS18_S19_EUlS18_E_NS1_11comp_targetILNS1_3genE2ELNS1_11target_archE906ELNS1_3gpuE6ELNS1_3repE0EEENS1_30default_config_static_selectorELNS0_4arch9wavefront6targetE0EEEvT1_: ; @_ZN7rocprim17ROCPRIM_400000_NS6detail17trampoline_kernelINS0_14default_configENS1_25partition_config_selectorILNS1_17partition_subalgoE9EtjbEEZZNS1_14partition_implILS5_9ELb0ES3_jN6thrust23THRUST_200600_302600_NS6detail15normal_iteratorINS9_10device_ptrItEEEENSB_INSC_IjEEEEPNS0_10empty_typeENS0_5tupleIJNS9_16discard_iteratorINS9_11use_defaultEEESH_EEENSJ_IJSG_SI_EEENS0_18inequality_wrapperINS9_8equal_toItEEEEPmJSH_EEE10hipError_tPvRmT3_T4_T5_T6_T7_T9_mT8_P12ihipStream_tbDpT10_ENKUlT_T0_E_clISt17integral_constantIbLb0EES1D_EEDaS18_S19_EUlS18_E_NS1_11comp_targetILNS1_3genE2ELNS1_11target_archE906ELNS1_3gpuE6ELNS1_3repE0EEENS1_30default_config_static_selectorELNS0_4arch9wavefront6targetE0EEEvT1_
; %bb.0:
	.section	.rodata,"a",@progbits
	.p2align	6, 0x0
	.amdhsa_kernel _ZN7rocprim17ROCPRIM_400000_NS6detail17trampoline_kernelINS0_14default_configENS1_25partition_config_selectorILNS1_17partition_subalgoE9EtjbEEZZNS1_14partition_implILS5_9ELb0ES3_jN6thrust23THRUST_200600_302600_NS6detail15normal_iteratorINS9_10device_ptrItEEEENSB_INSC_IjEEEEPNS0_10empty_typeENS0_5tupleIJNS9_16discard_iteratorINS9_11use_defaultEEESH_EEENSJ_IJSG_SI_EEENS0_18inequality_wrapperINS9_8equal_toItEEEEPmJSH_EEE10hipError_tPvRmT3_T4_T5_T6_T7_T9_mT8_P12ihipStream_tbDpT10_ENKUlT_T0_E_clISt17integral_constantIbLb0EES1D_EEDaS18_S19_EUlS18_E_NS1_11comp_targetILNS1_3genE2ELNS1_11target_archE906ELNS1_3gpuE6ELNS1_3repE0EEENS1_30default_config_static_selectorELNS0_4arch9wavefront6targetE0EEEvT1_
		.amdhsa_group_segment_fixed_size 0
		.amdhsa_private_segment_fixed_size 0
		.amdhsa_kernarg_size 120
		.amdhsa_user_sgpr_count 15
		.amdhsa_user_sgpr_dispatch_ptr 0
		.amdhsa_user_sgpr_queue_ptr 0
		.amdhsa_user_sgpr_kernarg_segment_ptr 1
		.amdhsa_user_sgpr_dispatch_id 0
		.amdhsa_user_sgpr_private_segment_size 0
		.amdhsa_wavefront_size32 1
		.amdhsa_uses_dynamic_stack 0
		.amdhsa_enable_private_segment 0
		.amdhsa_system_sgpr_workgroup_id_x 1
		.amdhsa_system_sgpr_workgroup_id_y 0
		.amdhsa_system_sgpr_workgroup_id_z 0
		.amdhsa_system_sgpr_workgroup_info 0
		.amdhsa_system_vgpr_workitem_id 0
		.amdhsa_next_free_vgpr 1
		.amdhsa_next_free_sgpr 1
		.amdhsa_reserve_vcc 0
		.amdhsa_float_round_mode_32 0
		.amdhsa_float_round_mode_16_64 0
		.amdhsa_float_denorm_mode_32 3
		.amdhsa_float_denorm_mode_16_64 3
		.amdhsa_dx10_clamp 1
		.amdhsa_ieee_mode 1
		.amdhsa_fp16_overflow 0
		.amdhsa_workgroup_processor_mode 1
		.amdhsa_memory_ordered 1
		.amdhsa_forward_progress 0
		.amdhsa_shared_vgpr_count 0
		.amdhsa_exception_fp_ieee_invalid_op 0
		.amdhsa_exception_fp_denorm_src 0
		.amdhsa_exception_fp_ieee_div_zero 0
		.amdhsa_exception_fp_ieee_overflow 0
		.amdhsa_exception_fp_ieee_underflow 0
		.amdhsa_exception_fp_ieee_inexact 0
		.amdhsa_exception_int_div_zero 0
	.end_amdhsa_kernel
	.section	.text._ZN7rocprim17ROCPRIM_400000_NS6detail17trampoline_kernelINS0_14default_configENS1_25partition_config_selectorILNS1_17partition_subalgoE9EtjbEEZZNS1_14partition_implILS5_9ELb0ES3_jN6thrust23THRUST_200600_302600_NS6detail15normal_iteratorINS9_10device_ptrItEEEENSB_INSC_IjEEEEPNS0_10empty_typeENS0_5tupleIJNS9_16discard_iteratorINS9_11use_defaultEEESH_EEENSJ_IJSG_SI_EEENS0_18inequality_wrapperINS9_8equal_toItEEEEPmJSH_EEE10hipError_tPvRmT3_T4_T5_T6_T7_T9_mT8_P12ihipStream_tbDpT10_ENKUlT_T0_E_clISt17integral_constantIbLb0EES1D_EEDaS18_S19_EUlS18_E_NS1_11comp_targetILNS1_3genE2ELNS1_11target_archE906ELNS1_3gpuE6ELNS1_3repE0EEENS1_30default_config_static_selectorELNS0_4arch9wavefront6targetE0EEEvT1_,"axG",@progbits,_ZN7rocprim17ROCPRIM_400000_NS6detail17trampoline_kernelINS0_14default_configENS1_25partition_config_selectorILNS1_17partition_subalgoE9EtjbEEZZNS1_14partition_implILS5_9ELb0ES3_jN6thrust23THRUST_200600_302600_NS6detail15normal_iteratorINS9_10device_ptrItEEEENSB_INSC_IjEEEEPNS0_10empty_typeENS0_5tupleIJNS9_16discard_iteratorINS9_11use_defaultEEESH_EEENSJ_IJSG_SI_EEENS0_18inequality_wrapperINS9_8equal_toItEEEEPmJSH_EEE10hipError_tPvRmT3_T4_T5_T6_T7_T9_mT8_P12ihipStream_tbDpT10_ENKUlT_T0_E_clISt17integral_constantIbLb0EES1D_EEDaS18_S19_EUlS18_E_NS1_11comp_targetILNS1_3genE2ELNS1_11target_archE906ELNS1_3gpuE6ELNS1_3repE0EEENS1_30default_config_static_selectorELNS0_4arch9wavefront6targetE0EEEvT1_,comdat
.Lfunc_end953:
	.size	_ZN7rocprim17ROCPRIM_400000_NS6detail17trampoline_kernelINS0_14default_configENS1_25partition_config_selectorILNS1_17partition_subalgoE9EtjbEEZZNS1_14partition_implILS5_9ELb0ES3_jN6thrust23THRUST_200600_302600_NS6detail15normal_iteratorINS9_10device_ptrItEEEENSB_INSC_IjEEEEPNS0_10empty_typeENS0_5tupleIJNS9_16discard_iteratorINS9_11use_defaultEEESH_EEENSJ_IJSG_SI_EEENS0_18inequality_wrapperINS9_8equal_toItEEEEPmJSH_EEE10hipError_tPvRmT3_T4_T5_T6_T7_T9_mT8_P12ihipStream_tbDpT10_ENKUlT_T0_E_clISt17integral_constantIbLb0EES1D_EEDaS18_S19_EUlS18_E_NS1_11comp_targetILNS1_3genE2ELNS1_11target_archE906ELNS1_3gpuE6ELNS1_3repE0EEENS1_30default_config_static_selectorELNS0_4arch9wavefront6targetE0EEEvT1_, .Lfunc_end953-_ZN7rocprim17ROCPRIM_400000_NS6detail17trampoline_kernelINS0_14default_configENS1_25partition_config_selectorILNS1_17partition_subalgoE9EtjbEEZZNS1_14partition_implILS5_9ELb0ES3_jN6thrust23THRUST_200600_302600_NS6detail15normal_iteratorINS9_10device_ptrItEEEENSB_INSC_IjEEEEPNS0_10empty_typeENS0_5tupleIJNS9_16discard_iteratorINS9_11use_defaultEEESH_EEENSJ_IJSG_SI_EEENS0_18inequality_wrapperINS9_8equal_toItEEEEPmJSH_EEE10hipError_tPvRmT3_T4_T5_T6_T7_T9_mT8_P12ihipStream_tbDpT10_ENKUlT_T0_E_clISt17integral_constantIbLb0EES1D_EEDaS18_S19_EUlS18_E_NS1_11comp_targetILNS1_3genE2ELNS1_11target_archE906ELNS1_3gpuE6ELNS1_3repE0EEENS1_30default_config_static_selectorELNS0_4arch9wavefront6targetE0EEEvT1_
                                        ; -- End function
	.section	.AMDGPU.csdata,"",@progbits
; Kernel info:
; codeLenInByte = 0
; NumSgprs: 0
; NumVgprs: 0
; ScratchSize: 0
; MemoryBound: 0
; FloatMode: 240
; IeeeMode: 1
; LDSByteSize: 0 bytes/workgroup (compile time only)
; SGPRBlocks: 0
; VGPRBlocks: 0
; NumSGPRsForWavesPerEU: 1
; NumVGPRsForWavesPerEU: 1
; Occupancy: 16
; WaveLimiterHint : 0
; COMPUTE_PGM_RSRC2:SCRATCH_EN: 0
; COMPUTE_PGM_RSRC2:USER_SGPR: 15
; COMPUTE_PGM_RSRC2:TRAP_HANDLER: 0
; COMPUTE_PGM_RSRC2:TGID_X_EN: 1
; COMPUTE_PGM_RSRC2:TGID_Y_EN: 0
; COMPUTE_PGM_RSRC2:TGID_Z_EN: 0
; COMPUTE_PGM_RSRC2:TIDIG_COMP_CNT: 0
	.section	.text._ZN7rocprim17ROCPRIM_400000_NS6detail17trampoline_kernelINS0_14default_configENS1_25partition_config_selectorILNS1_17partition_subalgoE9EtjbEEZZNS1_14partition_implILS5_9ELb0ES3_jN6thrust23THRUST_200600_302600_NS6detail15normal_iteratorINS9_10device_ptrItEEEENSB_INSC_IjEEEEPNS0_10empty_typeENS0_5tupleIJNS9_16discard_iteratorINS9_11use_defaultEEESH_EEENSJ_IJSG_SI_EEENS0_18inequality_wrapperINS9_8equal_toItEEEEPmJSH_EEE10hipError_tPvRmT3_T4_T5_T6_T7_T9_mT8_P12ihipStream_tbDpT10_ENKUlT_T0_E_clISt17integral_constantIbLb0EES1D_EEDaS18_S19_EUlS18_E_NS1_11comp_targetILNS1_3genE10ELNS1_11target_archE1200ELNS1_3gpuE4ELNS1_3repE0EEENS1_30default_config_static_selectorELNS0_4arch9wavefront6targetE0EEEvT1_,"axG",@progbits,_ZN7rocprim17ROCPRIM_400000_NS6detail17trampoline_kernelINS0_14default_configENS1_25partition_config_selectorILNS1_17partition_subalgoE9EtjbEEZZNS1_14partition_implILS5_9ELb0ES3_jN6thrust23THRUST_200600_302600_NS6detail15normal_iteratorINS9_10device_ptrItEEEENSB_INSC_IjEEEEPNS0_10empty_typeENS0_5tupleIJNS9_16discard_iteratorINS9_11use_defaultEEESH_EEENSJ_IJSG_SI_EEENS0_18inequality_wrapperINS9_8equal_toItEEEEPmJSH_EEE10hipError_tPvRmT3_T4_T5_T6_T7_T9_mT8_P12ihipStream_tbDpT10_ENKUlT_T0_E_clISt17integral_constantIbLb0EES1D_EEDaS18_S19_EUlS18_E_NS1_11comp_targetILNS1_3genE10ELNS1_11target_archE1200ELNS1_3gpuE4ELNS1_3repE0EEENS1_30default_config_static_selectorELNS0_4arch9wavefront6targetE0EEEvT1_,comdat
	.protected	_ZN7rocprim17ROCPRIM_400000_NS6detail17trampoline_kernelINS0_14default_configENS1_25partition_config_selectorILNS1_17partition_subalgoE9EtjbEEZZNS1_14partition_implILS5_9ELb0ES3_jN6thrust23THRUST_200600_302600_NS6detail15normal_iteratorINS9_10device_ptrItEEEENSB_INSC_IjEEEEPNS0_10empty_typeENS0_5tupleIJNS9_16discard_iteratorINS9_11use_defaultEEESH_EEENSJ_IJSG_SI_EEENS0_18inequality_wrapperINS9_8equal_toItEEEEPmJSH_EEE10hipError_tPvRmT3_T4_T5_T6_T7_T9_mT8_P12ihipStream_tbDpT10_ENKUlT_T0_E_clISt17integral_constantIbLb0EES1D_EEDaS18_S19_EUlS18_E_NS1_11comp_targetILNS1_3genE10ELNS1_11target_archE1200ELNS1_3gpuE4ELNS1_3repE0EEENS1_30default_config_static_selectorELNS0_4arch9wavefront6targetE0EEEvT1_ ; -- Begin function _ZN7rocprim17ROCPRIM_400000_NS6detail17trampoline_kernelINS0_14default_configENS1_25partition_config_selectorILNS1_17partition_subalgoE9EtjbEEZZNS1_14partition_implILS5_9ELb0ES3_jN6thrust23THRUST_200600_302600_NS6detail15normal_iteratorINS9_10device_ptrItEEEENSB_INSC_IjEEEEPNS0_10empty_typeENS0_5tupleIJNS9_16discard_iteratorINS9_11use_defaultEEESH_EEENSJ_IJSG_SI_EEENS0_18inequality_wrapperINS9_8equal_toItEEEEPmJSH_EEE10hipError_tPvRmT3_T4_T5_T6_T7_T9_mT8_P12ihipStream_tbDpT10_ENKUlT_T0_E_clISt17integral_constantIbLb0EES1D_EEDaS18_S19_EUlS18_E_NS1_11comp_targetILNS1_3genE10ELNS1_11target_archE1200ELNS1_3gpuE4ELNS1_3repE0EEENS1_30default_config_static_selectorELNS0_4arch9wavefront6targetE0EEEvT1_
	.globl	_ZN7rocprim17ROCPRIM_400000_NS6detail17trampoline_kernelINS0_14default_configENS1_25partition_config_selectorILNS1_17partition_subalgoE9EtjbEEZZNS1_14partition_implILS5_9ELb0ES3_jN6thrust23THRUST_200600_302600_NS6detail15normal_iteratorINS9_10device_ptrItEEEENSB_INSC_IjEEEEPNS0_10empty_typeENS0_5tupleIJNS9_16discard_iteratorINS9_11use_defaultEEESH_EEENSJ_IJSG_SI_EEENS0_18inequality_wrapperINS9_8equal_toItEEEEPmJSH_EEE10hipError_tPvRmT3_T4_T5_T6_T7_T9_mT8_P12ihipStream_tbDpT10_ENKUlT_T0_E_clISt17integral_constantIbLb0EES1D_EEDaS18_S19_EUlS18_E_NS1_11comp_targetILNS1_3genE10ELNS1_11target_archE1200ELNS1_3gpuE4ELNS1_3repE0EEENS1_30default_config_static_selectorELNS0_4arch9wavefront6targetE0EEEvT1_
	.p2align	8
	.type	_ZN7rocprim17ROCPRIM_400000_NS6detail17trampoline_kernelINS0_14default_configENS1_25partition_config_selectorILNS1_17partition_subalgoE9EtjbEEZZNS1_14partition_implILS5_9ELb0ES3_jN6thrust23THRUST_200600_302600_NS6detail15normal_iteratorINS9_10device_ptrItEEEENSB_INSC_IjEEEEPNS0_10empty_typeENS0_5tupleIJNS9_16discard_iteratorINS9_11use_defaultEEESH_EEENSJ_IJSG_SI_EEENS0_18inequality_wrapperINS9_8equal_toItEEEEPmJSH_EEE10hipError_tPvRmT3_T4_T5_T6_T7_T9_mT8_P12ihipStream_tbDpT10_ENKUlT_T0_E_clISt17integral_constantIbLb0EES1D_EEDaS18_S19_EUlS18_E_NS1_11comp_targetILNS1_3genE10ELNS1_11target_archE1200ELNS1_3gpuE4ELNS1_3repE0EEENS1_30default_config_static_selectorELNS0_4arch9wavefront6targetE0EEEvT1_,@function
_ZN7rocprim17ROCPRIM_400000_NS6detail17trampoline_kernelINS0_14default_configENS1_25partition_config_selectorILNS1_17partition_subalgoE9EtjbEEZZNS1_14partition_implILS5_9ELb0ES3_jN6thrust23THRUST_200600_302600_NS6detail15normal_iteratorINS9_10device_ptrItEEEENSB_INSC_IjEEEEPNS0_10empty_typeENS0_5tupleIJNS9_16discard_iteratorINS9_11use_defaultEEESH_EEENSJ_IJSG_SI_EEENS0_18inequality_wrapperINS9_8equal_toItEEEEPmJSH_EEE10hipError_tPvRmT3_T4_T5_T6_T7_T9_mT8_P12ihipStream_tbDpT10_ENKUlT_T0_E_clISt17integral_constantIbLb0EES1D_EEDaS18_S19_EUlS18_E_NS1_11comp_targetILNS1_3genE10ELNS1_11target_archE1200ELNS1_3gpuE4ELNS1_3repE0EEENS1_30default_config_static_selectorELNS0_4arch9wavefront6targetE0EEEvT1_: ; @_ZN7rocprim17ROCPRIM_400000_NS6detail17trampoline_kernelINS0_14default_configENS1_25partition_config_selectorILNS1_17partition_subalgoE9EtjbEEZZNS1_14partition_implILS5_9ELb0ES3_jN6thrust23THRUST_200600_302600_NS6detail15normal_iteratorINS9_10device_ptrItEEEENSB_INSC_IjEEEEPNS0_10empty_typeENS0_5tupleIJNS9_16discard_iteratorINS9_11use_defaultEEESH_EEENSJ_IJSG_SI_EEENS0_18inequality_wrapperINS9_8equal_toItEEEEPmJSH_EEE10hipError_tPvRmT3_T4_T5_T6_T7_T9_mT8_P12ihipStream_tbDpT10_ENKUlT_T0_E_clISt17integral_constantIbLb0EES1D_EEDaS18_S19_EUlS18_E_NS1_11comp_targetILNS1_3genE10ELNS1_11target_archE1200ELNS1_3gpuE4ELNS1_3repE0EEENS1_30default_config_static_selectorELNS0_4arch9wavefront6targetE0EEEvT1_
; %bb.0:
	.section	.rodata,"a",@progbits
	.p2align	6, 0x0
	.amdhsa_kernel _ZN7rocprim17ROCPRIM_400000_NS6detail17trampoline_kernelINS0_14default_configENS1_25partition_config_selectorILNS1_17partition_subalgoE9EtjbEEZZNS1_14partition_implILS5_9ELb0ES3_jN6thrust23THRUST_200600_302600_NS6detail15normal_iteratorINS9_10device_ptrItEEEENSB_INSC_IjEEEEPNS0_10empty_typeENS0_5tupleIJNS9_16discard_iteratorINS9_11use_defaultEEESH_EEENSJ_IJSG_SI_EEENS0_18inequality_wrapperINS9_8equal_toItEEEEPmJSH_EEE10hipError_tPvRmT3_T4_T5_T6_T7_T9_mT8_P12ihipStream_tbDpT10_ENKUlT_T0_E_clISt17integral_constantIbLb0EES1D_EEDaS18_S19_EUlS18_E_NS1_11comp_targetILNS1_3genE10ELNS1_11target_archE1200ELNS1_3gpuE4ELNS1_3repE0EEENS1_30default_config_static_selectorELNS0_4arch9wavefront6targetE0EEEvT1_
		.amdhsa_group_segment_fixed_size 0
		.amdhsa_private_segment_fixed_size 0
		.amdhsa_kernarg_size 120
		.amdhsa_user_sgpr_count 15
		.amdhsa_user_sgpr_dispatch_ptr 0
		.amdhsa_user_sgpr_queue_ptr 0
		.amdhsa_user_sgpr_kernarg_segment_ptr 1
		.amdhsa_user_sgpr_dispatch_id 0
		.amdhsa_user_sgpr_private_segment_size 0
		.amdhsa_wavefront_size32 1
		.amdhsa_uses_dynamic_stack 0
		.amdhsa_enable_private_segment 0
		.amdhsa_system_sgpr_workgroup_id_x 1
		.amdhsa_system_sgpr_workgroup_id_y 0
		.amdhsa_system_sgpr_workgroup_id_z 0
		.amdhsa_system_sgpr_workgroup_info 0
		.amdhsa_system_vgpr_workitem_id 0
		.amdhsa_next_free_vgpr 1
		.amdhsa_next_free_sgpr 1
		.amdhsa_reserve_vcc 0
		.amdhsa_float_round_mode_32 0
		.amdhsa_float_round_mode_16_64 0
		.amdhsa_float_denorm_mode_32 3
		.amdhsa_float_denorm_mode_16_64 3
		.amdhsa_dx10_clamp 1
		.amdhsa_ieee_mode 1
		.amdhsa_fp16_overflow 0
		.amdhsa_workgroup_processor_mode 1
		.amdhsa_memory_ordered 1
		.amdhsa_forward_progress 0
		.amdhsa_shared_vgpr_count 0
		.amdhsa_exception_fp_ieee_invalid_op 0
		.amdhsa_exception_fp_denorm_src 0
		.amdhsa_exception_fp_ieee_div_zero 0
		.amdhsa_exception_fp_ieee_overflow 0
		.amdhsa_exception_fp_ieee_underflow 0
		.amdhsa_exception_fp_ieee_inexact 0
		.amdhsa_exception_int_div_zero 0
	.end_amdhsa_kernel
	.section	.text._ZN7rocprim17ROCPRIM_400000_NS6detail17trampoline_kernelINS0_14default_configENS1_25partition_config_selectorILNS1_17partition_subalgoE9EtjbEEZZNS1_14partition_implILS5_9ELb0ES3_jN6thrust23THRUST_200600_302600_NS6detail15normal_iteratorINS9_10device_ptrItEEEENSB_INSC_IjEEEEPNS0_10empty_typeENS0_5tupleIJNS9_16discard_iteratorINS9_11use_defaultEEESH_EEENSJ_IJSG_SI_EEENS0_18inequality_wrapperINS9_8equal_toItEEEEPmJSH_EEE10hipError_tPvRmT3_T4_T5_T6_T7_T9_mT8_P12ihipStream_tbDpT10_ENKUlT_T0_E_clISt17integral_constantIbLb0EES1D_EEDaS18_S19_EUlS18_E_NS1_11comp_targetILNS1_3genE10ELNS1_11target_archE1200ELNS1_3gpuE4ELNS1_3repE0EEENS1_30default_config_static_selectorELNS0_4arch9wavefront6targetE0EEEvT1_,"axG",@progbits,_ZN7rocprim17ROCPRIM_400000_NS6detail17trampoline_kernelINS0_14default_configENS1_25partition_config_selectorILNS1_17partition_subalgoE9EtjbEEZZNS1_14partition_implILS5_9ELb0ES3_jN6thrust23THRUST_200600_302600_NS6detail15normal_iteratorINS9_10device_ptrItEEEENSB_INSC_IjEEEEPNS0_10empty_typeENS0_5tupleIJNS9_16discard_iteratorINS9_11use_defaultEEESH_EEENSJ_IJSG_SI_EEENS0_18inequality_wrapperINS9_8equal_toItEEEEPmJSH_EEE10hipError_tPvRmT3_T4_T5_T6_T7_T9_mT8_P12ihipStream_tbDpT10_ENKUlT_T0_E_clISt17integral_constantIbLb0EES1D_EEDaS18_S19_EUlS18_E_NS1_11comp_targetILNS1_3genE10ELNS1_11target_archE1200ELNS1_3gpuE4ELNS1_3repE0EEENS1_30default_config_static_selectorELNS0_4arch9wavefront6targetE0EEEvT1_,comdat
.Lfunc_end954:
	.size	_ZN7rocprim17ROCPRIM_400000_NS6detail17trampoline_kernelINS0_14default_configENS1_25partition_config_selectorILNS1_17partition_subalgoE9EtjbEEZZNS1_14partition_implILS5_9ELb0ES3_jN6thrust23THRUST_200600_302600_NS6detail15normal_iteratorINS9_10device_ptrItEEEENSB_INSC_IjEEEEPNS0_10empty_typeENS0_5tupleIJNS9_16discard_iteratorINS9_11use_defaultEEESH_EEENSJ_IJSG_SI_EEENS0_18inequality_wrapperINS9_8equal_toItEEEEPmJSH_EEE10hipError_tPvRmT3_T4_T5_T6_T7_T9_mT8_P12ihipStream_tbDpT10_ENKUlT_T0_E_clISt17integral_constantIbLb0EES1D_EEDaS18_S19_EUlS18_E_NS1_11comp_targetILNS1_3genE10ELNS1_11target_archE1200ELNS1_3gpuE4ELNS1_3repE0EEENS1_30default_config_static_selectorELNS0_4arch9wavefront6targetE0EEEvT1_, .Lfunc_end954-_ZN7rocprim17ROCPRIM_400000_NS6detail17trampoline_kernelINS0_14default_configENS1_25partition_config_selectorILNS1_17partition_subalgoE9EtjbEEZZNS1_14partition_implILS5_9ELb0ES3_jN6thrust23THRUST_200600_302600_NS6detail15normal_iteratorINS9_10device_ptrItEEEENSB_INSC_IjEEEEPNS0_10empty_typeENS0_5tupleIJNS9_16discard_iteratorINS9_11use_defaultEEESH_EEENSJ_IJSG_SI_EEENS0_18inequality_wrapperINS9_8equal_toItEEEEPmJSH_EEE10hipError_tPvRmT3_T4_T5_T6_T7_T9_mT8_P12ihipStream_tbDpT10_ENKUlT_T0_E_clISt17integral_constantIbLb0EES1D_EEDaS18_S19_EUlS18_E_NS1_11comp_targetILNS1_3genE10ELNS1_11target_archE1200ELNS1_3gpuE4ELNS1_3repE0EEENS1_30default_config_static_selectorELNS0_4arch9wavefront6targetE0EEEvT1_
                                        ; -- End function
	.section	.AMDGPU.csdata,"",@progbits
; Kernel info:
; codeLenInByte = 0
; NumSgprs: 0
; NumVgprs: 0
; ScratchSize: 0
; MemoryBound: 0
; FloatMode: 240
; IeeeMode: 1
; LDSByteSize: 0 bytes/workgroup (compile time only)
; SGPRBlocks: 0
; VGPRBlocks: 0
; NumSGPRsForWavesPerEU: 1
; NumVGPRsForWavesPerEU: 1
; Occupancy: 16
; WaveLimiterHint : 0
; COMPUTE_PGM_RSRC2:SCRATCH_EN: 0
; COMPUTE_PGM_RSRC2:USER_SGPR: 15
; COMPUTE_PGM_RSRC2:TRAP_HANDLER: 0
; COMPUTE_PGM_RSRC2:TGID_X_EN: 1
; COMPUTE_PGM_RSRC2:TGID_Y_EN: 0
; COMPUTE_PGM_RSRC2:TGID_Z_EN: 0
; COMPUTE_PGM_RSRC2:TIDIG_COMP_CNT: 0
	.section	.text._ZN7rocprim17ROCPRIM_400000_NS6detail17trampoline_kernelINS0_14default_configENS1_25partition_config_selectorILNS1_17partition_subalgoE9EtjbEEZZNS1_14partition_implILS5_9ELb0ES3_jN6thrust23THRUST_200600_302600_NS6detail15normal_iteratorINS9_10device_ptrItEEEENSB_INSC_IjEEEEPNS0_10empty_typeENS0_5tupleIJNS9_16discard_iteratorINS9_11use_defaultEEESH_EEENSJ_IJSG_SI_EEENS0_18inequality_wrapperINS9_8equal_toItEEEEPmJSH_EEE10hipError_tPvRmT3_T4_T5_T6_T7_T9_mT8_P12ihipStream_tbDpT10_ENKUlT_T0_E_clISt17integral_constantIbLb0EES1D_EEDaS18_S19_EUlS18_E_NS1_11comp_targetILNS1_3genE9ELNS1_11target_archE1100ELNS1_3gpuE3ELNS1_3repE0EEENS1_30default_config_static_selectorELNS0_4arch9wavefront6targetE0EEEvT1_,"axG",@progbits,_ZN7rocprim17ROCPRIM_400000_NS6detail17trampoline_kernelINS0_14default_configENS1_25partition_config_selectorILNS1_17partition_subalgoE9EtjbEEZZNS1_14partition_implILS5_9ELb0ES3_jN6thrust23THRUST_200600_302600_NS6detail15normal_iteratorINS9_10device_ptrItEEEENSB_INSC_IjEEEEPNS0_10empty_typeENS0_5tupleIJNS9_16discard_iteratorINS9_11use_defaultEEESH_EEENSJ_IJSG_SI_EEENS0_18inequality_wrapperINS9_8equal_toItEEEEPmJSH_EEE10hipError_tPvRmT3_T4_T5_T6_T7_T9_mT8_P12ihipStream_tbDpT10_ENKUlT_T0_E_clISt17integral_constantIbLb0EES1D_EEDaS18_S19_EUlS18_E_NS1_11comp_targetILNS1_3genE9ELNS1_11target_archE1100ELNS1_3gpuE3ELNS1_3repE0EEENS1_30default_config_static_selectorELNS0_4arch9wavefront6targetE0EEEvT1_,comdat
	.protected	_ZN7rocprim17ROCPRIM_400000_NS6detail17trampoline_kernelINS0_14default_configENS1_25partition_config_selectorILNS1_17partition_subalgoE9EtjbEEZZNS1_14partition_implILS5_9ELb0ES3_jN6thrust23THRUST_200600_302600_NS6detail15normal_iteratorINS9_10device_ptrItEEEENSB_INSC_IjEEEEPNS0_10empty_typeENS0_5tupleIJNS9_16discard_iteratorINS9_11use_defaultEEESH_EEENSJ_IJSG_SI_EEENS0_18inequality_wrapperINS9_8equal_toItEEEEPmJSH_EEE10hipError_tPvRmT3_T4_T5_T6_T7_T9_mT8_P12ihipStream_tbDpT10_ENKUlT_T0_E_clISt17integral_constantIbLb0EES1D_EEDaS18_S19_EUlS18_E_NS1_11comp_targetILNS1_3genE9ELNS1_11target_archE1100ELNS1_3gpuE3ELNS1_3repE0EEENS1_30default_config_static_selectorELNS0_4arch9wavefront6targetE0EEEvT1_ ; -- Begin function _ZN7rocprim17ROCPRIM_400000_NS6detail17trampoline_kernelINS0_14default_configENS1_25partition_config_selectorILNS1_17partition_subalgoE9EtjbEEZZNS1_14partition_implILS5_9ELb0ES3_jN6thrust23THRUST_200600_302600_NS6detail15normal_iteratorINS9_10device_ptrItEEEENSB_INSC_IjEEEEPNS0_10empty_typeENS0_5tupleIJNS9_16discard_iteratorINS9_11use_defaultEEESH_EEENSJ_IJSG_SI_EEENS0_18inequality_wrapperINS9_8equal_toItEEEEPmJSH_EEE10hipError_tPvRmT3_T4_T5_T6_T7_T9_mT8_P12ihipStream_tbDpT10_ENKUlT_T0_E_clISt17integral_constantIbLb0EES1D_EEDaS18_S19_EUlS18_E_NS1_11comp_targetILNS1_3genE9ELNS1_11target_archE1100ELNS1_3gpuE3ELNS1_3repE0EEENS1_30default_config_static_selectorELNS0_4arch9wavefront6targetE0EEEvT1_
	.globl	_ZN7rocprim17ROCPRIM_400000_NS6detail17trampoline_kernelINS0_14default_configENS1_25partition_config_selectorILNS1_17partition_subalgoE9EtjbEEZZNS1_14partition_implILS5_9ELb0ES3_jN6thrust23THRUST_200600_302600_NS6detail15normal_iteratorINS9_10device_ptrItEEEENSB_INSC_IjEEEEPNS0_10empty_typeENS0_5tupleIJNS9_16discard_iteratorINS9_11use_defaultEEESH_EEENSJ_IJSG_SI_EEENS0_18inequality_wrapperINS9_8equal_toItEEEEPmJSH_EEE10hipError_tPvRmT3_T4_T5_T6_T7_T9_mT8_P12ihipStream_tbDpT10_ENKUlT_T0_E_clISt17integral_constantIbLb0EES1D_EEDaS18_S19_EUlS18_E_NS1_11comp_targetILNS1_3genE9ELNS1_11target_archE1100ELNS1_3gpuE3ELNS1_3repE0EEENS1_30default_config_static_selectorELNS0_4arch9wavefront6targetE0EEEvT1_
	.p2align	8
	.type	_ZN7rocprim17ROCPRIM_400000_NS6detail17trampoline_kernelINS0_14default_configENS1_25partition_config_selectorILNS1_17partition_subalgoE9EtjbEEZZNS1_14partition_implILS5_9ELb0ES3_jN6thrust23THRUST_200600_302600_NS6detail15normal_iteratorINS9_10device_ptrItEEEENSB_INSC_IjEEEEPNS0_10empty_typeENS0_5tupleIJNS9_16discard_iteratorINS9_11use_defaultEEESH_EEENSJ_IJSG_SI_EEENS0_18inequality_wrapperINS9_8equal_toItEEEEPmJSH_EEE10hipError_tPvRmT3_T4_T5_T6_T7_T9_mT8_P12ihipStream_tbDpT10_ENKUlT_T0_E_clISt17integral_constantIbLb0EES1D_EEDaS18_S19_EUlS18_E_NS1_11comp_targetILNS1_3genE9ELNS1_11target_archE1100ELNS1_3gpuE3ELNS1_3repE0EEENS1_30default_config_static_selectorELNS0_4arch9wavefront6targetE0EEEvT1_,@function
_ZN7rocprim17ROCPRIM_400000_NS6detail17trampoline_kernelINS0_14default_configENS1_25partition_config_selectorILNS1_17partition_subalgoE9EtjbEEZZNS1_14partition_implILS5_9ELb0ES3_jN6thrust23THRUST_200600_302600_NS6detail15normal_iteratorINS9_10device_ptrItEEEENSB_INSC_IjEEEEPNS0_10empty_typeENS0_5tupleIJNS9_16discard_iteratorINS9_11use_defaultEEESH_EEENSJ_IJSG_SI_EEENS0_18inequality_wrapperINS9_8equal_toItEEEEPmJSH_EEE10hipError_tPvRmT3_T4_T5_T6_T7_T9_mT8_P12ihipStream_tbDpT10_ENKUlT_T0_E_clISt17integral_constantIbLb0EES1D_EEDaS18_S19_EUlS18_E_NS1_11comp_targetILNS1_3genE9ELNS1_11target_archE1100ELNS1_3gpuE3ELNS1_3repE0EEENS1_30default_config_static_selectorELNS0_4arch9wavefront6targetE0EEEvT1_: ; @_ZN7rocprim17ROCPRIM_400000_NS6detail17trampoline_kernelINS0_14default_configENS1_25partition_config_selectorILNS1_17partition_subalgoE9EtjbEEZZNS1_14partition_implILS5_9ELb0ES3_jN6thrust23THRUST_200600_302600_NS6detail15normal_iteratorINS9_10device_ptrItEEEENSB_INSC_IjEEEEPNS0_10empty_typeENS0_5tupleIJNS9_16discard_iteratorINS9_11use_defaultEEESH_EEENSJ_IJSG_SI_EEENS0_18inequality_wrapperINS9_8equal_toItEEEEPmJSH_EEE10hipError_tPvRmT3_T4_T5_T6_T7_T9_mT8_P12ihipStream_tbDpT10_ENKUlT_T0_E_clISt17integral_constantIbLb0EES1D_EEDaS18_S19_EUlS18_E_NS1_11comp_targetILNS1_3genE9ELNS1_11target_archE1100ELNS1_3gpuE3ELNS1_3repE0EEENS1_30default_config_static_selectorELNS0_4arch9wavefront6targetE0EEEvT1_
; %bb.0:
	s_clause 0x4
	s_load_b128 s[4:7], s[0:1], 0x8
	s_load_b32 s14, s[0:1], 0x70
	s_load_b128 s[16:19], s[0:1], 0x48
	s_load_b64 s[2:3], s[0:1], 0x58
	s_load_b64 s[8:9], s[0:1], 0x18
	v_lshlrev_b32_e32 v9, 1, v0
	s_waitcnt lgkmcnt(0)
	s_lshl_b64 s[10:11], s[6:7], 1
	s_mul_i32 s20, s14, 0x580
	s_add_u32 s10, s4, s10
	s_addc_u32 s11, s5, s11
	s_add_i32 s4, s20, s6
	s_load_b64 s[12:13], s[18:19], 0x0
	s_sub_i32 s19, s2, s4
	s_add_i32 s14, s14, -1
	s_addk_i32 s19, 0x580
	s_add_u32 s4, s6, s20
	s_addc_u32 s5, s7, 0
	s_cmp_eq_u32 s15, s14
	v_cmp_ge_u64_e64 s2, s[4:5], s[2:3]
	s_cselect_b32 s14, -1, 0
	s_mov_b32 s5, 0
	s_mul_i32 s4, s15, 0x580
	s_delay_alu instid0(VALU_DEP_1)
	s_and_b32 s20, s14, s2
	s_lshl_b64 s[2:3], s[4:5], 1
	s_xor_b32 s18, s20, -1
	s_add_u32 s10, s10, s2
	s_addc_u32 s3, s11, s3
	s_and_b32 vcc_lo, exec_lo, s18
	s_mov_b32 s11, -1
	s_cbranch_vccz .LBB955_2
; %bb.1:
	v_add_co_u32 v1, s2, s10, v9
	s_delay_alu instid0(VALU_DEP_1)
	v_add_co_ci_u32_e64 v2, null, s3, 0, s2
	s_mov_b32 s11, s5
	s_clause 0xa
	flat_load_u16 v3, v[1:2]
	flat_load_u16 v4, v[1:2] offset:256
	flat_load_u16 v5, v[1:2] offset:512
	;; [unrolled: 1-line block ×10, first 2 shown]
	s_waitcnt vmcnt(10) lgkmcnt(0)
	ds_store_b16 v9, v3
	s_waitcnt vmcnt(9)
	ds_store_b16 v9, v4 offset:256
	s_waitcnt vmcnt(8)
	ds_store_b16 v9, v5 offset:512
	;; [unrolled: 2-line block ×10, first 2 shown]
	s_waitcnt lgkmcnt(0)
	s_barrier
.LBB955_2:
	v_cmp_gt_u32_e64 s2, s19, v0
	s_and_not1_b32 vcc_lo, exec_lo, s11
	s_cbranch_vccnz .LBB955_26
; %bb.3:
                                        ; implicit-def: $vgpr1_vgpr2_vgpr3_vgpr4_vgpr5_vgpr6_vgpr7_vgpr8
	s_delay_alu instid0(VALU_DEP_1)
	s_and_saveexec_b32 s11, s2
	s_cbranch_execz .LBB955_5
; %bb.4:
	v_add_co_u32 v1, s2, s10, v9
	s_delay_alu instid0(VALU_DEP_1)
	v_add_co_ci_u32_e64 v2, null, s3, 0, s2
	flat_load_d16_b16 v1, v[1:2]
.LBB955_5:
	s_or_b32 exec_lo, exec_lo, s11
	v_or_b32_e32 v7, 0x80, v0
	s_mov_b32 s2, exec_lo
	s_delay_alu instid0(VALU_DEP_1)
	v_cmpx_gt_u32_e64 s19, v7
	s_cbranch_execz .LBB955_7
; %bb.6:
	v_add_co_u32 v7, s11, s10, v9
	s_delay_alu instid0(VALU_DEP_1)
	v_add_co_ci_u32_e64 v8, null, s3, 0, s11
	s_waitcnt vmcnt(0) lgkmcnt(0)
	flat_load_d16_hi_b16 v1, v[7:8] offset:256
.LBB955_7:
	s_or_b32 exec_lo, exec_lo, s2
	v_or_b32_e32 v7, 0x100, v0
	s_mov_b32 s2, exec_lo
	s_delay_alu instid0(VALU_DEP_1)
	v_cmpx_gt_u32_e64 s19, v7
	s_cbranch_execz .LBB955_9
; %bb.8:
	v_add_co_u32 v7, s11, s10, v9
	s_delay_alu instid0(VALU_DEP_1)
	v_add_co_ci_u32_e64 v8, null, s3, 0, s11
	flat_load_d16_b16 v2, v[7:8] offset:512
.LBB955_9:
	s_or_b32 exec_lo, exec_lo, s2
	v_or_b32_e32 v7, 0x180, v0
	s_mov_b32 s2, exec_lo
	s_delay_alu instid0(VALU_DEP_1)
	v_cmpx_gt_u32_e64 s19, v7
	s_cbranch_execz .LBB955_11
; %bb.10:
	v_add_co_u32 v7, s11, s10, v9
	s_delay_alu instid0(VALU_DEP_1)
	v_add_co_ci_u32_e64 v8, null, s3, 0, s11
	s_waitcnt vmcnt(0) lgkmcnt(0)
	flat_load_d16_hi_b16 v2, v[7:8] offset:768
.LBB955_11:
	s_or_b32 exec_lo, exec_lo, s2
	v_or_b32_e32 v7, 0x200, v0
	s_mov_b32 s2, exec_lo
	s_delay_alu instid0(VALU_DEP_1)
	v_cmpx_gt_u32_e64 s19, v7
	s_cbranch_execz .LBB955_13
; %bb.12:
	v_add_co_u32 v7, s11, s10, v9
	s_delay_alu instid0(VALU_DEP_1)
	v_add_co_ci_u32_e64 v8, null, s3, 0, s11
	flat_load_d16_b16 v3, v[7:8] offset:1024
.LBB955_13:
	;; [unrolled: 25-line block ×5, first 2 shown]
	s_or_b32 exec_lo, exec_lo, s2
	s_waitcnt vmcnt(0) lgkmcnt(0)
	ds_store_b16 v9, v1
	ds_store_b16_d16_hi v9, v1 offset:256
	ds_store_b16 v9, v2 offset:512
	ds_store_b16_d16_hi v9, v2 offset:768
	ds_store_b16 v9, v3 offset:1024
	;; [unrolled: 2-line block ×5, first 2 shown]
	s_waitcnt lgkmcnt(0)
	s_barrier
.LBB955_26:
	v_mul_u32_u24_e32 v1, 11, v0
	s_waitcnt lgkmcnt(0)
	buffer_gl0_inv
	s_lshl_b64 s[22:23], s[6:7], 2
	s_delay_alu instid0(SALU_CYCLE_1)
	s_add_u32 s2, s8, s22
	v_lshlrev_b32_e32 v2, 1, v1
	s_addc_u32 s8, s9, s23
	s_lshl_b64 s[4:5], s[4:5], 2
	ds_load_b128 v[12:15], v2
	ds_load_u16 v36, v2 offset:16
	ds_load_u16 v35, v2 offset:18
	;; [unrolled: 1-line block ×3, first 2 shown]
	s_add_u32 s2, s2, s4
	s_addc_u32 s4, s8, s5
	s_and_b32 vcc_lo, exec_lo, s18
	s_mov_b32 s5, -1
	s_waitcnt lgkmcnt(0)
	s_barrier
	buffer_gl0_inv
	s_cbranch_vccz .LBB955_28
; %bb.27:
	v_lshlrev_b32_e32 v7, 2, v0
	s_delay_alu instid0(VALU_DEP_1) | instskip(NEXT) | instid1(VALU_DEP_1)
	v_add_co_u32 v3, s5, s2, v7
	v_add_co_ci_u32_e64 v4, null, s4, 0, s5
	s_mov_b32 s5, 0
	s_delay_alu instid0(VALU_DEP_2) | instskip(NEXT) | instid1(VALU_DEP_2)
	v_add_co_u32 v5, vcc_lo, 0x1000, v3
	v_add_co_ci_u32_e32 v6, vcc_lo, 0, v4, vcc_lo
	s_clause 0xa
	flat_load_b32 v8, v[3:4]
	flat_load_b32 v10, v[3:4] offset:512
	flat_load_b32 v11, v[3:4] offset:1024
	;; [unrolled: 1-line block ×7, first 2 shown]
	flat_load_b32 v4, v[5:6]
	flat_load_b32 v20, v[5:6] offset:512
	flat_load_b32 v5, v[5:6] offset:1024
	s_waitcnt vmcnt(9) lgkmcnt(9)
	ds_store_2addr_stride64_b32 v7, v8, v10 offset1:2
	s_waitcnt vmcnt(7) lgkmcnt(8)
	ds_store_2addr_stride64_b32 v7, v11, v16 offset0:4 offset1:6
	s_waitcnt vmcnt(5) lgkmcnt(7)
	ds_store_2addr_stride64_b32 v7, v17, v18 offset0:8 offset1:10
	;; [unrolled: 2-line block ×4, first 2 shown]
	s_waitcnt vmcnt(0) lgkmcnt(5)
	ds_store_b32 v7, v5 offset:5120
	s_waitcnt lgkmcnt(0)
	s_barrier
.LBB955_28:
	s_and_not1_b32 vcc_lo, exec_lo, s5
	s_cbranch_vccnz .LBB955_52
; %bb.29:
	s_mov_b32 s5, exec_lo
                                        ; implicit-def: $vgpr3
	v_cmpx_gt_u32_e64 s19, v0
	s_cbranch_execz .LBB955_31
; %bb.30:
	v_lshlrev_b32_e32 v3, 2, v0
	s_delay_alu instid0(VALU_DEP_1) | instskip(NEXT) | instid1(VALU_DEP_1)
	v_add_co_u32 v3, s8, s2, v3
	v_add_co_ci_u32_e64 v4, null, s4, 0, s8
	flat_load_b32 v3, v[3:4]
.LBB955_31:
	s_or_b32 exec_lo, exec_lo, s5
	v_or_b32_e32 v4, 0x80, v0
	s_delay_alu instid0(VALU_DEP_1)
	v_cmp_gt_u32_e32 vcc_lo, s19, v4
                                        ; implicit-def: $vgpr4
	s_and_saveexec_b32 s5, vcc_lo
	s_cbranch_execz .LBB955_33
; %bb.32:
	v_lshlrev_b32_e32 v4, 2, v0
	s_delay_alu instid0(VALU_DEP_1) | instskip(NEXT) | instid1(VALU_DEP_1)
	v_add_co_u32 v4, s8, s2, v4
	v_add_co_ci_u32_e64 v5, null, s4, 0, s8
	flat_load_b32 v4, v[4:5] offset:512
.LBB955_33:
	s_or_b32 exec_lo, exec_lo, s5
	v_or_b32_e32 v5, 0x100, v0
	s_delay_alu instid0(VALU_DEP_1)
	v_cmp_gt_u32_e32 vcc_lo, s19, v5
                                        ; implicit-def: $vgpr5
	s_and_saveexec_b32 s5, vcc_lo
	s_cbranch_execz .LBB955_35
; %bb.34:
	v_lshlrev_b32_e32 v5, 2, v0
	s_delay_alu instid0(VALU_DEP_1) | instskip(NEXT) | instid1(VALU_DEP_1)
	v_add_co_u32 v5, s8, s2, v5
	v_add_co_ci_u32_e64 v6, null, s4, 0, s8
	flat_load_b32 v5, v[5:6] offset:1024
.LBB955_35:
	s_or_b32 exec_lo, exec_lo, s5
	v_or_b32_e32 v6, 0x180, v0
	s_delay_alu instid0(VALU_DEP_1)
	v_cmp_gt_u32_e32 vcc_lo, s19, v6
                                        ; implicit-def: $vgpr6
	s_and_saveexec_b32 s5, vcc_lo
	s_cbranch_execz .LBB955_37
; %bb.36:
	v_lshlrev_b32_e32 v6, 2, v0
	s_delay_alu instid0(VALU_DEP_1) | instskip(NEXT) | instid1(VALU_DEP_1)
	v_add_co_u32 v6, s8, s2, v6
	v_add_co_ci_u32_e64 v7, null, s4, 0, s8
	flat_load_b32 v6, v[6:7] offset:1536
.LBB955_37:
	s_or_b32 exec_lo, exec_lo, s5
	v_or_b32_e32 v7, 0x200, v0
	s_delay_alu instid0(VALU_DEP_1)
	v_cmp_gt_u32_e32 vcc_lo, s19, v7
                                        ; implicit-def: $vgpr7
	s_and_saveexec_b32 s5, vcc_lo
	s_cbranch_execz .LBB955_39
; %bb.38:
	v_lshlrev_b32_e32 v7, 2, v0
	s_delay_alu instid0(VALU_DEP_1) | instskip(NEXT) | instid1(VALU_DEP_1)
	v_add_co_u32 v7, s8, s2, v7
	v_add_co_ci_u32_e64 v8, null, s4, 0, s8
	flat_load_b32 v7, v[7:8] offset:2048
.LBB955_39:
	s_or_b32 exec_lo, exec_lo, s5
	v_or_b32_e32 v8, 0x280, v0
	s_delay_alu instid0(VALU_DEP_1)
	v_cmp_gt_u32_e32 vcc_lo, s19, v8
                                        ; implicit-def: $vgpr8
	s_and_saveexec_b32 s5, vcc_lo
	s_cbranch_execz .LBB955_41
; %bb.40:
	v_lshlrev_b32_e32 v8, 2, v0
	s_delay_alu instid0(VALU_DEP_1) | instskip(NEXT) | instid1(VALU_DEP_1)
	v_add_co_u32 v10, s8, s2, v8
	v_add_co_ci_u32_e64 v11, null, s4, 0, s8
	flat_load_b32 v8, v[10:11] offset:2560
.LBB955_41:
	s_or_b32 exec_lo, exec_lo, s5
	v_or_b32_e32 v10, 0x300, v0
	s_delay_alu instid0(VALU_DEP_1)
	v_cmp_gt_u32_e32 vcc_lo, s19, v10
                                        ; implicit-def: $vgpr10
	s_and_saveexec_b32 s5, vcc_lo
	s_cbranch_execz .LBB955_43
; %bb.42:
	v_lshlrev_b32_e32 v10, 2, v0
	s_delay_alu instid0(VALU_DEP_1) | instskip(NEXT) | instid1(VALU_DEP_1)
	v_add_co_u32 v10, s8, s2, v10
	v_add_co_ci_u32_e64 v11, null, s4, 0, s8
	flat_load_b32 v10, v[10:11] offset:3072
.LBB955_43:
	s_or_b32 exec_lo, exec_lo, s5
	v_or_b32_e32 v11, 0x380, v0
	s_delay_alu instid0(VALU_DEP_1)
	v_cmp_gt_u32_e32 vcc_lo, s19, v11
                                        ; implicit-def: $vgpr11
	s_and_saveexec_b32 s5, vcc_lo
	s_cbranch_execz .LBB955_45
; %bb.44:
	v_lshlrev_b32_e32 v11, 2, v0
	s_delay_alu instid0(VALU_DEP_1) | instskip(NEXT) | instid1(VALU_DEP_1)
	v_add_co_u32 v16, s8, s2, v11
	v_add_co_ci_u32_e64 v17, null, s4, 0, s8
	flat_load_b32 v11, v[16:17] offset:3584
.LBB955_45:
	s_or_b32 exec_lo, exec_lo, s5
	v_or_b32_e32 v17, 0x400, v0
	s_mov_b32 s5, exec_lo
                                        ; implicit-def: $vgpr16
	s_delay_alu instid0(VALU_DEP_1)
	v_cmpx_gt_u32_e64 s19, v17
	s_cbranch_execz .LBB955_47
; %bb.46:
	v_lshlrev_b32_e32 v16, 2, v17
	s_delay_alu instid0(VALU_DEP_1) | instskip(NEXT) | instid1(VALU_DEP_1)
	v_add_co_u32 v16, s8, s2, v16
	v_add_co_ci_u32_e64 v17, null, s4, 0, s8
	flat_load_b32 v16, v[16:17]
.LBB955_47:
	s_or_b32 exec_lo, exec_lo, s5
	v_or_b32_e32 v18, 0x480, v0
	s_mov_b32 s5, exec_lo
                                        ; implicit-def: $vgpr17
	s_delay_alu instid0(VALU_DEP_1)
	v_cmpx_gt_u32_e64 s19, v18
	s_cbranch_execz .LBB955_49
; %bb.48:
	v_lshlrev_b32_e32 v17, 2, v18
	s_delay_alu instid0(VALU_DEP_1) | instskip(NEXT) | instid1(VALU_DEP_1)
	v_add_co_u32 v17, s8, s2, v17
	v_add_co_ci_u32_e64 v18, null, s4, 0, s8
	flat_load_b32 v17, v[17:18]
.LBB955_49:
	s_or_b32 exec_lo, exec_lo, s5
	v_or_b32_e32 v19, 0x500, v0
	s_mov_b32 s5, exec_lo
                                        ; implicit-def: $vgpr18
	s_delay_alu instid0(VALU_DEP_1)
	v_cmpx_gt_u32_e64 s19, v19
	s_cbranch_execz .LBB955_51
; %bb.50:
	v_lshlrev_b32_e32 v18, 2, v19
	s_delay_alu instid0(VALU_DEP_1) | instskip(NEXT) | instid1(VALU_DEP_1)
	v_add_co_u32 v18, s2, s2, v18
	v_add_co_ci_u32_e64 v19, null, s4, 0, s2
	flat_load_b32 v18, v[18:19]
.LBB955_51:
	s_or_b32 exec_lo, exec_lo, s5
	v_mad_i32_i24 v2, 0xffffffee, v0, v2
	s_waitcnt vmcnt(0) lgkmcnt(0)
	ds_store_2addr_stride64_b32 v2, v3, v4 offset1:2
	ds_store_2addr_stride64_b32 v2, v5, v6 offset0:4 offset1:6
	ds_store_2addr_stride64_b32 v2, v7, v8 offset0:8 offset1:10
	;; [unrolled: 1-line block ×4, first 2 shown]
	ds_store_b32 v2, v18 offset:5120
	s_waitcnt lgkmcnt(0)
	s_barrier
.LBB955_52:
	v_lshlrev_b32_e32 v41, 2, v1
	buffer_gl0_inv
	s_cmp_lg_u32 s15, 0
	v_lshrrev_b32_e32 v40, 16, v12
	s_cselect_b32 s21, -1, 0
	ds_load_2addr_b32 v[27:28], v41 offset1:1
	ds_load_2addr_b32 v[25:26], v41 offset0:2 offset1:3
	ds_load_2addr_b32 v[23:24], v41 offset0:4 offset1:5
	;; [unrolled: 1-line block ×4, first 2 shown]
	ds_load_b32 v33, v41 offset:40
	s_cmp_lg_u64 s[6:7], 0
	v_lshrrev_b32_e32 v39, 16, v13
	s_cselect_b32 s2, -1, 0
	v_lshrrev_b32_e32 v38, 16, v14
	v_lshrrev_b32_e32 v37, 16, v15
	v_add_nc_u32_e32 v5, 1, v1
	v_add_nc_u32_e32 v6, 2, v1
	;; [unrolled: 1-line block ×10, first 2 shown]
	s_or_b32 s2, s21, s2
	s_mov_b32 s22, 0
	s_and_b32 vcc_lo, exec_lo, s2
	s_waitcnt lgkmcnt(0)
	s_barrier
	buffer_gl0_inv
	s_cbranch_vccz .LBB955_57
; %bb.53:
	v_add_co_u32 v16, s2, -2, s10
	s_delay_alu instid0(VALU_DEP_1)
	v_add_co_ci_u32_e64 v17, null, -1, s3, s2
	s_mov_b32 s3, -1
	s_and_b32 vcc_lo, exec_lo, s18
	flat_load_u16 v16, v[16:17]
	ds_store_b16 v9, v34
	s_cbranch_vccz .LBB955_59
; %bb.54:
	s_waitcnt vmcnt(0) lgkmcnt(1)
	v_mov_b32_e32 v17, v16
	s_mov_b32 s3, 0
	s_mov_b32 s2, exec_lo
	s_waitcnt lgkmcnt(0)
	s_barrier
	buffer_gl0_inv
	v_cmpx_ne_u32_e32 0, v0
	s_cbranch_execz .LBB955_56
; %bb.55:
	v_add_nc_u32_e32 v17, -2, v9
	ds_load_u16 v17, v17
.LBB955_56:
	s_or_b32 exec_lo, exec_lo, s2
	v_cmp_ne_u16_e32 vcc_lo, v15, v37
	s_waitcnt lgkmcnt(0)
	v_cmp_ne_u16_e64 s2, v17, v12
	v_cndmask_b32_e64 v18, 0, 1, vcc_lo
	v_cmp_ne_u16_e32 vcc_lo, v38, v15
	s_delay_alu instid0(VALU_DEP_2) | instskip(SKIP_2) | instid1(VALU_DEP_2)
	v_lshlrev_b16 v18, 8, v18
	v_cndmask_b32_e64 v29, 0, 1, vcc_lo
	v_cmp_ne_u16_e32 vcc_lo, v14, v38
	v_or_b32_e32 v18, v29, v18
	v_cndmask_b32_e64 v30, 0, 1, vcc_lo
	v_cmp_ne_u16_e32 vcc_lo, v39, v14
	s_delay_alu instid0(VALU_DEP_3) | instskip(NEXT) | instid1(VALU_DEP_3)
	v_lshlrev_b32_e32 v18, 16, v18
	v_lshlrev_b16 v30, 8, v30
	v_cndmask_b32_e64 v32, 0, 1, vcc_lo
	v_cmp_ne_u16_e32 vcc_lo, v13, v39
	s_delay_alu instid0(VALU_DEP_2) | instskip(SKIP_2) | instid1(VALU_DEP_3)
	v_or_b32_e32 v30, v32, v30
	v_cndmask_b32_e64 v42, 0, 1, vcc_lo
	v_cmp_ne_u16_e32 vcc_lo, v40, v13
	v_and_b32_e32 v30, 0xffff, v30
	s_delay_alu instid0(VALU_DEP_3) | instskip(SKIP_2) | instid1(VALU_DEP_4)
	v_lshlrev_b16 v42, 8, v42
	v_cndmask_b32_e64 v44, 0, 1, vcc_lo
	v_cmp_ne_u16_e32 vcc_lo, v12, v40
	v_or_b32_e32 v30, v30, v18
	s_delay_alu instid0(VALU_DEP_3) | instskip(SKIP_2) | instid1(VALU_DEP_3)
	v_or_b32_e32 v42, v44, v42
	v_cndmask_b32_e64 v45, 0, 1, vcc_lo
	v_cmp_ne_u16_e32 vcc_lo, v35, v34
	v_lshlrev_b32_e32 v29, 16, v42
	s_delay_alu instid0(VALU_DEP_3) | instskip(SKIP_2) | instid1(VALU_DEP_3)
	v_lshlrev_b16 v44, 8, v45
	v_cndmask_b32_e64 v43, 0, 1, vcc_lo
	v_cmp_ne_u16_e32 vcc_lo, v36, v35
	v_and_b32_e32 v44, 0xffff, v44
	v_cndmask_b32_e64 v32, 0, 1, vcc_lo
	v_cmp_ne_u16_e32 vcc_lo, v37, v36
	s_delay_alu instid0(VALU_DEP_3)
	v_or_b32_e32 v29, v44, v29
	v_cndmask_b32_e64 v42, 0, 1, vcc_lo
	s_and_b32 vcc_lo, exec_lo, s3
	s_cbranch_vccnz .LBB955_60
	s_branch .LBB955_63
.LBB955_57:
                                        ; implicit-def: $sgpr2
                                        ; implicit-def: $vgpr43
                                        ; implicit-def: $vgpr32
                                        ; implicit-def: $vgpr42
                                        ; implicit-def: $vgpr30
	s_branch .LBB955_64
.LBB955_58:
                                        ; implicit-def: $vgpr16_vgpr17_vgpr18
	s_and_saveexec_b32 s3, s22
	s_cbranch_execnz .LBB955_72
	s_branch .LBB955_73
.LBB955_59:
                                        ; implicit-def: $sgpr2
                                        ; implicit-def: $vgpr43
                                        ; implicit-def: $vgpr32
                                        ; implicit-def: $vgpr42
                                        ; implicit-def: $vgpr30
	s_and_b32 vcc_lo, exec_lo, s3
	s_cbranch_vccz .LBB955_63
.LBB955_60:
	s_mov_b32 s2, exec_lo
	s_waitcnt vmcnt(0) lgkmcnt(0)
	s_barrier
	buffer_gl0_inv
	v_cmpx_ne_u32_e32 0, v0
	s_cbranch_execz .LBB955_62
; %bb.61:
	v_add_nc_u32_e32 v9, -2, v9
	ds_load_u16 v16, v9
.LBB955_62:
	s_or_b32 exec_lo, exec_lo, s2
	v_cmp_gt_u32_e32 vcc_lo, s19, v10
	v_cmp_ne_u16_e64 s2, v35, v34
	v_cmp_gt_u32_e64 s3, s19, v11
	v_cmp_ne_u16_e64 s4, v36, v35
	v_cmp_gt_u32_e64 s5, s19, v5
	v_cmp_ne_u16_e64 s6, v12, v40
	s_and_b32 s2, vcc_lo, s2
	v_cmp_gt_u32_e32 vcc_lo, s19, v2
	v_cndmask_b32_e64 v43, 0, 1, s2
	v_cmp_ne_u16_e64 s2, v15, v37
	s_and_b32 s3, s3, s4
	v_cmp_ne_u16_e64 s4, v38, v15
	v_cndmask_b32_e64 v32, 0, 1, s3
	v_cmp_gt_u32_e64 s3, s19, v4
	s_and_b32 s2, vcc_lo, s2
	v_cmp_gt_u32_e32 vcc_lo, s19, v7
	v_cndmask_b32_e64 v9, 0, 1, s2
	v_cmp_ne_u16_e64 s2, v14, v38
	s_and_b32 s3, s3, s4
	v_cmp_ne_u16_e64 s4, v13, v39
	v_cndmask_b32_e64 v17, 0, 1, s3
	v_cmp_gt_u32_e64 s3, s19, v3
	;; [unrolled: 8-line block ×3, first 2 shown]
	s_and_b32 s2, vcc_lo, s2
	v_lshlrev_b16 v18, 8, v18
	v_cndmask_b32_e64 v30, 0, 1, s2
	v_lshlrev_b16 v29, 8, v29
	s_and_b32 s2, s3, s4
	v_lshlrev_b16 v9, 8, v9
	v_cndmask_b32_e64 v42, 0, 1, s2
	s_and_b32 s2, s5, s6
	v_or_b32_e32 v18, v30, v18
	v_cndmask_b32_e64 v44, 0, 1, s2
	v_or_b32_e32 v9, v17, v9
	v_or_b32_e32 v29, v42, v29
	v_cmp_gt_u32_e32 vcc_lo, s19, v31
	v_cmp_ne_u16_e64 s2, v37, v36
	v_lshlrev_b16 v42, 8, v44
	v_and_b32_e32 v18, 0xffff, v18
	v_lshlrev_b32_e32 v17, 16, v29
	v_lshlrev_b32_e32 v9, 16, v9
	s_and_b32 s2, vcc_lo, s2
	v_and_b32_e32 v29, 0xffff, v42
	v_cndmask_b32_e64 v42, 0, 1, s2
	v_cmp_gt_u32_e32 vcc_lo, s19, v1
	s_waitcnt lgkmcnt(0)
	v_cmp_ne_u16_e64 s2, v16, v12
	v_or_b32_e32 v30, v18, v9
	v_or_b32_e32 v29, v29, v17
	s_delay_alu instid0(VALU_DEP_3)
	s_and_b32 s2, vcc_lo, s2
.LBB955_63:
	s_mov_b32 s22, -1
	s_cbranch_execnz .LBB955_58
.LBB955_64:
	v_mad_i32_i24 v9, 0xffffffd6, v0, v41
	v_cmp_ne_u16_e64 s2, v35, v34
	v_cmp_ne_u16_e64 s9, v36, v35
	;; [unrolled: 1-line block ×10, first 2 shown]
	s_and_b32 vcc_lo, exec_lo, s18
	ds_store_b16 v9, v34
	s_cbranch_vccz .LBB955_68
; %bb.65:
	s_waitcnt vmcnt(0) lgkmcnt(2)
	v_cndmask_b32_e64 v16, 0, 1, s11
	v_cndmask_b32_e64 v32, 0, 1, s9
	;; [unrolled: 1-line block ×5, first 2 shown]
	v_lshlrev_b16 v16, 8, v16
	v_cndmask_b32_e64 v44, 0, 1, s4
	v_cndmask_b32_e64 v42, 0, 1, s10
	;; [unrolled: 1-line block ×4, first 2 shown]
	v_lshlrev_b16 v17, 8, v17
	v_lshlrev_b16 v45, 8, v32
	v_or_b32_e32 v16, v29, v16
	v_lshlrev_b16 v29, 8, v30
	v_lshlrev_b16 v30, 8, v44
	v_or_b32_e32 v17, v18, v17
	v_or_b32_e32 v18, v42, v45
	v_and_b32_e32 v16, 0xffff, v16
	v_or_b32_e32 v29, v43, v29
	v_or_b32_e32 v30, 1, v30
	v_lshlrev_b32_e32 v17, 16, v17
	v_and_b32_e32 v18, 0xffff, v18
	v_cndmask_b32_e64 v43, 0, 1, s2
	v_lshlrev_b32_e32 v29, 16, v29
	v_and_b32_e32 v44, 0xffff, v30
	v_or_b32_e32 v30, v16, v17
	s_mov_b32 s3, 0
	v_lshl_or_b32 v18, v43, 16, v18
	s_mov_b32 s4, exec_lo
	v_or_b32_e32 v29, v44, v29
	s_waitcnt lgkmcnt(0)
	s_barrier
	buffer_gl0_inv
                                        ; implicit-def: $sgpr2
	v_cmpx_ne_u32_e32 0, v0
	s_xor_b32 s4, exec_lo, s4
	s_cbranch_execz .LBB955_67
; %bb.66:
	v_add_nc_u32_e32 v16, -2, v9
	s_or_b32 s22, s22, exec_lo
	ds_load_u16 v16, v16
	s_waitcnt lgkmcnt(0)
	v_cmp_ne_u16_e32 vcc_lo, v16, v12
                                        ; implicit-def: $vgpr16_vgpr17_vgpr18
	s_and_b32 s2, vcc_lo, exec_lo
.LBB955_67:
	s_or_b32 exec_lo, exec_lo, s4
	s_delay_alu instid0(SALU_CYCLE_1)
	s_and_b32 vcc_lo, exec_lo, s3
	s_cbranch_vccnz .LBB955_69
	s_branch .LBB955_71
.LBB955_68:
                                        ; implicit-def: $sgpr2
                                        ; implicit-def: $vgpr43
                                        ; implicit-def: $vgpr32
                                        ; implicit-def: $vgpr42
                                        ; implicit-def: $vgpr30
                                        ; implicit-def: $vgpr16_vgpr17_vgpr18
	s_cbranch_execz .LBB955_71
.LBB955_69:
	v_cmp_gt_u32_e32 vcc_lo, s19, v11
	v_cmp_ne_u16_e64 s2, v36, v35
	v_cmp_gt_u32_e64 s5, s19, v31
	v_cmp_ne_u16_e64 s6, v37, v36
	v_cmp_gt_u32_e64 s3, s19, v10
	v_cmp_ne_u16_e64 s4, v35, v34
	s_and_b32 s2, vcc_lo, s2
	v_cmp_gt_u32_e32 vcc_lo, s19, v2
	v_cndmask_b32_e64 v32, 0, 1, s2
	v_cmp_ne_u16_e64 s2, v15, v37
	s_and_b32 s5, s5, s6
	v_cmp_ne_u16_e64 s6, v38, v15
	v_cndmask_b32_e64 v42, 0, 1, s5
	v_cmp_gt_u32_e64 s5, s19, v4
	s_and_b32 s2, vcc_lo, s2
	v_cmp_gt_u32_e32 vcc_lo, s19, v7
	s_waitcnt vmcnt(0) lgkmcnt(2)
	v_cndmask_b32_e64 v16, 0, 1, s2
	v_cmp_ne_u16_e64 s2, v14, v38
	s_and_b32 s5, s5, s6
	v_cmp_ne_u16_e64 s6, v39, v14
	v_cndmask_b32_e64 v17, 0, 1, s5
	v_cmp_gt_u32_e64 s5, s19, v8
	s_and_b32 s2, vcc_lo, s2
	v_cmp_gt_u32_e32 vcc_lo, s19, v3
	v_cndmask_b32_e64 v18, 0, 1, s2
	v_cmp_ne_u16_e64 s2, v13, v39
	s_and_b32 s5, s5, s6
	v_cmp_ne_u16_e64 s6, v40, v13
	v_cndmask_b32_e64 v29, 0, 1, s5
	v_cmp_gt_u32_e64 s5, s19, v6
	s_and_b32 s2, vcc_lo, s2
	v_cmp_gt_u32_e32 vcc_lo, s19, v5
	v_cndmask_b32_e64 v30, 0, 1, s2
	v_cmp_ne_u16_e64 s2, v12, v40
	v_lshlrev_b16 v18, 8, v18
	v_lshlrev_b16 v16, 8, v16
	s_and_b32 s5, s5, s6
	v_lshlrev_b16 v45, 8, v32
	s_and_b32 s2, vcc_lo, s2
	v_cndmask_b32_e64 v43, 0, 1, s5
	v_cndmask_b32_e64 v44, 0, 1, s2
	v_or_b32_e32 v18, v29, v18
	v_or_b32_e32 v16, v17, v16
	v_lshlrev_b16 v17, 8, v30
	v_or_b32_e32 v30, v42, v45
	v_lshlrev_b16 v29, 8, v44
	s_and_b32 s2, s3, s4
	v_and_b32_e32 v18, 0xffff, v18
	v_or_b32_e32 v17, v43, v17
	v_lshlrev_b32_e32 v16, 16, v16
	v_or_b32_e32 v29, 1, v29
	v_and_b32_e32 v44, 0xffff, v30
	v_cndmask_b32_e64 v43, 0, 1, s2
	v_lshlrev_b32_e32 v17, 16, v17
	v_or_b32_e32 v30, v18, v16
	v_and_b32_e32 v29, 0xffff, v29
	s_mov_b32 s3, exec_lo
	v_lshl_or_b32 v18, v43, 16, v44
	s_waitcnt lgkmcnt(0)
	s_barrier
	v_or_b32_e32 v29, v29, v17
	buffer_gl0_inv
                                        ; implicit-def: $sgpr2
	v_cmpx_ne_u32_e32 0, v0
	s_cbranch_execz .LBB955_200
; %bb.70:
	v_add_nc_u32_e32 v9, -2, v9
	v_cmp_gt_u32_e32 vcc_lo, s19, v1
	s_or_b32 s22, s22, exec_lo
                                        ; implicit-def: $vgpr16_vgpr17_vgpr18
	ds_load_u16 v9, v9
	s_waitcnt lgkmcnt(0)
	v_cmp_ne_u16_e64 s2, v9, v12
	s_delay_alu instid0(VALU_DEP_1) | instskip(NEXT) | instid1(SALU_CYCLE_1)
	s_and_b32 s2, vcc_lo, s2
	s_and_b32 s2, s2, exec_lo
	s_or_b32 exec_lo, exec_lo, s3
.LBB955_71:
	s_and_saveexec_b32 s3, s22
	s_cbranch_execz .LBB955_73
.LBB955_72:
	s_waitcnt vmcnt(0) lgkmcnt(1)
	v_lshrrev_b32_e32 v16, 24, v29
	v_lshrrev_b32_e32 v17, 16, v29
	;; [unrolled: 1-line block ×3, first 2 shown]
	v_cndmask_b32_e64 v9, 0, 1, s2
	v_lshlrev_b16 v29, 8, v32
	v_and_b32_e32 v32, 0xff, v42
	v_lshlrev_b16 v16, 8, v16
	v_and_b32_e32 v17, 0xff, v17
	;; [unrolled: 2-line block ×3, first 2 shown]
	v_or_b32_e32 v29, v32, v29
	s_delay_alu instid0(VALU_DEP_4) | instskip(NEXT) | instid1(VALU_DEP_4)
	v_or_b32_e32 v16, v17, v16
	v_or_b32_e32 v9, v9, v18
	s_delay_alu instid0(VALU_DEP_4) | instskip(NEXT) | instid1(VALU_DEP_4)
	v_lshlrev_b32_e32 v17, 16, v42
	v_and_b32_e32 v18, 0xffff, v29
	s_delay_alu instid0(VALU_DEP_4) | instskip(NEXT) | instid1(VALU_DEP_4)
	v_lshlrev_b32_e32 v16, 16, v16
	v_and_b32_e32 v9, 0xffff, v9
	s_delay_alu instid0(VALU_DEP_3) | instskip(NEXT) | instid1(VALU_DEP_2)
	v_or_b32_e32 v18, v18, v17
	v_or_b32_e32 v29, v9, v16
.LBB955_73:
	s_or_b32 exec_lo, exec_lo, s3
	s_load_b64 s[10:11], s[0:1], 0x68
	s_and_not1_b32 vcc_lo, exec_lo, s20
	s_cbranch_vccnz .LBB955_75
; %bb.74:
	v_cmp_gt_u32_e32 vcc_lo, s19, v1
	v_cmp_gt_u32_e64 s2, s19, v5
	v_and_b32_e32 v5, 0xffffff00, v30
	v_cmp_gt_u32_e64 s4, s19, v6
	v_cmp_gt_u32_e64 s6, s19, v3
	v_cndmask_b32_e32 v1, 0, v29, vcc_lo
	v_and_b32_e32 v9, 0xff000000, v18
	v_cmp_gt_u32_e32 vcc_lo, s19, v31
	v_cmp_gt_u32_e64 s3, s19, v11
	v_cmp_gt_u32_e64 s5, s19, v10
	v_and_b32_e32 v1, 0xff, v1
	s_delay_alu instid0(VALU_DEP_1) | instskip(SKIP_1) | instid1(VALU_DEP_2)
	v_cndmask_b32_e64 v1, v1, v29, s2
	v_cmp_gt_u32_e64 s2, s19, v8
	v_and_b32_e32 v1, 0xffff, v1
	s_delay_alu instid0(VALU_DEP_2) | instskip(NEXT) | instid1(VALU_DEP_2)
	v_cndmask_b32_e64 v5, v5, v30, s2
	v_cndmask_b32_e64 v1, v1, v29, s4
	s_delay_alu instid0(VALU_DEP_2) | instskip(SKIP_1) | instid1(VALU_DEP_3)
	v_and_b32_e32 v5, 0xffff00ff, v5
	v_cmp_gt_u32_e64 s4, s19, v7
	v_and_b32_e32 v1, 0xffffff, v1
	s_delay_alu instid0(VALU_DEP_2) | instskip(NEXT) | instid1(VALU_DEP_2)
	v_cndmask_b32_e64 v5, v5, v30, s4
	v_cndmask_b32_e64 v1, v1, v29, s6
	s_delay_alu instid0(VALU_DEP_2) | instskip(NEXT) | instid1(VALU_DEP_2)
	v_and_b32_e32 v3, 0xff00ffff, v5
	v_cndmask_b32_e64 v1, v1, v29, s2
	v_cmp_gt_u32_e64 s2, s19, v4
	s_delay_alu instid0(VALU_DEP_2) | instskip(NEXT) | instid1(VALU_DEP_2)
	v_cndmask_b32_e64 v1, v1, v29, s4
	v_cndmask_b32_e64 v3, v3, v30, s2
	v_cndmask_b32_e32 v9, v9, v18, vcc_lo
	v_cmp_gt_u32_e64 s4, s19, v2
	s_delay_alu instid0(VALU_DEP_4) | instskip(NEXT) | instid1(VALU_DEP_4)
	v_cndmask_b32_e64 v1, v1, v29, s2
	v_and_b32_e32 v2, 0xffffff, v3
	s_delay_alu instid0(VALU_DEP_4) | instskip(NEXT) | instid1(VALU_DEP_1)
	v_and_b32_e32 v9, 0xff0000ff, v9
	v_cndmask_b32_e64 v8, v9, v18, s3
	s_or_b32 s3, s5, s3
	s_delay_alu instid0(SALU_CYCLE_1) | instskip(NEXT) | instid1(VALU_DEP_1)
	s_or_b32 s2, s3, vcc_lo
	v_and_b32_e32 v6, 0xff00ffff, v8
	s_or_b32 vcc_lo, s2, s4
	v_dual_cndmask_b32 v30, v2, v30 :: v_dual_cndmask_b32 v1, v1, v29
	s_delay_alu instid0(VALU_DEP_2) | instskip(NEXT) | instid1(VALU_DEP_2)
	v_cndmask_b32_e64 v6, v6, v18, s5
	v_perm_b32 v29, v1, v1, 0x3020104
	s_delay_alu instid0(VALU_DEP_2) | instskip(SKIP_1) | instid1(VALU_DEP_2)
	v_lshrrev_b32_e32 v5, 8, v6
	v_and_b32_e32 v4, 0xff, v6
	v_lshlrev_b16 v5, 8, v5
	s_delay_alu instid0(VALU_DEP_1) | instskip(NEXT) | instid1(VALU_DEP_1)
	v_or_b32_e32 v3, v4, v5
	v_and_b32_e32 v2, 0xffff, v3
	s_delay_alu instid0(VALU_DEP_1)
	v_and_or_b32 v18, 0xff0000, v6, v2
.LBB955_75:
	v_and_b32_e32 v43, 0xff, v29
	v_bfe_u32 v44, v29, 8, 8
	v_alignbit_b32 v1, v30, v29, 24
	v_bfe_u32 v45, v29, 16, 8
	v_and_b32_e32 v46, 0xff, v30
	v_bfe_u32 v48, v30, 8, 8
	v_bfe_u32 v49, v30, 16, 8
	v_and_b32_e32 v47, 0xff, v1
	v_add3_u32 v1, v44, v43, v45
	v_lshrrev_b32_e32 v42, 24, v30
	v_mbcnt_lo_u32_b32 v52, -1, 0
	v_and_b32_e32 v50, 0xff, v18
	v_bfe_u32 v51, v18, 8, 8
	v_add3_u32 v1, v1, v47, v46
	v_bfe_u32 v3, v18, 16, 8
	v_and_b32_e32 v2, 15, v52
	v_or_b32_e32 v4, 31, v0
	v_and_b32_e32 v5, 16, v52
	v_add3_u32 v1, v1, v48, v49
	v_lshrrev_b32_e32 v53, 5, v0
	v_cmp_eq_u32_e64 s7, 0, v2
	v_cmp_lt_u32_e64 s6, 1, v2
	v_cmp_lt_u32_e64 s5, 3, v2
	v_add3_u32 v1, v1, v42, v50
	v_cmp_lt_u32_e64 s4, 7, v2
	v_cmp_eq_u32_e64 s3, 0, v5
	v_cmp_eq_u32_e64 s2, v4, v0
	s_and_b32 vcc_lo, exec_lo, s21
	v_add3_u32 v54, v1, v51, v3
	s_mov_b32 s19, -1
	s_waitcnt vmcnt(0) lgkmcnt(0)
	s_barrier
	buffer_gl0_inv
	s_cbranch_vccz .LBB955_101
; %bb.76:
	v_mov_b32_dpp v1, v54 row_shr:1 row_mask:0xf bank_mask:0xf
	s_delay_alu instid0(VALU_DEP_1) | instskip(NEXT) | instid1(VALU_DEP_1)
	v_cndmask_b32_e64 v1, v1, 0, s7
	v_add_nc_u32_e32 v1, v1, v54
	s_delay_alu instid0(VALU_DEP_1) | instskip(NEXT) | instid1(VALU_DEP_1)
	v_mov_b32_dpp v2, v1 row_shr:2 row_mask:0xf bank_mask:0xf
	v_cndmask_b32_e64 v2, 0, v2, s6
	s_delay_alu instid0(VALU_DEP_1) | instskip(NEXT) | instid1(VALU_DEP_1)
	v_add_nc_u32_e32 v1, v1, v2
	v_mov_b32_dpp v2, v1 row_shr:4 row_mask:0xf bank_mask:0xf
	s_delay_alu instid0(VALU_DEP_1) | instskip(NEXT) | instid1(VALU_DEP_1)
	v_cndmask_b32_e64 v2, 0, v2, s5
	v_add_nc_u32_e32 v1, v1, v2
	s_delay_alu instid0(VALU_DEP_1) | instskip(NEXT) | instid1(VALU_DEP_1)
	v_mov_b32_dpp v2, v1 row_shr:8 row_mask:0xf bank_mask:0xf
	v_cndmask_b32_e64 v2, 0, v2, s4
	s_delay_alu instid0(VALU_DEP_1) | instskip(SKIP_3) | instid1(VALU_DEP_1)
	v_add_nc_u32_e32 v1, v1, v2
	ds_swizzle_b32 v2, v1 offset:swizzle(BROADCAST,32,15)
	s_waitcnt lgkmcnt(0)
	v_cndmask_b32_e64 v2, v2, 0, s3
	v_add_nc_u32_e32 v1, v1, v2
	s_and_saveexec_b32 s8, s2
	s_cbranch_execz .LBB955_78
; %bb.77:
	v_lshlrev_b32_e32 v2, 2, v53
	ds_store_b32 v2, v1
.LBB955_78:
	s_or_b32 exec_lo, exec_lo, s8
	s_delay_alu instid0(SALU_CYCLE_1)
	s_mov_b32 s8, exec_lo
	s_waitcnt lgkmcnt(0)
	s_barrier
	buffer_gl0_inv
	v_cmpx_gt_u32_e32 4, v0
	s_cbranch_execz .LBB955_80
; %bb.79:
	v_and_b32_e32 v4, 3, v52
	s_delay_alu instid0(VALU_DEP_1) | instskip(SKIP_4) | instid1(VALU_DEP_1)
	v_cmp_ne_u32_e32 vcc_lo, 0, v4
	v_lshlrev_b32_e32 v2, 2, v0
	ds_load_b32 v3, v2
	s_waitcnt lgkmcnt(0)
	v_mov_b32_dpp v5, v3 row_shr:1 row_mask:0xf bank_mask:0xf
	v_cndmask_b32_e32 v5, 0, v5, vcc_lo
	v_cmp_lt_u32_e32 vcc_lo, 1, v4
	s_delay_alu instid0(VALU_DEP_2) | instskip(NEXT) | instid1(VALU_DEP_1)
	v_add_nc_u32_e32 v3, v5, v3
	v_mov_b32_dpp v5, v3 row_shr:2 row_mask:0xf bank_mask:0xf
	s_delay_alu instid0(VALU_DEP_1) | instskip(NEXT) | instid1(VALU_DEP_1)
	v_cndmask_b32_e32 v4, 0, v5, vcc_lo
	v_add_nc_u32_e32 v3, v3, v4
	ds_store_b32 v2, v3
.LBB955_80:
	s_or_b32 exec_lo, exec_lo, s8
	v_cmp_gt_u32_e32 vcc_lo, 32, v0
	s_mov_b32 s9, exec_lo
	s_waitcnt lgkmcnt(0)
	s_barrier
	buffer_gl0_inv
                                        ; implicit-def: $vgpr9
	v_cmpx_lt_u32_e32 31, v0
	s_cbranch_execz .LBB955_82
; %bb.81:
	v_lshl_add_u32 v2, v53, 2, -4
	ds_load_b32 v9, v2
	s_waitcnt lgkmcnt(0)
	v_add_nc_u32_e32 v1, v9, v1
.LBB955_82:
	s_or_b32 exec_lo, exec_lo, s9
	v_add_nc_u32_e32 v2, -1, v52
	s_delay_alu instid0(VALU_DEP_1) | instskip(NEXT) | instid1(VALU_DEP_1)
	v_cmp_gt_i32_e64 s8, 0, v2
	v_cndmask_b32_e64 v2, v2, v52, s8
	v_cmp_eq_u32_e64 s8, 0, v52
	s_delay_alu instid0(VALU_DEP_2)
	v_lshlrev_b32_e32 v2, 2, v2
	ds_bpermute_b32 v10, v2, v1
	s_and_saveexec_b32 s9, vcc_lo
	s_cbranch_execz .LBB955_100
; %bb.83:
	v_mov_b32_e32 v5, 0
	ds_load_b32 v1, v5 offset:12
	s_and_saveexec_b32 s19, s8
	s_cbranch_execz .LBB955_85
; %bb.84:
	s_add_i32 s20, s15, 32
	s_mov_b32 s21, 0
	v_mov_b32_e32 v2, 1
	s_lshl_b64 s[20:21], s[20:21], 3
	s_delay_alu instid0(SALU_CYCLE_1)
	s_add_u32 s20, s10, s20
	s_addc_u32 s21, s11, s21
	s_waitcnt lgkmcnt(0)
	global_store_b64 v5, v[1:2], s[20:21]
.LBB955_85:
	s_or_b32 exec_lo, exec_lo, s19
	v_xad_u32 v3, v52, -1, s15
	s_mov_b32 s20, 0
	s_mov_b32 s19, exec_lo
	s_delay_alu instid0(VALU_DEP_1) | instskip(NEXT) | instid1(VALU_DEP_1)
	v_add_nc_u32_e32 v4, 32, v3
	v_lshlrev_b64 v[4:5], 3, v[4:5]
	s_delay_alu instid0(VALU_DEP_1) | instskip(NEXT) | instid1(VALU_DEP_2)
	v_add_co_u32 v7, vcc_lo, s10, v4
	v_add_co_ci_u32_e32 v8, vcc_lo, s11, v5, vcc_lo
	global_load_b64 v[5:6], v[7:8], off glc
	s_waitcnt vmcnt(0)
	v_and_b32_e32 v2, 0xff, v6
	s_delay_alu instid0(VALU_DEP_1)
	v_cmpx_eq_u16_e32 0, v2
	s_cbranch_execz .LBB955_88
.LBB955_86:                             ; =>This Inner Loop Header: Depth=1
	global_load_b64 v[5:6], v[7:8], off glc
	s_waitcnt vmcnt(0)
	v_and_b32_e32 v2, 0xff, v6
	s_delay_alu instid0(VALU_DEP_1) | instskip(SKIP_1) | instid1(SALU_CYCLE_1)
	v_cmp_ne_u16_e32 vcc_lo, 0, v2
	s_or_b32 s20, vcc_lo, s20
	s_and_not1_b32 exec_lo, exec_lo, s20
	s_cbranch_execnz .LBB955_86
; %bb.87:
	s_or_b32 exec_lo, exec_lo, s20
.LBB955_88:
	s_delay_alu instid0(SALU_CYCLE_1)
	s_or_b32 exec_lo, exec_lo, s19
	v_cmp_ne_u32_e32 vcc_lo, 31, v52
	v_lshlrev_b32_e64 v16, v52, -1
	v_add_nc_u32_e32 v31, 2, v52
	v_add_nc_u32_e32 v55, 4, v52
	;; [unrolled: 1-line block ×3, first 2 shown]
	v_add_co_ci_u32_e32 v2, vcc_lo, 0, v52, vcc_lo
	v_add_nc_u32_e32 v59, 16, v52
	s_delay_alu instid0(VALU_DEP_2)
	v_lshlrev_b32_e32 v11, 2, v2
	v_and_b32_e32 v2, 0xff, v6
	ds_bpermute_b32 v4, v11, v5
	v_cmp_eq_u16_e32 vcc_lo, 2, v2
	v_and_or_b32 v2, vcc_lo, v16, 0x80000000
	v_cmp_gt_u32_e32 vcc_lo, 30, v52
	s_delay_alu instid0(VALU_DEP_2) | instskip(SKIP_1) | instid1(VALU_DEP_2)
	v_ctz_i32_b32_e32 v2, v2
	v_cndmask_b32_e64 v7, 0, 1, vcc_lo
	v_cmp_lt_u32_e32 vcc_lo, v52, v2
	s_waitcnt lgkmcnt(0)
	s_delay_alu instid0(VALU_DEP_2) | instskip(NEXT) | instid1(VALU_DEP_1)
	v_dual_cndmask_b32 v4, 0, v4 :: v_dual_lshlrev_b32 v7, 1, v7
	v_add_lshl_u32 v17, v7, v52, 2
	v_cmp_gt_u32_e32 vcc_lo, 28, v52
	s_delay_alu instid0(VALU_DEP_3) | instskip(SKIP_4) | instid1(VALU_DEP_1)
	v_add_nc_u32_e32 v4, v4, v5
	v_cndmask_b32_e64 v7, 0, 1, vcc_lo
	v_cmp_le_u32_e32 vcc_lo, v31, v2
	ds_bpermute_b32 v5, v17, v4
	v_lshlrev_b32_e32 v7, 2, v7
	v_add_lshl_u32 v32, v7, v52, 2
	s_waitcnt lgkmcnt(0)
	v_cndmask_b32_e32 v5, 0, v5, vcc_lo
	v_cmp_gt_u32_e32 vcc_lo, 24, v52
	s_delay_alu instid0(VALU_DEP_2) | instskip(SKIP_4) | instid1(VALU_DEP_1)
	v_add_nc_u32_e32 v4, v4, v5
	v_cndmask_b32_e64 v7, 0, 1, vcc_lo
	v_cmp_le_u32_e32 vcc_lo, v55, v2
	ds_bpermute_b32 v5, v32, v4
	v_lshlrev_b32_e32 v7, 3, v7
	v_add_lshl_u32 v56, v7, v52, 2
	s_waitcnt lgkmcnt(0)
	v_cndmask_b32_e32 v5, 0, v5, vcc_lo
	v_cmp_gt_u32_e32 vcc_lo, 16, v52
	s_delay_alu instid0(VALU_DEP_2) | instskip(SKIP_4) | instid1(VALU_DEP_1)
	v_add_nc_u32_e32 v4, v4, v5
	v_cndmask_b32_e64 v7, 0, 1, vcc_lo
	v_cmp_le_u32_e32 vcc_lo, v57, v2
	ds_bpermute_b32 v5, v56, v4
	v_lshlrev_b32_e32 v7, 4, v7
	v_add_lshl_u32 v58, v7, v52, 2
	s_waitcnt lgkmcnt(0)
	v_cndmask_b32_e32 v5, 0, v5, vcc_lo
	v_cmp_le_u32_e32 vcc_lo, v59, v2
	s_delay_alu instid0(VALU_DEP_2) | instskip(SKIP_3) | instid1(VALU_DEP_1)
	v_add_nc_u32_e32 v4, v4, v5
	ds_bpermute_b32 v5, v58, v4
	s_waitcnt lgkmcnt(0)
	v_cndmask_b32_e32 v2, 0, v5, vcc_lo
	v_dual_mov_b32 v4, 0 :: v_dual_add_nc_u32 v5, v4, v2
	s_branch .LBB955_90
.LBB955_89:                             ;   in Loop: Header=BB955_90 Depth=1
	s_or_b32 exec_lo, exec_lo, s19
	ds_bpermute_b32 v8, v11, v5
	v_and_b32_e32 v7, 0xff, v6
	v_subrev_nc_u32_e32 v3, 32, v3
	s_delay_alu instid0(VALU_DEP_2) | instskip(SKIP_1) | instid1(VALU_DEP_1)
	v_cmp_eq_u16_e32 vcc_lo, 2, v7
	v_and_or_b32 v7, vcc_lo, v16, 0x80000000
	v_ctz_i32_b32_e32 v7, v7
	s_delay_alu instid0(VALU_DEP_1) | instskip(SKIP_3) | instid1(VALU_DEP_2)
	v_cmp_lt_u32_e32 vcc_lo, v52, v7
	s_waitcnt lgkmcnt(0)
	v_cndmask_b32_e32 v8, 0, v8, vcc_lo
	v_cmp_le_u32_e32 vcc_lo, v31, v7
	v_add_nc_u32_e32 v5, v8, v5
	ds_bpermute_b32 v8, v17, v5
	s_waitcnt lgkmcnt(0)
	v_cndmask_b32_e32 v8, 0, v8, vcc_lo
	v_cmp_le_u32_e32 vcc_lo, v55, v7
	s_delay_alu instid0(VALU_DEP_2) | instskip(SKIP_4) | instid1(VALU_DEP_2)
	v_add_nc_u32_e32 v5, v5, v8
	ds_bpermute_b32 v8, v32, v5
	s_waitcnt lgkmcnt(0)
	v_cndmask_b32_e32 v8, 0, v8, vcc_lo
	v_cmp_le_u32_e32 vcc_lo, v57, v7
	v_add_nc_u32_e32 v5, v5, v8
	ds_bpermute_b32 v8, v56, v5
	s_waitcnt lgkmcnt(0)
	v_cndmask_b32_e32 v8, 0, v8, vcc_lo
	v_cmp_le_u32_e32 vcc_lo, v59, v7
	s_delay_alu instid0(VALU_DEP_2) | instskip(SKIP_3) | instid1(VALU_DEP_1)
	v_add_nc_u32_e32 v5, v5, v8
	ds_bpermute_b32 v8, v58, v5
	s_waitcnt lgkmcnt(0)
	v_cndmask_b32_e32 v7, 0, v8, vcc_lo
	v_add3_u32 v5, v7, v2, v5
.LBB955_90:                             ; =>This Loop Header: Depth=1
                                        ;     Child Loop BB955_93 Depth 2
	v_and_b32_e32 v2, 0xff, v6
	s_delay_alu instid0(VALU_DEP_1) | instskip(SKIP_2) | instid1(VALU_DEP_1)
	v_cmp_ne_u16_e32 vcc_lo, 2, v2
	v_cndmask_b32_e64 v2, 0, 1, vcc_lo
	;;#ASMSTART
	;;#ASMEND
	v_cmp_ne_u32_e32 vcc_lo, 0, v2
	v_mov_b32_e32 v2, v5
	s_cmp_lg_u32 vcc_lo, exec_lo
	s_cbranch_scc1 .LBB955_95
; %bb.91:                               ;   in Loop: Header=BB955_90 Depth=1
	v_lshlrev_b64 v[5:6], 3, v[3:4]
	s_mov_b32 s19, exec_lo
	s_delay_alu instid0(VALU_DEP_1) | instskip(NEXT) | instid1(VALU_DEP_2)
	v_add_co_u32 v7, vcc_lo, s10, v5
	v_add_co_ci_u32_e32 v8, vcc_lo, s11, v6, vcc_lo
	global_load_b64 v[5:6], v[7:8], off glc
	s_waitcnt vmcnt(0)
	v_and_b32_e32 v60, 0xff, v6
	s_delay_alu instid0(VALU_DEP_1)
	v_cmpx_eq_u16_e32 0, v60
	s_cbranch_execz .LBB955_89
; %bb.92:                               ;   in Loop: Header=BB955_90 Depth=1
	s_mov_b32 s20, 0
.LBB955_93:                             ;   Parent Loop BB955_90 Depth=1
                                        ; =>  This Inner Loop Header: Depth=2
	global_load_b64 v[5:6], v[7:8], off glc
	s_waitcnt vmcnt(0)
	v_and_b32_e32 v60, 0xff, v6
	s_delay_alu instid0(VALU_DEP_1) | instskip(SKIP_1) | instid1(SALU_CYCLE_1)
	v_cmp_ne_u16_e32 vcc_lo, 0, v60
	s_or_b32 s20, vcc_lo, s20
	s_and_not1_b32 exec_lo, exec_lo, s20
	s_cbranch_execnz .LBB955_93
; %bb.94:                               ;   in Loop: Header=BB955_90 Depth=1
	s_or_b32 exec_lo, exec_lo, s20
	s_branch .LBB955_89
.LBB955_95:                             ;   in Loop: Header=BB955_90 Depth=1
                                        ; implicit-def: $vgpr5
                                        ; implicit-def: $vgpr6
	s_cbranch_execz .LBB955_90
; %bb.96:
	s_and_saveexec_b32 s19, s8
	s_cbranch_execz .LBB955_98
; %bb.97:
	s_add_i32 s20, s15, 32
	s_mov_b32 s21, 0
	v_dual_mov_b32 v4, 2 :: v_dual_add_nc_u32 v3, v2, v1
	s_lshl_b64 s[20:21], s[20:21], 3
	v_mov_b32_e32 v5, 0
	s_add_u32 s20, s10, s20
	s_addc_u32 s21, s11, s21
	global_store_b64 v5, v[3:4], s[20:21]
	ds_store_b64 v5, v[1:2] offset:5632
.LBB955_98:
	s_or_b32 exec_lo, exec_lo, s19
	v_cmp_eq_u32_e32 vcc_lo, 0, v0
	s_and_b32 exec_lo, exec_lo, vcc_lo
	s_cbranch_execz .LBB955_100
; %bb.99:
	v_mov_b32_e32 v1, 0
	ds_store_b32 v1, v2 offset:12
.LBB955_100:
	s_or_b32 exec_lo, exec_lo, s9
	s_waitcnt lgkmcnt(0)
	v_cndmask_b32_e64 v2, v10, v9, s8
	v_cmp_ne_u32_e32 vcc_lo, 0, v0
	v_mov_b32_e32 v11, 0
	s_waitcnt_vscnt null, 0x0
	s_barrier
	buffer_gl0_inv
	v_cndmask_b32_e32 v2, 0, v2, vcc_lo
	ds_load_b32 v1, v11 offset:12
	s_waitcnt lgkmcnt(0)
	s_barrier
	buffer_gl0_inv
	ds_load_b64 v[16:17], v11 offset:5632
	v_add_nc_u32_e32 v1, v1, v2
	s_delay_alu instid0(VALU_DEP_1) | instskip(NEXT) | instid1(VALU_DEP_1)
	v_add_nc_u32_e32 v2, v1, v43
	v_add_nc_u32_e32 v3, v2, v44
	s_delay_alu instid0(VALU_DEP_1) | instskip(NEXT) | instid1(VALU_DEP_1)
	v_add_nc_u32_e32 v4, v3, v45
	;; [unrolled: 3-line block ×5, first 2 shown]
	v_add_nc_u32_e32 v11, v10, v51
	s_load_b64 s[8:9], s[0:1], 0x38
	v_lshrrev_b64 v[31:32], 24, v[29:30]
	s_branch .LBB955_111
.LBB955_101:
                                        ; implicit-def: $vgpr17
                                        ; implicit-def: $vgpr1_vgpr2_vgpr3_vgpr4_vgpr5_vgpr6_vgpr7_vgpr8_vgpr9_vgpr10_vgpr11
	s_load_b64 s[8:9], s[0:1], 0x38
	v_lshrrev_b64 v[31:32], 24, v[29:30]
	s_and_b32 vcc_lo, exec_lo, s19
	s_cbranch_vccz .LBB955_111
; %bb.102:
	v_mov_b32_dpp v1, v54 row_shr:1 row_mask:0xf bank_mask:0xf
	s_delay_alu instid0(VALU_DEP_1) | instskip(NEXT) | instid1(VALU_DEP_1)
	v_cndmask_b32_e64 v1, v1, 0, s7
	v_add_nc_u32_e32 v1, v1, v54
	s_delay_alu instid0(VALU_DEP_1) | instskip(NEXT) | instid1(VALU_DEP_1)
	v_mov_b32_dpp v2, v1 row_shr:2 row_mask:0xf bank_mask:0xf
	v_cndmask_b32_e64 v2, 0, v2, s6
	s_delay_alu instid0(VALU_DEP_1) | instskip(NEXT) | instid1(VALU_DEP_1)
	v_add_nc_u32_e32 v1, v1, v2
	v_mov_b32_dpp v2, v1 row_shr:4 row_mask:0xf bank_mask:0xf
	s_delay_alu instid0(VALU_DEP_1) | instskip(NEXT) | instid1(VALU_DEP_1)
	v_cndmask_b32_e64 v2, 0, v2, s5
	v_add_nc_u32_e32 v1, v1, v2
	s_delay_alu instid0(VALU_DEP_1) | instskip(NEXT) | instid1(VALU_DEP_1)
	v_mov_b32_dpp v2, v1 row_shr:8 row_mask:0xf bank_mask:0xf
	v_cndmask_b32_e64 v2, 0, v2, s4
	s_delay_alu instid0(VALU_DEP_1) | instskip(SKIP_3) | instid1(VALU_DEP_1)
	v_add_nc_u32_e32 v1, v1, v2
	ds_swizzle_b32 v2, v1 offset:swizzle(BROADCAST,32,15)
	s_waitcnt lgkmcnt(0)
	v_cndmask_b32_e64 v2, v2, 0, s3
	v_add_nc_u32_e32 v1, v1, v2
	s_and_saveexec_b32 s0, s2
	s_cbranch_execz .LBB955_104
; %bb.103:
	v_lshlrev_b32_e32 v2, 2, v53
	ds_store_b32 v2, v1
.LBB955_104:
	s_or_b32 exec_lo, exec_lo, s0
	s_delay_alu instid0(SALU_CYCLE_1)
	s_mov_b32 s0, exec_lo
	s_waitcnt lgkmcnt(0)
	s_barrier
	buffer_gl0_inv
	v_cmpx_gt_u32_e32 4, v0
	s_cbranch_execz .LBB955_106
; %bb.105:
	v_mad_i32_i24 v2, 0xffffffd8, v0, v41
	ds_load_b32 v3, v2
	s_waitcnt lgkmcnt(0)
	v_mov_b32_dpp v5, v3 row_shr:1 row_mask:0xf bank_mask:0xf
	v_and_b32_e32 v4, 3, v52
	s_delay_alu instid0(VALU_DEP_1) | instskip(NEXT) | instid1(VALU_DEP_3)
	v_cmp_ne_u32_e32 vcc_lo, 0, v4
	v_cndmask_b32_e32 v5, 0, v5, vcc_lo
	v_cmp_lt_u32_e32 vcc_lo, 1, v4
	s_delay_alu instid0(VALU_DEP_2) | instskip(NEXT) | instid1(VALU_DEP_1)
	v_add_nc_u32_e32 v3, v5, v3
	v_mov_b32_dpp v5, v3 row_shr:2 row_mask:0xf bank_mask:0xf
	s_delay_alu instid0(VALU_DEP_1) | instskip(NEXT) | instid1(VALU_DEP_1)
	v_cndmask_b32_e32 v4, 0, v5, vcc_lo
	v_add_nc_u32_e32 v3, v3, v4
	ds_store_b32 v2, v3
.LBB955_106:
	s_or_b32 exec_lo, exec_lo, s0
	v_dual_mov_b32 v3, 0 :: v_dual_mov_b32 v2, 0
	s_mov_b32 s0, exec_lo
	s_waitcnt lgkmcnt(0)
	s_barrier
	buffer_gl0_inv
	v_cmpx_lt_u32_e32 31, v0
	s_cbranch_execz .LBB955_108
; %bb.107:
	v_lshl_add_u32 v2, v53, 2, -4
	ds_load_b32 v2, v2
.LBB955_108:
	s_or_b32 exec_lo, exec_lo, s0
	v_add_nc_u32_e32 v4, -1, v52
	ds_load_b32 v16, v3 offset:12
	s_waitcnt lgkmcnt(1)
	v_add_nc_u32_e32 v1, v2, v1
	v_cmp_gt_i32_e32 vcc_lo, 0, v4
	v_cndmask_b32_e32 v4, v4, v52, vcc_lo
	v_cmp_eq_u32_e32 vcc_lo, 0, v0
	s_delay_alu instid0(VALU_DEP_2)
	v_lshlrev_b32_e32 v4, 2, v4
	ds_bpermute_b32 v1, v4, v1
	s_and_saveexec_b32 s0, vcc_lo
	s_cbranch_execz .LBB955_110
; %bb.109:
	v_mov_b32_e32 v3, 0
	v_mov_b32_e32 v17, 2
	s_waitcnt lgkmcnt(1)
	global_store_b64 v3, v[16:17], s[10:11] offset:256
.LBB955_110:
	s_or_b32 exec_lo, exec_lo, s0
	v_cmp_eq_u32_e64 s0, 0, v52
	s_waitcnt lgkmcnt(0)
	s_waitcnt_vscnt null, 0x0
	s_barrier
	buffer_gl0_inv
	v_mov_b32_e32 v17, 0
	v_cndmask_b32_e64 v1, v1, v2, s0
	s_delay_alu instid0(VALU_DEP_1) | instskip(NEXT) | instid1(VALU_DEP_1)
	v_cndmask_b32_e64 v1, v1, 0, vcc_lo
	v_add_nc_u32_e32 v2, v1, v43
	s_delay_alu instid0(VALU_DEP_1) | instskip(NEXT) | instid1(VALU_DEP_1)
	v_add_nc_u32_e32 v3, v2, v44
	v_add_nc_u32_e32 v4, v3, v45
	s_delay_alu instid0(VALU_DEP_1) | instskip(NEXT) | instid1(VALU_DEP_1)
	v_add_nc_u32_e32 v5, v4, v47
	;; [unrolled: 3-line block ×4, first 2 shown]
	v_add_nc_u32_e32 v10, v9, v50
	s_delay_alu instid0(VALU_DEP_1)
	v_add_nc_u32_e32 v11, v10, v51
.LBB955_111:
	v_lshrrev_b32_e32 v45, 16, v29
	v_lshrrev_b32_e32 v46, 8, v29
	v_and_b32_e32 v29, 1, v29
	s_waitcnt lgkmcnt(0)
	v_cmp_gt_u32_e64 s0, 0x81, v16
	v_lshrrev_b32_e32 v32, 16, v18
	v_lshrrev_b32_e32 v44, 8, v30
	;; [unrolled: 1-line block ×4, first 2 shown]
	v_cmp_eq_u32_e64 s1, 1, v29
	s_and_b32 vcc_lo, exec_lo, s0
	s_cbranch_vccnz .LBB955_135
; %bb.112:
	s_delay_alu instid0(VALU_DEP_1)
	s_and_saveexec_b32 s2, s1
	s_cbranch_execz .LBB955_114
; %bb.113:
	v_sub_nc_u32_e32 v47, v1, v17
	s_delay_alu instid0(VALU_DEP_1)
	v_lshlrev_b32_e32 v47, 1, v47
	ds_store_b16 v47, v12
.LBB955_114:
	s_or_b32 exec_lo, exec_lo, s2
	v_and_b32_e32 v12, 1, v46
	s_mov_b32 s1, exec_lo
	s_delay_alu instid0(VALU_DEP_1)
	v_cmpx_eq_u32_e32 1, v12
	s_cbranch_execz .LBB955_116
; %bb.115:
	v_sub_nc_u32_e32 v12, v2, v17
	s_delay_alu instid0(VALU_DEP_1)
	v_lshlrev_b32_e32 v12, 1, v12
	ds_store_b16 v12, v40
.LBB955_116:
	s_or_b32 exec_lo, exec_lo, s1
	v_and_b32_e32 v12, 1, v45
	s_mov_b32 s1, exec_lo
	s_delay_alu instid0(VALU_DEP_1)
	v_cmpx_eq_u32_e32 1, v12
	;; [unrolled: 12-line block ×10, first 2 shown]
	s_cbranch_execz .LBB955_134
; %bb.133:
	v_sub_nc_u32_e32 v12, v11, v17
	s_delay_alu instid0(VALU_DEP_1)
	v_lshlrev_b32_e32 v12, 1, v12
	ds_store_b16 v12, v34
.LBB955_134:
	s_or_b32 exec_lo, exec_lo, s1
	s_waitcnt lgkmcnt(0)
	s_barrier
	buffer_gl0_inv
.LBB955_135:
	s_and_b32 vcc_lo, exec_lo, s0
	s_mov_b32 s0, -1
	s_barrier
	buffer_gl0_inv
	s_cbranch_vccnz .LBB955_139
; %bb.136:
	s_and_b32 vcc_lo, exec_lo, s0
	s_cbranch_vccnz .LBB955_173
.LBB955_137:
	v_cmp_eq_u32_e32 vcc_lo, 0, v0
	s_and_b32 s0, vcc_lo, s14
	s_delay_alu instid0(SALU_CYCLE_1)
	s_and_saveexec_b32 s1, s0
	s_cbranch_execnz .LBB955_199
.LBB955_138:
	s_nop 0
	s_sendmsg sendmsg(MSG_DEALLOC_VGPRS)
	s_endpgm
.LBB955_139:
	v_add_nc_u32_e32 v12, v17, v16
	s_lshl_b64 s[0:1], s[12:13], 2
	s_delay_alu instid0(SALU_CYCLE_1) | instskip(SKIP_1) | instid1(VALU_DEP_1)
	s_add_u32 s0, s8, s0
	s_addc_u32 s1, s9, s1
	v_cmp_lt_u32_e32 vcc_lo, v1, v12
	s_or_b32 s3, s18, vcc_lo
	s_delay_alu instid0(SALU_CYCLE_1)
	s_and_saveexec_b32 s2, s3
	s_cbranch_execz .LBB955_142
; %bb.140:
	v_cmp_eq_u32_e32 vcc_lo, 1, v29
	s_and_b32 exec_lo, exec_lo, vcc_lo
	s_cbranch_execz .LBB955_142
; %bb.141:
	v_dual_mov_b32 v14, 0 :: v_dual_mov_b32 v13, v1
	s_delay_alu instid0(VALU_DEP_1) | instskip(NEXT) | instid1(VALU_DEP_1)
	v_lshlrev_b64 v[13:14], 2, v[13:14]
	v_add_co_u32 v13, vcc_lo, s0, v13
	s_delay_alu instid0(VALU_DEP_2)
	v_add_co_ci_u32_e32 v14, vcc_lo, s1, v14, vcc_lo
	global_store_b32 v[13:14], v27, off
.LBB955_142:
	s_or_b32 exec_lo, exec_lo, s2
	v_cmp_lt_u32_e32 vcc_lo, v2, v12
	s_or_b32 s3, s18, vcc_lo
	s_delay_alu instid0(SALU_CYCLE_1)
	s_and_saveexec_b32 s2, s3
	s_cbranch_execz .LBB955_145
; %bb.143:
	v_and_b32_e32 v13, 1, v46
	s_delay_alu instid0(VALU_DEP_1)
	v_cmp_eq_u32_e32 vcc_lo, 1, v13
	s_and_b32 exec_lo, exec_lo, vcc_lo
	s_cbranch_execz .LBB955_145
; %bb.144:
	v_dual_mov_b32 v14, 0 :: v_dual_mov_b32 v13, v2
	s_delay_alu instid0(VALU_DEP_1) | instskip(NEXT) | instid1(VALU_DEP_1)
	v_lshlrev_b64 v[13:14], 2, v[13:14]
	v_add_co_u32 v13, vcc_lo, s0, v13
	s_delay_alu instid0(VALU_DEP_2)
	v_add_co_ci_u32_e32 v14, vcc_lo, s1, v14, vcc_lo
	global_store_b32 v[13:14], v28, off
.LBB955_145:
	s_or_b32 exec_lo, exec_lo, s2
	v_cmp_lt_u32_e32 vcc_lo, v3, v12
	s_or_b32 s3, s18, vcc_lo
	s_delay_alu instid0(SALU_CYCLE_1)
	s_and_saveexec_b32 s2, s3
	s_cbranch_execz .LBB955_148
; %bb.146:
	v_and_b32_e32 v13, 1, v45
	s_delay_alu instid0(VALU_DEP_1)
	v_cmp_eq_u32_e32 vcc_lo, 1, v13
	s_and_b32 exec_lo, exec_lo, vcc_lo
	s_cbranch_execz .LBB955_148
; %bb.147:
	v_dual_mov_b32 v14, 0 :: v_dual_mov_b32 v13, v3
	s_delay_alu instid0(VALU_DEP_1) | instskip(NEXT) | instid1(VALU_DEP_1)
	v_lshlrev_b64 v[13:14], 2, v[13:14]
	v_add_co_u32 v13, vcc_lo, s0, v13
	s_delay_alu instid0(VALU_DEP_2)
	v_add_co_ci_u32_e32 v14, vcc_lo, s1, v14, vcc_lo
	global_store_b32 v[13:14], v25, off
.LBB955_148:
	s_or_b32 exec_lo, exec_lo, s2
	v_cmp_lt_u32_e32 vcc_lo, v4, v12
	s_or_b32 s3, s18, vcc_lo
	s_delay_alu instid0(SALU_CYCLE_1)
	s_and_saveexec_b32 s2, s3
	s_cbranch_execz .LBB955_151
; %bb.149:
	v_and_b32_e32 v13, 1, v31
	s_delay_alu instid0(VALU_DEP_1)
	v_cmp_eq_u32_e32 vcc_lo, 1, v13
	s_and_b32 exec_lo, exec_lo, vcc_lo
	s_cbranch_execz .LBB955_151
; %bb.150:
	v_dual_mov_b32 v14, 0 :: v_dual_mov_b32 v13, v4
	s_delay_alu instid0(VALU_DEP_1) | instskip(NEXT) | instid1(VALU_DEP_1)
	v_lshlrev_b64 v[13:14], 2, v[13:14]
	v_add_co_u32 v13, vcc_lo, s0, v13
	s_delay_alu instid0(VALU_DEP_2)
	v_add_co_ci_u32_e32 v14, vcc_lo, s1, v14, vcc_lo
	global_store_b32 v[13:14], v26, off
.LBB955_151:
	s_or_b32 exec_lo, exec_lo, s2
	v_cmp_lt_u32_e32 vcc_lo, v5, v12
	s_or_b32 s3, s18, vcc_lo
	s_delay_alu instid0(SALU_CYCLE_1)
	s_and_saveexec_b32 s2, s3
	s_cbranch_execz .LBB955_154
; %bb.152:
	v_and_b32_e32 v13, 1, v30
	s_delay_alu instid0(VALU_DEP_1)
	v_cmp_eq_u32_e32 vcc_lo, 1, v13
	s_and_b32 exec_lo, exec_lo, vcc_lo
	s_cbranch_execz .LBB955_154
; %bb.153:
	v_dual_mov_b32 v14, 0 :: v_dual_mov_b32 v13, v5
	s_delay_alu instid0(VALU_DEP_1) | instskip(NEXT) | instid1(VALU_DEP_1)
	v_lshlrev_b64 v[13:14], 2, v[13:14]
	v_add_co_u32 v13, vcc_lo, s0, v13
	s_delay_alu instid0(VALU_DEP_2)
	v_add_co_ci_u32_e32 v14, vcc_lo, s1, v14, vcc_lo
	global_store_b32 v[13:14], v23, off
.LBB955_154:
	s_or_b32 exec_lo, exec_lo, s2
	v_cmp_lt_u32_e32 vcc_lo, v6, v12
	s_or_b32 s3, s18, vcc_lo
	s_delay_alu instid0(SALU_CYCLE_1)
	s_and_saveexec_b32 s2, s3
	s_cbranch_execz .LBB955_157
; %bb.155:
	v_and_b32_e32 v13, 1, v44
	s_delay_alu instid0(VALU_DEP_1)
	v_cmp_eq_u32_e32 vcc_lo, 1, v13
	s_and_b32 exec_lo, exec_lo, vcc_lo
	s_cbranch_execz .LBB955_157
; %bb.156:
	v_dual_mov_b32 v14, 0 :: v_dual_mov_b32 v13, v6
	s_delay_alu instid0(VALU_DEP_1) | instskip(NEXT) | instid1(VALU_DEP_1)
	v_lshlrev_b64 v[13:14], 2, v[13:14]
	v_add_co_u32 v13, vcc_lo, s0, v13
	s_delay_alu instid0(VALU_DEP_2)
	v_add_co_ci_u32_e32 v14, vcc_lo, s1, v14, vcc_lo
	global_store_b32 v[13:14], v24, off
.LBB955_157:
	s_or_b32 exec_lo, exec_lo, s2
	v_cmp_lt_u32_e32 vcc_lo, v7, v12
	s_or_b32 s3, s18, vcc_lo
	s_delay_alu instid0(SALU_CYCLE_1)
	s_and_saveexec_b32 s2, s3
	s_cbranch_execz .LBB955_160
; %bb.158:
	v_and_b32_e32 v13, 1, v43
	s_delay_alu instid0(VALU_DEP_1)
	v_cmp_eq_u32_e32 vcc_lo, 1, v13
	s_and_b32 exec_lo, exec_lo, vcc_lo
	s_cbranch_execz .LBB955_160
; %bb.159:
	v_dual_mov_b32 v14, 0 :: v_dual_mov_b32 v13, v7
	s_delay_alu instid0(VALU_DEP_1) | instskip(NEXT) | instid1(VALU_DEP_1)
	v_lshlrev_b64 v[13:14], 2, v[13:14]
	v_add_co_u32 v13, vcc_lo, s0, v13
	s_delay_alu instid0(VALU_DEP_2)
	v_add_co_ci_u32_e32 v14, vcc_lo, s1, v14, vcc_lo
	global_store_b32 v[13:14], v21, off
.LBB955_160:
	s_or_b32 exec_lo, exec_lo, s2
	v_cmp_lt_u32_e32 vcc_lo, v8, v12
	s_or_b32 s3, s18, vcc_lo
	s_delay_alu instid0(SALU_CYCLE_1)
	s_and_saveexec_b32 s2, s3
	s_cbranch_execz .LBB955_163
; %bb.161:
	v_and_b32_e32 v13, 1, v42
	s_delay_alu instid0(VALU_DEP_1)
	v_cmp_eq_u32_e32 vcc_lo, 1, v13
	s_and_b32 exec_lo, exec_lo, vcc_lo
	s_cbranch_execz .LBB955_163
; %bb.162:
	v_dual_mov_b32 v14, 0 :: v_dual_mov_b32 v13, v8
	s_delay_alu instid0(VALU_DEP_1) | instskip(NEXT) | instid1(VALU_DEP_1)
	v_lshlrev_b64 v[13:14], 2, v[13:14]
	v_add_co_u32 v13, vcc_lo, s0, v13
	s_delay_alu instid0(VALU_DEP_2)
	v_add_co_ci_u32_e32 v14, vcc_lo, s1, v14, vcc_lo
	global_store_b32 v[13:14], v22, off
.LBB955_163:
	s_or_b32 exec_lo, exec_lo, s2
	v_cmp_lt_u32_e32 vcc_lo, v9, v12
	s_or_b32 s3, s18, vcc_lo
	s_delay_alu instid0(SALU_CYCLE_1)
	s_and_saveexec_b32 s2, s3
	s_cbranch_execz .LBB955_166
; %bb.164:
	v_and_b32_e32 v13, 1, v18
	s_delay_alu instid0(VALU_DEP_1)
	v_cmp_eq_u32_e32 vcc_lo, 1, v13
	s_and_b32 exec_lo, exec_lo, vcc_lo
	s_cbranch_execz .LBB955_166
; %bb.165:
	v_dual_mov_b32 v14, 0 :: v_dual_mov_b32 v13, v9
	s_delay_alu instid0(VALU_DEP_1) | instskip(NEXT) | instid1(VALU_DEP_1)
	v_lshlrev_b64 v[13:14], 2, v[13:14]
	v_add_co_u32 v13, vcc_lo, s0, v13
	s_delay_alu instid0(VALU_DEP_2)
	v_add_co_ci_u32_e32 v14, vcc_lo, s1, v14, vcc_lo
	global_store_b32 v[13:14], v19, off
.LBB955_166:
	s_or_b32 exec_lo, exec_lo, s2
	v_cmp_lt_u32_e32 vcc_lo, v10, v12
	s_or_b32 s3, s18, vcc_lo
	s_delay_alu instid0(SALU_CYCLE_1)
	s_and_saveexec_b32 s2, s3
	s_cbranch_execz .LBB955_169
; %bb.167:
	v_and_b32_e32 v13, 1, v41
	s_delay_alu instid0(VALU_DEP_1)
	v_cmp_eq_u32_e32 vcc_lo, 1, v13
	s_and_b32 exec_lo, exec_lo, vcc_lo
	s_cbranch_execz .LBB955_169
; %bb.168:
	v_dual_mov_b32 v14, 0 :: v_dual_mov_b32 v13, v10
	s_delay_alu instid0(VALU_DEP_1) | instskip(NEXT) | instid1(VALU_DEP_1)
	v_lshlrev_b64 v[13:14], 2, v[13:14]
	v_add_co_u32 v13, vcc_lo, s0, v13
	s_delay_alu instid0(VALU_DEP_2)
	v_add_co_ci_u32_e32 v14, vcc_lo, s1, v14, vcc_lo
	global_store_b32 v[13:14], v20, off
.LBB955_169:
	s_or_b32 exec_lo, exec_lo, s2
	v_cmp_lt_u32_e32 vcc_lo, v11, v12
	s_or_b32 s3, s18, vcc_lo
	s_delay_alu instid0(SALU_CYCLE_1)
	s_and_saveexec_b32 s2, s3
	s_cbranch_execz .LBB955_172
; %bb.170:
	v_and_b32_e32 v12, 1, v32
	s_delay_alu instid0(VALU_DEP_1)
	v_cmp_eq_u32_e32 vcc_lo, 1, v12
	s_and_b32 exec_lo, exec_lo, vcc_lo
	s_cbranch_execz .LBB955_172
; %bb.171:
	v_dual_mov_b32 v13, 0 :: v_dual_mov_b32 v12, v11
	s_delay_alu instid0(VALU_DEP_1) | instskip(NEXT) | instid1(VALU_DEP_1)
	v_lshlrev_b64 v[12:13], 2, v[12:13]
	v_add_co_u32 v12, vcc_lo, s0, v12
	s_delay_alu instid0(VALU_DEP_2)
	v_add_co_ci_u32_e32 v13, vcc_lo, s1, v13, vcc_lo
	global_store_b32 v[12:13], v33, off
.LBB955_172:
	s_or_b32 exec_lo, exec_lo, s2
	s_branch .LBB955_137
.LBB955_173:
	s_mov_b32 s0, exec_lo
	v_cmpx_eq_u32_e32 1, v29
	s_cbranch_execz .LBB955_175
; %bb.174:
	v_sub_nc_u32_e32 v1, v1, v17
	s_delay_alu instid0(VALU_DEP_1)
	v_lshlrev_b32_e32 v1, 2, v1
	ds_store_b32 v1, v27
.LBB955_175:
	s_or_b32 exec_lo, exec_lo, s0
	v_and_b32_e32 v1, 1, v46
	s_mov_b32 s0, exec_lo
	s_delay_alu instid0(VALU_DEP_1)
	v_cmpx_eq_u32_e32 1, v1
	s_cbranch_execz .LBB955_177
; %bb.176:
	v_sub_nc_u32_e32 v1, v2, v17
	s_delay_alu instid0(VALU_DEP_1)
	v_lshlrev_b32_e32 v1, 2, v1
	ds_store_b32 v1, v28
.LBB955_177:
	s_or_b32 exec_lo, exec_lo, s0
	v_and_b32_e32 v1, 1, v45
	s_mov_b32 s0, exec_lo
	s_delay_alu instid0(VALU_DEP_1)
	;; [unrolled: 12-line block ×10, first 2 shown]
	v_cmpx_eq_u32_e32 1, v1
	s_cbranch_execz .LBB955_195
; %bb.194:
	v_sub_nc_u32_e32 v1, v11, v17
	s_delay_alu instid0(VALU_DEP_1)
	v_lshlrev_b32_e32 v1, 2, v1
	ds_store_b32 v1, v33
.LBB955_195:
	s_or_b32 exec_lo, exec_lo, s0
	s_delay_alu instid0(SALU_CYCLE_1)
	s_mov_b32 s1, exec_lo
	s_waitcnt lgkmcnt(0)
	s_waitcnt_vscnt null, 0x0
	s_barrier
	buffer_gl0_inv
	v_cmpx_lt_u32_e64 v0, v16
	s_cbranch_execz .LBB955_198
; %bb.196:
	v_dual_mov_b32 v2, 0 :: v_dual_mov_b32 v1, v17
	s_lshl_b64 s[2:3], s[12:13], 2
	v_lshlrev_b32_e32 v3, 2, v0
	s_add_u32 s0, s8, s2
	s_addc_u32 s2, s9, s3
	v_lshlrev_b64 v[4:5], 2, v[1:2]
	v_mov_b32_e32 v1, v0
	s_delay_alu instid0(VALU_DEP_2) | instskip(NEXT) | instid1(VALU_DEP_3)
	v_add_co_u32 v4, vcc_lo, s0, v4
	v_add_co_ci_u32_e32 v5, vcc_lo, s2, v5, vcc_lo
	s_mov_b32 s2, 0
	.p2align	6
.LBB955_197:                            ; =>This Inner Loop Header: Depth=1
	ds_load_b32 v8, v3
	v_lshlrev_b64 v[6:7], 2, v[1:2]
	v_add_nc_u32_e32 v1, 0x80, v1
	v_add_nc_u32_e32 v3, 0x200, v3
	s_delay_alu instid0(VALU_DEP_2) | instskip(NEXT) | instid1(VALU_DEP_4)
	v_cmp_ge_u32_e32 vcc_lo, v1, v16
	v_add_co_u32 v6, s0, v4, v6
	s_delay_alu instid0(VALU_DEP_1)
	v_add_co_ci_u32_e64 v7, s0, v5, v7, s0
	s_or_b32 s2, vcc_lo, s2
	s_waitcnt lgkmcnt(0)
	global_store_b32 v[6:7], v8, off
	s_and_not1_b32 exec_lo, exec_lo, s2
	s_cbranch_execnz .LBB955_197
.LBB955_198:
	s_or_b32 exec_lo, exec_lo, s1
	v_cmp_eq_u32_e32 vcc_lo, 0, v0
	s_and_b32 s0, vcc_lo, s14
	s_delay_alu instid0(SALU_CYCLE_1)
	s_and_saveexec_b32 s1, s0
	s_cbranch_execz .LBB955_138
.LBB955_199:
	v_add_co_u32 v0, s0, s12, v16
	s_delay_alu instid0(VALU_DEP_1) | instskip(SKIP_1) | instid1(VALU_DEP_3)
	v_add_co_ci_u32_e64 v1, null, s13, 0, s0
	v_mov_b32_e32 v2, 0
	v_add_co_u32 v0, vcc_lo, v0, v17
	s_delay_alu instid0(VALU_DEP_3)
	v_add_co_ci_u32_e32 v1, vcc_lo, 0, v1, vcc_lo
	global_store_b64 v2, v[0:1], s[16:17]
	s_nop 0
	s_sendmsg sendmsg(MSG_DEALLOC_VGPRS)
	s_endpgm
.LBB955_200:
	s_or_b32 exec_lo, exec_lo, s3
	s_and_saveexec_b32 s3, s22
	s_cbranch_execnz .LBB955_72
	s_branch .LBB955_73
	.section	.rodata,"a",@progbits
	.p2align	6, 0x0
	.amdhsa_kernel _ZN7rocprim17ROCPRIM_400000_NS6detail17trampoline_kernelINS0_14default_configENS1_25partition_config_selectorILNS1_17partition_subalgoE9EtjbEEZZNS1_14partition_implILS5_9ELb0ES3_jN6thrust23THRUST_200600_302600_NS6detail15normal_iteratorINS9_10device_ptrItEEEENSB_INSC_IjEEEEPNS0_10empty_typeENS0_5tupleIJNS9_16discard_iteratorINS9_11use_defaultEEESH_EEENSJ_IJSG_SI_EEENS0_18inequality_wrapperINS9_8equal_toItEEEEPmJSH_EEE10hipError_tPvRmT3_T4_T5_T6_T7_T9_mT8_P12ihipStream_tbDpT10_ENKUlT_T0_E_clISt17integral_constantIbLb0EES1D_EEDaS18_S19_EUlS18_E_NS1_11comp_targetILNS1_3genE9ELNS1_11target_archE1100ELNS1_3gpuE3ELNS1_3repE0EEENS1_30default_config_static_selectorELNS0_4arch9wavefront6targetE0EEEvT1_
		.amdhsa_group_segment_fixed_size 5640
		.amdhsa_private_segment_fixed_size 0
		.amdhsa_kernarg_size 120
		.amdhsa_user_sgpr_count 15
		.amdhsa_user_sgpr_dispatch_ptr 0
		.amdhsa_user_sgpr_queue_ptr 0
		.amdhsa_user_sgpr_kernarg_segment_ptr 1
		.amdhsa_user_sgpr_dispatch_id 0
		.amdhsa_user_sgpr_private_segment_size 0
		.amdhsa_wavefront_size32 1
		.amdhsa_uses_dynamic_stack 0
		.amdhsa_enable_private_segment 0
		.amdhsa_system_sgpr_workgroup_id_x 1
		.amdhsa_system_sgpr_workgroup_id_y 0
		.amdhsa_system_sgpr_workgroup_id_z 0
		.amdhsa_system_sgpr_workgroup_info 0
		.amdhsa_system_vgpr_workitem_id 0
		.amdhsa_next_free_vgpr 61
		.amdhsa_next_free_sgpr 24
		.amdhsa_reserve_vcc 1
		.amdhsa_float_round_mode_32 0
		.amdhsa_float_round_mode_16_64 0
		.amdhsa_float_denorm_mode_32 3
		.amdhsa_float_denorm_mode_16_64 3
		.amdhsa_dx10_clamp 1
		.amdhsa_ieee_mode 1
		.amdhsa_fp16_overflow 0
		.amdhsa_workgroup_processor_mode 1
		.amdhsa_memory_ordered 1
		.amdhsa_forward_progress 0
		.amdhsa_shared_vgpr_count 0
		.amdhsa_exception_fp_ieee_invalid_op 0
		.amdhsa_exception_fp_denorm_src 0
		.amdhsa_exception_fp_ieee_div_zero 0
		.amdhsa_exception_fp_ieee_overflow 0
		.amdhsa_exception_fp_ieee_underflow 0
		.amdhsa_exception_fp_ieee_inexact 0
		.amdhsa_exception_int_div_zero 0
	.end_amdhsa_kernel
	.section	.text._ZN7rocprim17ROCPRIM_400000_NS6detail17trampoline_kernelINS0_14default_configENS1_25partition_config_selectorILNS1_17partition_subalgoE9EtjbEEZZNS1_14partition_implILS5_9ELb0ES3_jN6thrust23THRUST_200600_302600_NS6detail15normal_iteratorINS9_10device_ptrItEEEENSB_INSC_IjEEEEPNS0_10empty_typeENS0_5tupleIJNS9_16discard_iteratorINS9_11use_defaultEEESH_EEENSJ_IJSG_SI_EEENS0_18inequality_wrapperINS9_8equal_toItEEEEPmJSH_EEE10hipError_tPvRmT3_T4_T5_T6_T7_T9_mT8_P12ihipStream_tbDpT10_ENKUlT_T0_E_clISt17integral_constantIbLb0EES1D_EEDaS18_S19_EUlS18_E_NS1_11comp_targetILNS1_3genE9ELNS1_11target_archE1100ELNS1_3gpuE3ELNS1_3repE0EEENS1_30default_config_static_selectorELNS0_4arch9wavefront6targetE0EEEvT1_,"axG",@progbits,_ZN7rocprim17ROCPRIM_400000_NS6detail17trampoline_kernelINS0_14default_configENS1_25partition_config_selectorILNS1_17partition_subalgoE9EtjbEEZZNS1_14partition_implILS5_9ELb0ES3_jN6thrust23THRUST_200600_302600_NS6detail15normal_iteratorINS9_10device_ptrItEEEENSB_INSC_IjEEEEPNS0_10empty_typeENS0_5tupleIJNS9_16discard_iteratorINS9_11use_defaultEEESH_EEENSJ_IJSG_SI_EEENS0_18inequality_wrapperINS9_8equal_toItEEEEPmJSH_EEE10hipError_tPvRmT3_T4_T5_T6_T7_T9_mT8_P12ihipStream_tbDpT10_ENKUlT_T0_E_clISt17integral_constantIbLb0EES1D_EEDaS18_S19_EUlS18_E_NS1_11comp_targetILNS1_3genE9ELNS1_11target_archE1100ELNS1_3gpuE3ELNS1_3repE0EEENS1_30default_config_static_selectorELNS0_4arch9wavefront6targetE0EEEvT1_,comdat
.Lfunc_end955:
	.size	_ZN7rocprim17ROCPRIM_400000_NS6detail17trampoline_kernelINS0_14default_configENS1_25partition_config_selectorILNS1_17partition_subalgoE9EtjbEEZZNS1_14partition_implILS5_9ELb0ES3_jN6thrust23THRUST_200600_302600_NS6detail15normal_iteratorINS9_10device_ptrItEEEENSB_INSC_IjEEEEPNS0_10empty_typeENS0_5tupleIJNS9_16discard_iteratorINS9_11use_defaultEEESH_EEENSJ_IJSG_SI_EEENS0_18inequality_wrapperINS9_8equal_toItEEEEPmJSH_EEE10hipError_tPvRmT3_T4_T5_T6_T7_T9_mT8_P12ihipStream_tbDpT10_ENKUlT_T0_E_clISt17integral_constantIbLb0EES1D_EEDaS18_S19_EUlS18_E_NS1_11comp_targetILNS1_3genE9ELNS1_11target_archE1100ELNS1_3gpuE3ELNS1_3repE0EEENS1_30default_config_static_selectorELNS0_4arch9wavefront6targetE0EEEvT1_, .Lfunc_end955-_ZN7rocprim17ROCPRIM_400000_NS6detail17trampoline_kernelINS0_14default_configENS1_25partition_config_selectorILNS1_17partition_subalgoE9EtjbEEZZNS1_14partition_implILS5_9ELb0ES3_jN6thrust23THRUST_200600_302600_NS6detail15normal_iteratorINS9_10device_ptrItEEEENSB_INSC_IjEEEEPNS0_10empty_typeENS0_5tupleIJNS9_16discard_iteratorINS9_11use_defaultEEESH_EEENSJ_IJSG_SI_EEENS0_18inequality_wrapperINS9_8equal_toItEEEEPmJSH_EEE10hipError_tPvRmT3_T4_T5_T6_T7_T9_mT8_P12ihipStream_tbDpT10_ENKUlT_T0_E_clISt17integral_constantIbLb0EES1D_EEDaS18_S19_EUlS18_E_NS1_11comp_targetILNS1_3genE9ELNS1_11target_archE1100ELNS1_3gpuE3ELNS1_3repE0EEENS1_30default_config_static_selectorELNS0_4arch9wavefront6targetE0EEEvT1_
                                        ; -- End function
	.section	.AMDGPU.csdata,"",@progbits
; Kernel info:
; codeLenInByte = 9216
; NumSgprs: 26
; NumVgprs: 61
; ScratchSize: 0
; MemoryBound: 0
; FloatMode: 240
; IeeeMode: 1
; LDSByteSize: 5640 bytes/workgroup (compile time only)
; SGPRBlocks: 3
; VGPRBlocks: 7
; NumSGPRsForWavesPerEU: 26
; NumVGPRsForWavesPerEU: 61
; Occupancy: 16
; WaveLimiterHint : 1
; COMPUTE_PGM_RSRC2:SCRATCH_EN: 0
; COMPUTE_PGM_RSRC2:USER_SGPR: 15
; COMPUTE_PGM_RSRC2:TRAP_HANDLER: 0
; COMPUTE_PGM_RSRC2:TGID_X_EN: 1
; COMPUTE_PGM_RSRC2:TGID_Y_EN: 0
; COMPUTE_PGM_RSRC2:TGID_Z_EN: 0
; COMPUTE_PGM_RSRC2:TIDIG_COMP_CNT: 0
	.section	.text._ZN7rocprim17ROCPRIM_400000_NS6detail17trampoline_kernelINS0_14default_configENS1_25partition_config_selectorILNS1_17partition_subalgoE9EtjbEEZZNS1_14partition_implILS5_9ELb0ES3_jN6thrust23THRUST_200600_302600_NS6detail15normal_iteratorINS9_10device_ptrItEEEENSB_INSC_IjEEEEPNS0_10empty_typeENS0_5tupleIJNS9_16discard_iteratorINS9_11use_defaultEEESH_EEENSJ_IJSG_SI_EEENS0_18inequality_wrapperINS9_8equal_toItEEEEPmJSH_EEE10hipError_tPvRmT3_T4_T5_T6_T7_T9_mT8_P12ihipStream_tbDpT10_ENKUlT_T0_E_clISt17integral_constantIbLb0EES1D_EEDaS18_S19_EUlS18_E_NS1_11comp_targetILNS1_3genE8ELNS1_11target_archE1030ELNS1_3gpuE2ELNS1_3repE0EEENS1_30default_config_static_selectorELNS0_4arch9wavefront6targetE0EEEvT1_,"axG",@progbits,_ZN7rocprim17ROCPRIM_400000_NS6detail17trampoline_kernelINS0_14default_configENS1_25partition_config_selectorILNS1_17partition_subalgoE9EtjbEEZZNS1_14partition_implILS5_9ELb0ES3_jN6thrust23THRUST_200600_302600_NS6detail15normal_iteratorINS9_10device_ptrItEEEENSB_INSC_IjEEEEPNS0_10empty_typeENS0_5tupleIJNS9_16discard_iteratorINS9_11use_defaultEEESH_EEENSJ_IJSG_SI_EEENS0_18inequality_wrapperINS9_8equal_toItEEEEPmJSH_EEE10hipError_tPvRmT3_T4_T5_T6_T7_T9_mT8_P12ihipStream_tbDpT10_ENKUlT_T0_E_clISt17integral_constantIbLb0EES1D_EEDaS18_S19_EUlS18_E_NS1_11comp_targetILNS1_3genE8ELNS1_11target_archE1030ELNS1_3gpuE2ELNS1_3repE0EEENS1_30default_config_static_selectorELNS0_4arch9wavefront6targetE0EEEvT1_,comdat
	.protected	_ZN7rocprim17ROCPRIM_400000_NS6detail17trampoline_kernelINS0_14default_configENS1_25partition_config_selectorILNS1_17partition_subalgoE9EtjbEEZZNS1_14partition_implILS5_9ELb0ES3_jN6thrust23THRUST_200600_302600_NS6detail15normal_iteratorINS9_10device_ptrItEEEENSB_INSC_IjEEEEPNS0_10empty_typeENS0_5tupleIJNS9_16discard_iteratorINS9_11use_defaultEEESH_EEENSJ_IJSG_SI_EEENS0_18inequality_wrapperINS9_8equal_toItEEEEPmJSH_EEE10hipError_tPvRmT3_T4_T5_T6_T7_T9_mT8_P12ihipStream_tbDpT10_ENKUlT_T0_E_clISt17integral_constantIbLb0EES1D_EEDaS18_S19_EUlS18_E_NS1_11comp_targetILNS1_3genE8ELNS1_11target_archE1030ELNS1_3gpuE2ELNS1_3repE0EEENS1_30default_config_static_selectorELNS0_4arch9wavefront6targetE0EEEvT1_ ; -- Begin function _ZN7rocprim17ROCPRIM_400000_NS6detail17trampoline_kernelINS0_14default_configENS1_25partition_config_selectorILNS1_17partition_subalgoE9EtjbEEZZNS1_14partition_implILS5_9ELb0ES3_jN6thrust23THRUST_200600_302600_NS6detail15normal_iteratorINS9_10device_ptrItEEEENSB_INSC_IjEEEEPNS0_10empty_typeENS0_5tupleIJNS9_16discard_iteratorINS9_11use_defaultEEESH_EEENSJ_IJSG_SI_EEENS0_18inequality_wrapperINS9_8equal_toItEEEEPmJSH_EEE10hipError_tPvRmT3_T4_T5_T6_T7_T9_mT8_P12ihipStream_tbDpT10_ENKUlT_T0_E_clISt17integral_constantIbLb0EES1D_EEDaS18_S19_EUlS18_E_NS1_11comp_targetILNS1_3genE8ELNS1_11target_archE1030ELNS1_3gpuE2ELNS1_3repE0EEENS1_30default_config_static_selectorELNS0_4arch9wavefront6targetE0EEEvT1_
	.globl	_ZN7rocprim17ROCPRIM_400000_NS6detail17trampoline_kernelINS0_14default_configENS1_25partition_config_selectorILNS1_17partition_subalgoE9EtjbEEZZNS1_14partition_implILS5_9ELb0ES3_jN6thrust23THRUST_200600_302600_NS6detail15normal_iteratorINS9_10device_ptrItEEEENSB_INSC_IjEEEEPNS0_10empty_typeENS0_5tupleIJNS9_16discard_iteratorINS9_11use_defaultEEESH_EEENSJ_IJSG_SI_EEENS0_18inequality_wrapperINS9_8equal_toItEEEEPmJSH_EEE10hipError_tPvRmT3_T4_T5_T6_T7_T9_mT8_P12ihipStream_tbDpT10_ENKUlT_T0_E_clISt17integral_constantIbLb0EES1D_EEDaS18_S19_EUlS18_E_NS1_11comp_targetILNS1_3genE8ELNS1_11target_archE1030ELNS1_3gpuE2ELNS1_3repE0EEENS1_30default_config_static_selectorELNS0_4arch9wavefront6targetE0EEEvT1_
	.p2align	8
	.type	_ZN7rocprim17ROCPRIM_400000_NS6detail17trampoline_kernelINS0_14default_configENS1_25partition_config_selectorILNS1_17partition_subalgoE9EtjbEEZZNS1_14partition_implILS5_9ELb0ES3_jN6thrust23THRUST_200600_302600_NS6detail15normal_iteratorINS9_10device_ptrItEEEENSB_INSC_IjEEEEPNS0_10empty_typeENS0_5tupleIJNS9_16discard_iteratorINS9_11use_defaultEEESH_EEENSJ_IJSG_SI_EEENS0_18inequality_wrapperINS9_8equal_toItEEEEPmJSH_EEE10hipError_tPvRmT3_T4_T5_T6_T7_T9_mT8_P12ihipStream_tbDpT10_ENKUlT_T0_E_clISt17integral_constantIbLb0EES1D_EEDaS18_S19_EUlS18_E_NS1_11comp_targetILNS1_3genE8ELNS1_11target_archE1030ELNS1_3gpuE2ELNS1_3repE0EEENS1_30default_config_static_selectorELNS0_4arch9wavefront6targetE0EEEvT1_,@function
_ZN7rocprim17ROCPRIM_400000_NS6detail17trampoline_kernelINS0_14default_configENS1_25partition_config_selectorILNS1_17partition_subalgoE9EtjbEEZZNS1_14partition_implILS5_9ELb0ES3_jN6thrust23THRUST_200600_302600_NS6detail15normal_iteratorINS9_10device_ptrItEEEENSB_INSC_IjEEEEPNS0_10empty_typeENS0_5tupleIJNS9_16discard_iteratorINS9_11use_defaultEEESH_EEENSJ_IJSG_SI_EEENS0_18inequality_wrapperINS9_8equal_toItEEEEPmJSH_EEE10hipError_tPvRmT3_T4_T5_T6_T7_T9_mT8_P12ihipStream_tbDpT10_ENKUlT_T0_E_clISt17integral_constantIbLb0EES1D_EEDaS18_S19_EUlS18_E_NS1_11comp_targetILNS1_3genE8ELNS1_11target_archE1030ELNS1_3gpuE2ELNS1_3repE0EEENS1_30default_config_static_selectorELNS0_4arch9wavefront6targetE0EEEvT1_: ; @_ZN7rocprim17ROCPRIM_400000_NS6detail17trampoline_kernelINS0_14default_configENS1_25partition_config_selectorILNS1_17partition_subalgoE9EtjbEEZZNS1_14partition_implILS5_9ELb0ES3_jN6thrust23THRUST_200600_302600_NS6detail15normal_iteratorINS9_10device_ptrItEEEENSB_INSC_IjEEEEPNS0_10empty_typeENS0_5tupleIJNS9_16discard_iteratorINS9_11use_defaultEEESH_EEENSJ_IJSG_SI_EEENS0_18inequality_wrapperINS9_8equal_toItEEEEPmJSH_EEE10hipError_tPvRmT3_T4_T5_T6_T7_T9_mT8_P12ihipStream_tbDpT10_ENKUlT_T0_E_clISt17integral_constantIbLb0EES1D_EEDaS18_S19_EUlS18_E_NS1_11comp_targetILNS1_3genE8ELNS1_11target_archE1030ELNS1_3gpuE2ELNS1_3repE0EEENS1_30default_config_static_selectorELNS0_4arch9wavefront6targetE0EEEvT1_
; %bb.0:
	.section	.rodata,"a",@progbits
	.p2align	6, 0x0
	.amdhsa_kernel _ZN7rocprim17ROCPRIM_400000_NS6detail17trampoline_kernelINS0_14default_configENS1_25partition_config_selectorILNS1_17partition_subalgoE9EtjbEEZZNS1_14partition_implILS5_9ELb0ES3_jN6thrust23THRUST_200600_302600_NS6detail15normal_iteratorINS9_10device_ptrItEEEENSB_INSC_IjEEEEPNS0_10empty_typeENS0_5tupleIJNS9_16discard_iteratorINS9_11use_defaultEEESH_EEENSJ_IJSG_SI_EEENS0_18inequality_wrapperINS9_8equal_toItEEEEPmJSH_EEE10hipError_tPvRmT3_T4_T5_T6_T7_T9_mT8_P12ihipStream_tbDpT10_ENKUlT_T0_E_clISt17integral_constantIbLb0EES1D_EEDaS18_S19_EUlS18_E_NS1_11comp_targetILNS1_3genE8ELNS1_11target_archE1030ELNS1_3gpuE2ELNS1_3repE0EEENS1_30default_config_static_selectorELNS0_4arch9wavefront6targetE0EEEvT1_
		.amdhsa_group_segment_fixed_size 0
		.amdhsa_private_segment_fixed_size 0
		.amdhsa_kernarg_size 120
		.amdhsa_user_sgpr_count 15
		.amdhsa_user_sgpr_dispatch_ptr 0
		.amdhsa_user_sgpr_queue_ptr 0
		.amdhsa_user_sgpr_kernarg_segment_ptr 1
		.amdhsa_user_sgpr_dispatch_id 0
		.amdhsa_user_sgpr_private_segment_size 0
		.amdhsa_wavefront_size32 1
		.amdhsa_uses_dynamic_stack 0
		.amdhsa_enable_private_segment 0
		.amdhsa_system_sgpr_workgroup_id_x 1
		.amdhsa_system_sgpr_workgroup_id_y 0
		.amdhsa_system_sgpr_workgroup_id_z 0
		.amdhsa_system_sgpr_workgroup_info 0
		.amdhsa_system_vgpr_workitem_id 0
		.amdhsa_next_free_vgpr 1
		.amdhsa_next_free_sgpr 1
		.amdhsa_reserve_vcc 0
		.amdhsa_float_round_mode_32 0
		.amdhsa_float_round_mode_16_64 0
		.amdhsa_float_denorm_mode_32 3
		.amdhsa_float_denorm_mode_16_64 3
		.amdhsa_dx10_clamp 1
		.amdhsa_ieee_mode 1
		.amdhsa_fp16_overflow 0
		.amdhsa_workgroup_processor_mode 1
		.amdhsa_memory_ordered 1
		.amdhsa_forward_progress 0
		.amdhsa_shared_vgpr_count 0
		.amdhsa_exception_fp_ieee_invalid_op 0
		.amdhsa_exception_fp_denorm_src 0
		.amdhsa_exception_fp_ieee_div_zero 0
		.amdhsa_exception_fp_ieee_overflow 0
		.amdhsa_exception_fp_ieee_underflow 0
		.amdhsa_exception_fp_ieee_inexact 0
		.amdhsa_exception_int_div_zero 0
	.end_amdhsa_kernel
	.section	.text._ZN7rocprim17ROCPRIM_400000_NS6detail17trampoline_kernelINS0_14default_configENS1_25partition_config_selectorILNS1_17partition_subalgoE9EtjbEEZZNS1_14partition_implILS5_9ELb0ES3_jN6thrust23THRUST_200600_302600_NS6detail15normal_iteratorINS9_10device_ptrItEEEENSB_INSC_IjEEEEPNS0_10empty_typeENS0_5tupleIJNS9_16discard_iteratorINS9_11use_defaultEEESH_EEENSJ_IJSG_SI_EEENS0_18inequality_wrapperINS9_8equal_toItEEEEPmJSH_EEE10hipError_tPvRmT3_T4_T5_T6_T7_T9_mT8_P12ihipStream_tbDpT10_ENKUlT_T0_E_clISt17integral_constantIbLb0EES1D_EEDaS18_S19_EUlS18_E_NS1_11comp_targetILNS1_3genE8ELNS1_11target_archE1030ELNS1_3gpuE2ELNS1_3repE0EEENS1_30default_config_static_selectorELNS0_4arch9wavefront6targetE0EEEvT1_,"axG",@progbits,_ZN7rocprim17ROCPRIM_400000_NS6detail17trampoline_kernelINS0_14default_configENS1_25partition_config_selectorILNS1_17partition_subalgoE9EtjbEEZZNS1_14partition_implILS5_9ELb0ES3_jN6thrust23THRUST_200600_302600_NS6detail15normal_iteratorINS9_10device_ptrItEEEENSB_INSC_IjEEEEPNS0_10empty_typeENS0_5tupleIJNS9_16discard_iteratorINS9_11use_defaultEEESH_EEENSJ_IJSG_SI_EEENS0_18inequality_wrapperINS9_8equal_toItEEEEPmJSH_EEE10hipError_tPvRmT3_T4_T5_T6_T7_T9_mT8_P12ihipStream_tbDpT10_ENKUlT_T0_E_clISt17integral_constantIbLb0EES1D_EEDaS18_S19_EUlS18_E_NS1_11comp_targetILNS1_3genE8ELNS1_11target_archE1030ELNS1_3gpuE2ELNS1_3repE0EEENS1_30default_config_static_selectorELNS0_4arch9wavefront6targetE0EEEvT1_,comdat
.Lfunc_end956:
	.size	_ZN7rocprim17ROCPRIM_400000_NS6detail17trampoline_kernelINS0_14default_configENS1_25partition_config_selectorILNS1_17partition_subalgoE9EtjbEEZZNS1_14partition_implILS5_9ELb0ES3_jN6thrust23THRUST_200600_302600_NS6detail15normal_iteratorINS9_10device_ptrItEEEENSB_INSC_IjEEEEPNS0_10empty_typeENS0_5tupleIJNS9_16discard_iteratorINS9_11use_defaultEEESH_EEENSJ_IJSG_SI_EEENS0_18inequality_wrapperINS9_8equal_toItEEEEPmJSH_EEE10hipError_tPvRmT3_T4_T5_T6_T7_T9_mT8_P12ihipStream_tbDpT10_ENKUlT_T0_E_clISt17integral_constantIbLb0EES1D_EEDaS18_S19_EUlS18_E_NS1_11comp_targetILNS1_3genE8ELNS1_11target_archE1030ELNS1_3gpuE2ELNS1_3repE0EEENS1_30default_config_static_selectorELNS0_4arch9wavefront6targetE0EEEvT1_, .Lfunc_end956-_ZN7rocprim17ROCPRIM_400000_NS6detail17trampoline_kernelINS0_14default_configENS1_25partition_config_selectorILNS1_17partition_subalgoE9EtjbEEZZNS1_14partition_implILS5_9ELb0ES3_jN6thrust23THRUST_200600_302600_NS6detail15normal_iteratorINS9_10device_ptrItEEEENSB_INSC_IjEEEEPNS0_10empty_typeENS0_5tupleIJNS9_16discard_iteratorINS9_11use_defaultEEESH_EEENSJ_IJSG_SI_EEENS0_18inequality_wrapperINS9_8equal_toItEEEEPmJSH_EEE10hipError_tPvRmT3_T4_T5_T6_T7_T9_mT8_P12ihipStream_tbDpT10_ENKUlT_T0_E_clISt17integral_constantIbLb0EES1D_EEDaS18_S19_EUlS18_E_NS1_11comp_targetILNS1_3genE8ELNS1_11target_archE1030ELNS1_3gpuE2ELNS1_3repE0EEENS1_30default_config_static_selectorELNS0_4arch9wavefront6targetE0EEEvT1_
                                        ; -- End function
	.section	.AMDGPU.csdata,"",@progbits
; Kernel info:
; codeLenInByte = 0
; NumSgprs: 0
; NumVgprs: 0
; ScratchSize: 0
; MemoryBound: 0
; FloatMode: 240
; IeeeMode: 1
; LDSByteSize: 0 bytes/workgroup (compile time only)
; SGPRBlocks: 0
; VGPRBlocks: 0
; NumSGPRsForWavesPerEU: 1
; NumVGPRsForWavesPerEU: 1
; Occupancy: 16
; WaveLimiterHint : 0
; COMPUTE_PGM_RSRC2:SCRATCH_EN: 0
; COMPUTE_PGM_RSRC2:USER_SGPR: 15
; COMPUTE_PGM_RSRC2:TRAP_HANDLER: 0
; COMPUTE_PGM_RSRC2:TGID_X_EN: 1
; COMPUTE_PGM_RSRC2:TGID_Y_EN: 0
; COMPUTE_PGM_RSRC2:TGID_Z_EN: 0
; COMPUTE_PGM_RSRC2:TIDIG_COMP_CNT: 0
	.section	.text._ZN7rocprim17ROCPRIM_400000_NS6detail17trampoline_kernelINS0_14default_configENS1_25partition_config_selectorILNS1_17partition_subalgoE9EtjbEEZZNS1_14partition_implILS5_9ELb0ES3_jN6thrust23THRUST_200600_302600_NS6detail15normal_iteratorINS9_10device_ptrItEEEENSB_INSC_IjEEEEPNS0_10empty_typeENS0_5tupleIJNS9_16discard_iteratorINS9_11use_defaultEEESH_EEENSJ_IJSG_SI_EEENS0_18inequality_wrapperINS9_8equal_toItEEEEPmJSH_EEE10hipError_tPvRmT3_T4_T5_T6_T7_T9_mT8_P12ihipStream_tbDpT10_ENKUlT_T0_E_clISt17integral_constantIbLb1EES1D_EEDaS18_S19_EUlS18_E_NS1_11comp_targetILNS1_3genE0ELNS1_11target_archE4294967295ELNS1_3gpuE0ELNS1_3repE0EEENS1_30default_config_static_selectorELNS0_4arch9wavefront6targetE0EEEvT1_,"axG",@progbits,_ZN7rocprim17ROCPRIM_400000_NS6detail17trampoline_kernelINS0_14default_configENS1_25partition_config_selectorILNS1_17partition_subalgoE9EtjbEEZZNS1_14partition_implILS5_9ELb0ES3_jN6thrust23THRUST_200600_302600_NS6detail15normal_iteratorINS9_10device_ptrItEEEENSB_INSC_IjEEEEPNS0_10empty_typeENS0_5tupleIJNS9_16discard_iteratorINS9_11use_defaultEEESH_EEENSJ_IJSG_SI_EEENS0_18inequality_wrapperINS9_8equal_toItEEEEPmJSH_EEE10hipError_tPvRmT3_T4_T5_T6_T7_T9_mT8_P12ihipStream_tbDpT10_ENKUlT_T0_E_clISt17integral_constantIbLb1EES1D_EEDaS18_S19_EUlS18_E_NS1_11comp_targetILNS1_3genE0ELNS1_11target_archE4294967295ELNS1_3gpuE0ELNS1_3repE0EEENS1_30default_config_static_selectorELNS0_4arch9wavefront6targetE0EEEvT1_,comdat
	.protected	_ZN7rocprim17ROCPRIM_400000_NS6detail17trampoline_kernelINS0_14default_configENS1_25partition_config_selectorILNS1_17partition_subalgoE9EtjbEEZZNS1_14partition_implILS5_9ELb0ES3_jN6thrust23THRUST_200600_302600_NS6detail15normal_iteratorINS9_10device_ptrItEEEENSB_INSC_IjEEEEPNS0_10empty_typeENS0_5tupleIJNS9_16discard_iteratorINS9_11use_defaultEEESH_EEENSJ_IJSG_SI_EEENS0_18inequality_wrapperINS9_8equal_toItEEEEPmJSH_EEE10hipError_tPvRmT3_T4_T5_T6_T7_T9_mT8_P12ihipStream_tbDpT10_ENKUlT_T0_E_clISt17integral_constantIbLb1EES1D_EEDaS18_S19_EUlS18_E_NS1_11comp_targetILNS1_3genE0ELNS1_11target_archE4294967295ELNS1_3gpuE0ELNS1_3repE0EEENS1_30default_config_static_selectorELNS0_4arch9wavefront6targetE0EEEvT1_ ; -- Begin function _ZN7rocprim17ROCPRIM_400000_NS6detail17trampoline_kernelINS0_14default_configENS1_25partition_config_selectorILNS1_17partition_subalgoE9EtjbEEZZNS1_14partition_implILS5_9ELb0ES3_jN6thrust23THRUST_200600_302600_NS6detail15normal_iteratorINS9_10device_ptrItEEEENSB_INSC_IjEEEEPNS0_10empty_typeENS0_5tupleIJNS9_16discard_iteratorINS9_11use_defaultEEESH_EEENSJ_IJSG_SI_EEENS0_18inequality_wrapperINS9_8equal_toItEEEEPmJSH_EEE10hipError_tPvRmT3_T4_T5_T6_T7_T9_mT8_P12ihipStream_tbDpT10_ENKUlT_T0_E_clISt17integral_constantIbLb1EES1D_EEDaS18_S19_EUlS18_E_NS1_11comp_targetILNS1_3genE0ELNS1_11target_archE4294967295ELNS1_3gpuE0ELNS1_3repE0EEENS1_30default_config_static_selectorELNS0_4arch9wavefront6targetE0EEEvT1_
	.globl	_ZN7rocprim17ROCPRIM_400000_NS6detail17trampoline_kernelINS0_14default_configENS1_25partition_config_selectorILNS1_17partition_subalgoE9EtjbEEZZNS1_14partition_implILS5_9ELb0ES3_jN6thrust23THRUST_200600_302600_NS6detail15normal_iteratorINS9_10device_ptrItEEEENSB_INSC_IjEEEEPNS0_10empty_typeENS0_5tupleIJNS9_16discard_iteratorINS9_11use_defaultEEESH_EEENSJ_IJSG_SI_EEENS0_18inequality_wrapperINS9_8equal_toItEEEEPmJSH_EEE10hipError_tPvRmT3_T4_T5_T6_T7_T9_mT8_P12ihipStream_tbDpT10_ENKUlT_T0_E_clISt17integral_constantIbLb1EES1D_EEDaS18_S19_EUlS18_E_NS1_11comp_targetILNS1_3genE0ELNS1_11target_archE4294967295ELNS1_3gpuE0ELNS1_3repE0EEENS1_30default_config_static_selectorELNS0_4arch9wavefront6targetE0EEEvT1_
	.p2align	8
	.type	_ZN7rocprim17ROCPRIM_400000_NS6detail17trampoline_kernelINS0_14default_configENS1_25partition_config_selectorILNS1_17partition_subalgoE9EtjbEEZZNS1_14partition_implILS5_9ELb0ES3_jN6thrust23THRUST_200600_302600_NS6detail15normal_iteratorINS9_10device_ptrItEEEENSB_INSC_IjEEEEPNS0_10empty_typeENS0_5tupleIJNS9_16discard_iteratorINS9_11use_defaultEEESH_EEENSJ_IJSG_SI_EEENS0_18inequality_wrapperINS9_8equal_toItEEEEPmJSH_EEE10hipError_tPvRmT3_T4_T5_T6_T7_T9_mT8_P12ihipStream_tbDpT10_ENKUlT_T0_E_clISt17integral_constantIbLb1EES1D_EEDaS18_S19_EUlS18_E_NS1_11comp_targetILNS1_3genE0ELNS1_11target_archE4294967295ELNS1_3gpuE0ELNS1_3repE0EEENS1_30default_config_static_selectorELNS0_4arch9wavefront6targetE0EEEvT1_,@function
_ZN7rocprim17ROCPRIM_400000_NS6detail17trampoline_kernelINS0_14default_configENS1_25partition_config_selectorILNS1_17partition_subalgoE9EtjbEEZZNS1_14partition_implILS5_9ELb0ES3_jN6thrust23THRUST_200600_302600_NS6detail15normal_iteratorINS9_10device_ptrItEEEENSB_INSC_IjEEEEPNS0_10empty_typeENS0_5tupleIJNS9_16discard_iteratorINS9_11use_defaultEEESH_EEENSJ_IJSG_SI_EEENS0_18inequality_wrapperINS9_8equal_toItEEEEPmJSH_EEE10hipError_tPvRmT3_T4_T5_T6_T7_T9_mT8_P12ihipStream_tbDpT10_ENKUlT_T0_E_clISt17integral_constantIbLb1EES1D_EEDaS18_S19_EUlS18_E_NS1_11comp_targetILNS1_3genE0ELNS1_11target_archE4294967295ELNS1_3gpuE0ELNS1_3repE0EEENS1_30default_config_static_selectorELNS0_4arch9wavefront6targetE0EEEvT1_: ; @_ZN7rocprim17ROCPRIM_400000_NS6detail17trampoline_kernelINS0_14default_configENS1_25partition_config_selectorILNS1_17partition_subalgoE9EtjbEEZZNS1_14partition_implILS5_9ELb0ES3_jN6thrust23THRUST_200600_302600_NS6detail15normal_iteratorINS9_10device_ptrItEEEENSB_INSC_IjEEEEPNS0_10empty_typeENS0_5tupleIJNS9_16discard_iteratorINS9_11use_defaultEEESH_EEENSJ_IJSG_SI_EEENS0_18inequality_wrapperINS9_8equal_toItEEEEPmJSH_EEE10hipError_tPvRmT3_T4_T5_T6_T7_T9_mT8_P12ihipStream_tbDpT10_ENKUlT_T0_E_clISt17integral_constantIbLb1EES1D_EEDaS18_S19_EUlS18_E_NS1_11comp_targetILNS1_3genE0ELNS1_11target_archE4294967295ELNS1_3gpuE0ELNS1_3repE0EEENS1_30default_config_static_selectorELNS0_4arch9wavefront6targetE0EEEvT1_
; %bb.0:
	.section	.rodata,"a",@progbits
	.p2align	6, 0x0
	.amdhsa_kernel _ZN7rocprim17ROCPRIM_400000_NS6detail17trampoline_kernelINS0_14default_configENS1_25partition_config_selectorILNS1_17partition_subalgoE9EtjbEEZZNS1_14partition_implILS5_9ELb0ES3_jN6thrust23THRUST_200600_302600_NS6detail15normal_iteratorINS9_10device_ptrItEEEENSB_INSC_IjEEEEPNS0_10empty_typeENS0_5tupleIJNS9_16discard_iteratorINS9_11use_defaultEEESH_EEENSJ_IJSG_SI_EEENS0_18inequality_wrapperINS9_8equal_toItEEEEPmJSH_EEE10hipError_tPvRmT3_T4_T5_T6_T7_T9_mT8_P12ihipStream_tbDpT10_ENKUlT_T0_E_clISt17integral_constantIbLb1EES1D_EEDaS18_S19_EUlS18_E_NS1_11comp_targetILNS1_3genE0ELNS1_11target_archE4294967295ELNS1_3gpuE0ELNS1_3repE0EEENS1_30default_config_static_selectorELNS0_4arch9wavefront6targetE0EEEvT1_
		.amdhsa_group_segment_fixed_size 0
		.amdhsa_private_segment_fixed_size 0
		.amdhsa_kernarg_size 136
		.amdhsa_user_sgpr_count 15
		.amdhsa_user_sgpr_dispatch_ptr 0
		.amdhsa_user_sgpr_queue_ptr 0
		.amdhsa_user_sgpr_kernarg_segment_ptr 1
		.amdhsa_user_sgpr_dispatch_id 0
		.amdhsa_user_sgpr_private_segment_size 0
		.amdhsa_wavefront_size32 1
		.amdhsa_uses_dynamic_stack 0
		.amdhsa_enable_private_segment 0
		.amdhsa_system_sgpr_workgroup_id_x 1
		.amdhsa_system_sgpr_workgroup_id_y 0
		.amdhsa_system_sgpr_workgroup_id_z 0
		.amdhsa_system_sgpr_workgroup_info 0
		.amdhsa_system_vgpr_workitem_id 0
		.amdhsa_next_free_vgpr 1
		.amdhsa_next_free_sgpr 1
		.amdhsa_reserve_vcc 0
		.amdhsa_float_round_mode_32 0
		.amdhsa_float_round_mode_16_64 0
		.amdhsa_float_denorm_mode_32 3
		.amdhsa_float_denorm_mode_16_64 3
		.amdhsa_dx10_clamp 1
		.amdhsa_ieee_mode 1
		.amdhsa_fp16_overflow 0
		.amdhsa_workgroup_processor_mode 1
		.amdhsa_memory_ordered 1
		.amdhsa_forward_progress 0
		.amdhsa_shared_vgpr_count 0
		.amdhsa_exception_fp_ieee_invalid_op 0
		.amdhsa_exception_fp_denorm_src 0
		.amdhsa_exception_fp_ieee_div_zero 0
		.amdhsa_exception_fp_ieee_overflow 0
		.amdhsa_exception_fp_ieee_underflow 0
		.amdhsa_exception_fp_ieee_inexact 0
		.amdhsa_exception_int_div_zero 0
	.end_amdhsa_kernel
	.section	.text._ZN7rocprim17ROCPRIM_400000_NS6detail17trampoline_kernelINS0_14default_configENS1_25partition_config_selectorILNS1_17partition_subalgoE9EtjbEEZZNS1_14partition_implILS5_9ELb0ES3_jN6thrust23THRUST_200600_302600_NS6detail15normal_iteratorINS9_10device_ptrItEEEENSB_INSC_IjEEEEPNS0_10empty_typeENS0_5tupleIJNS9_16discard_iteratorINS9_11use_defaultEEESH_EEENSJ_IJSG_SI_EEENS0_18inequality_wrapperINS9_8equal_toItEEEEPmJSH_EEE10hipError_tPvRmT3_T4_T5_T6_T7_T9_mT8_P12ihipStream_tbDpT10_ENKUlT_T0_E_clISt17integral_constantIbLb1EES1D_EEDaS18_S19_EUlS18_E_NS1_11comp_targetILNS1_3genE0ELNS1_11target_archE4294967295ELNS1_3gpuE0ELNS1_3repE0EEENS1_30default_config_static_selectorELNS0_4arch9wavefront6targetE0EEEvT1_,"axG",@progbits,_ZN7rocprim17ROCPRIM_400000_NS6detail17trampoline_kernelINS0_14default_configENS1_25partition_config_selectorILNS1_17partition_subalgoE9EtjbEEZZNS1_14partition_implILS5_9ELb0ES3_jN6thrust23THRUST_200600_302600_NS6detail15normal_iteratorINS9_10device_ptrItEEEENSB_INSC_IjEEEEPNS0_10empty_typeENS0_5tupleIJNS9_16discard_iteratorINS9_11use_defaultEEESH_EEENSJ_IJSG_SI_EEENS0_18inequality_wrapperINS9_8equal_toItEEEEPmJSH_EEE10hipError_tPvRmT3_T4_T5_T6_T7_T9_mT8_P12ihipStream_tbDpT10_ENKUlT_T0_E_clISt17integral_constantIbLb1EES1D_EEDaS18_S19_EUlS18_E_NS1_11comp_targetILNS1_3genE0ELNS1_11target_archE4294967295ELNS1_3gpuE0ELNS1_3repE0EEENS1_30default_config_static_selectorELNS0_4arch9wavefront6targetE0EEEvT1_,comdat
.Lfunc_end957:
	.size	_ZN7rocprim17ROCPRIM_400000_NS6detail17trampoline_kernelINS0_14default_configENS1_25partition_config_selectorILNS1_17partition_subalgoE9EtjbEEZZNS1_14partition_implILS5_9ELb0ES3_jN6thrust23THRUST_200600_302600_NS6detail15normal_iteratorINS9_10device_ptrItEEEENSB_INSC_IjEEEEPNS0_10empty_typeENS0_5tupleIJNS9_16discard_iteratorINS9_11use_defaultEEESH_EEENSJ_IJSG_SI_EEENS0_18inequality_wrapperINS9_8equal_toItEEEEPmJSH_EEE10hipError_tPvRmT3_T4_T5_T6_T7_T9_mT8_P12ihipStream_tbDpT10_ENKUlT_T0_E_clISt17integral_constantIbLb1EES1D_EEDaS18_S19_EUlS18_E_NS1_11comp_targetILNS1_3genE0ELNS1_11target_archE4294967295ELNS1_3gpuE0ELNS1_3repE0EEENS1_30default_config_static_selectorELNS0_4arch9wavefront6targetE0EEEvT1_, .Lfunc_end957-_ZN7rocprim17ROCPRIM_400000_NS6detail17trampoline_kernelINS0_14default_configENS1_25partition_config_selectorILNS1_17partition_subalgoE9EtjbEEZZNS1_14partition_implILS5_9ELb0ES3_jN6thrust23THRUST_200600_302600_NS6detail15normal_iteratorINS9_10device_ptrItEEEENSB_INSC_IjEEEEPNS0_10empty_typeENS0_5tupleIJNS9_16discard_iteratorINS9_11use_defaultEEESH_EEENSJ_IJSG_SI_EEENS0_18inequality_wrapperINS9_8equal_toItEEEEPmJSH_EEE10hipError_tPvRmT3_T4_T5_T6_T7_T9_mT8_P12ihipStream_tbDpT10_ENKUlT_T0_E_clISt17integral_constantIbLb1EES1D_EEDaS18_S19_EUlS18_E_NS1_11comp_targetILNS1_3genE0ELNS1_11target_archE4294967295ELNS1_3gpuE0ELNS1_3repE0EEENS1_30default_config_static_selectorELNS0_4arch9wavefront6targetE0EEEvT1_
                                        ; -- End function
	.section	.AMDGPU.csdata,"",@progbits
; Kernel info:
; codeLenInByte = 0
; NumSgprs: 0
; NumVgprs: 0
; ScratchSize: 0
; MemoryBound: 0
; FloatMode: 240
; IeeeMode: 1
; LDSByteSize: 0 bytes/workgroup (compile time only)
; SGPRBlocks: 0
; VGPRBlocks: 0
; NumSGPRsForWavesPerEU: 1
; NumVGPRsForWavesPerEU: 1
; Occupancy: 16
; WaveLimiterHint : 0
; COMPUTE_PGM_RSRC2:SCRATCH_EN: 0
; COMPUTE_PGM_RSRC2:USER_SGPR: 15
; COMPUTE_PGM_RSRC2:TRAP_HANDLER: 0
; COMPUTE_PGM_RSRC2:TGID_X_EN: 1
; COMPUTE_PGM_RSRC2:TGID_Y_EN: 0
; COMPUTE_PGM_RSRC2:TGID_Z_EN: 0
; COMPUTE_PGM_RSRC2:TIDIG_COMP_CNT: 0
	.section	.text._ZN7rocprim17ROCPRIM_400000_NS6detail17trampoline_kernelINS0_14default_configENS1_25partition_config_selectorILNS1_17partition_subalgoE9EtjbEEZZNS1_14partition_implILS5_9ELb0ES3_jN6thrust23THRUST_200600_302600_NS6detail15normal_iteratorINS9_10device_ptrItEEEENSB_INSC_IjEEEEPNS0_10empty_typeENS0_5tupleIJNS9_16discard_iteratorINS9_11use_defaultEEESH_EEENSJ_IJSG_SI_EEENS0_18inequality_wrapperINS9_8equal_toItEEEEPmJSH_EEE10hipError_tPvRmT3_T4_T5_T6_T7_T9_mT8_P12ihipStream_tbDpT10_ENKUlT_T0_E_clISt17integral_constantIbLb1EES1D_EEDaS18_S19_EUlS18_E_NS1_11comp_targetILNS1_3genE5ELNS1_11target_archE942ELNS1_3gpuE9ELNS1_3repE0EEENS1_30default_config_static_selectorELNS0_4arch9wavefront6targetE0EEEvT1_,"axG",@progbits,_ZN7rocprim17ROCPRIM_400000_NS6detail17trampoline_kernelINS0_14default_configENS1_25partition_config_selectorILNS1_17partition_subalgoE9EtjbEEZZNS1_14partition_implILS5_9ELb0ES3_jN6thrust23THRUST_200600_302600_NS6detail15normal_iteratorINS9_10device_ptrItEEEENSB_INSC_IjEEEEPNS0_10empty_typeENS0_5tupleIJNS9_16discard_iteratorINS9_11use_defaultEEESH_EEENSJ_IJSG_SI_EEENS0_18inequality_wrapperINS9_8equal_toItEEEEPmJSH_EEE10hipError_tPvRmT3_T4_T5_T6_T7_T9_mT8_P12ihipStream_tbDpT10_ENKUlT_T0_E_clISt17integral_constantIbLb1EES1D_EEDaS18_S19_EUlS18_E_NS1_11comp_targetILNS1_3genE5ELNS1_11target_archE942ELNS1_3gpuE9ELNS1_3repE0EEENS1_30default_config_static_selectorELNS0_4arch9wavefront6targetE0EEEvT1_,comdat
	.protected	_ZN7rocprim17ROCPRIM_400000_NS6detail17trampoline_kernelINS0_14default_configENS1_25partition_config_selectorILNS1_17partition_subalgoE9EtjbEEZZNS1_14partition_implILS5_9ELb0ES3_jN6thrust23THRUST_200600_302600_NS6detail15normal_iteratorINS9_10device_ptrItEEEENSB_INSC_IjEEEEPNS0_10empty_typeENS0_5tupleIJNS9_16discard_iteratorINS9_11use_defaultEEESH_EEENSJ_IJSG_SI_EEENS0_18inequality_wrapperINS9_8equal_toItEEEEPmJSH_EEE10hipError_tPvRmT3_T4_T5_T6_T7_T9_mT8_P12ihipStream_tbDpT10_ENKUlT_T0_E_clISt17integral_constantIbLb1EES1D_EEDaS18_S19_EUlS18_E_NS1_11comp_targetILNS1_3genE5ELNS1_11target_archE942ELNS1_3gpuE9ELNS1_3repE0EEENS1_30default_config_static_selectorELNS0_4arch9wavefront6targetE0EEEvT1_ ; -- Begin function _ZN7rocprim17ROCPRIM_400000_NS6detail17trampoline_kernelINS0_14default_configENS1_25partition_config_selectorILNS1_17partition_subalgoE9EtjbEEZZNS1_14partition_implILS5_9ELb0ES3_jN6thrust23THRUST_200600_302600_NS6detail15normal_iteratorINS9_10device_ptrItEEEENSB_INSC_IjEEEEPNS0_10empty_typeENS0_5tupleIJNS9_16discard_iteratorINS9_11use_defaultEEESH_EEENSJ_IJSG_SI_EEENS0_18inequality_wrapperINS9_8equal_toItEEEEPmJSH_EEE10hipError_tPvRmT3_T4_T5_T6_T7_T9_mT8_P12ihipStream_tbDpT10_ENKUlT_T0_E_clISt17integral_constantIbLb1EES1D_EEDaS18_S19_EUlS18_E_NS1_11comp_targetILNS1_3genE5ELNS1_11target_archE942ELNS1_3gpuE9ELNS1_3repE0EEENS1_30default_config_static_selectorELNS0_4arch9wavefront6targetE0EEEvT1_
	.globl	_ZN7rocprim17ROCPRIM_400000_NS6detail17trampoline_kernelINS0_14default_configENS1_25partition_config_selectorILNS1_17partition_subalgoE9EtjbEEZZNS1_14partition_implILS5_9ELb0ES3_jN6thrust23THRUST_200600_302600_NS6detail15normal_iteratorINS9_10device_ptrItEEEENSB_INSC_IjEEEEPNS0_10empty_typeENS0_5tupleIJNS9_16discard_iteratorINS9_11use_defaultEEESH_EEENSJ_IJSG_SI_EEENS0_18inequality_wrapperINS9_8equal_toItEEEEPmJSH_EEE10hipError_tPvRmT3_T4_T5_T6_T7_T9_mT8_P12ihipStream_tbDpT10_ENKUlT_T0_E_clISt17integral_constantIbLb1EES1D_EEDaS18_S19_EUlS18_E_NS1_11comp_targetILNS1_3genE5ELNS1_11target_archE942ELNS1_3gpuE9ELNS1_3repE0EEENS1_30default_config_static_selectorELNS0_4arch9wavefront6targetE0EEEvT1_
	.p2align	8
	.type	_ZN7rocprim17ROCPRIM_400000_NS6detail17trampoline_kernelINS0_14default_configENS1_25partition_config_selectorILNS1_17partition_subalgoE9EtjbEEZZNS1_14partition_implILS5_9ELb0ES3_jN6thrust23THRUST_200600_302600_NS6detail15normal_iteratorINS9_10device_ptrItEEEENSB_INSC_IjEEEEPNS0_10empty_typeENS0_5tupleIJNS9_16discard_iteratorINS9_11use_defaultEEESH_EEENSJ_IJSG_SI_EEENS0_18inequality_wrapperINS9_8equal_toItEEEEPmJSH_EEE10hipError_tPvRmT3_T4_T5_T6_T7_T9_mT8_P12ihipStream_tbDpT10_ENKUlT_T0_E_clISt17integral_constantIbLb1EES1D_EEDaS18_S19_EUlS18_E_NS1_11comp_targetILNS1_3genE5ELNS1_11target_archE942ELNS1_3gpuE9ELNS1_3repE0EEENS1_30default_config_static_selectorELNS0_4arch9wavefront6targetE0EEEvT1_,@function
_ZN7rocprim17ROCPRIM_400000_NS6detail17trampoline_kernelINS0_14default_configENS1_25partition_config_selectorILNS1_17partition_subalgoE9EtjbEEZZNS1_14partition_implILS5_9ELb0ES3_jN6thrust23THRUST_200600_302600_NS6detail15normal_iteratorINS9_10device_ptrItEEEENSB_INSC_IjEEEEPNS0_10empty_typeENS0_5tupleIJNS9_16discard_iteratorINS9_11use_defaultEEESH_EEENSJ_IJSG_SI_EEENS0_18inequality_wrapperINS9_8equal_toItEEEEPmJSH_EEE10hipError_tPvRmT3_T4_T5_T6_T7_T9_mT8_P12ihipStream_tbDpT10_ENKUlT_T0_E_clISt17integral_constantIbLb1EES1D_EEDaS18_S19_EUlS18_E_NS1_11comp_targetILNS1_3genE5ELNS1_11target_archE942ELNS1_3gpuE9ELNS1_3repE0EEENS1_30default_config_static_selectorELNS0_4arch9wavefront6targetE0EEEvT1_: ; @_ZN7rocprim17ROCPRIM_400000_NS6detail17trampoline_kernelINS0_14default_configENS1_25partition_config_selectorILNS1_17partition_subalgoE9EtjbEEZZNS1_14partition_implILS5_9ELb0ES3_jN6thrust23THRUST_200600_302600_NS6detail15normal_iteratorINS9_10device_ptrItEEEENSB_INSC_IjEEEEPNS0_10empty_typeENS0_5tupleIJNS9_16discard_iteratorINS9_11use_defaultEEESH_EEENSJ_IJSG_SI_EEENS0_18inequality_wrapperINS9_8equal_toItEEEEPmJSH_EEE10hipError_tPvRmT3_T4_T5_T6_T7_T9_mT8_P12ihipStream_tbDpT10_ENKUlT_T0_E_clISt17integral_constantIbLb1EES1D_EEDaS18_S19_EUlS18_E_NS1_11comp_targetILNS1_3genE5ELNS1_11target_archE942ELNS1_3gpuE9ELNS1_3repE0EEENS1_30default_config_static_selectorELNS0_4arch9wavefront6targetE0EEEvT1_
; %bb.0:
	.section	.rodata,"a",@progbits
	.p2align	6, 0x0
	.amdhsa_kernel _ZN7rocprim17ROCPRIM_400000_NS6detail17trampoline_kernelINS0_14default_configENS1_25partition_config_selectorILNS1_17partition_subalgoE9EtjbEEZZNS1_14partition_implILS5_9ELb0ES3_jN6thrust23THRUST_200600_302600_NS6detail15normal_iteratorINS9_10device_ptrItEEEENSB_INSC_IjEEEEPNS0_10empty_typeENS0_5tupleIJNS9_16discard_iteratorINS9_11use_defaultEEESH_EEENSJ_IJSG_SI_EEENS0_18inequality_wrapperINS9_8equal_toItEEEEPmJSH_EEE10hipError_tPvRmT3_T4_T5_T6_T7_T9_mT8_P12ihipStream_tbDpT10_ENKUlT_T0_E_clISt17integral_constantIbLb1EES1D_EEDaS18_S19_EUlS18_E_NS1_11comp_targetILNS1_3genE5ELNS1_11target_archE942ELNS1_3gpuE9ELNS1_3repE0EEENS1_30default_config_static_selectorELNS0_4arch9wavefront6targetE0EEEvT1_
		.amdhsa_group_segment_fixed_size 0
		.amdhsa_private_segment_fixed_size 0
		.amdhsa_kernarg_size 136
		.amdhsa_user_sgpr_count 15
		.amdhsa_user_sgpr_dispatch_ptr 0
		.amdhsa_user_sgpr_queue_ptr 0
		.amdhsa_user_sgpr_kernarg_segment_ptr 1
		.amdhsa_user_sgpr_dispatch_id 0
		.amdhsa_user_sgpr_private_segment_size 0
		.amdhsa_wavefront_size32 1
		.amdhsa_uses_dynamic_stack 0
		.amdhsa_enable_private_segment 0
		.amdhsa_system_sgpr_workgroup_id_x 1
		.amdhsa_system_sgpr_workgroup_id_y 0
		.amdhsa_system_sgpr_workgroup_id_z 0
		.amdhsa_system_sgpr_workgroup_info 0
		.amdhsa_system_vgpr_workitem_id 0
		.amdhsa_next_free_vgpr 1
		.amdhsa_next_free_sgpr 1
		.amdhsa_reserve_vcc 0
		.amdhsa_float_round_mode_32 0
		.amdhsa_float_round_mode_16_64 0
		.amdhsa_float_denorm_mode_32 3
		.amdhsa_float_denorm_mode_16_64 3
		.amdhsa_dx10_clamp 1
		.amdhsa_ieee_mode 1
		.amdhsa_fp16_overflow 0
		.amdhsa_workgroup_processor_mode 1
		.amdhsa_memory_ordered 1
		.amdhsa_forward_progress 0
		.amdhsa_shared_vgpr_count 0
		.amdhsa_exception_fp_ieee_invalid_op 0
		.amdhsa_exception_fp_denorm_src 0
		.amdhsa_exception_fp_ieee_div_zero 0
		.amdhsa_exception_fp_ieee_overflow 0
		.amdhsa_exception_fp_ieee_underflow 0
		.amdhsa_exception_fp_ieee_inexact 0
		.amdhsa_exception_int_div_zero 0
	.end_amdhsa_kernel
	.section	.text._ZN7rocprim17ROCPRIM_400000_NS6detail17trampoline_kernelINS0_14default_configENS1_25partition_config_selectorILNS1_17partition_subalgoE9EtjbEEZZNS1_14partition_implILS5_9ELb0ES3_jN6thrust23THRUST_200600_302600_NS6detail15normal_iteratorINS9_10device_ptrItEEEENSB_INSC_IjEEEEPNS0_10empty_typeENS0_5tupleIJNS9_16discard_iteratorINS9_11use_defaultEEESH_EEENSJ_IJSG_SI_EEENS0_18inequality_wrapperINS9_8equal_toItEEEEPmJSH_EEE10hipError_tPvRmT3_T4_T5_T6_T7_T9_mT8_P12ihipStream_tbDpT10_ENKUlT_T0_E_clISt17integral_constantIbLb1EES1D_EEDaS18_S19_EUlS18_E_NS1_11comp_targetILNS1_3genE5ELNS1_11target_archE942ELNS1_3gpuE9ELNS1_3repE0EEENS1_30default_config_static_selectorELNS0_4arch9wavefront6targetE0EEEvT1_,"axG",@progbits,_ZN7rocprim17ROCPRIM_400000_NS6detail17trampoline_kernelINS0_14default_configENS1_25partition_config_selectorILNS1_17partition_subalgoE9EtjbEEZZNS1_14partition_implILS5_9ELb0ES3_jN6thrust23THRUST_200600_302600_NS6detail15normal_iteratorINS9_10device_ptrItEEEENSB_INSC_IjEEEEPNS0_10empty_typeENS0_5tupleIJNS9_16discard_iteratorINS9_11use_defaultEEESH_EEENSJ_IJSG_SI_EEENS0_18inequality_wrapperINS9_8equal_toItEEEEPmJSH_EEE10hipError_tPvRmT3_T4_T5_T6_T7_T9_mT8_P12ihipStream_tbDpT10_ENKUlT_T0_E_clISt17integral_constantIbLb1EES1D_EEDaS18_S19_EUlS18_E_NS1_11comp_targetILNS1_3genE5ELNS1_11target_archE942ELNS1_3gpuE9ELNS1_3repE0EEENS1_30default_config_static_selectorELNS0_4arch9wavefront6targetE0EEEvT1_,comdat
.Lfunc_end958:
	.size	_ZN7rocprim17ROCPRIM_400000_NS6detail17trampoline_kernelINS0_14default_configENS1_25partition_config_selectorILNS1_17partition_subalgoE9EtjbEEZZNS1_14partition_implILS5_9ELb0ES3_jN6thrust23THRUST_200600_302600_NS6detail15normal_iteratorINS9_10device_ptrItEEEENSB_INSC_IjEEEEPNS0_10empty_typeENS0_5tupleIJNS9_16discard_iteratorINS9_11use_defaultEEESH_EEENSJ_IJSG_SI_EEENS0_18inequality_wrapperINS9_8equal_toItEEEEPmJSH_EEE10hipError_tPvRmT3_T4_T5_T6_T7_T9_mT8_P12ihipStream_tbDpT10_ENKUlT_T0_E_clISt17integral_constantIbLb1EES1D_EEDaS18_S19_EUlS18_E_NS1_11comp_targetILNS1_3genE5ELNS1_11target_archE942ELNS1_3gpuE9ELNS1_3repE0EEENS1_30default_config_static_selectorELNS0_4arch9wavefront6targetE0EEEvT1_, .Lfunc_end958-_ZN7rocprim17ROCPRIM_400000_NS6detail17trampoline_kernelINS0_14default_configENS1_25partition_config_selectorILNS1_17partition_subalgoE9EtjbEEZZNS1_14partition_implILS5_9ELb0ES3_jN6thrust23THRUST_200600_302600_NS6detail15normal_iteratorINS9_10device_ptrItEEEENSB_INSC_IjEEEEPNS0_10empty_typeENS0_5tupleIJNS9_16discard_iteratorINS9_11use_defaultEEESH_EEENSJ_IJSG_SI_EEENS0_18inequality_wrapperINS9_8equal_toItEEEEPmJSH_EEE10hipError_tPvRmT3_T4_T5_T6_T7_T9_mT8_P12ihipStream_tbDpT10_ENKUlT_T0_E_clISt17integral_constantIbLb1EES1D_EEDaS18_S19_EUlS18_E_NS1_11comp_targetILNS1_3genE5ELNS1_11target_archE942ELNS1_3gpuE9ELNS1_3repE0EEENS1_30default_config_static_selectorELNS0_4arch9wavefront6targetE0EEEvT1_
                                        ; -- End function
	.section	.AMDGPU.csdata,"",@progbits
; Kernel info:
; codeLenInByte = 0
; NumSgprs: 0
; NumVgprs: 0
; ScratchSize: 0
; MemoryBound: 0
; FloatMode: 240
; IeeeMode: 1
; LDSByteSize: 0 bytes/workgroup (compile time only)
; SGPRBlocks: 0
; VGPRBlocks: 0
; NumSGPRsForWavesPerEU: 1
; NumVGPRsForWavesPerEU: 1
; Occupancy: 16
; WaveLimiterHint : 0
; COMPUTE_PGM_RSRC2:SCRATCH_EN: 0
; COMPUTE_PGM_RSRC2:USER_SGPR: 15
; COMPUTE_PGM_RSRC2:TRAP_HANDLER: 0
; COMPUTE_PGM_RSRC2:TGID_X_EN: 1
; COMPUTE_PGM_RSRC2:TGID_Y_EN: 0
; COMPUTE_PGM_RSRC2:TGID_Z_EN: 0
; COMPUTE_PGM_RSRC2:TIDIG_COMP_CNT: 0
	.section	.text._ZN7rocprim17ROCPRIM_400000_NS6detail17trampoline_kernelINS0_14default_configENS1_25partition_config_selectorILNS1_17partition_subalgoE9EtjbEEZZNS1_14partition_implILS5_9ELb0ES3_jN6thrust23THRUST_200600_302600_NS6detail15normal_iteratorINS9_10device_ptrItEEEENSB_INSC_IjEEEEPNS0_10empty_typeENS0_5tupleIJNS9_16discard_iteratorINS9_11use_defaultEEESH_EEENSJ_IJSG_SI_EEENS0_18inequality_wrapperINS9_8equal_toItEEEEPmJSH_EEE10hipError_tPvRmT3_T4_T5_T6_T7_T9_mT8_P12ihipStream_tbDpT10_ENKUlT_T0_E_clISt17integral_constantIbLb1EES1D_EEDaS18_S19_EUlS18_E_NS1_11comp_targetILNS1_3genE4ELNS1_11target_archE910ELNS1_3gpuE8ELNS1_3repE0EEENS1_30default_config_static_selectorELNS0_4arch9wavefront6targetE0EEEvT1_,"axG",@progbits,_ZN7rocprim17ROCPRIM_400000_NS6detail17trampoline_kernelINS0_14default_configENS1_25partition_config_selectorILNS1_17partition_subalgoE9EtjbEEZZNS1_14partition_implILS5_9ELb0ES3_jN6thrust23THRUST_200600_302600_NS6detail15normal_iteratorINS9_10device_ptrItEEEENSB_INSC_IjEEEEPNS0_10empty_typeENS0_5tupleIJNS9_16discard_iteratorINS9_11use_defaultEEESH_EEENSJ_IJSG_SI_EEENS0_18inequality_wrapperINS9_8equal_toItEEEEPmJSH_EEE10hipError_tPvRmT3_T4_T5_T6_T7_T9_mT8_P12ihipStream_tbDpT10_ENKUlT_T0_E_clISt17integral_constantIbLb1EES1D_EEDaS18_S19_EUlS18_E_NS1_11comp_targetILNS1_3genE4ELNS1_11target_archE910ELNS1_3gpuE8ELNS1_3repE0EEENS1_30default_config_static_selectorELNS0_4arch9wavefront6targetE0EEEvT1_,comdat
	.protected	_ZN7rocprim17ROCPRIM_400000_NS6detail17trampoline_kernelINS0_14default_configENS1_25partition_config_selectorILNS1_17partition_subalgoE9EtjbEEZZNS1_14partition_implILS5_9ELb0ES3_jN6thrust23THRUST_200600_302600_NS6detail15normal_iteratorINS9_10device_ptrItEEEENSB_INSC_IjEEEEPNS0_10empty_typeENS0_5tupleIJNS9_16discard_iteratorINS9_11use_defaultEEESH_EEENSJ_IJSG_SI_EEENS0_18inequality_wrapperINS9_8equal_toItEEEEPmJSH_EEE10hipError_tPvRmT3_T4_T5_T6_T7_T9_mT8_P12ihipStream_tbDpT10_ENKUlT_T0_E_clISt17integral_constantIbLb1EES1D_EEDaS18_S19_EUlS18_E_NS1_11comp_targetILNS1_3genE4ELNS1_11target_archE910ELNS1_3gpuE8ELNS1_3repE0EEENS1_30default_config_static_selectorELNS0_4arch9wavefront6targetE0EEEvT1_ ; -- Begin function _ZN7rocprim17ROCPRIM_400000_NS6detail17trampoline_kernelINS0_14default_configENS1_25partition_config_selectorILNS1_17partition_subalgoE9EtjbEEZZNS1_14partition_implILS5_9ELb0ES3_jN6thrust23THRUST_200600_302600_NS6detail15normal_iteratorINS9_10device_ptrItEEEENSB_INSC_IjEEEEPNS0_10empty_typeENS0_5tupleIJNS9_16discard_iteratorINS9_11use_defaultEEESH_EEENSJ_IJSG_SI_EEENS0_18inequality_wrapperINS9_8equal_toItEEEEPmJSH_EEE10hipError_tPvRmT3_T4_T5_T6_T7_T9_mT8_P12ihipStream_tbDpT10_ENKUlT_T0_E_clISt17integral_constantIbLb1EES1D_EEDaS18_S19_EUlS18_E_NS1_11comp_targetILNS1_3genE4ELNS1_11target_archE910ELNS1_3gpuE8ELNS1_3repE0EEENS1_30default_config_static_selectorELNS0_4arch9wavefront6targetE0EEEvT1_
	.globl	_ZN7rocprim17ROCPRIM_400000_NS6detail17trampoline_kernelINS0_14default_configENS1_25partition_config_selectorILNS1_17partition_subalgoE9EtjbEEZZNS1_14partition_implILS5_9ELb0ES3_jN6thrust23THRUST_200600_302600_NS6detail15normal_iteratorINS9_10device_ptrItEEEENSB_INSC_IjEEEEPNS0_10empty_typeENS0_5tupleIJNS9_16discard_iteratorINS9_11use_defaultEEESH_EEENSJ_IJSG_SI_EEENS0_18inequality_wrapperINS9_8equal_toItEEEEPmJSH_EEE10hipError_tPvRmT3_T4_T5_T6_T7_T9_mT8_P12ihipStream_tbDpT10_ENKUlT_T0_E_clISt17integral_constantIbLb1EES1D_EEDaS18_S19_EUlS18_E_NS1_11comp_targetILNS1_3genE4ELNS1_11target_archE910ELNS1_3gpuE8ELNS1_3repE0EEENS1_30default_config_static_selectorELNS0_4arch9wavefront6targetE0EEEvT1_
	.p2align	8
	.type	_ZN7rocprim17ROCPRIM_400000_NS6detail17trampoline_kernelINS0_14default_configENS1_25partition_config_selectorILNS1_17partition_subalgoE9EtjbEEZZNS1_14partition_implILS5_9ELb0ES3_jN6thrust23THRUST_200600_302600_NS6detail15normal_iteratorINS9_10device_ptrItEEEENSB_INSC_IjEEEEPNS0_10empty_typeENS0_5tupleIJNS9_16discard_iteratorINS9_11use_defaultEEESH_EEENSJ_IJSG_SI_EEENS0_18inequality_wrapperINS9_8equal_toItEEEEPmJSH_EEE10hipError_tPvRmT3_T4_T5_T6_T7_T9_mT8_P12ihipStream_tbDpT10_ENKUlT_T0_E_clISt17integral_constantIbLb1EES1D_EEDaS18_S19_EUlS18_E_NS1_11comp_targetILNS1_3genE4ELNS1_11target_archE910ELNS1_3gpuE8ELNS1_3repE0EEENS1_30default_config_static_selectorELNS0_4arch9wavefront6targetE0EEEvT1_,@function
_ZN7rocprim17ROCPRIM_400000_NS6detail17trampoline_kernelINS0_14default_configENS1_25partition_config_selectorILNS1_17partition_subalgoE9EtjbEEZZNS1_14partition_implILS5_9ELb0ES3_jN6thrust23THRUST_200600_302600_NS6detail15normal_iteratorINS9_10device_ptrItEEEENSB_INSC_IjEEEEPNS0_10empty_typeENS0_5tupleIJNS9_16discard_iteratorINS9_11use_defaultEEESH_EEENSJ_IJSG_SI_EEENS0_18inequality_wrapperINS9_8equal_toItEEEEPmJSH_EEE10hipError_tPvRmT3_T4_T5_T6_T7_T9_mT8_P12ihipStream_tbDpT10_ENKUlT_T0_E_clISt17integral_constantIbLb1EES1D_EEDaS18_S19_EUlS18_E_NS1_11comp_targetILNS1_3genE4ELNS1_11target_archE910ELNS1_3gpuE8ELNS1_3repE0EEENS1_30default_config_static_selectorELNS0_4arch9wavefront6targetE0EEEvT1_: ; @_ZN7rocprim17ROCPRIM_400000_NS6detail17trampoline_kernelINS0_14default_configENS1_25partition_config_selectorILNS1_17partition_subalgoE9EtjbEEZZNS1_14partition_implILS5_9ELb0ES3_jN6thrust23THRUST_200600_302600_NS6detail15normal_iteratorINS9_10device_ptrItEEEENSB_INSC_IjEEEEPNS0_10empty_typeENS0_5tupleIJNS9_16discard_iteratorINS9_11use_defaultEEESH_EEENSJ_IJSG_SI_EEENS0_18inequality_wrapperINS9_8equal_toItEEEEPmJSH_EEE10hipError_tPvRmT3_T4_T5_T6_T7_T9_mT8_P12ihipStream_tbDpT10_ENKUlT_T0_E_clISt17integral_constantIbLb1EES1D_EEDaS18_S19_EUlS18_E_NS1_11comp_targetILNS1_3genE4ELNS1_11target_archE910ELNS1_3gpuE8ELNS1_3repE0EEENS1_30default_config_static_selectorELNS0_4arch9wavefront6targetE0EEEvT1_
; %bb.0:
	.section	.rodata,"a",@progbits
	.p2align	6, 0x0
	.amdhsa_kernel _ZN7rocprim17ROCPRIM_400000_NS6detail17trampoline_kernelINS0_14default_configENS1_25partition_config_selectorILNS1_17partition_subalgoE9EtjbEEZZNS1_14partition_implILS5_9ELb0ES3_jN6thrust23THRUST_200600_302600_NS6detail15normal_iteratorINS9_10device_ptrItEEEENSB_INSC_IjEEEEPNS0_10empty_typeENS0_5tupleIJNS9_16discard_iteratorINS9_11use_defaultEEESH_EEENSJ_IJSG_SI_EEENS0_18inequality_wrapperINS9_8equal_toItEEEEPmJSH_EEE10hipError_tPvRmT3_T4_T5_T6_T7_T9_mT8_P12ihipStream_tbDpT10_ENKUlT_T0_E_clISt17integral_constantIbLb1EES1D_EEDaS18_S19_EUlS18_E_NS1_11comp_targetILNS1_3genE4ELNS1_11target_archE910ELNS1_3gpuE8ELNS1_3repE0EEENS1_30default_config_static_selectorELNS0_4arch9wavefront6targetE0EEEvT1_
		.amdhsa_group_segment_fixed_size 0
		.amdhsa_private_segment_fixed_size 0
		.amdhsa_kernarg_size 136
		.amdhsa_user_sgpr_count 15
		.amdhsa_user_sgpr_dispatch_ptr 0
		.amdhsa_user_sgpr_queue_ptr 0
		.amdhsa_user_sgpr_kernarg_segment_ptr 1
		.amdhsa_user_sgpr_dispatch_id 0
		.amdhsa_user_sgpr_private_segment_size 0
		.amdhsa_wavefront_size32 1
		.amdhsa_uses_dynamic_stack 0
		.amdhsa_enable_private_segment 0
		.amdhsa_system_sgpr_workgroup_id_x 1
		.amdhsa_system_sgpr_workgroup_id_y 0
		.amdhsa_system_sgpr_workgroup_id_z 0
		.amdhsa_system_sgpr_workgroup_info 0
		.amdhsa_system_vgpr_workitem_id 0
		.amdhsa_next_free_vgpr 1
		.amdhsa_next_free_sgpr 1
		.amdhsa_reserve_vcc 0
		.amdhsa_float_round_mode_32 0
		.amdhsa_float_round_mode_16_64 0
		.amdhsa_float_denorm_mode_32 3
		.amdhsa_float_denorm_mode_16_64 3
		.amdhsa_dx10_clamp 1
		.amdhsa_ieee_mode 1
		.amdhsa_fp16_overflow 0
		.amdhsa_workgroup_processor_mode 1
		.amdhsa_memory_ordered 1
		.amdhsa_forward_progress 0
		.amdhsa_shared_vgpr_count 0
		.amdhsa_exception_fp_ieee_invalid_op 0
		.amdhsa_exception_fp_denorm_src 0
		.amdhsa_exception_fp_ieee_div_zero 0
		.amdhsa_exception_fp_ieee_overflow 0
		.amdhsa_exception_fp_ieee_underflow 0
		.amdhsa_exception_fp_ieee_inexact 0
		.amdhsa_exception_int_div_zero 0
	.end_amdhsa_kernel
	.section	.text._ZN7rocprim17ROCPRIM_400000_NS6detail17trampoline_kernelINS0_14default_configENS1_25partition_config_selectorILNS1_17partition_subalgoE9EtjbEEZZNS1_14partition_implILS5_9ELb0ES3_jN6thrust23THRUST_200600_302600_NS6detail15normal_iteratorINS9_10device_ptrItEEEENSB_INSC_IjEEEEPNS0_10empty_typeENS0_5tupleIJNS9_16discard_iteratorINS9_11use_defaultEEESH_EEENSJ_IJSG_SI_EEENS0_18inequality_wrapperINS9_8equal_toItEEEEPmJSH_EEE10hipError_tPvRmT3_T4_T5_T6_T7_T9_mT8_P12ihipStream_tbDpT10_ENKUlT_T0_E_clISt17integral_constantIbLb1EES1D_EEDaS18_S19_EUlS18_E_NS1_11comp_targetILNS1_3genE4ELNS1_11target_archE910ELNS1_3gpuE8ELNS1_3repE0EEENS1_30default_config_static_selectorELNS0_4arch9wavefront6targetE0EEEvT1_,"axG",@progbits,_ZN7rocprim17ROCPRIM_400000_NS6detail17trampoline_kernelINS0_14default_configENS1_25partition_config_selectorILNS1_17partition_subalgoE9EtjbEEZZNS1_14partition_implILS5_9ELb0ES3_jN6thrust23THRUST_200600_302600_NS6detail15normal_iteratorINS9_10device_ptrItEEEENSB_INSC_IjEEEEPNS0_10empty_typeENS0_5tupleIJNS9_16discard_iteratorINS9_11use_defaultEEESH_EEENSJ_IJSG_SI_EEENS0_18inequality_wrapperINS9_8equal_toItEEEEPmJSH_EEE10hipError_tPvRmT3_T4_T5_T6_T7_T9_mT8_P12ihipStream_tbDpT10_ENKUlT_T0_E_clISt17integral_constantIbLb1EES1D_EEDaS18_S19_EUlS18_E_NS1_11comp_targetILNS1_3genE4ELNS1_11target_archE910ELNS1_3gpuE8ELNS1_3repE0EEENS1_30default_config_static_selectorELNS0_4arch9wavefront6targetE0EEEvT1_,comdat
.Lfunc_end959:
	.size	_ZN7rocprim17ROCPRIM_400000_NS6detail17trampoline_kernelINS0_14default_configENS1_25partition_config_selectorILNS1_17partition_subalgoE9EtjbEEZZNS1_14partition_implILS5_9ELb0ES3_jN6thrust23THRUST_200600_302600_NS6detail15normal_iteratorINS9_10device_ptrItEEEENSB_INSC_IjEEEEPNS0_10empty_typeENS0_5tupleIJNS9_16discard_iteratorINS9_11use_defaultEEESH_EEENSJ_IJSG_SI_EEENS0_18inequality_wrapperINS9_8equal_toItEEEEPmJSH_EEE10hipError_tPvRmT3_T4_T5_T6_T7_T9_mT8_P12ihipStream_tbDpT10_ENKUlT_T0_E_clISt17integral_constantIbLb1EES1D_EEDaS18_S19_EUlS18_E_NS1_11comp_targetILNS1_3genE4ELNS1_11target_archE910ELNS1_3gpuE8ELNS1_3repE0EEENS1_30default_config_static_selectorELNS0_4arch9wavefront6targetE0EEEvT1_, .Lfunc_end959-_ZN7rocprim17ROCPRIM_400000_NS6detail17trampoline_kernelINS0_14default_configENS1_25partition_config_selectorILNS1_17partition_subalgoE9EtjbEEZZNS1_14partition_implILS5_9ELb0ES3_jN6thrust23THRUST_200600_302600_NS6detail15normal_iteratorINS9_10device_ptrItEEEENSB_INSC_IjEEEEPNS0_10empty_typeENS0_5tupleIJNS9_16discard_iteratorINS9_11use_defaultEEESH_EEENSJ_IJSG_SI_EEENS0_18inequality_wrapperINS9_8equal_toItEEEEPmJSH_EEE10hipError_tPvRmT3_T4_T5_T6_T7_T9_mT8_P12ihipStream_tbDpT10_ENKUlT_T0_E_clISt17integral_constantIbLb1EES1D_EEDaS18_S19_EUlS18_E_NS1_11comp_targetILNS1_3genE4ELNS1_11target_archE910ELNS1_3gpuE8ELNS1_3repE0EEENS1_30default_config_static_selectorELNS0_4arch9wavefront6targetE0EEEvT1_
                                        ; -- End function
	.section	.AMDGPU.csdata,"",@progbits
; Kernel info:
; codeLenInByte = 0
; NumSgprs: 0
; NumVgprs: 0
; ScratchSize: 0
; MemoryBound: 0
; FloatMode: 240
; IeeeMode: 1
; LDSByteSize: 0 bytes/workgroup (compile time only)
; SGPRBlocks: 0
; VGPRBlocks: 0
; NumSGPRsForWavesPerEU: 1
; NumVGPRsForWavesPerEU: 1
; Occupancy: 15
; WaveLimiterHint : 0
; COMPUTE_PGM_RSRC2:SCRATCH_EN: 0
; COMPUTE_PGM_RSRC2:USER_SGPR: 15
; COMPUTE_PGM_RSRC2:TRAP_HANDLER: 0
; COMPUTE_PGM_RSRC2:TGID_X_EN: 1
; COMPUTE_PGM_RSRC2:TGID_Y_EN: 0
; COMPUTE_PGM_RSRC2:TGID_Z_EN: 0
; COMPUTE_PGM_RSRC2:TIDIG_COMP_CNT: 0
	.section	.text._ZN7rocprim17ROCPRIM_400000_NS6detail17trampoline_kernelINS0_14default_configENS1_25partition_config_selectorILNS1_17partition_subalgoE9EtjbEEZZNS1_14partition_implILS5_9ELb0ES3_jN6thrust23THRUST_200600_302600_NS6detail15normal_iteratorINS9_10device_ptrItEEEENSB_INSC_IjEEEEPNS0_10empty_typeENS0_5tupleIJNS9_16discard_iteratorINS9_11use_defaultEEESH_EEENSJ_IJSG_SI_EEENS0_18inequality_wrapperINS9_8equal_toItEEEEPmJSH_EEE10hipError_tPvRmT3_T4_T5_T6_T7_T9_mT8_P12ihipStream_tbDpT10_ENKUlT_T0_E_clISt17integral_constantIbLb1EES1D_EEDaS18_S19_EUlS18_E_NS1_11comp_targetILNS1_3genE3ELNS1_11target_archE908ELNS1_3gpuE7ELNS1_3repE0EEENS1_30default_config_static_selectorELNS0_4arch9wavefront6targetE0EEEvT1_,"axG",@progbits,_ZN7rocprim17ROCPRIM_400000_NS6detail17trampoline_kernelINS0_14default_configENS1_25partition_config_selectorILNS1_17partition_subalgoE9EtjbEEZZNS1_14partition_implILS5_9ELb0ES3_jN6thrust23THRUST_200600_302600_NS6detail15normal_iteratorINS9_10device_ptrItEEEENSB_INSC_IjEEEEPNS0_10empty_typeENS0_5tupleIJNS9_16discard_iteratorINS9_11use_defaultEEESH_EEENSJ_IJSG_SI_EEENS0_18inequality_wrapperINS9_8equal_toItEEEEPmJSH_EEE10hipError_tPvRmT3_T4_T5_T6_T7_T9_mT8_P12ihipStream_tbDpT10_ENKUlT_T0_E_clISt17integral_constantIbLb1EES1D_EEDaS18_S19_EUlS18_E_NS1_11comp_targetILNS1_3genE3ELNS1_11target_archE908ELNS1_3gpuE7ELNS1_3repE0EEENS1_30default_config_static_selectorELNS0_4arch9wavefront6targetE0EEEvT1_,comdat
	.protected	_ZN7rocprim17ROCPRIM_400000_NS6detail17trampoline_kernelINS0_14default_configENS1_25partition_config_selectorILNS1_17partition_subalgoE9EtjbEEZZNS1_14partition_implILS5_9ELb0ES3_jN6thrust23THRUST_200600_302600_NS6detail15normal_iteratorINS9_10device_ptrItEEEENSB_INSC_IjEEEEPNS0_10empty_typeENS0_5tupleIJNS9_16discard_iteratorINS9_11use_defaultEEESH_EEENSJ_IJSG_SI_EEENS0_18inequality_wrapperINS9_8equal_toItEEEEPmJSH_EEE10hipError_tPvRmT3_T4_T5_T6_T7_T9_mT8_P12ihipStream_tbDpT10_ENKUlT_T0_E_clISt17integral_constantIbLb1EES1D_EEDaS18_S19_EUlS18_E_NS1_11comp_targetILNS1_3genE3ELNS1_11target_archE908ELNS1_3gpuE7ELNS1_3repE0EEENS1_30default_config_static_selectorELNS0_4arch9wavefront6targetE0EEEvT1_ ; -- Begin function _ZN7rocprim17ROCPRIM_400000_NS6detail17trampoline_kernelINS0_14default_configENS1_25partition_config_selectorILNS1_17partition_subalgoE9EtjbEEZZNS1_14partition_implILS5_9ELb0ES3_jN6thrust23THRUST_200600_302600_NS6detail15normal_iteratorINS9_10device_ptrItEEEENSB_INSC_IjEEEEPNS0_10empty_typeENS0_5tupleIJNS9_16discard_iteratorINS9_11use_defaultEEESH_EEENSJ_IJSG_SI_EEENS0_18inequality_wrapperINS9_8equal_toItEEEEPmJSH_EEE10hipError_tPvRmT3_T4_T5_T6_T7_T9_mT8_P12ihipStream_tbDpT10_ENKUlT_T0_E_clISt17integral_constantIbLb1EES1D_EEDaS18_S19_EUlS18_E_NS1_11comp_targetILNS1_3genE3ELNS1_11target_archE908ELNS1_3gpuE7ELNS1_3repE0EEENS1_30default_config_static_selectorELNS0_4arch9wavefront6targetE0EEEvT1_
	.globl	_ZN7rocprim17ROCPRIM_400000_NS6detail17trampoline_kernelINS0_14default_configENS1_25partition_config_selectorILNS1_17partition_subalgoE9EtjbEEZZNS1_14partition_implILS5_9ELb0ES3_jN6thrust23THRUST_200600_302600_NS6detail15normal_iteratorINS9_10device_ptrItEEEENSB_INSC_IjEEEEPNS0_10empty_typeENS0_5tupleIJNS9_16discard_iteratorINS9_11use_defaultEEESH_EEENSJ_IJSG_SI_EEENS0_18inequality_wrapperINS9_8equal_toItEEEEPmJSH_EEE10hipError_tPvRmT3_T4_T5_T6_T7_T9_mT8_P12ihipStream_tbDpT10_ENKUlT_T0_E_clISt17integral_constantIbLb1EES1D_EEDaS18_S19_EUlS18_E_NS1_11comp_targetILNS1_3genE3ELNS1_11target_archE908ELNS1_3gpuE7ELNS1_3repE0EEENS1_30default_config_static_selectorELNS0_4arch9wavefront6targetE0EEEvT1_
	.p2align	8
	.type	_ZN7rocprim17ROCPRIM_400000_NS6detail17trampoline_kernelINS0_14default_configENS1_25partition_config_selectorILNS1_17partition_subalgoE9EtjbEEZZNS1_14partition_implILS5_9ELb0ES3_jN6thrust23THRUST_200600_302600_NS6detail15normal_iteratorINS9_10device_ptrItEEEENSB_INSC_IjEEEEPNS0_10empty_typeENS0_5tupleIJNS9_16discard_iteratorINS9_11use_defaultEEESH_EEENSJ_IJSG_SI_EEENS0_18inequality_wrapperINS9_8equal_toItEEEEPmJSH_EEE10hipError_tPvRmT3_T4_T5_T6_T7_T9_mT8_P12ihipStream_tbDpT10_ENKUlT_T0_E_clISt17integral_constantIbLb1EES1D_EEDaS18_S19_EUlS18_E_NS1_11comp_targetILNS1_3genE3ELNS1_11target_archE908ELNS1_3gpuE7ELNS1_3repE0EEENS1_30default_config_static_selectorELNS0_4arch9wavefront6targetE0EEEvT1_,@function
_ZN7rocprim17ROCPRIM_400000_NS6detail17trampoline_kernelINS0_14default_configENS1_25partition_config_selectorILNS1_17partition_subalgoE9EtjbEEZZNS1_14partition_implILS5_9ELb0ES3_jN6thrust23THRUST_200600_302600_NS6detail15normal_iteratorINS9_10device_ptrItEEEENSB_INSC_IjEEEEPNS0_10empty_typeENS0_5tupleIJNS9_16discard_iteratorINS9_11use_defaultEEESH_EEENSJ_IJSG_SI_EEENS0_18inequality_wrapperINS9_8equal_toItEEEEPmJSH_EEE10hipError_tPvRmT3_T4_T5_T6_T7_T9_mT8_P12ihipStream_tbDpT10_ENKUlT_T0_E_clISt17integral_constantIbLb1EES1D_EEDaS18_S19_EUlS18_E_NS1_11comp_targetILNS1_3genE3ELNS1_11target_archE908ELNS1_3gpuE7ELNS1_3repE0EEENS1_30default_config_static_selectorELNS0_4arch9wavefront6targetE0EEEvT1_: ; @_ZN7rocprim17ROCPRIM_400000_NS6detail17trampoline_kernelINS0_14default_configENS1_25partition_config_selectorILNS1_17partition_subalgoE9EtjbEEZZNS1_14partition_implILS5_9ELb0ES3_jN6thrust23THRUST_200600_302600_NS6detail15normal_iteratorINS9_10device_ptrItEEEENSB_INSC_IjEEEEPNS0_10empty_typeENS0_5tupleIJNS9_16discard_iteratorINS9_11use_defaultEEESH_EEENSJ_IJSG_SI_EEENS0_18inequality_wrapperINS9_8equal_toItEEEEPmJSH_EEE10hipError_tPvRmT3_T4_T5_T6_T7_T9_mT8_P12ihipStream_tbDpT10_ENKUlT_T0_E_clISt17integral_constantIbLb1EES1D_EEDaS18_S19_EUlS18_E_NS1_11comp_targetILNS1_3genE3ELNS1_11target_archE908ELNS1_3gpuE7ELNS1_3repE0EEENS1_30default_config_static_selectorELNS0_4arch9wavefront6targetE0EEEvT1_
; %bb.0:
	.section	.rodata,"a",@progbits
	.p2align	6, 0x0
	.amdhsa_kernel _ZN7rocprim17ROCPRIM_400000_NS6detail17trampoline_kernelINS0_14default_configENS1_25partition_config_selectorILNS1_17partition_subalgoE9EtjbEEZZNS1_14partition_implILS5_9ELb0ES3_jN6thrust23THRUST_200600_302600_NS6detail15normal_iteratorINS9_10device_ptrItEEEENSB_INSC_IjEEEEPNS0_10empty_typeENS0_5tupleIJNS9_16discard_iteratorINS9_11use_defaultEEESH_EEENSJ_IJSG_SI_EEENS0_18inequality_wrapperINS9_8equal_toItEEEEPmJSH_EEE10hipError_tPvRmT3_T4_T5_T6_T7_T9_mT8_P12ihipStream_tbDpT10_ENKUlT_T0_E_clISt17integral_constantIbLb1EES1D_EEDaS18_S19_EUlS18_E_NS1_11comp_targetILNS1_3genE3ELNS1_11target_archE908ELNS1_3gpuE7ELNS1_3repE0EEENS1_30default_config_static_selectorELNS0_4arch9wavefront6targetE0EEEvT1_
		.amdhsa_group_segment_fixed_size 0
		.amdhsa_private_segment_fixed_size 0
		.amdhsa_kernarg_size 136
		.amdhsa_user_sgpr_count 15
		.amdhsa_user_sgpr_dispatch_ptr 0
		.amdhsa_user_sgpr_queue_ptr 0
		.amdhsa_user_sgpr_kernarg_segment_ptr 1
		.amdhsa_user_sgpr_dispatch_id 0
		.amdhsa_user_sgpr_private_segment_size 0
		.amdhsa_wavefront_size32 1
		.amdhsa_uses_dynamic_stack 0
		.amdhsa_enable_private_segment 0
		.amdhsa_system_sgpr_workgroup_id_x 1
		.amdhsa_system_sgpr_workgroup_id_y 0
		.amdhsa_system_sgpr_workgroup_id_z 0
		.amdhsa_system_sgpr_workgroup_info 0
		.amdhsa_system_vgpr_workitem_id 0
		.amdhsa_next_free_vgpr 1
		.amdhsa_next_free_sgpr 1
		.amdhsa_reserve_vcc 0
		.amdhsa_float_round_mode_32 0
		.amdhsa_float_round_mode_16_64 0
		.amdhsa_float_denorm_mode_32 3
		.amdhsa_float_denorm_mode_16_64 3
		.amdhsa_dx10_clamp 1
		.amdhsa_ieee_mode 1
		.amdhsa_fp16_overflow 0
		.amdhsa_workgroup_processor_mode 1
		.amdhsa_memory_ordered 1
		.amdhsa_forward_progress 0
		.amdhsa_shared_vgpr_count 0
		.amdhsa_exception_fp_ieee_invalid_op 0
		.amdhsa_exception_fp_denorm_src 0
		.amdhsa_exception_fp_ieee_div_zero 0
		.amdhsa_exception_fp_ieee_overflow 0
		.amdhsa_exception_fp_ieee_underflow 0
		.amdhsa_exception_fp_ieee_inexact 0
		.amdhsa_exception_int_div_zero 0
	.end_amdhsa_kernel
	.section	.text._ZN7rocprim17ROCPRIM_400000_NS6detail17trampoline_kernelINS0_14default_configENS1_25partition_config_selectorILNS1_17partition_subalgoE9EtjbEEZZNS1_14partition_implILS5_9ELb0ES3_jN6thrust23THRUST_200600_302600_NS6detail15normal_iteratorINS9_10device_ptrItEEEENSB_INSC_IjEEEEPNS0_10empty_typeENS0_5tupleIJNS9_16discard_iteratorINS9_11use_defaultEEESH_EEENSJ_IJSG_SI_EEENS0_18inequality_wrapperINS9_8equal_toItEEEEPmJSH_EEE10hipError_tPvRmT3_T4_T5_T6_T7_T9_mT8_P12ihipStream_tbDpT10_ENKUlT_T0_E_clISt17integral_constantIbLb1EES1D_EEDaS18_S19_EUlS18_E_NS1_11comp_targetILNS1_3genE3ELNS1_11target_archE908ELNS1_3gpuE7ELNS1_3repE0EEENS1_30default_config_static_selectorELNS0_4arch9wavefront6targetE0EEEvT1_,"axG",@progbits,_ZN7rocprim17ROCPRIM_400000_NS6detail17trampoline_kernelINS0_14default_configENS1_25partition_config_selectorILNS1_17partition_subalgoE9EtjbEEZZNS1_14partition_implILS5_9ELb0ES3_jN6thrust23THRUST_200600_302600_NS6detail15normal_iteratorINS9_10device_ptrItEEEENSB_INSC_IjEEEEPNS0_10empty_typeENS0_5tupleIJNS9_16discard_iteratorINS9_11use_defaultEEESH_EEENSJ_IJSG_SI_EEENS0_18inequality_wrapperINS9_8equal_toItEEEEPmJSH_EEE10hipError_tPvRmT3_T4_T5_T6_T7_T9_mT8_P12ihipStream_tbDpT10_ENKUlT_T0_E_clISt17integral_constantIbLb1EES1D_EEDaS18_S19_EUlS18_E_NS1_11comp_targetILNS1_3genE3ELNS1_11target_archE908ELNS1_3gpuE7ELNS1_3repE0EEENS1_30default_config_static_selectorELNS0_4arch9wavefront6targetE0EEEvT1_,comdat
.Lfunc_end960:
	.size	_ZN7rocprim17ROCPRIM_400000_NS6detail17trampoline_kernelINS0_14default_configENS1_25partition_config_selectorILNS1_17partition_subalgoE9EtjbEEZZNS1_14partition_implILS5_9ELb0ES3_jN6thrust23THRUST_200600_302600_NS6detail15normal_iteratorINS9_10device_ptrItEEEENSB_INSC_IjEEEEPNS0_10empty_typeENS0_5tupleIJNS9_16discard_iteratorINS9_11use_defaultEEESH_EEENSJ_IJSG_SI_EEENS0_18inequality_wrapperINS9_8equal_toItEEEEPmJSH_EEE10hipError_tPvRmT3_T4_T5_T6_T7_T9_mT8_P12ihipStream_tbDpT10_ENKUlT_T0_E_clISt17integral_constantIbLb1EES1D_EEDaS18_S19_EUlS18_E_NS1_11comp_targetILNS1_3genE3ELNS1_11target_archE908ELNS1_3gpuE7ELNS1_3repE0EEENS1_30default_config_static_selectorELNS0_4arch9wavefront6targetE0EEEvT1_, .Lfunc_end960-_ZN7rocprim17ROCPRIM_400000_NS6detail17trampoline_kernelINS0_14default_configENS1_25partition_config_selectorILNS1_17partition_subalgoE9EtjbEEZZNS1_14partition_implILS5_9ELb0ES3_jN6thrust23THRUST_200600_302600_NS6detail15normal_iteratorINS9_10device_ptrItEEEENSB_INSC_IjEEEEPNS0_10empty_typeENS0_5tupleIJNS9_16discard_iteratorINS9_11use_defaultEEESH_EEENSJ_IJSG_SI_EEENS0_18inequality_wrapperINS9_8equal_toItEEEEPmJSH_EEE10hipError_tPvRmT3_T4_T5_T6_T7_T9_mT8_P12ihipStream_tbDpT10_ENKUlT_T0_E_clISt17integral_constantIbLb1EES1D_EEDaS18_S19_EUlS18_E_NS1_11comp_targetILNS1_3genE3ELNS1_11target_archE908ELNS1_3gpuE7ELNS1_3repE0EEENS1_30default_config_static_selectorELNS0_4arch9wavefront6targetE0EEEvT1_
                                        ; -- End function
	.section	.AMDGPU.csdata,"",@progbits
; Kernel info:
; codeLenInByte = 0
; NumSgprs: 0
; NumVgprs: 0
; ScratchSize: 0
; MemoryBound: 0
; FloatMode: 240
; IeeeMode: 1
; LDSByteSize: 0 bytes/workgroup (compile time only)
; SGPRBlocks: 0
; VGPRBlocks: 0
; NumSGPRsForWavesPerEU: 1
; NumVGPRsForWavesPerEU: 1
; Occupancy: 16
; WaveLimiterHint : 0
; COMPUTE_PGM_RSRC2:SCRATCH_EN: 0
; COMPUTE_PGM_RSRC2:USER_SGPR: 15
; COMPUTE_PGM_RSRC2:TRAP_HANDLER: 0
; COMPUTE_PGM_RSRC2:TGID_X_EN: 1
; COMPUTE_PGM_RSRC2:TGID_Y_EN: 0
; COMPUTE_PGM_RSRC2:TGID_Z_EN: 0
; COMPUTE_PGM_RSRC2:TIDIG_COMP_CNT: 0
	.section	.text._ZN7rocprim17ROCPRIM_400000_NS6detail17trampoline_kernelINS0_14default_configENS1_25partition_config_selectorILNS1_17partition_subalgoE9EtjbEEZZNS1_14partition_implILS5_9ELb0ES3_jN6thrust23THRUST_200600_302600_NS6detail15normal_iteratorINS9_10device_ptrItEEEENSB_INSC_IjEEEEPNS0_10empty_typeENS0_5tupleIJNS9_16discard_iteratorINS9_11use_defaultEEESH_EEENSJ_IJSG_SI_EEENS0_18inequality_wrapperINS9_8equal_toItEEEEPmJSH_EEE10hipError_tPvRmT3_T4_T5_T6_T7_T9_mT8_P12ihipStream_tbDpT10_ENKUlT_T0_E_clISt17integral_constantIbLb1EES1D_EEDaS18_S19_EUlS18_E_NS1_11comp_targetILNS1_3genE2ELNS1_11target_archE906ELNS1_3gpuE6ELNS1_3repE0EEENS1_30default_config_static_selectorELNS0_4arch9wavefront6targetE0EEEvT1_,"axG",@progbits,_ZN7rocprim17ROCPRIM_400000_NS6detail17trampoline_kernelINS0_14default_configENS1_25partition_config_selectorILNS1_17partition_subalgoE9EtjbEEZZNS1_14partition_implILS5_9ELb0ES3_jN6thrust23THRUST_200600_302600_NS6detail15normal_iteratorINS9_10device_ptrItEEEENSB_INSC_IjEEEEPNS0_10empty_typeENS0_5tupleIJNS9_16discard_iteratorINS9_11use_defaultEEESH_EEENSJ_IJSG_SI_EEENS0_18inequality_wrapperINS9_8equal_toItEEEEPmJSH_EEE10hipError_tPvRmT3_T4_T5_T6_T7_T9_mT8_P12ihipStream_tbDpT10_ENKUlT_T0_E_clISt17integral_constantIbLb1EES1D_EEDaS18_S19_EUlS18_E_NS1_11comp_targetILNS1_3genE2ELNS1_11target_archE906ELNS1_3gpuE6ELNS1_3repE0EEENS1_30default_config_static_selectorELNS0_4arch9wavefront6targetE0EEEvT1_,comdat
	.protected	_ZN7rocprim17ROCPRIM_400000_NS6detail17trampoline_kernelINS0_14default_configENS1_25partition_config_selectorILNS1_17partition_subalgoE9EtjbEEZZNS1_14partition_implILS5_9ELb0ES3_jN6thrust23THRUST_200600_302600_NS6detail15normal_iteratorINS9_10device_ptrItEEEENSB_INSC_IjEEEEPNS0_10empty_typeENS0_5tupleIJNS9_16discard_iteratorINS9_11use_defaultEEESH_EEENSJ_IJSG_SI_EEENS0_18inequality_wrapperINS9_8equal_toItEEEEPmJSH_EEE10hipError_tPvRmT3_T4_T5_T6_T7_T9_mT8_P12ihipStream_tbDpT10_ENKUlT_T0_E_clISt17integral_constantIbLb1EES1D_EEDaS18_S19_EUlS18_E_NS1_11comp_targetILNS1_3genE2ELNS1_11target_archE906ELNS1_3gpuE6ELNS1_3repE0EEENS1_30default_config_static_selectorELNS0_4arch9wavefront6targetE0EEEvT1_ ; -- Begin function _ZN7rocprim17ROCPRIM_400000_NS6detail17trampoline_kernelINS0_14default_configENS1_25partition_config_selectorILNS1_17partition_subalgoE9EtjbEEZZNS1_14partition_implILS5_9ELb0ES3_jN6thrust23THRUST_200600_302600_NS6detail15normal_iteratorINS9_10device_ptrItEEEENSB_INSC_IjEEEEPNS0_10empty_typeENS0_5tupleIJNS9_16discard_iteratorINS9_11use_defaultEEESH_EEENSJ_IJSG_SI_EEENS0_18inequality_wrapperINS9_8equal_toItEEEEPmJSH_EEE10hipError_tPvRmT3_T4_T5_T6_T7_T9_mT8_P12ihipStream_tbDpT10_ENKUlT_T0_E_clISt17integral_constantIbLb1EES1D_EEDaS18_S19_EUlS18_E_NS1_11comp_targetILNS1_3genE2ELNS1_11target_archE906ELNS1_3gpuE6ELNS1_3repE0EEENS1_30default_config_static_selectorELNS0_4arch9wavefront6targetE0EEEvT1_
	.globl	_ZN7rocprim17ROCPRIM_400000_NS6detail17trampoline_kernelINS0_14default_configENS1_25partition_config_selectorILNS1_17partition_subalgoE9EtjbEEZZNS1_14partition_implILS5_9ELb0ES3_jN6thrust23THRUST_200600_302600_NS6detail15normal_iteratorINS9_10device_ptrItEEEENSB_INSC_IjEEEEPNS0_10empty_typeENS0_5tupleIJNS9_16discard_iteratorINS9_11use_defaultEEESH_EEENSJ_IJSG_SI_EEENS0_18inequality_wrapperINS9_8equal_toItEEEEPmJSH_EEE10hipError_tPvRmT3_T4_T5_T6_T7_T9_mT8_P12ihipStream_tbDpT10_ENKUlT_T0_E_clISt17integral_constantIbLb1EES1D_EEDaS18_S19_EUlS18_E_NS1_11comp_targetILNS1_3genE2ELNS1_11target_archE906ELNS1_3gpuE6ELNS1_3repE0EEENS1_30default_config_static_selectorELNS0_4arch9wavefront6targetE0EEEvT1_
	.p2align	8
	.type	_ZN7rocprim17ROCPRIM_400000_NS6detail17trampoline_kernelINS0_14default_configENS1_25partition_config_selectorILNS1_17partition_subalgoE9EtjbEEZZNS1_14partition_implILS5_9ELb0ES3_jN6thrust23THRUST_200600_302600_NS6detail15normal_iteratorINS9_10device_ptrItEEEENSB_INSC_IjEEEEPNS0_10empty_typeENS0_5tupleIJNS9_16discard_iteratorINS9_11use_defaultEEESH_EEENSJ_IJSG_SI_EEENS0_18inequality_wrapperINS9_8equal_toItEEEEPmJSH_EEE10hipError_tPvRmT3_T4_T5_T6_T7_T9_mT8_P12ihipStream_tbDpT10_ENKUlT_T0_E_clISt17integral_constantIbLb1EES1D_EEDaS18_S19_EUlS18_E_NS1_11comp_targetILNS1_3genE2ELNS1_11target_archE906ELNS1_3gpuE6ELNS1_3repE0EEENS1_30default_config_static_selectorELNS0_4arch9wavefront6targetE0EEEvT1_,@function
_ZN7rocprim17ROCPRIM_400000_NS6detail17trampoline_kernelINS0_14default_configENS1_25partition_config_selectorILNS1_17partition_subalgoE9EtjbEEZZNS1_14partition_implILS5_9ELb0ES3_jN6thrust23THRUST_200600_302600_NS6detail15normal_iteratorINS9_10device_ptrItEEEENSB_INSC_IjEEEEPNS0_10empty_typeENS0_5tupleIJNS9_16discard_iteratorINS9_11use_defaultEEESH_EEENSJ_IJSG_SI_EEENS0_18inequality_wrapperINS9_8equal_toItEEEEPmJSH_EEE10hipError_tPvRmT3_T4_T5_T6_T7_T9_mT8_P12ihipStream_tbDpT10_ENKUlT_T0_E_clISt17integral_constantIbLb1EES1D_EEDaS18_S19_EUlS18_E_NS1_11comp_targetILNS1_3genE2ELNS1_11target_archE906ELNS1_3gpuE6ELNS1_3repE0EEENS1_30default_config_static_selectorELNS0_4arch9wavefront6targetE0EEEvT1_: ; @_ZN7rocprim17ROCPRIM_400000_NS6detail17trampoline_kernelINS0_14default_configENS1_25partition_config_selectorILNS1_17partition_subalgoE9EtjbEEZZNS1_14partition_implILS5_9ELb0ES3_jN6thrust23THRUST_200600_302600_NS6detail15normal_iteratorINS9_10device_ptrItEEEENSB_INSC_IjEEEEPNS0_10empty_typeENS0_5tupleIJNS9_16discard_iteratorINS9_11use_defaultEEESH_EEENSJ_IJSG_SI_EEENS0_18inequality_wrapperINS9_8equal_toItEEEEPmJSH_EEE10hipError_tPvRmT3_T4_T5_T6_T7_T9_mT8_P12ihipStream_tbDpT10_ENKUlT_T0_E_clISt17integral_constantIbLb1EES1D_EEDaS18_S19_EUlS18_E_NS1_11comp_targetILNS1_3genE2ELNS1_11target_archE906ELNS1_3gpuE6ELNS1_3repE0EEENS1_30default_config_static_selectorELNS0_4arch9wavefront6targetE0EEEvT1_
; %bb.0:
	.section	.rodata,"a",@progbits
	.p2align	6, 0x0
	.amdhsa_kernel _ZN7rocprim17ROCPRIM_400000_NS6detail17trampoline_kernelINS0_14default_configENS1_25partition_config_selectorILNS1_17partition_subalgoE9EtjbEEZZNS1_14partition_implILS5_9ELb0ES3_jN6thrust23THRUST_200600_302600_NS6detail15normal_iteratorINS9_10device_ptrItEEEENSB_INSC_IjEEEEPNS0_10empty_typeENS0_5tupleIJNS9_16discard_iteratorINS9_11use_defaultEEESH_EEENSJ_IJSG_SI_EEENS0_18inequality_wrapperINS9_8equal_toItEEEEPmJSH_EEE10hipError_tPvRmT3_T4_T5_T6_T7_T9_mT8_P12ihipStream_tbDpT10_ENKUlT_T0_E_clISt17integral_constantIbLb1EES1D_EEDaS18_S19_EUlS18_E_NS1_11comp_targetILNS1_3genE2ELNS1_11target_archE906ELNS1_3gpuE6ELNS1_3repE0EEENS1_30default_config_static_selectorELNS0_4arch9wavefront6targetE0EEEvT1_
		.amdhsa_group_segment_fixed_size 0
		.amdhsa_private_segment_fixed_size 0
		.amdhsa_kernarg_size 136
		.amdhsa_user_sgpr_count 15
		.amdhsa_user_sgpr_dispatch_ptr 0
		.amdhsa_user_sgpr_queue_ptr 0
		.amdhsa_user_sgpr_kernarg_segment_ptr 1
		.amdhsa_user_sgpr_dispatch_id 0
		.amdhsa_user_sgpr_private_segment_size 0
		.amdhsa_wavefront_size32 1
		.amdhsa_uses_dynamic_stack 0
		.amdhsa_enable_private_segment 0
		.amdhsa_system_sgpr_workgroup_id_x 1
		.amdhsa_system_sgpr_workgroup_id_y 0
		.amdhsa_system_sgpr_workgroup_id_z 0
		.amdhsa_system_sgpr_workgroup_info 0
		.amdhsa_system_vgpr_workitem_id 0
		.amdhsa_next_free_vgpr 1
		.amdhsa_next_free_sgpr 1
		.amdhsa_reserve_vcc 0
		.amdhsa_float_round_mode_32 0
		.amdhsa_float_round_mode_16_64 0
		.amdhsa_float_denorm_mode_32 3
		.amdhsa_float_denorm_mode_16_64 3
		.amdhsa_dx10_clamp 1
		.amdhsa_ieee_mode 1
		.amdhsa_fp16_overflow 0
		.amdhsa_workgroup_processor_mode 1
		.amdhsa_memory_ordered 1
		.amdhsa_forward_progress 0
		.amdhsa_shared_vgpr_count 0
		.amdhsa_exception_fp_ieee_invalid_op 0
		.amdhsa_exception_fp_denorm_src 0
		.amdhsa_exception_fp_ieee_div_zero 0
		.amdhsa_exception_fp_ieee_overflow 0
		.amdhsa_exception_fp_ieee_underflow 0
		.amdhsa_exception_fp_ieee_inexact 0
		.amdhsa_exception_int_div_zero 0
	.end_amdhsa_kernel
	.section	.text._ZN7rocprim17ROCPRIM_400000_NS6detail17trampoline_kernelINS0_14default_configENS1_25partition_config_selectorILNS1_17partition_subalgoE9EtjbEEZZNS1_14partition_implILS5_9ELb0ES3_jN6thrust23THRUST_200600_302600_NS6detail15normal_iteratorINS9_10device_ptrItEEEENSB_INSC_IjEEEEPNS0_10empty_typeENS0_5tupleIJNS9_16discard_iteratorINS9_11use_defaultEEESH_EEENSJ_IJSG_SI_EEENS0_18inequality_wrapperINS9_8equal_toItEEEEPmJSH_EEE10hipError_tPvRmT3_T4_T5_T6_T7_T9_mT8_P12ihipStream_tbDpT10_ENKUlT_T0_E_clISt17integral_constantIbLb1EES1D_EEDaS18_S19_EUlS18_E_NS1_11comp_targetILNS1_3genE2ELNS1_11target_archE906ELNS1_3gpuE6ELNS1_3repE0EEENS1_30default_config_static_selectorELNS0_4arch9wavefront6targetE0EEEvT1_,"axG",@progbits,_ZN7rocprim17ROCPRIM_400000_NS6detail17trampoline_kernelINS0_14default_configENS1_25partition_config_selectorILNS1_17partition_subalgoE9EtjbEEZZNS1_14partition_implILS5_9ELb0ES3_jN6thrust23THRUST_200600_302600_NS6detail15normal_iteratorINS9_10device_ptrItEEEENSB_INSC_IjEEEEPNS0_10empty_typeENS0_5tupleIJNS9_16discard_iteratorINS9_11use_defaultEEESH_EEENSJ_IJSG_SI_EEENS0_18inequality_wrapperINS9_8equal_toItEEEEPmJSH_EEE10hipError_tPvRmT3_T4_T5_T6_T7_T9_mT8_P12ihipStream_tbDpT10_ENKUlT_T0_E_clISt17integral_constantIbLb1EES1D_EEDaS18_S19_EUlS18_E_NS1_11comp_targetILNS1_3genE2ELNS1_11target_archE906ELNS1_3gpuE6ELNS1_3repE0EEENS1_30default_config_static_selectorELNS0_4arch9wavefront6targetE0EEEvT1_,comdat
.Lfunc_end961:
	.size	_ZN7rocprim17ROCPRIM_400000_NS6detail17trampoline_kernelINS0_14default_configENS1_25partition_config_selectorILNS1_17partition_subalgoE9EtjbEEZZNS1_14partition_implILS5_9ELb0ES3_jN6thrust23THRUST_200600_302600_NS6detail15normal_iteratorINS9_10device_ptrItEEEENSB_INSC_IjEEEEPNS0_10empty_typeENS0_5tupleIJNS9_16discard_iteratorINS9_11use_defaultEEESH_EEENSJ_IJSG_SI_EEENS0_18inequality_wrapperINS9_8equal_toItEEEEPmJSH_EEE10hipError_tPvRmT3_T4_T5_T6_T7_T9_mT8_P12ihipStream_tbDpT10_ENKUlT_T0_E_clISt17integral_constantIbLb1EES1D_EEDaS18_S19_EUlS18_E_NS1_11comp_targetILNS1_3genE2ELNS1_11target_archE906ELNS1_3gpuE6ELNS1_3repE0EEENS1_30default_config_static_selectorELNS0_4arch9wavefront6targetE0EEEvT1_, .Lfunc_end961-_ZN7rocprim17ROCPRIM_400000_NS6detail17trampoline_kernelINS0_14default_configENS1_25partition_config_selectorILNS1_17partition_subalgoE9EtjbEEZZNS1_14partition_implILS5_9ELb0ES3_jN6thrust23THRUST_200600_302600_NS6detail15normal_iteratorINS9_10device_ptrItEEEENSB_INSC_IjEEEEPNS0_10empty_typeENS0_5tupleIJNS9_16discard_iteratorINS9_11use_defaultEEESH_EEENSJ_IJSG_SI_EEENS0_18inequality_wrapperINS9_8equal_toItEEEEPmJSH_EEE10hipError_tPvRmT3_T4_T5_T6_T7_T9_mT8_P12ihipStream_tbDpT10_ENKUlT_T0_E_clISt17integral_constantIbLb1EES1D_EEDaS18_S19_EUlS18_E_NS1_11comp_targetILNS1_3genE2ELNS1_11target_archE906ELNS1_3gpuE6ELNS1_3repE0EEENS1_30default_config_static_selectorELNS0_4arch9wavefront6targetE0EEEvT1_
                                        ; -- End function
	.section	.AMDGPU.csdata,"",@progbits
; Kernel info:
; codeLenInByte = 0
; NumSgprs: 0
; NumVgprs: 0
; ScratchSize: 0
; MemoryBound: 0
; FloatMode: 240
; IeeeMode: 1
; LDSByteSize: 0 bytes/workgroup (compile time only)
; SGPRBlocks: 0
; VGPRBlocks: 0
; NumSGPRsForWavesPerEU: 1
; NumVGPRsForWavesPerEU: 1
; Occupancy: 16
; WaveLimiterHint : 0
; COMPUTE_PGM_RSRC2:SCRATCH_EN: 0
; COMPUTE_PGM_RSRC2:USER_SGPR: 15
; COMPUTE_PGM_RSRC2:TRAP_HANDLER: 0
; COMPUTE_PGM_RSRC2:TGID_X_EN: 1
; COMPUTE_PGM_RSRC2:TGID_Y_EN: 0
; COMPUTE_PGM_RSRC2:TGID_Z_EN: 0
; COMPUTE_PGM_RSRC2:TIDIG_COMP_CNT: 0
	.section	.text._ZN7rocprim17ROCPRIM_400000_NS6detail17trampoline_kernelINS0_14default_configENS1_25partition_config_selectorILNS1_17partition_subalgoE9EtjbEEZZNS1_14partition_implILS5_9ELb0ES3_jN6thrust23THRUST_200600_302600_NS6detail15normal_iteratorINS9_10device_ptrItEEEENSB_INSC_IjEEEEPNS0_10empty_typeENS0_5tupleIJNS9_16discard_iteratorINS9_11use_defaultEEESH_EEENSJ_IJSG_SI_EEENS0_18inequality_wrapperINS9_8equal_toItEEEEPmJSH_EEE10hipError_tPvRmT3_T4_T5_T6_T7_T9_mT8_P12ihipStream_tbDpT10_ENKUlT_T0_E_clISt17integral_constantIbLb1EES1D_EEDaS18_S19_EUlS18_E_NS1_11comp_targetILNS1_3genE10ELNS1_11target_archE1200ELNS1_3gpuE4ELNS1_3repE0EEENS1_30default_config_static_selectorELNS0_4arch9wavefront6targetE0EEEvT1_,"axG",@progbits,_ZN7rocprim17ROCPRIM_400000_NS6detail17trampoline_kernelINS0_14default_configENS1_25partition_config_selectorILNS1_17partition_subalgoE9EtjbEEZZNS1_14partition_implILS5_9ELb0ES3_jN6thrust23THRUST_200600_302600_NS6detail15normal_iteratorINS9_10device_ptrItEEEENSB_INSC_IjEEEEPNS0_10empty_typeENS0_5tupleIJNS9_16discard_iteratorINS9_11use_defaultEEESH_EEENSJ_IJSG_SI_EEENS0_18inequality_wrapperINS9_8equal_toItEEEEPmJSH_EEE10hipError_tPvRmT3_T4_T5_T6_T7_T9_mT8_P12ihipStream_tbDpT10_ENKUlT_T0_E_clISt17integral_constantIbLb1EES1D_EEDaS18_S19_EUlS18_E_NS1_11comp_targetILNS1_3genE10ELNS1_11target_archE1200ELNS1_3gpuE4ELNS1_3repE0EEENS1_30default_config_static_selectorELNS0_4arch9wavefront6targetE0EEEvT1_,comdat
	.protected	_ZN7rocprim17ROCPRIM_400000_NS6detail17trampoline_kernelINS0_14default_configENS1_25partition_config_selectorILNS1_17partition_subalgoE9EtjbEEZZNS1_14partition_implILS5_9ELb0ES3_jN6thrust23THRUST_200600_302600_NS6detail15normal_iteratorINS9_10device_ptrItEEEENSB_INSC_IjEEEEPNS0_10empty_typeENS0_5tupleIJNS9_16discard_iteratorINS9_11use_defaultEEESH_EEENSJ_IJSG_SI_EEENS0_18inequality_wrapperINS9_8equal_toItEEEEPmJSH_EEE10hipError_tPvRmT3_T4_T5_T6_T7_T9_mT8_P12ihipStream_tbDpT10_ENKUlT_T0_E_clISt17integral_constantIbLb1EES1D_EEDaS18_S19_EUlS18_E_NS1_11comp_targetILNS1_3genE10ELNS1_11target_archE1200ELNS1_3gpuE4ELNS1_3repE0EEENS1_30default_config_static_selectorELNS0_4arch9wavefront6targetE0EEEvT1_ ; -- Begin function _ZN7rocprim17ROCPRIM_400000_NS6detail17trampoline_kernelINS0_14default_configENS1_25partition_config_selectorILNS1_17partition_subalgoE9EtjbEEZZNS1_14partition_implILS5_9ELb0ES3_jN6thrust23THRUST_200600_302600_NS6detail15normal_iteratorINS9_10device_ptrItEEEENSB_INSC_IjEEEEPNS0_10empty_typeENS0_5tupleIJNS9_16discard_iteratorINS9_11use_defaultEEESH_EEENSJ_IJSG_SI_EEENS0_18inequality_wrapperINS9_8equal_toItEEEEPmJSH_EEE10hipError_tPvRmT3_T4_T5_T6_T7_T9_mT8_P12ihipStream_tbDpT10_ENKUlT_T0_E_clISt17integral_constantIbLb1EES1D_EEDaS18_S19_EUlS18_E_NS1_11comp_targetILNS1_3genE10ELNS1_11target_archE1200ELNS1_3gpuE4ELNS1_3repE0EEENS1_30default_config_static_selectorELNS0_4arch9wavefront6targetE0EEEvT1_
	.globl	_ZN7rocprim17ROCPRIM_400000_NS6detail17trampoline_kernelINS0_14default_configENS1_25partition_config_selectorILNS1_17partition_subalgoE9EtjbEEZZNS1_14partition_implILS5_9ELb0ES3_jN6thrust23THRUST_200600_302600_NS6detail15normal_iteratorINS9_10device_ptrItEEEENSB_INSC_IjEEEEPNS0_10empty_typeENS0_5tupleIJNS9_16discard_iteratorINS9_11use_defaultEEESH_EEENSJ_IJSG_SI_EEENS0_18inequality_wrapperINS9_8equal_toItEEEEPmJSH_EEE10hipError_tPvRmT3_T4_T5_T6_T7_T9_mT8_P12ihipStream_tbDpT10_ENKUlT_T0_E_clISt17integral_constantIbLb1EES1D_EEDaS18_S19_EUlS18_E_NS1_11comp_targetILNS1_3genE10ELNS1_11target_archE1200ELNS1_3gpuE4ELNS1_3repE0EEENS1_30default_config_static_selectorELNS0_4arch9wavefront6targetE0EEEvT1_
	.p2align	8
	.type	_ZN7rocprim17ROCPRIM_400000_NS6detail17trampoline_kernelINS0_14default_configENS1_25partition_config_selectorILNS1_17partition_subalgoE9EtjbEEZZNS1_14partition_implILS5_9ELb0ES3_jN6thrust23THRUST_200600_302600_NS6detail15normal_iteratorINS9_10device_ptrItEEEENSB_INSC_IjEEEEPNS0_10empty_typeENS0_5tupleIJNS9_16discard_iteratorINS9_11use_defaultEEESH_EEENSJ_IJSG_SI_EEENS0_18inequality_wrapperINS9_8equal_toItEEEEPmJSH_EEE10hipError_tPvRmT3_T4_T5_T6_T7_T9_mT8_P12ihipStream_tbDpT10_ENKUlT_T0_E_clISt17integral_constantIbLb1EES1D_EEDaS18_S19_EUlS18_E_NS1_11comp_targetILNS1_3genE10ELNS1_11target_archE1200ELNS1_3gpuE4ELNS1_3repE0EEENS1_30default_config_static_selectorELNS0_4arch9wavefront6targetE0EEEvT1_,@function
_ZN7rocprim17ROCPRIM_400000_NS6detail17trampoline_kernelINS0_14default_configENS1_25partition_config_selectorILNS1_17partition_subalgoE9EtjbEEZZNS1_14partition_implILS5_9ELb0ES3_jN6thrust23THRUST_200600_302600_NS6detail15normal_iteratorINS9_10device_ptrItEEEENSB_INSC_IjEEEEPNS0_10empty_typeENS0_5tupleIJNS9_16discard_iteratorINS9_11use_defaultEEESH_EEENSJ_IJSG_SI_EEENS0_18inequality_wrapperINS9_8equal_toItEEEEPmJSH_EEE10hipError_tPvRmT3_T4_T5_T6_T7_T9_mT8_P12ihipStream_tbDpT10_ENKUlT_T0_E_clISt17integral_constantIbLb1EES1D_EEDaS18_S19_EUlS18_E_NS1_11comp_targetILNS1_3genE10ELNS1_11target_archE1200ELNS1_3gpuE4ELNS1_3repE0EEENS1_30default_config_static_selectorELNS0_4arch9wavefront6targetE0EEEvT1_: ; @_ZN7rocprim17ROCPRIM_400000_NS6detail17trampoline_kernelINS0_14default_configENS1_25partition_config_selectorILNS1_17partition_subalgoE9EtjbEEZZNS1_14partition_implILS5_9ELb0ES3_jN6thrust23THRUST_200600_302600_NS6detail15normal_iteratorINS9_10device_ptrItEEEENSB_INSC_IjEEEEPNS0_10empty_typeENS0_5tupleIJNS9_16discard_iteratorINS9_11use_defaultEEESH_EEENSJ_IJSG_SI_EEENS0_18inequality_wrapperINS9_8equal_toItEEEEPmJSH_EEE10hipError_tPvRmT3_T4_T5_T6_T7_T9_mT8_P12ihipStream_tbDpT10_ENKUlT_T0_E_clISt17integral_constantIbLb1EES1D_EEDaS18_S19_EUlS18_E_NS1_11comp_targetILNS1_3genE10ELNS1_11target_archE1200ELNS1_3gpuE4ELNS1_3repE0EEENS1_30default_config_static_selectorELNS0_4arch9wavefront6targetE0EEEvT1_
; %bb.0:
	.section	.rodata,"a",@progbits
	.p2align	6, 0x0
	.amdhsa_kernel _ZN7rocprim17ROCPRIM_400000_NS6detail17trampoline_kernelINS0_14default_configENS1_25partition_config_selectorILNS1_17partition_subalgoE9EtjbEEZZNS1_14partition_implILS5_9ELb0ES3_jN6thrust23THRUST_200600_302600_NS6detail15normal_iteratorINS9_10device_ptrItEEEENSB_INSC_IjEEEEPNS0_10empty_typeENS0_5tupleIJNS9_16discard_iteratorINS9_11use_defaultEEESH_EEENSJ_IJSG_SI_EEENS0_18inequality_wrapperINS9_8equal_toItEEEEPmJSH_EEE10hipError_tPvRmT3_T4_T5_T6_T7_T9_mT8_P12ihipStream_tbDpT10_ENKUlT_T0_E_clISt17integral_constantIbLb1EES1D_EEDaS18_S19_EUlS18_E_NS1_11comp_targetILNS1_3genE10ELNS1_11target_archE1200ELNS1_3gpuE4ELNS1_3repE0EEENS1_30default_config_static_selectorELNS0_4arch9wavefront6targetE0EEEvT1_
		.amdhsa_group_segment_fixed_size 0
		.amdhsa_private_segment_fixed_size 0
		.amdhsa_kernarg_size 136
		.amdhsa_user_sgpr_count 15
		.amdhsa_user_sgpr_dispatch_ptr 0
		.amdhsa_user_sgpr_queue_ptr 0
		.amdhsa_user_sgpr_kernarg_segment_ptr 1
		.amdhsa_user_sgpr_dispatch_id 0
		.amdhsa_user_sgpr_private_segment_size 0
		.amdhsa_wavefront_size32 1
		.amdhsa_uses_dynamic_stack 0
		.amdhsa_enable_private_segment 0
		.amdhsa_system_sgpr_workgroup_id_x 1
		.amdhsa_system_sgpr_workgroup_id_y 0
		.amdhsa_system_sgpr_workgroup_id_z 0
		.amdhsa_system_sgpr_workgroup_info 0
		.amdhsa_system_vgpr_workitem_id 0
		.amdhsa_next_free_vgpr 1
		.amdhsa_next_free_sgpr 1
		.amdhsa_reserve_vcc 0
		.amdhsa_float_round_mode_32 0
		.amdhsa_float_round_mode_16_64 0
		.amdhsa_float_denorm_mode_32 3
		.amdhsa_float_denorm_mode_16_64 3
		.amdhsa_dx10_clamp 1
		.amdhsa_ieee_mode 1
		.amdhsa_fp16_overflow 0
		.amdhsa_workgroup_processor_mode 1
		.amdhsa_memory_ordered 1
		.amdhsa_forward_progress 0
		.amdhsa_shared_vgpr_count 0
		.amdhsa_exception_fp_ieee_invalid_op 0
		.amdhsa_exception_fp_denorm_src 0
		.amdhsa_exception_fp_ieee_div_zero 0
		.amdhsa_exception_fp_ieee_overflow 0
		.amdhsa_exception_fp_ieee_underflow 0
		.amdhsa_exception_fp_ieee_inexact 0
		.amdhsa_exception_int_div_zero 0
	.end_amdhsa_kernel
	.section	.text._ZN7rocprim17ROCPRIM_400000_NS6detail17trampoline_kernelINS0_14default_configENS1_25partition_config_selectorILNS1_17partition_subalgoE9EtjbEEZZNS1_14partition_implILS5_9ELb0ES3_jN6thrust23THRUST_200600_302600_NS6detail15normal_iteratorINS9_10device_ptrItEEEENSB_INSC_IjEEEEPNS0_10empty_typeENS0_5tupleIJNS9_16discard_iteratorINS9_11use_defaultEEESH_EEENSJ_IJSG_SI_EEENS0_18inequality_wrapperINS9_8equal_toItEEEEPmJSH_EEE10hipError_tPvRmT3_T4_T5_T6_T7_T9_mT8_P12ihipStream_tbDpT10_ENKUlT_T0_E_clISt17integral_constantIbLb1EES1D_EEDaS18_S19_EUlS18_E_NS1_11comp_targetILNS1_3genE10ELNS1_11target_archE1200ELNS1_3gpuE4ELNS1_3repE0EEENS1_30default_config_static_selectorELNS0_4arch9wavefront6targetE0EEEvT1_,"axG",@progbits,_ZN7rocprim17ROCPRIM_400000_NS6detail17trampoline_kernelINS0_14default_configENS1_25partition_config_selectorILNS1_17partition_subalgoE9EtjbEEZZNS1_14partition_implILS5_9ELb0ES3_jN6thrust23THRUST_200600_302600_NS6detail15normal_iteratorINS9_10device_ptrItEEEENSB_INSC_IjEEEEPNS0_10empty_typeENS0_5tupleIJNS9_16discard_iteratorINS9_11use_defaultEEESH_EEENSJ_IJSG_SI_EEENS0_18inequality_wrapperINS9_8equal_toItEEEEPmJSH_EEE10hipError_tPvRmT3_T4_T5_T6_T7_T9_mT8_P12ihipStream_tbDpT10_ENKUlT_T0_E_clISt17integral_constantIbLb1EES1D_EEDaS18_S19_EUlS18_E_NS1_11comp_targetILNS1_3genE10ELNS1_11target_archE1200ELNS1_3gpuE4ELNS1_3repE0EEENS1_30default_config_static_selectorELNS0_4arch9wavefront6targetE0EEEvT1_,comdat
.Lfunc_end962:
	.size	_ZN7rocprim17ROCPRIM_400000_NS6detail17trampoline_kernelINS0_14default_configENS1_25partition_config_selectorILNS1_17partition_subalgoE9EtjbEEZZNS1_14partition_implILS5_9ELb0ES3_jN6thrust23THRUST_200600_302600_NS6detail15normal_iteratorINS9_10device_ptrItEEEENSB_INSC_IjEEEEPNS0_10empty_typeENS0_5tupleIJNS9_16discard_iteratorINS9_11use_defaultEEESH_EEENSJ_IJSG_SI_EEENS0_18inequality_wrapperINS9_8equal_toItEEEEPmJSH_EEE10hipError_tPvRmT3_T4_T5_T6_T7_T9_mT8_P12ihipStream_tbDpT10_ENKUlT_T0_E_clISt17integral_constantIbLb1EES1D_EEDaS18_S19_EUlS18_E_NS1_11comp_targetILNS1_3genE10ELNS1_11target_archE1200ELNS1_3gpuE4ELNS1_3repE0EEENS1_30default_config_static_selectorELNS0_4arch9wavefront6targetE0EEEvT1_, .Lfunc_end962-_ZN7rocprim17ROCPRIM_400000_NS6detail17trampoline_kernelINS0_14default_configENS1_25partition_config_selectorILNS1_17partition_subalgoE9EtjbEEZZNS1_14partition_implILS5_9ELb0ES3_jN6thrust23THRUST_200600_302600_NS6detail15normal_iteratorINS9_10device_ptrItEEEENSB_INSC_IjEEEEPNS0_10empty_typeENS0_5tupleIJNS9_16discard_iteratorINS9_11use_defaultEEESH_EEENSJ_IJSG_SI_EEENS0_18inequality_wrapperINS9_8equal_toItEEEEPmJSH_EEE10hipError_tPvRmT3_T4_T5_T6_T7_T9_mT8_P12ihipStream_tbDpT10_ENKUlT_T0_E_clISt17integral_constantIbLb1EES1D_EEDaS18_S19_EUlS18_E_NS1_11comp_targetILNS1_3genE10ELNS1_11target_archE1200ELNS1_3gpuE4ELNS1_3repE0EEENS1_30default_config_static_selectorELNS0_4arch9wavefront6targetE0EEEvT1_
                                        ; -- End function
	.section	.AMDGPU.csdata,"",@progbits
; Kernel info:
; codeLenInByte = 0
; NumSgprs: 0
; NumVgprs: 0
; ScratchSize: 0
; MemoryBound: 0
; FloatMode: 240
; IeeeMode: 1
; LDSByteSize: 0 bytes/workgroup (compile time only)
; SGPRBlocks: 0
; VGPRBlocks: 0
; NumSGPRsForWavesPerEU: 1
; NumVGPRsForWavesPerEU: 1
; Occupancy: 16
; WaveLimiterHint : 0
; COMPUTE_PGM_RSRC2:SCRATCH_EN: 0
; COMPUTE_PGM_RSRC2:USER_SGPR: 15
; COMPUTE_PGM_RSRC2:TRAP_HANDLER: 0
; COMPUTE_PGM_RSRC2:TGID_X_EN: 1
; COMPUTE_PGM_RSRC2:TGID_Y_EN: 0
; COMPUTE_PGM_RSRC2:TGID_Z_EN: 0
; COMPUTE_PGM_RSRC2:TIDIG_COMP_CNT: 0
	.section	.text._ZN7rocprim17ROCPRIM_400000_NS6detail17trampoline_kernelINS0_14default_configENS1_25partition_config_selectorILNS1_17partition_subalgoE9EtjbEEZZNS1_14partition_implILS5_9ELb0ES3_jN6thrust23THRUST_200600_302600_NS6detail15normal_iteratorINS9_10device_ptrItEEEENSB_INSC_IjEEEEPNS0_10empty_typeENS0_5tupleIJNS9_16discard_iteratorINS9_11use_defaultEEESH_EEENSJ_IJSG_SI_EEENS0_18inequality_wrapperINS9_8equal_toItEEEEPmJSH_EEE10hipError_tPvRmT3_T4_T5_T6_T7_T9_mT8_P12ihipStream_tbDpT10_ENKUlT_T0_E_clISt17integral_constantIbLb1EES1D_EEDaS18_S19_EUlS18_E_NS1_11comp_targetILNS1_3genE9ELNS1_11target_archE1100ELNS1_3gpuE3ELNS1_3repE0EEENS1_30default_config_static_selectorELNS0_4arch9wavefront6targetE0EEEvT1_,"axG",@progbits,_ZN7rocprim17ROCPRIM_400000_NS6detail17trampoline_kernelINS0_14default_configENS1_25partition_config_selectorILNS1_17partition_subalgoE9EtjbEEZZNS1_14partition_implILS5_9ELb0ES3_jN6thrust23THRUST_200600_302600_NS6detail15normal_iteratorINS9_10device_ptrItEEEENSB_INSC_IjEEEEPNS0_10empty_typeENS0_5tupleIJNS9_16discard_iteratorINS9_11use_defaultEEESH_EEENSJ_IJSG_SI_EEENS0_18inequality_wrapperINS9_8equal_toItEEEEPmJSH_EEE10hipError_tPvRmT3_T4_T5_T6_T7_T9_mT8_P12ihipStream_tbDpT10_ENKUlT_T0_E_clISt17integral_constantIbLb1EES1D_EEDaS18_S19_EUlS18_E_NS1_11comp_targetILNS1_3genE9ELNS1_11target_archE1100ELNS1_3gpuE3ELNS1_3repE0EEENS1_30default_config_static_selectorELNS0_4arch9wavefront6targetE0EEEvT1_,comdat
	.protected	_ZN7rocprim17ROCPRIM_400000_NS6detail17trampoline_kernelINS0_14default_configENS1_25partition_config_selectorILNS1_17partition_subalgoE9EtjbEEZZNS1_14partition_implILS5_9ELb0ES3_jN6thrust23THRUST_200600_302600_NS6detail15normal_iteratorINS9_10device_ptrItEEEENSB_INSC_IjEEEEPNS0_10empty_typeENS0_5tupleIJNS9_16discard_iteratorINS9_11use_defaultEEESH_EEENSJ_IJSG_SI_EEENS0_18inequality_wrapperINS9_8equal_toItEEEEPmJSH_EEE10hipError_tPvRmT3_T4_T5_T6_T7_T9_mT8_P12ihipStream_tbDpT10_ENKUlT_T0_E_clISt17integral_constantIbLb1EES1D_EEDaS18_S19_EUlS18_E_NS1_11comp_targetILNS1_3genE9ELNS1_11target_archE1100ELNS1_3gpuE3ELNS1_3repE0EEENS1_30default_config_static_selectorELNS0_4arch9wavefront6targetE0EEEvT1_ ; -- Begin function _ZN7rocprim17ROCPRIM_400000_NS6detail17trampoline_kernelINS0_14default_configENS1_25partition_config_selectorILNS1_17partition_subalgoE9EtjbEEZZNS1_14partition_implILS5_9ELb0ES3_jN6thrust23THRUST_200600_302600_NS6detail15normal_iteratorINS9_10device_ptrItEEEENSB_INSC_IjEEEEPNS0_10empty_typeENS0_5tupleIJNS9_16discard_iteratorINS9_11use_defaultEEESH_EEENSJ_IJSG_SI_EEENS0_18inequality_wrapperINS9_8equal_toItEEEEPmJSH_EEE10hipError_tPvRmT3_T4_T5_T6_T7_T9_mT8_P12ihipStream_tbDpT10_ENKUlT_T0_E_clISt17integral_constantIbLb1EES1D_EEDaS18_S19_EUlS18_E_NS1_11comp_targetILNS1_3genE9ELNS1_11target_archE1100ELNS1_3gpuE3ELNS1_3repE0EEENS1_30default_config_static_selectorELNS0_4arch9wavefront6targetE0EEEvT1_
	.globl	_ZN7rocprim17ROCPRIM_400000_NS6detail17trampoline_kernelINS0_14default_configENS1_25partition_config_selectorILNS1_17partition_subalgoE9EtjbEEZZNS1_14partition_implILS5_9ELb0ES3_jN6thrust23THRUST_200600_302600_NS6detail15normal_iteratorINS9_10device_ptrItEEEENSB_INSC_IjEEEEPNS0_10empty_typeENS0_5tupleIJNS9_16discard_iteratorINS9_11use_defaultEEESH_EEENSJ_IJSG_SI_EEENS0_18inequality_wrapperINS9_8equal_toItEEEEPmJSH_EEE10hipError_tPvRmT3_T4_T5_T6_T7_T9_mT8_P12ihipStream_tbDpT10_ENKUlT_T0_E_clISt17integral_constantIbLb1EES1D_EEDaS18_S19_EUlS18_E_NS1_11comp_targetILNS1_3genE9ELNS1_11target_archE1100ELNS1_3gpuE3ELNS1_3repE0EEENS1_30default_config_static_selectorELNS0_4arch9wavefront6targetE0EEEvT1_
	.p2align	8
	.type	_ZN7rocprim17ROCPRIM_400000_NS6detail17trampoline_kernelINS0_14default_configENS1_25partition_config_selectorILNS1_17partition_subalgoE9EtjbEEZZNS1_14partition_implILS5_9ELb0ES3_jN6thrust23THRUST_200600_302600_NS6detail15normal_iteratorINS9_10device_ptrItEEEENSB_INSC_IjEEEEPNS0_10empty_typeENS0_5tupleIJNS9_16discard_iteratorINS9_11use_defaultEEESH_EEENSJ_IJSG_SI_EEENS0_18inequality_wrapperINS9_8equal_toItEEEEPmJSH_EEE10hipError_tPvRmT3_T4_T5_T6_T7_T9_mT8_P12ihipStream_tbDpT10_ENKUlT_T0_E_clISt17integral_constantIbLb1EES1D_EEDaS18_S19_EUlS18_E_NS1_11comp_targetILNS1_3genE9ELNS1_11target_archE1100ELNS1_3gpuE3ELNS1_3repE0EEENS1_30default_config_static_selectorELNS0_4arch9wavefront6targetE0EEEvT1_,@function
_ZN7rocprim17ROCPRIM_400000_NS6detail17trampoline_kernelINS0_14default_configENS1_25partition_config_selectorILNS1_17partition_subalgoE9EtjbEEZZNS1_14partition_implILS5_9ELb0ES3_jN6thrust23THRUST_200600_302600_NS6detail15normal_iteratorINS9_10device_ptrItEEEENSB_INSC_IjEEEEPNS0_10empty_typeENS0_5tupleIJNS9_16discard_iteratorINS9_11use_defaultEEESH_EEENSJ_IJSG_SI_EEENS0_18inequality_wrapperINS9_8equal_toItEEEEPmJSH_EEE10hipError_tPvRmT3_T4_T5_T6_T7_T9_mT8_P12ihipStream_tbDpT10_ENKUlT_T0_E_clISt17integral_constantIbLb1EES1D_EEDaS18_S19_EUlS18_E_NS1_11comp_targetILNS1_3genE9ELNS1_11target_archE1100ELNS1_3gpuE3ELNS1_3repE0EEENS1_30default_config_static_selectorELNS0_4arch9wavefront6targetE0EEEvT1_: ; @_ZN7rocprim17ROCPRIM_400000_NS6detail17trampoline_kernelINS0_14default_configENS1_25partition_config_selectorILNS1_17partition_subalgoE9EtjbEEZZNS1_14partition_implILS5_9ELb0ES3_jN6thrust23THRUST_200600_302600_NS6detail15normal_iteratorINS9_10device_ptrItEEEENSB_INSC_IjEEEEPNS0_10empty_typeENS0_5tupleIJNS9_16discard_iteratorINS9_11use_defaultEEESH_EEENSJ_IJSG_SI_EEENS0_18inequality_wrapperINS9_8equal_toItEEEEPmJSH_EEE10hipError_tPvRmT3_T4_T5_T6_T7_T9_mT8_P12ihipStream_tbDpT10_ENKUlT_T0_E_clISt17integral_constantIbLb1EES1D_EEDaS18_S19_EUlS18_E_NS1_11comp_targetILNS1_3genE9ELNS1_11target_archE1100ELNS1_3gpuE3ELNS1_3repE0EEENS1_30default_config_static_selectorELNS0_4arch9wavefront6targetE0EEEvT1_
; %bb.0:
	s_clause 0x5
	s_load_b128 s[4:7], s[0:1], 0x8
	s_load_b64 s[8:9], s[0:1], 0x18
	s_load_b64 s[16:17], s[0:1], 0x38
	s_load_b128 s[12:15], s[0:1], 0x48
	s_load_b64 s[10:11], s[0:1], 0x58
	s_load_b64 s[18:19], s[0:1], 0x68
	v_cmp_ne_u32_e64 s3, 0, v0
	v_cmp_eq_u32_e64 s2, 0, v0
	s_delay_alu instid0(VALU_DEP_1)
	s_and_saveexec_b32 s20, s2
	s_cbranch_execz .LBB963_4
; %bb.1:
	s_mov_b32 s22, exec_lo
	s_mov_b32 s21, exec_lo
	v_mbcnt_lo_u32_b32 v1, s22, 0
                                        ; implicit-def: $vgpr2
	s_delay_alu instid0(VALU_DEP_1)
	v_cmpx_eq_u32_e32 0, v1
	s_cbranch_execz .LBB963_3
; %bb.2:
	s_load_b64 s[24:25], s[0:1], 0x78
	s_bcnt1_i32_b32 s22, s22
	s_delay_alu instid0(SALU_CYCLE_1)
	v_dual_mov_b32 v2, 0 :: v_dual_mov_b32 v3, s22
	s_waitcnt lgkmcnt(0)
	global_atomic_add_u32 v2, v2, v3, s[24:25] glc
.LBB963_3:
	s_or_b32 exec_lo, exec_lo, s21
	s_waitcnt vmcnt(0)
	v_readfirstlane_b32 s21, v2
	s_delay_alu instid0(VALU_DEP_1)
	v_dual_mov_b32 v2, 0 :: v_dual_add_nc_u32 v1, s21, v1
	ds_store_b32 v2, v1
.LBB963_4:
	s_or_b32 exec_lo, exec_lo, s20
	v_mov_b32_e32 v1, 0
	s_waitcnt lgkmcnt(0)
	s_barrier
	buffer_gl0_inv
	s_load_b32 s0, s[0:1], 0x70
	ds_load_b32 v2, v1
	s_waitcnt lgkmcnt(0)
	s_barrier
	buffer_gl0_inv
	global_load_b64 v[19:20], v1, s[14:15]
	s_lshl_b64 s[14:15], s[6:7], 1
	v_lshlrev_b32_e32 v9, 1, v0
	s_add_u32 s23, s4, s14
	s_addc_u32 s24, s5, s15
	s_mov_b32 s5, 0
	s_mul_i32 s1, s0, 0x580
	v_readfirstlane_b32 s20, v2
	s_add_i32 s4, s1, s6
	s_delay_alu instid0(SALU_CYCLE_1)
	s_sub_i32 s21, s10, s4
	s_add_i32 s4, s0, -1
	s_addk_i32 s21, 0x580
	s_add_u32 s0, s6, s1
	s_addc_u32 s1, s7, 0
	s_cmp_eq_u32 s20, s4
	v_cmp_ge_u64_e64 s0, s[0:1], s[10:11]
	s_cselect_b32 s14, -1, 0
	s_mul_i32 s4, s20, 0x580
	s_mov_b32 s11, -1
	s_delay_alu instid0(VALU_DEP_1)
	s_and_b32 s22, s0, s14
	s_lshl_b64 s[0:1], s[4:5], 1
	s_xor_b32 s15, s22, -1
	s_add_u32 s10, s23, s0
	s_addc_u32 s1, s24, s1
	s_and_b32 vcc_lo, exec_lo, s15
	s_cbranch_vccz .LBB963_6
; %bb.5:
	v_add_co_u32 v1, s0, s10, v9
	s_delay_alu instid0(VALU_DEP_1)
	v_add_co_ci_u32_e64 v2, null, s1, 0, s0
	s_mov_b32 s11, s5
	s_clause 0xa
	flat_load_u16 v3, v[1:2]
	flat_load_u16 v4, v[1:2] offset:256
	flat_load_u16 v5, v[1:2] offset:512
	;; [unrolled: 1-line block ×10, first 2 shown]
	s_waitcnt vmcnt(10) lgkmcnt(10)
	ds_store_b16 v9, v3
	s_waitcnt vmcnt(9) lgkmcnt(10)
	ds_store_b16 v9, v4 offset:256
	s_waitcnt vmcnt(8) lgkmcnt(10)
	ds_store_b16 v9, v5 offset:512
	;; [unrolled: 2-line block ×10, first 2 shown]
	s_waitcnt lgkmcnt(0)
	s_barrier
.LBB963_6:
	v_cmp_gt_u32_e64 s0, s21, v0
	s_and_not1_b32 vcc_lo, exec_lo, s11
	s_cbranch_vccnz .LBB963_30
; %bb.7:
                                        ; implicit-def: $vgpr1_vgpr2_vgpr3_vgpr4_vgpr5_vgpr6_vgpr7_vgpr8
	s_delay_alu instid0(VALU_DEP_1)
	s_and_saveexec_b32 s11, s0
	s_cbranch_execz .LBB963_9
; %bb.8:
	v_add_co_u32 v1, s0, s10, v9
	s_delay_alu instid0(VALU_DEP_1)
	v_add_co_ci_u32_e64 v2, null, s1, 0, s0
	flat_load_d16_b16 v1, v[1:2]
.LBB963_9:
	s_or_b32 exec_lo, exec_lo, s11
	v_or_b32_e32 v7, 0x80, v0
	s_mov_b32 s0, exec_lo
	s_delay_alu instid0(VALU_DEP_1)
	v_cmpx_gt_u32_e64 s21, v7
	s_cbranch_execz .LBB963_11
; %bb.10:
	v_add_co_u32 v7, s11, s10, v9
	s_delay_alu instid0(VALU_DEP_1)
	v_add_co_ci_u32_e64 v8, null, s1, 0, s11
	s_waitcnt vmcnt(0) lgkmcnt(0)
	flat_load_d16_hi_b16 v1, v[7:8] offset:256
.LBB963_11:
	s_or_b32 exec_lo, exec_lo, s0
	v_or_b32_e32 v7, 0x100, v0
	s_mov_b32 s0, exec_lo
	s_delay_alu instid0(VALU_DEP_1)
	v_cmpx_gt_u32_e64 s21, v7
	s_cbranch_execz .LBB963_13
; %bb.12:
	v_add_co_u32 v7, s11, s10, v9
	s_delay_alu instid0(VALU_DEP_1)
	v_add_co_ci_u32_e64 v8, null, s1, 0, s11
	flat_load_d16_b16 v2, v[7:8] offset:512
.LBB963_13:
	s_or_b32 exec_lo, exec_lo, s0
	v_or_b32_e32 v7, 0x180, v0
	s_mov_b32 s0, exec_lo
	s_delay_alu instid0(VALU_DEP_1)
	v_cmpx_gt_u32_e64 s21, v7
	s_cbranch_execz .LBB963_15
; %bb.14:
	v_add_co_u32 v7, s11, s10, v9
	s_delay_alu instid0(VALU_DEP_1)
	v_add_co_ci_u32_e64 v8, null, s1, 0, s11
	s_waitcnt vmcnt(0) lgkmcnt(0)
	flat_load_d16_hi_b16 v2, v[7:8] offset:768
.LBB963_15:
	s_or_b32 exec_lo, exec_lo, s0
	v_or_b32_e32 v7, 0x200, v0
	s_mov_b32 s0, exec_lo
	s_delay_alu instid0(VALU_DEP_1)
	v_cmpx_gt_u32_e64 s21, v7
	s_cbranch_execz .LBB963_17
; %bb.16:
	v_add_co_u32 v7, s11, s10, v9
	s_delay_alu instid0(VALU_DEP_1)
	v_add_co_ci_u32_e64 v8, null, s1, 0, s11
	flat_load_d16_b16 v3, v[7:8] offset:1024
.LBB963_17:
	;; [unrolled: 25-line block ×5, first 2 shown]
	s_or_b32 exec_lo, exec_lo, s0
	s_waitcnt vmcnt(0) lgkmcnt(0)
	ds_store_b16 v9, v1
	ds_store_b16_d16_hi v9, v1 offset:256
	ds_store_b16 v9, v2 offset:512
	ds_store_b16_d16_hi v9, v2 offset:768
	ds_store_b16 v9, v3 offset:1024
	;; [unrolled: 2-line block ×5, first 2 shown]
	s_waitcnt lgkmcnt(0)
	s_barrier
.LBB963_30:
	v_mul_u32_u24_e32 v1, 11, v0
	s_waitcnt vmcnt(0)
	buffer_gl0_inv
	s_lshl_b64 s[24:25], s[6:7], 2
	s_delay_alu instid0(SALU_CYCLE_1)
	s_add_u32 s0, s8, s24
	v_lshlrev_b32_e32 v2, 1, v1
	s_addc_u32 s8, s9, s25
	s_lshl_b64 s[4:5], s[4:5], 2
	ds_load_b128 v[12:15], v2
	ds_load_u16 v38, v2 offset:16
	ds_load_u16 v37, v2 offset:18
	;; [unrolled: 1-line block ×3, first 2 shown]
	s_add_u32 s0, s0, s4
	s_addc_u32 s4, s8, s5
	s_and_b32 vcc_lo, exec_lo, s15
	s_mov_b32 s5, -1
	s_waitcnt lgkmcnt(0)
	s_barrier
	buffer_gl0_inv
	s_cbranch_vccz .LBB963_32
; %bb.31:
	v_lshlrev_b32_e32 v7, 2, v0
	s_delay_alu instid0(VALU_DEP_1) | instskip(NEXT) | instid1(VALU_DEP_1)
	v_add_co_u32 v3, s5, s0, v7
	v_add_co_ci_u32_e64 v4, null, s4, 0, s5
	s_mov_b32 s5, 0
	s_delay_alu instid0(VALU_DEP_2) | instskip(NEXT) | instid1(VALU_DEP_2)
	v_add_co_u32 v5, vcc_lo, 0x1000, v3
	v_add_co_ci_u32_e32 v6, vcc_lo, 0, v4, vcc_lo
	s_clause 0xa
	flat_load_b32 v8, v[3:4]
	flat_load_b32 v10, v[3:4] offset:512
	flat_load_b32 v11, v[3:4] offset:1024
	;; [unrolled: 1-line block ×7, first 2 shown]
	flat_load_b32 v4, v[5:6]
	flat_load_b32 v22, v[5:6] offset:512
	flat_load_b32 v5, v[5:6] offset:1024
	s_waitcnt vmcnt(9) lgkmcnt(9)
	ds_store_2addr_stride64_b32 v7, v8, v10 offset1:2
	s_waitcnt vmcnt(7) lgkmcnt(8)
	ds_store_2addr_stride64_b32 v7, v11, v16 offset0:4 offset1:6
	s_waitcnt vmcnt(5) lgkmcnt(7)
	ds_store_2addr_stride64_b32 v7, v17, v18 offset0:8 offset1:10
	;; [unrolled: 2-line block ×4, first 2 shown]
	s_waitcnt vmcnt(0) lgkmcnt(5)
	ds_store_b32 v7, v5 offset:5120
	s_waitcnt lgkmcnt(0)
	s_barrier
.LBB963_32:
	s_and_not1_b32 vcc_lo, exec_lo, s5
	s_cbranch_vccnz .LBB963_56
; %bb.33:
	s_mov_b32 s5, exec_lo
                                        ; implicit-def: $vgpr3
	v_cmpx_gt_u32_e64 s21, v0
	s_cbranch_execz .LBB963_35
; %bb.34:
	v_lshlrev_b32_e32 v3, 2, v0
	s_delay_alu instid0(VALU_DEP_1) | instskip(NEXT) | instid1(VALU_DEP_1)
	v_add_co_u32 v3, s8, s0, v3
	v_add_co_ci_u32_e64 v4, null, s4, 0, s8
	flat_load_b32 v3, v[3:4]
.LBB963_35:
	s_or_b32 exec_lo, exec_lo, s5
	v_or_b32_e32 v4, 0x80, v0
	s_delay_alu instid0(VALU_DEP_1)
	v_cmp_gt_u32_e32 vcc_lo, s21, v4
                                        ; implicit-def: $vgpr4
	s_and_saveexec_b32 s5, vcc_lo
	s_cbranch_execz .LBB963_37
; %bb.36:
	v_lshlrev_b32_e32 v4, 2, v0
	s_delay_alu instid0(VALU_DEP_1) | instskip(NEXT) | instid1(VALU_DEP_1)
	v_add_co_u32 v4, s8, s0, v4
	v_add_co_ci_u32_e64 v5, null, s4, 0, s8
	flat_load_b32 v4, v[4:5] offset:512
.LBB963_37:
	s_or_b32 exec_lo, exec_lo, s5
	v_or_b32_e32 v5, 0x100, v0
	s_delay_alu instid0(VALU_DEP_1)
	v_cmp_gt_u32_e32 vcc_lo, s21, v5
                                        ; implicit-def: $vgpr5
	s_and_saveexec_b32 s5, vcc_lo
	s_cbranch_execz .LBB963_39
; %bb.38:
	v_lshlrev_b32_e32 v5, 2, v0
	s_delay_alu instid0(VALU_DEP_1) | instskip(NEXT) | instid1(VALU_DEP_1)
	v_add_co_u32 v5, s8, s0, v5
	v_add_co_ci_u32_e64 v6, null, s4, 0, s8
	flat_load_b32 v5, v[5:6] offset:1024
.LBB963_39:
	s_or_b32 exec_lo, exec_lo, s5
	v_or_b32_e32 v6, 0x180, v0
	s_delay_alu instid0(VALU_DEP_1)
	v_cmp_gt_u32_e32 vcc_lo, s21, v6
                                        ; implicit-def: $vgpr6
	s_and_saveexec_b32 s5, vcc_lo
	s_cbranch_execz .LBB963_41
; %bb.40:
	v_lshlrev_b32_e32 v6, 2, v0
	s_delay_alu instid0(VALU_DEP_1) | instskip(NEXT) | instid1(VALU_DEP_1)
	v_add_co_u32 v6, s8, s0, v6
	v_add_co_ci_u32_e64 v7, null, s4, 0, s8
	flat_load_b32 v6, v[6:7] offset:1536
.LBB963_41:
	s_or_b32 exec_lo, exec_lo, s5
	v_or_b32_e32 v7, 0x200, v0
	s_delay_alu instid0(VALU_DEP_1)
	v_cmp_gt_u32_e32 vcc_lo, s21, v7
                                        ; implicit-def: $vgpr7
	s_and_saveexec_b32 s5, vcc_lo
	s_cbranch_execz .LBB963_43
; %bb.42:
	v_lshlrev_b32_e32 v7, 2, v0
	s_delay_alu instid0(VALU_DEP_1) | instskip(NEXT) | instid1(VALU_DEP_1)
	v_add_co_u32 v7, s8, s0, v7
	v_add_co_ci_u32_e64 v8, null, s4, 0, s8
	flat_load_b32 v7, v[7:8] offset:2048
.LBB963_43:
	s_or_b32 exec_lo, exec_lo, s5
	v_or_b32_e32 v8, 0x280, v0
	s_delay_alu instid0(VALU_DEP_1)
	v_cmp_gt_u32_e32 vcc_lo, s21, v8
                                        ; implicit-def: $vgpr8
	s_and_saveexec_b32 s5, vcc_lo
	s_cbranch_execz .LBB963_45
; %bb.44:
	v_lshlrev_b32_e32 v8, 2, v0
	s_delay_alu instid0(VALU_DEP_1) | instskip(NEXT) | instid1(VALU_DEP_1)
	v_add_co_u32 v10, s8, s0, v8
	v_add_co_ci_u32_e64 v11, null, s4, 0, s8
	flat_load_b32 v8, v[10:11] offset:2560
.LBB963_45:
	s_or_b32 exec_lo, exec_lo, s5
	v_or_b32_e32 v10, 0x300, v0
	s_delay_alu instid0(VALU_DEP_1)
	v_cmp_gt_u32_e32 vcc_lo, s21, v10
                                        ; implicit-def: $vgpr10
	s_and_saveexec_b32 s5, vcc_lo
	s_cbranch_execz .LBB963_47
; %bb.46:
	v_lshlrev_b32_e32 v10, 2, v0
	s_delay_alu instid0(VALU_DEP_1) | instskip(NEXT) | instid1(VALU_DEP_1)
	v_add_co_u32 v10, s8, s0, v10
	v_add_co_ci_u32_e64 v11, null, s4, 0, s8
	flat_load_b32 v10, v[10:11] offset:3072
.LBB963_47:
	s_or_b32 exec_lo, exec_lo, s5
	v_or_b32_e32 v11, 0x380, v0
	s_delay_alu instid0(VALU_DEP_1)
	v_cmp_gt_u32_e32 vcc_lo, s21, v11
                                        ; implicit-def: $vgpr11
	s_and_saveexec_b32 s5, vcc_lo
	s_cbranch_execz .LBB963_49
; %bb.48:
	v_lshlrev_b32_e32 v11, 2, v0
	s_delay_alu instid0(VALU_DEP_1) | instskip(NEXT) | instid1(VALU_DEP_1)
	v_add_co_u32 v16, s8, s0, v11
	v_add_co_ci_u32_e64 v17, null, s4, 0, s8
	flat_load_b32 v11, v[16:17] offset:3584
.LBB963_49:
	s_or_b32 exec_lo, exec_lo, s5
	v_or_b32_e32 v17, 0x400, v0
	s_mov_b32 s5, exec_lo
                                        ; implicit-def: $vgpr16
	s_delay_alu instid0(VALU_DEP_1)
	v_cmpx_gt_u32_e64 s21, v17
	s_cbranch_execz .LBB963_51
; %bb.50:
	v_lshlrev_b32_e32 v16, 2, v17
	s_delay_alu instid0(VALU_DEP_1) | instskip(NEXT) | instid1(VALU_DEP_1)
	v_add_co_u32 v16, s8, s0, v16
	v_add_co_ci_u32_e64 v17, null, s4, 0, s8
	flat_load_b32 v16, v[16:17]
.LBB963_51:
	s_or_b32 exec_lo, exec_lo, s5
	v_or_b32_e32 v18, 0x480, v0
	s_mov_b32 s5, exec_lo
                                        ; implicit-def: $vgpr17
	s_delay_alu instid0(VALU_DEP_1)
	v_cmpx_gt_u32_e64 s21, v18
	s_cbranch_execz .LBB963_53
; %bb.52:
	v_lshlrev_b32_e32 v17, 2, v18
	s_delay_alu instid0(VALU_DEP_1) | instskip(NEXT) | instid1(VALU_DEP_1)
	v_add_co_u32 v17, s8, s0, v17
	v_add_co_ci_u32_e64 v18, null, s4, 0, s8
	flat_load_b32 v17, v[17:18]
.LBB963_53:
	s_or_b32 exec_lo, exec_lo, s5
	v_or_b32_e32 v21, 0x500, v0
	s_mov_b32 s5, exec_lo
                                        ; implicit-def: $vgpr18
	s_delay_alu instid0(VALU_DEP_1)
	v_cmpx_gt_u32_e64 s21, v21
	s_cbranch_execz .LBB963_55
; %bb.54:
	v_lshlrev_b32_e32 v18, 2, v21
	s_delay_alu instid0(VALU_DEP_1) | instskip(NEXT) | instid1(VALU_DEP_1)
	v_add_co_u32 v21, s0, s0, v18
	v_add_co_ci_u32_e64 v22, null, s4, 0, s0
	flat_load_b32 v18, v[21:22]
.LBB963_55:
	s_or_b32 exec_lo, exec_lo, s5
	v_mad_i32_i24 v2, 0xffffffee, v0, v2
	s_waitcnt vmcnt(0) lgkmcnt(0)
	ds_store_2addr_stride64_b32 v2, v3, v4 offset1:2
	ds_store_2addr_stride64_b32 v2, v5, v6 offset0:4 offset1:6
	ds_store_2addr_stride64_b32 v2, v7, v8 offset0:8 offset1:10
	;; [unrolled: 1-line block ×4, first 2 shown]
	ds_store_b32 v2, v18 offset:5120
	s_waitcnt lgkmcnt(0)
	s_barrier
.LBB963_56:
	v_lshlrev_b32_e32 v43, 2, v1
	buffer_gl0_inv
	s_cmp_lg_u32 s20, 0
	v_lshrrev_b32_e32 v42, 16, v12
	s_cselect_b32 s23, -1, 0
	ds_load_2addr_b32 v[29:30], v43 offset1:1
	ds_load_2addr_b32 v[27:28], v43 offset0:2 offset1:3
	ds_load_2addr_b32 v[25:26], v43 offset0:4 offset1:5
	;; [unrolled: 1-line block ×4, first 2 shown]
	ds_load_b32 v35, v43 offset:40
	s_cmp_lg_u64 s[6:7], 0
	v_lshrrev_b32_e32 v41, 16, v13
	s_cselect_b32 s0, -1, 0
	v_lshrrev_b32_e32 v40, 16, v14
	v_lshrrev_b32_e32 v39, 16, v15
	v_add_nc_u32_e32 v5, 1, v1
	v_add_nc_u32_e32 v6, 2, v1
	;; [unrolled: 1-line block ×10, first 2 shown]
	s_or_b32 s0, s0, s23
	s_mov_b32 s24, 0
	s_and_b32 vcc_lo, exec_lo, s0
	s_waitcnt lgkmcnt(0)
	s_barrier
	buffer_gl0_inv
	s_cbranch_vccz .LBB963_61
; %bb.57:
	v_add_co_u32 v16, s0, -2, s10
	s_delay_alu instid0(VALU_DEP_1)
	v_add_co_ci_u32_e64 v17, null, -1, s1, s0
	s_mov_b32 s1, -1
	s_and_b32 vcc_lo, exec_lo, s15
	flat_load_u16 v16, v[16:17]
	ds_store_b16 v9, v36
	s_cbranch_vccz .LBB963_63
; %bb.58:
	s_waitcnt vmcnt(0) lgkmcnt(1)
	v_mov_b32_e32 v17, v16
	s_waitcnt lgkmcnt(0)
	s_barrier
	buffer_gl0_inv
	s_and_saveexec_b32 s0, s3
	s_cbranch_execz .LBB963_60
; %bb.59:
	v_add_nc_u32_e32 v17, -2, v9
	ds_load_u16 v17, v17
.LBB963_60:
	s_or_b32 exec_lo, exec_lo, s0
	v_cmp_ne_u16_e32 vcc_lo, v15, v39
	s_waitcnt lgkmcnt(0)
	v_cmp_ne_u16_e64 s0, v17, v12
	v_cndmask_b32_e64 v18, 0, 1, vcc_lo
	v_cmp_ne_u16_e32 vcc_lo, v40, v15
	s_delay_alu instid0(VALU_DEP_2) | instskip(SKIP_2) | instid1(VALU_DEP_2)
	v_lshlrev_b16 v18, 8, v18
	v_cndmask_b32_e64 v31, 0, 1, vcc_lo
	v_cmp_ne_u16_e32 vcc_lo, v14, v40
	v_or_b32_e32 v18, v31, v18
	v_cndmask_b32_e64 v32, 0, 1, vcc_lo
	v_cmp_ne_u16_e32 vcc_lo, v41, v14
	s_delay_alu instid0(VALU_DEP_3) | instskip(NEXT) | instid1(VALU_DEP_3)
	v_lshlrev_b32_e32 v18, 16, v18
	v_lshlrev_b16 v32, 8, v32
	v_cndmask_b32_e64 v34, 0, 1, vcc_lo
	v_cmp_ne_u16_e32 vcc_lo, v13, v41
	s_delay_alu instid0(VALU_DEP_2) | instskip(SKIP_2) | instid1(VALU_DEP_3)
	v_or_b32_e32 v32, v34, v32
	v_cndmask_b32_e64 v44, 0, 1, vcc_lo
	v_cmp_ne_u16_e32 vcc_lo, v42, v13
	v_and_b32_e32 v32, 0xffff, v32
	s_delay_alu instid0(VALU_DEP_3) | instskip(SKIP_2) | instid1(VALU_DEP_4)
	v_lshlrev_b16 v44, 8, v44
	v_cndmask_b32_e64 v46, 0, 1, vcc_lo
	v_cmp_ne_u16_e32 vcc_lo, v12, v42
	v_or_b32_e32 v32, v32, v18
	s_delay_alu instid0(VALU_DEP_3) | instskip(SKIP_2) | instid1(VALU_DEP_3)
	v_or_b32_e32 v44, v46, v44
	v_cndmask_b32_e64 v47, 0, 1, vcc_lo
	v_cmp_ne_u16_e32 vcc_lo, v37, v36
	v_lshlrev_b32_e32 v31, 16, v44
	s_delay_alu instid0(VALU_DEP_3) | instskip(SKIP_2) | instid1(VALU_DEP_3)
	v_lshlrev_b16 v46, 8, v47
	v_cndmask_b32_e64 v45, 0, 1, vcc_lo
	v_cmp_ne_u16_e32 vcc_lo, v38, v37
	v_and_b32_e32 v46, 0xffff, v46
	v_cndmask_b32_e64 v34, 0, 1, vcc_lo
	v_cmp_ne_u16_e32 vcc_lo, v39, v38
	s_delay_alu instid0(VALU_DEP_3)
	v_or_b32_e32 v31, v46, v31
	v_cndmask_b32_e64 v44, 0, 1, vcc_lo
	s_branch .LBB963_67
.LBB963_61:
                                        ; implicit-def: $sgpr0
                                        ; implicit-def: $vgpr45
                                        ; implicit-def: $vgpr34
                                        ; implicit-def: $vgpr44
                                        ; implicit-def: $vgpr32
	s_branch .LBB963_68
.LBB963_62:
                                        ; implicit-def: $vgpr16_vgpr17_vgpr18
	s_and_saveexec_b32 s1, s24
	s_cbranch_execnz .LBB963_76
	s_branch .LBB963_77
.LBB963_63:
                                        ; implicit-def: $sgpr0
                                        ; implicit-def: $vgpr45
                                        ; implicit-def: $vgpr34
                                        ; implicit-def: $vgpr44
                                        ; implicit-def: $vgpr32
	s_and_b32 vcc_lo, exec_lo, s1
	s_cbranch_vccz .LBB963_67
; %bb.64:
	s_waitcnt vmcnt(0) lgkmcnt(0)
	s_barrier
	buffer_gl0_inv
	s_and_saveexec_b32 s0, s3
	s_cbranch_execz .LBB963_66
; %bb.65:
	v_add_nc_u32_e32 v9, -2, v9
	ds_load_u16 v16, v9
.LBB963_66:
	s_or_b32 exec_lo, exec_lo, s0
	v_cmp_gt_u32_e32 vcc_lo, s21, v10
	v_cmp_ne_u16_e64 s0, v37, v36
	v_cmp_gt_u32_e64 s1, s21, v11
	v_cmp_ne_u16_e64 s4, v38, v37
	v_cmp_gt_u32_e64 s5, s21, v5
	v_cmp_ne_u16_e64 s6, v12, v42
	s_and_b32 s0, vcc_lo, s0
	v_cmp_gt_u32_e32 vcc_lo, s21, v2
	v_cndmask_b32_e64 v45, 0, 1, s0
	v_cmp_ne_u16_e64 s0, v15, v39
	s_and_b32 s1, s1, s4
	v_cmp_ne_u16_e64 s4, v40, v15
	v_cndmask_b32_e64 v34, 0, 1, s1
	v_cmp_gt_u32_e64 s1, s21, v4
	s_and_b32 s0, vcc_lo, s0
	v_cmp_gt_u32_e32 vcc_lo, s21, v7
	v_cndmask_b32_e64 v9, 0, 1, s0
	v_cmp_ne_u16_e64 s0, v14, v40
	s_and_b32 s1, s1, s4
	v_cmp_ne_u16_e64 s4, v13, v41
	v_cndmask_b32_e64 v17, 0, 1, s1
	v_cmp_gt_u32_e64 s1, s21, v3
	;; [unrolled: 8-line block ×3, first 2 shown]
	s_and_b32 s0, vcc_lo, s0
	v_lshlrev_b16 v18, 8, v18
	v_cndmask_b32_e64 v32, 0, 1, s0
	v_lshlrev_b16 v31, 8, v31
	s_and_b32 s0, s1, s4
	v_lshlrev_b16 v9, 8, v9
	v_cndmask_b32_e64 v44, 0, 1, s0
	s_and_b32 s0, s5, s6
	v_or_b32_e32 v18, v32, v18
	v_cndmask_b32_e64 v46, 0, 1, s0
	v_or_b32_e32 v9, v17, v9
	v_or_b32_e32 v31, v44, v31
	v_cmp_gt_u32_e32 vcc_lo, s21, v33
	v_cmp_ne_u16_e64 s0, v39, v38
	v_lshlrev_b16 v44, 8, v46
	v_and_b32_e32 v18, 0xffff, v18
	v_lshlrev_b32_e32 v17, 16, v31
	v_lshlrev_b32_e32 v9, 16, v9
	s_and_b32 s0, vcc_lo, s0
	v_and_b32_e32 v31, 0xffff, v44
	v_cndmask_b32_e64 v44, 0, 1, s0
	v_cmp_gt_u32_e32 vcc_lo, s21, v1
	s_waitcnt lgkmcnt(0)
	v_cmp_ne_u16_e64 s0, v16, v12
	v_or_b32_e32 v32, v18, v9
	v_or_b32_e32 v31, v31, v17
	s_delay_alu instid0(VALU_DEP_3)
	s_and_b32 s0, vcc_lo, s0
.LBB963_67:
	s_mov_b32 s24, -1
	s_cbranch_execnz .LBB963_62
.LBB963_68:
	v_mad_i32_i24 v9, 0xffffffd6, v0, v43
	v_cmp_ne_u16_e64 s0, v37, v36
	v_cmp_ne_u16_e64 s9, v38, v37
	;; [unrolled: 1-line block ×10, first 2 shown]
	s_and_b32 vcc_lo, exec_lo, s15
	ds_store_b16 v9, v36
	s_cbranch_vccz .LBB963_72
; %bb.69:
	s_waitcnt vmcnt(0) lgkmcnt(2)
	v_cndmask_b32_e64 v16, 0, 1, s11
	v_cndmask_b32_e64 v34, 0, 1, s9
	;; [unrolled: 1-line block ×5, first 2 shown]
	v_lshlrev_b16 v16, 8, v16
	v_cndmask_b32_e64 v46, 0, 1, s4
	v_cndmask_b32_e64 v44, 0, 1, s10
	;; [unrolled: 1-line block ×4, first 2 shown]
	v_lshlrev_b16 v17, 8, v17
	v_lshlrev_b16 v47, 8, v34
	v_or_b32_e32 v16, v31, v16
	v_lshlrev_b16 v31, 8, v32
	v_lshlrev_b16 v32, 8, v46
	v_or_b32_e32 v17, v18, v17
	v_or_b32_e32 v18, v44, v47
	v_and_b32_e32 v16, 0xffff, v16
	v_or_b32_e32 v31, v45, v31
	v_or_b32_e32 v32, 1, v32
	v_lshlrev_b32_e32 v17, 16, v17
	v_and_b32_e32 v18, 0xffff, v18
	v_cndmask_b32_e64 v45, 0, 1, s0
	v_lshlrev_b32_e32 v31, 16, v31
	v_and_b32_e32 v46, 0xffff, v32
	v_or_b32_e32 v32, v16, v17
	s_waitcnt lgkmcnt(0)
	v_lshl_or_b32 v18, v45, 16, v18
	s_barrier
	v_or_b32_e32 v31, v46, v31
	buffer_gl0_inv
                                        ; implicit-def: $sgpr0
	s_and_saveexec_b32 s1, s3
	s_delay_alu instid0(SALU_CYCLE_1)
	s_xor_b32 s1, exec_lo, s1
	s_cbranch_execz .LBB963_71
; %bb.70:
	v_add_nc_u32_e32 v16, -2, v9
	s_or_b32 s24, s24, exec_lo
	ds_load_u16 v16, v16
	s_waitcnt lgkmcnt(0)
	v_cmp_ne_u16_e32 vcc_lo, v16, v12
                                        ; implicit-def: $vgpr16_vgpr17_vgpr18
	s_and_b32 s0, vcc_lo, exec_lo
.LBB963_71:
	s_or_b32 exec_lo, exec_lo, s1
	s_branch .LBB963_75
.LBB963_72:
                                        ; implicit-def: $sgpr0
                                        ; implicit-def: $vgpr45
                                        ; implicit-def: $vgpr34
                                        ; implicit-def: $vgpr44
                                        ; implicit-def: $vgpr32
                                        ; implicit-def: $vgpr16_vgpr17_vgpr18
	s_cbranch_execz .LBB963_75
; %bb.73:
	v_cmp_gt_u32_e32 vcc_lo, s21, v11
	v_cmp_ne_u16_e64 s0, v38, v37
	v_cmp_gt_u32_e64 s5, s21, v33
	v_cmp_ne_u16_e64 s6, v39, v38
	v_cmp_gt_u32_e64 s1, s21, v10
	v_cmp_ne_u16_e64 s4, v37, v36
	s_and_b32 s0, vcc_lo, s0
	v_cmp_gt_u32_e32 vcc_lo, s21, v2
	v_cndmask_b32_e64 v34, 0, 1, s0
	v_cmp_ne_u16_e64 s0, v15, v39
	s_and_b32 s5, s5, s6
	v_cmp_ne_u16_e64 s6, v40, v15
	v_cndmask_b32_e64 v44, 0, 1, s5
	v_cmp_gt_u32_e64 s5, s21, v4
	s_and_b32 s0, vcc_lo, s0
	v_cmp_gt_u32_e32 vcc_lo, s21, v7
	s_waitcnt vmcnt(0) lgkmcnt(2)
	v_cndmask_b32_e64 v16, 0, 1, s0
	v_cmp_ne_u16_e64 s0, v14, v40
	s_and_b32 s5, s5, s6
	v_cmp_ne_u16_e64 s6, v41, v14
	v_cndmask_b32_e64 v17, 0, 1, s5
	v_cmp_gt_u32_e64 s5, s21, v8
	s_and_b32 s0, vcc_lo, s0
	v_cmp_gt_u32_e32 vcc_lo, s21, v3
	v_cndmask_b32_e64 v18, 0, 1, s0
	v_cmp_ne_u16_e64 s0, v13, v41
	s_and_b32 s5, s5, s6
	v_cmp_ne_u16_e64 s6, v42, v13
	v_cndmask_b32_e64 v31, 0, 1, s5
	v_cmp_gt_u32_e64 s5, s21, v6
	s_and_b32 s0, vcc_lo, s0
	v_cmp_gt_u32_e32 vcc_lo, s21, v5
	v_cndmask_b32_e64 v32, 0, 1, s0
	v_cmp_ne_u16_e64 s0, v12, v42
	v_lshlrev_b16 v18, 8, v18
	v_lshlrev_b16 v16, 8, v16
	s_and_b32 s5, s5, s6
	v_lshlrev_b16 v47, 8, v34
	s_and_b32 s0, vcc_lo, s0
	v_cndmask_b32_e64 v45, 0, 1, s5
	v_cndmask_b32_e64 v46, 0, 1, s0
	v_or_b32_e32 v18, v31, v18
	v_or_b32_e32 v16, v17, v16
	v_lshlrev_b16 v17, 8, v32
	v_or_b32_e32 v32, v44, v47
	v_lshlrev_b16 v31, 8, v46
	s_and_b32 s0, s1, s4
	v_and_b32_e32 v18, 0xffff, v18
	v_or_b32_e32 v17, v45, v17
	v_lshlrev_b32_e32 v16, 16, v16
	v_or_b32_e32 v31, 1, v31
	v_and_b32_e32 v46, 0xffff, v32
	v_cndmask_b32_e64 v45, 0, 1, s0
	v_lshlrev_b32_e32 v17, 16, v17
	v_or_b32_e32 v32, v18, v16
	v_and_b32_e32 v31, 0xffff, v31
	s_waitcnt lgkmcnt(0)
	v_lshl_or_b32 v18, v45, 16, v46
	s_barrier
	buffer_gl0_inv
	v_or_b32_e32 v31, v31, v17
                                        ; implicit-def: $sgpr0
	s_and_saveexec_b32 s1, s3
	s_cbranch_execz .LBB963_209
; %bb.74:
	v_add_nc_u32_e32 v9, -2, v9
	v_cmp_gt_u32_e32 vcc_lo, s21, v1
	s_or_b32 s24, s24, exec_lo
                                        ; implicit-def: $vgpr16_vgpr17_vgpr18
	ds_load_u16 v9, v9
	s_waitcnt lgkmcnt(0)
	v_cmp_ne_u16_e64 s0, v9, v12
	s_delay_alu instid0(VALU_DEP_1) | instskip(NEXT) | instid1(SALU_CYCLE_1)
	s_and_b32 s0, vcc_lo, s0
	s_and_b32 s0, s0, exec_lo
	s_or_b32 exec_lo, exec_lo, s1
.LBB963_75:
	s_and_saveexec_b32 s1, s24
	s_cbranch_execz .LBB963_77
.LBB963_76:
	s_waitcnt vmcnt(0) lgkmcnt(1)
	v_lshrrev_b32_e32 v16, 24, v31
	v_lshrrev_b32_e32 v17, 16, v31
	;; [unrolled: 1-line block ×3, first 2 shown]
	v_cndmask_b32_e64 v9, 0, 1, s0
	v_lshlrev_b16 v31, 8, v34
	v_and_b32_e32 v34, 0xff, v44
	v_lshlrev_b16 v16, 8, v16
	v_and_b32_e32 v17, 0xff, v17
	;; [unrolled: 2-line block ×3, first 2 shown]
	v_or_b32_e32 v31, v34, v31
	s_delay_alu instid0(VALU_DEP_4) | instskip(NEXT) | instid1(VALU_DEP_4)
	v_or_b32_e32 v16, v17, v16
	v_or_b32_e32 v9, v9, v18
	s_delay_alu instid0(VALU_DEP_4) | instskip(NEXT) | instid1(VALU_DEP_4)
	v_lshlrev_b32_e32 v17, 16, v44
	v_and_b32_e32 v18, 0xffff, v31
	s_delay_alu instid0(VALU_DEP_4) | instskip(NEXT) | instid1(VALU_DEP_4)
	v_lshlrev_b32_e32 v16, 16, v16
	v_and_b32_e32 v9, 0xffff, v9
	s_delay_alu instid0(VALU_DEP_3) | instskip(NEXT) | instid1(VALU_DEP_2)
	v_or_b32_e32 v18, v18, v17
	v_or_b32_e32 v31, v9, v16
.LBB963_77:
	s_or_b32 exec_lo, exec_lo, s1
	s_delay_alu instid0(SALU_CYCLE_1)
	s_and_not1_b32 vcc_lo, exec_lo, s22
	s_cbranch_vccnz .LBB963_79
; %bb.78:
	v_cmp_gt_u32_e32 vcc_lo, s21, v1
	v_cmp_gt_u32_e64 s0, s21, v5
	v_and_b32_e32 v5, 0xffffff00, v32
	v_cmp_gt_u32_e64 s3, s21, v6
	v_cmp_gt_u32_e64 s5, s21, v3
	v_cndmask_b32_e32 v1, 0, v31, vcc_lo
	v_cmp_gt_u32_e32 vcc_lo, s21, v33
	v_cmp_gt_u32_e64 s1, s21, v11
	v_cmp_gt_u32_e64 s4, s21, v10
	s_delay_alu instid0(VALU_DEP_4) | instskip(NEXT) | instid1(VALU_DEP_1)
	v_and_b32_e32 v1, 0xff, v1
	v_cndmask_b32_e64 v1, v1, v31, s0
	v_cmp_gt_u32_e64 s0, s21, v8
	s_delay_alu instid0(VALU_DEP_2) | instskip(NEXT) | instid1(VALU_DEP_2)
	v_and_b32_e32 v1, 0xffff, v1
	v_cndmask_b32_e64 v5, v5, v32, s0
	s_delay_alu instid0(VALU_DEP_2) | instskip(NEXT) | instid1(VALU_DEP_2)
	v_cndmask_b32_e64 v1, v1, v31, s3
	v_and_b32_e32 v5, 0xffff00ff, v5
	v_cmp_gt_u32_e64 s3, s21, v7
	s_delay_alu instid0(VALU_DEP_3) | instskip(NEXT) | instid1(VALU_DEP_2)
	v_and_b32_e32 v1, 0xffffff, v1
	v_cndmask_b32_e64 v5, v5, v32, s3
	s_delay_alu instid0(VALU_DEP_2) | instskip(NEXT) | instid1(VALU_DEP_2)
	v_cndmask_b32_e64 v1, v1, v31, s5
	v_and_b32_e32 v3, 0xff00ffff, v5
	s_delay_alu instid0(VALU_DEP_2) | instskip(SKIP_1) | instid1(VALU_DEP_2)
	v_cndmask_b32_e64 v1, v1, v31, s0
	v_cmp_gt_u32_e64 s0, s21, v4
	v_cndmask_b32_e64 v1, v1, v31, s3
	s_delay_alu instid0(VALU_DEP_2) | instskip(SKIP_1) | instid1(VALU_DEP_3)
	v_cndmask_b32_e64 v3, v3, v32, s0
	v_cmp_gt_u32_e64 s3, s21, v2
	v_cndmask_b32_e64 v1, v1, v31, s0
	s_delay_alu instid0(VALU_DEP_3) | instskip(SKIP_1) | instid1(VALU_DEP_1)
	v_and_b32_e32 v2, 0xffffff, v3
	v_and_b32_e32 v9, 0xff000000, v18
	v_cndmask_b32_e32 v9, v9, v18, vcc_lo
	s_delay_alu instid0(VALU_DEP_1) | instskip(NEXT) | instid1(VALU_DEP_1)
	v_and_b32_e32 v9, 0xff0000ff, v9
	v_cndmask_b32_e64 v8, v9, v18, s1
	s_or_b32 s1, s4, s1
	s_delay_alu instid0(SALU_CYCLE_1) | instskip(NEXT) | instid1(VALU_DEP_1)
	s_or_b32 s0, s1, vcc_lo
	v_and_b32_e32 v6, 0xff00ffff, v8
	s_or_b32 vcc_lo, s0, s3
	v_dual_cndmask_b32 v32, v2, v32 :: v_dual_cndmask_b32 v1, v1, v31
	s_delay_alu instid0(VALU_DEP_2) | instskip(NEXT) | instid1(VALU_DEP_2)
	v_cndmask_b32_e64 v6, v6, v18, s4
	v_perm_b32 v31, v1, v1, 0x3020104
	s_delay_alu instid0(VALU_DEP_2) | instskip(SKIP_1) | instid1(VALU_DEP_2)
	v_lshrrev_b32_e32 v5, 8, v6
	v_and_b32_e32 v4, 0xff, v6
	v_lshlrev_b16 v5, 8, v5
	s_delay_alu instid0(VALU_DEP_1) | instskip(NEXT) | instid1(VALU_DEP_1)
	v_or_b32_e32 v3, v4, v5
	v_and_b32_e32 v2, 0xffff, v3
	s_delay_alu instid0(VALU_DEP_1)
	v_and_or_b32 v18, 0xff0000, v6, v2
.LBB963_79:
	s_delay_alu instid0(VALU_DEP_1)
	v_and_b32_e32 v45, 0xff, v31
	v_bfe_u32 v46, v31, 8, 8
	v_alignbit_b32 v1, v32, v31, 24
	v_bfe_u32 v47, v31, 16, 8
	v_and_b32_e32 v48, 0xff, v32
	v_bfe_u32 v50, v32, 8, 8
	v_bfe_u32 v51, v32, 16, 8
	v_and_b32_e32 v49, 0xff, v1
	v_add3_u32 v1, v46, v45, v47
	v_lshrrev_b32_e32 v44, 24, v32
	v_mbcnt_lo_u32_b32 v54, -1, 0
	v_and_b32_e32 v52, 0xff, v18
	v_bfe_u32 v53, v18, 8, 8
	v_add3_u32 v1, v1, v49, v48
	v_bfe_u32 v3, v18, 16, 8
	v_and_b32_e32 v2, 15, v54
	v_or_b32_e32 v4, 31, v0
	v_and_b32_e32 v5, 16, v54
	v_add3_u32 v1, v1, v50, v51
	v_lshrrev_b32_e32 v55, 5, v0
	v_cmp_eq_u32_e64 s6, 0, v2
	v_cmp_lt_u32_e64 s5, 1, v2
	v_cmp_lt_u32_e64 s4, 3, v2
	v_add3_u32 v1, v1, v44, v52
	v_cmp_lt_u32_e64 s3, 7, v2
	v_cmp_eq_u32_e64 s1, 0, v5
	v_cmp_eq_u32_e64 s0, v4, v0
	s_and_b32 vcc_lo, exec_lo, s23
	v_add3_u32 v56, v1, v53, v3
	s_mov_b32 s7, -1
	s_waitcnt vmcnt(0) lgkmcnt(0)
	s_barrier
	buffer_gl0_inv
	s_cbranch_vccz .LBB963_110
; %bb.80:
	v_mov_b32_dpp v1, v56 row_shr:1 row_mask:0xf bank_mask:0xf
	s_delay_alu instid0(VALU_DEP_1) | instskip(NEXT) | instid1(VALU_DEP_1)
	v_cndmask_b32_e64 v1, v1, 0, s6
	v_add_nc_u32_e32 v1, v1, v56
	s_delay_alu instid0(VALU_DEP_1) | instskip(NEXT) | instid1(VALU_DEP_1)
	v_mov_b32_dpp v2, v1 row_shr:2 row_mask:0xf bank_mask:0xf
	v_cndmask_b32_e64 v2, 0, v2, s5
	s_delay_alu instid0(VALU_DEP_1) | instskip(NEXT) | instid1(VALU_DEP_1)
	v_add_nc_u32_e32 v1, v1, v2
	v_mov_b32_dpp v2, v1 row_shr:4 row_mask:0xf bank_mask:0xf
	s_delay_alu instid0(VALU_DEP_1) | instskip(NEXT) | instid1(VALU_DEP_1)
	v_cndmask_b32_e64 v2, 0, v2, s4
	v_add_nc_u32_e32 v1, v1, v2
	s_delay_alu instid0(VALU_DEP_1) | instskip(NEXT) | instid1(VALU_DEP_1)
	v_mov_b32_dpp v2, v1 row_shr:8 row_mask:0xf bank_mask:0xf
	v_cndmask_b32_e64 v2, 0, v2, s3
	s_delay_alu instid0(VALU_DEP_1) | instskip(SKIP_3) | instid1(VALU_DEP_1)
	v_add_nc_u32_e32 v1, v1, v2
	ds_swizzle_b32 v2, v1 offset:swizzle(BROADCAST,32,15)
	s_waitcnt lgkmcnt(0)
	v_cndmask_b32_e64 v2, v2, 0, s1
	v_add_nc_u32_e32 v1, v1, v2
	s_and_saveexec_b32 s7, s0
	s_cbranch_execz .LBB963_82
; %bb.81:
	v_lshlrev_b32_e32 v2, 2, v55
	ds_store_b32 v2, v1
.LBB963_82:
	s_or_b32 exec_lo, exec_lo, s7
	s_delay_alu instid0(SALU_CYCLE_1)
	s_mov_b32 s7, exec_lo
	s_waitcnt lgkmcnt(0)
	s_barrier
	buffer_gl0_inv
	v_cmpx_gt_u32_e32 4, v0
	s_cbranch_execz .LBB963_84
; %bb.83:
	v_and_b32_e32 v4, 3, v54
	s_delay_alu instid0(VALU_DEP_1) | instskip(SKIP_4) | instid1(VALU_DEP_1)
	v_cmp_ne_u32_e32 vcc_lo, 0, v4
	v_lshlrev_b32_e32 v2, 2, v0
	ds_load_b32 v3, v2
	s_waitcnt lgkmcnt(0)
	v_mov_b32_dpp v5, v3 row_shr:1 row_mask:0xf bank_mask:0xf
	v_cndmask_b32_e32 v5, 0, v5, vcc_lo
	v_cmp_lt_u32_e32 vcc_lo, 1, v4
	s_delay_alu instid0(VALU_DEP_2) | instskip(NEXT) | instid1(VALU_DEP_1)
	v_add_nc_u32_e32 v3, v5, v3
	v_mov_b32_dpp v5, v3 row_shr:2 row_mask:0xf bank_mask:0xf
	s_delay_alu instid0(VALU_DEP_1) | instskip(NEXT) | instid1(VALU_DEP_1)
	v_cndmask_b32_e32 v4, 0, v5, vcc_lo
	v_add_nc_u32_e32 v3, v3, v4
	ds_store_b32 v2, v3
.LBB963_84:
	s_or_b32 exec_lo, exec_lo, s7
	v_cmp_gt_u32_e32 vcc_lo, 32, v0
	s_mov_b32 s8, exec_lo
	s_waitcnt lgkmcnt(0)
	s_barrier
	buffer_gl0_inv
                                        ; implicit-def: $vgpr9
	v_cmpx_lt_u32_e32 31, v0
	s_cbranch_execz .LBB963_86
; %bb.85:
	v_lshl_add_u32 v2, v55, 2, -4
	ds_load_b32 v9, v2
	s_waitcnt lgkmcnt(0)
	v_add_nc_u32_e32 v1, v9, v1
.LBB963_86:
	s_or_b32 exec_lo, exec_lo, s8
	v_add_nc_u32_e32 v2, -1, v54
	s_delay_alu instid0(VALU_DEP_1) | instskip(NEXT) | instid1(VALU_DEP_1)
	v_cmp_gt_i32_e64 s7, 0, v2
	v_cndmask_b32_e64 v2, v2, v54, s7
	v_cmp_eq_u32_e64 s7, 0, v54
	s_delay_alu instid0(VALU_DEP_2)
	v_lshlrev_b32_e32 v2, 2, v2
	ds_bpermute_b32 v10, v2, v1
	s_and_saveexec_b32 s8, vcc_lo
	s_cbranch_execz .LBB963_109
; %bb.87:
	v_mov_b32_e32 v5, 0
	ds_load_b32 v1, v5 offset:12
	s_and_saveexec_b32 s9, s7
	s_cbranch_execz .LBB963_89
; %bb.88:
	s_add_i32 s10, s20, 32
	s_mov_b32 s11, 0
	v_mov_b32_e32 v2, 1
	s_lshl_b64 s[10:11], s[10:11], 3
	s_delay_alu instid0(SALU_CYCLE_1)
	s_add_u32 s10, s18, s10
	s_addc_u32 s11, s19, s11
	s_waitcnt lgkmcnt(0)
	global_store_b64 v5, v[1:2], s[10:11]
.LBB963_89:
	s_or_b32 exec_lo, exec_lo, s9
	v_xad_u32 v3, v54, -1, s20
	s_mov_b32 s10, 0
	s_mov_b32 s9, exec_lo
	s_delay_alu instid0(VALU_DEP_1) | instskip(NEXT) | instid1(VALU_DEP_1)
	v_add_nc_u32_e32 v4, 32, v3
	v_lshlrev_b64 v[4:5], 3, v[4:5]
	s_delay_alu instid0(VALU_DEP_1) | instskip(NEXT) | instid1(VALU_DEP_2)
	v_add_co_u32 v7, vcc_lo, s18, v4
	v_add_co_ci_u32_e32 v8, vcc_lo, s19, v5, vcc_lo
	global_load_b64 v[5:6], v[7:8], off glc
	s_waitcnt vmcnt(0)
	v_and_b32_e32 v2, 0xff, v6
	s_delay_alu instid0(VALU_DEP_1)
	v_cmpx_eq_u16_e32 0, v2
	s_cbranch_execz .LBB963_95
; %bb.90:
	s_mov_b32 s11, 1
	.p2align	6
.LBB963_91:                             ; =>This Loop Header: Depth=1
                                        ;     Child Loop BB963_92 Depth 2
	s_delay_alu instid0(SALU_CYCLE_1)
	s_max_u32 s21, s11, 1
.LBB963_92:                             ;   Parent Loop BB963_91 Depth=1
                                        ; =>  This Inner Loop Header: Depth=2
	s_delay_alu instid0(SALU_CYCLE_1)
	s_add_i32 s21, s21, -1
	s_sleep 1
	s_cmp_eq_u32 s21, 0
	s_cbranch_scc0 .LBB963_92
; %bb.93:                               ;   in Loop: Header=BB963_91 Depth=1
	global_load_b64 v[5:6], v[7:8], off glc
	s_cmp_lt_u32 s11, 32
	s_cselect_b32 s21, -1, 0
	s_delay_alu instid0(SALU_CYCLE_1) | instskip(SKIP_3) | instid1(VALU_DEP_1)
	s_cmp_lg_u32 s21, 0
	s_addc_u32 s11, s11, 0
	s_waitcnt vmcnt(0)
	v_and_b32_e32 v2, 0xff, v6
	v_cmp_ne_u16_e32 vcc_lo, 0, v2
	s_or_b32 s10, vcc_lo, s10
	s_delay_alu instid0(SALU_CYCLE_1)
	s_and_not1_b32 exec_lo, exec_lo, s10
	s_cbranch_execnz .LBB963_91
; %bb.94:
	s_or_b32 exec_lo, exec_lo, s10
.LBB963_95:
	s_delay_alu instid0(SALU_CYCLE_1)
	s_or_b32 exec_lo, exec_lo, s9
	v_cmp_ne_u32_e32 vcc_lo, 31, v54
	v_lshlrev_b32_e64 v16, v54, -1
	v_add_nc_u32_e32 v33, 2, v54
	v_add_nc_u32_e32 v57, 4, v54
	;; [unrolled: 1-line block ×3, first 2 shown]
	v_add_co_ci_u32_e32 v2, vcc_lo, 0, v54, vcc_lo
	v_add_nc_u32_e32 v61, 16, v54
	s_delay_alu instid0(VALU_DEP_2)
	v_lshlrev_b32_e32 v11, 2, v2
	v_and_b32_e32 v2, 0xff, v6
	ds_bpermute_b32 v4, v11, v5
	v_cmp_eq_u16_e32 vcc_lo, 2, v2
	v_and_or_b32 v2, vcc_lo, v16, 0x80000000
	v_cmp_gt_u32_e32 vcc_lo, 30, v54
	s_delay_alu instid0(VALU_DEP_2) | instskip(SKIP_1) | instid1(VALU_DEP_2)
	v_ctz_i32_b32_e32 v2, v2
	v_cndmask_b32_e64 v7, 0, 1, vcc_lo
	v_cmp_lt_u32_e32 vcc_lo, v54, v2
	s_waitcnt lgkmcnt(0)
	s_delay_alu instid0(VALU_DEP_2) | instskip(NEXT) | instid1(VALU_DEP_1)
	v_dual_cndmask_b32 v4, 0, v4 :: v_dual_lshlrev_b32 v7, 1, v7
	v_add_lshl_u32 v17, v7, v54, 2
	v_cmp_gt_u32_e32 vcc_lo, 28, v54
	s_delay_alu instid0(VALU_DEP_3) | instskip(SKIP_4) | instid1(VALU_DEP_1)
	v_add_nc_u32_e32 v4, v4, v5
	v_cndmask_b32_e64 v7, 0, 1, vcc_lo
	v_cmp_le_u32_e32 vcc_lo, v33, v2
	ds_bpermute_b32 v5, v17, v4
	v_lshlrev_b32_e32 v7, 2, v7
	v_add_lshl_u32 v34, v7, v54, 2
	s_waitcnt lgkmcnt(0)
	v_cndmask_b32_e32 v5, 0, v5, vcc_lo
	v_cmp_gt_u32_e32 vcc_lo, 24, v54
	s_delay_alu instid0(VALU_DEP_2) | instskip(SKIP_4) | instid1(VALU_DEP_1)
	v_add_nc_u32_e32 v4, v4, v5
	v_cndmask_b32_e64 v7, 0, 1, vcc_lo
	v_cmp_le_u32_e32 vcc_lo, v57, v2
	ds_bpermute_b32 v5, v34, v4
	v_lshlrev_b32_e32 v7, 3, v7
	v_add_lshl_u32 v58, v7, v54, 2
	s_waitcnt lgkmcnt(0)
	v_cndmask_b32_e32 v5, 0, v5, vcc_lo
	v_cmp_gt_u32_e32 vcc_lo, 16, v54
	s_delay_alu instid0(VALU_DEP_2) | instskip(SKIP_4) | instid1(VALU_DEP_1)
	v_add_nc_u32_e32 v4, v4, v5
	v_cndmask_b32_e64 v7, 0, 1, vcc_lo
	v_cmp_le_u32_e32 vcc_lo, v59, v2
	ds_bpermute_b32 v5, v58, v4
	v_lshlrev_b32_e32 v7, 4, v7
	v_add_lshl_u32 v60, v7, v54, 2
	s_waitcnt lgkmcnt(0)
	v_cndmask_b32_e32 v5, 0, v5, vcc_lo
	v_cmp_le_u32_e32 vcc_lo, v61, v2
	s_delay_alu instid0(VALU_DEP_2) | instskip(SKIP_3) | instid1(VALU_DEP_1)
	v_add_nc_u32_e32 v4, v4, v5
	ds_bpermute_b32 v5, v60, v4
	s_waitcnt lgkmcnt(0)
	v_cndmask_b32_e32 v2, 0, v5, vcc_lo
	v_dual_mov_b32 v4, 0 :: v_dual_add_nc_u32 v5, v4, v2
	s_branch .LBB963_97
.LBB963_96:                             ;   in Loop: Header=BB963_97 Depth=1
	s_or_b32 exec_lo, exec_lo, s9
	ds_bpermute_b32 v8, v11, v5
	v_and_b32_e32 v7, 0xff, v6
	v_subrev_nc_u32_e32 v3, 32, v3
	s_delay_alu instid0(VALU_DEP_2) | instskip(SKIP_1) | instid1(VALU_DEP_1)
	v_cmp_eq_u16_e32 vcc_lo, 2, v7
	v_and_or_b32 v7, vcc_lo, v16, 0x80000000
	v_ctz_i32_b32_e32 v7, v7
	s_delay_alu instid0(VALU_DEP_1) | instskip(SKIP_3) | instid1(VALU_DEP_2)
	v_cmp_lt_u32_e32 vcc_lo, v54, v7
	s_waitcnt lgkmcnt(0)
	v_cndmask_b32_e32 v8, 0, v8, vcc_lo
	v_cmp_le_u32_e32 vcc_lo, v33, v7
	v_add_nc_u32_e32 v5, v8, v5
	ds_bpermute_b32 v8, v17, v5
	s_waitcnt lgkmcnt(0)
	v_cndmask_b32_e32 v8, 0, v8, vcc_lo
	v_cmp_le_u32_e32 vcc_lo, v57, v7
	s_delay_alu instid0(VALU_DEP_2) | instskip(SKIP_4) | instid1(VALU_DEP_2)
	v_add_nc_u32_e32 v5, v5, v8
	ds_bpermute_b32 v8, v34, v5
	s_waitcnt lgkmcnt(0)
	v_cndmask_b32_e32 v8, 0, v8, vcc_lo
	v_cmp_le_u32_e32 vcc_lo, v59, v7
	v_add_nc_u32_e32 v5, v5, v8
	ds_bpermute_b32 v8, v58, v5
	s_waitcnt lgkmcnt(0)
	v_cndmask_b32_e32 v8, 0, v8, vcc_lo
	v_cmp_le_u32_e32 vcc_lo, v61, v7
	s_delay_alu instid0(VALU_DEP_2) | instskip(SKIP_3) | instid1(VALU_DEP_1)
	v_add_nc_u32_e32 v5, v5, v8
	ds_bpermute_b32 v8, v60, v5
	s_waitcnt lgkmcnt(0)
	v_cndmask_b32_e32 v7, 0, v8, vcc_lo
	v_add3_u32 v5, v7, v2, v5
.LBB963_97:                             ; =>This Loop Header: Depth=1
                                        ;     Child Loop BB963_100 Depth 2
                                        ;       Child Loop BB963_101 Depth 3
	v_and_b32_e32 v2, 0xff, v6
	s_delay_alu instid0(VALU_DEP_1) | instskip(SKIP_2) | instid1(VALU_DEP_1)
	v_cmp_ne_u16_e32 vcc_lo, 2, v2
	v_cndmask_b32_e64 v2, 0, 1, vcc_lo
	;;#ASMSTART
	;;#ASMEND
	v_cmp_ne_u32_e32 vcc_lo, 0, v2
	v_mov_b32_e32 v2, v5
	s_cmp_lg_u32 vcc_lo, exec_lo
	s_cbranch_scc1 .LBB963_104
; %bb.98:                               ;   in Loop: Header=BB963_97 Depth=1
	v_lshlrev_b64 v[5:6], 3, v[3:4]
	s_mov_b32 s9, exec_lo
	s_delay_alu instid0(VALU_DEP_1) | instskip(NEXT) | instid1(VALU_DEP_2)
	v_add_co_u32 v7, vcc_lo, s18, v5
	v_add_co_ci_u32_e32 v8, vcc_lo, s19, v6, vcc_lo
	global_load_b64 v[5:6], v[7:8], off glc
	s_waitcnt vmcnt(0)
	v_and_b32_e32 v62, 0xff, v6
	s_delay_alu instid0(VALU_DEP_1)
	v_cmpx_eq_u16_e32 0, v62
	s_cbranch_execz .LBB963_96
; %bb.99:                               ;   in Loop: Header=BB963_97 Depth=1
	s_mov_b32 s11, 1
	s_mov_b32 s10, 0
	.p2align	6
.LBB963_100:                            ;   Parent Loop BB963_97 Depth=1
                                        ; =>  This Loop Header: Depth=2
                                        ;       Child Loop BB963_101 Depth 3
	s_max_u32 s21, s11, 1
.LBB963_101:                            ;   Parent Loop BB963_97 Depth=1
                                        ;     Parent Loop BB963_100 Depth=2
                                        ; =>    This Inner Loop Header: Depth=3
	s_delay_alu instid0(SALU_CYCLE_1)
	s_add_i32 s21, s21, -1
	s_sleep 1
	s_cmp_eq_u32 s21, 0
	s_cbranch_scc0 .LBB963_101
; %bb.102:                              ;   in Loop: Header=BB963_100 Depth=2
	global_load_b64 v[5:6], v[7:8], off glc
	s_cmp_lt_u32 s11, 32
	s_cselect_b32 s21, -1, 0
	s_delay_alu instid0(SALU_CYCLE_1) | instskip(SKIP_3) | instid1(VALU_DEP_1)
	s_cmp_lg_u32 s21, 0
	s_addc_u32 s11, s11, 0
	s_waitcnt vmcnt(0)
	v_and_b32_e32 v62, 0xff, v6
	v_cmp_ne_u16_e32 vcc_lo, 0, v62
	s_or_b32 s10, vcc_lo, s10
	s_delay_alu instid0(SALU_CYCLE_1)
	s_and_not1_b32 exec_lo, exec_lo, s10
	s_cbranch_execnz .LBB963_100
; %bb.103:                              ;   in Loop: Header=BB963_97 Depth=1
	s_or_b32 exec_lo, exec_lo, s10
	s_branch .LBB963_96
.LBB963_104:                            ;   in Loop: Header=BB963_97 Depth=1
                                        ; implicit-def: $vgpr5
                                        ; implicit-def: $vgpr6
	s_cbranch_execz .LBB963_97
; %bb.105:
	s_and_saveexec_b32 s9, s7
	s_cbranch_execz .LBB963_107
; %bb.106:
	s_add_i32 s10, s20, 32
	s_mov_b32 s11, 0
	v_dual_mov_b32 v4, 2 :: v_dual_add_nc_u32 v3, v2, v1
	s_lshl_b64 s[10:11], s[10:11], 3
	v_mov_b32_e32 v5, 0
	s_add_u32 s10, s18, s10
	s_addc_u32 s11, s19, s11
	global_store_b64 v5, v[3:4], s[10:11]
	ds_store_b64 v5, v[1:2] offset:5632
.LBB963_107:
	s_or_b32 exec_lo, exec_lo, s9
	s_delay_alu instid0(SALU_CYCLE_1)
	s_and_b32 exec_lo, exec_lo, s2
	s_cbranch_execz .LBB963_109
; %bb.108:
	v_mov_b32_e32 v1, 0
	ds_store_b32 v1, v2 offset:12
.LBB963_109:
	s_or_b32 exec_lo, exec_lo, s8
	v_mov_b32_e32 v11, 0
	s_waitcnt lgkmcnt(0)
	s_waitcnt_vscnt null, 0x0
	s_barrier
	buffer_gl0_inv
	v_cndmask_b32_e64 v2, v10, v9, s7
	ds_load_b32 v1, v11 offset:12
	s_waitcnt lgkmcnt(0)
	s_barrier
	buffer_gl0_inv
	v_cndmask_b32_e64 v2, v2, 0, s2
	s_delay_alu instid0(VALU_DEP_1) | instskip(NEXT) | instid1(VALU_DEP_1)
	v_add_nc_u32_e32 v1, v1, v2
	v_add_nc_u32_e32 v2, v1, v45
	ds_load_b64 v[16:17], v11 offset:5632
	v_add_nc_u32_e32 v3, v2, v46
	s_delay_alu instid0(VALU_DEP_1) | instskip(NEXT) | instid1(VALU_DEP_1)
	v_add_nc_u32_e32 v4, v3, v47
	v_add_nc_u32_e32 v5, v4, v49
	s_delay_alu instid0(VALU_DEP_1) | instskip(NEXT) | instid1(VALU_DEP_1)
	v_add_nc_u32_e32 v6, v5, v48
	v_add_nc_u32_e32 v7, v6, v50
	s_delay_alu instid0(VALU_DEP_1) | instskip(NEXT) | instid1(VALU_DEP_1)
	v_add_nc_u32_e32 v8, v7, v51
	v_add_nc_u32_e32 v9, v8, v44
	s_delay_alu instid0(VALU_DEP_1) | instskip(NEXT) | instid1(VALU_DEP_1)
	v_add_nc_u32_e32 v10, v9, v52
	v_add_nc_u32_e32 v11, v10, v53
	v_lshrrev_b64 v[33:34], 24, v[31:32]
	s_branch .LBB963_120
.LBB963_110:
                                        ; implicit-def: $vgpr17
                                        ; implicit-def: $vgpr1_vgpr2_vgpr3_vgpr4_vgpr5_vgpr6_vgpr7_vgpr8_vgpr9_vgpr10_vgpr11
	v_lshrrev_b64 v[33:34], 24, v[31:32]
	s_and_b32 vcc_lo, exec_lo, s7
	s_cbranch_vccz .LBB963_120
; %bb.111:
	v_mov_b32_dpp v1, v56 row_shr:1 row_mask:0xf bank_mask:0xf
	s_delay_alu instid0(VALU_DEP_1) | instskip(NEXT) | instid1(VALU_DEP_1)
	v_cndmask_b32_e64 v1, v1, 0, s6
	v_add_nc_u32_e32 v1, v1, v56
	s_delay_alu instid0(VALU_DEP_1) | instskip(NEXT) | instid1(VALU_DEP_1)
	v_mov_b32_dpp v2, v1 row_shr:2 row_mask:0xf bank_mask:0xf
	v_cndmask_b32_e64 v2, 0, v2, s5
	s_delay_alu instid0(VALU_DEP_1) | instskip(NEXT) | instid1(VALU_DEP_1)
	v_add_nc_u32_e32 v1, v1, v2
	v_mov_b32_dpp v2, v1 row_shr:4 row_mask:0xf bank_mask:0xf
	s_delay_alu instid0(VALU_DEP_1) | instskip(NEXT) | instid1(VALU_DEP_1)
	v_cndmask_b32_e64 v2, 0, v2, s4
	v_add_nc_u32_e32 v1, v1, v2
	s_delay_alu instid0(VALU_DEP_1) | instskip(NEXT) | instid1(VALU_DEP_1)
	v_mov_b32_dpp v2, v1 row_shr:8 row_mask:0xf bank_mask:0xf
	v_cndmask_b32_e64 v2, 0, v2, s3
	s_delay_alu instid0(VALU_DEP_1) | instskip(SKIP_3) | instid1(VALU_DEP_1)
	v_add_nc_u32_e32 v1, v1, v2
	ds_swizzle_b32 v2, v1 offset:swizzle(BROADCAST,32,15)
	s_waitcnt lgkmcnt(0)
	v_cndmask_b32_e64 v2, v2, 0, s1
	v_add_nc_u32_e32 v1, v1, v2
	s_and_saveexec_b32 s1, s0
	s_cbranch_execz .LBB963_113
; %bb.112:
	v_lshlrev_b32_e32 v2, 2, v55
	ds_store_b32 v2, v1
.LBB963_113:
	s_or_b32 exec_lo, exec_lo, s1
	s_delay_alu instid0(SALU_CYCLE_1)
	s_mov_b32 s0, exec_lo
	s_waitcnt lgkmcnt(0)
	s_barrier
	buffer_gl0_inv
	v_cmpx_gt_u32_e32 4, v0
	s_cbranch_execz .LBB963_115
; %bb.114:
	v_mad_i32_i24 v2, 0xffffffd8, v0, v43
	ds_load_b32 v3, v2
	s_waitcnt lgkmcnt(0)
	v_mov_b32_dpp v5, v3 row_shr:1 row_mask:0xf bank_mask:0xf
	v_and_b32_e32 v4, 3, v54
	s_delay_alu instid0(VALU_DEP_1) | instskip(NEXT) | instid1(VALU_DEP_3)
	v_cmp_ne_u32_e32 vcc_lo, 0, v4
	v_cndmask_b32_e32 v5, 0, v5, vcc_lo
	v_cmp_lt_u32_e32 vcc_lo, 1, v4
	s_delay_alu instid0(VALU_DEP_2) | instskip(NEXT) | instid1(VALU_DEP_1)
	v_add_nc_u32_e32 v3, v5, v3
	v_mov_b32_dpp v5, v3 row_shr:2 row_mask:0xf bank_mask:0xf
	s_delay_alu instid0(VALU_DEP_1) | instskip(NEXT) | instid1(VALU_DEP_1)
	v_cndmask_b32_e32 v4, 0, v5, vcc_lo
	v_add_nc_u32_e32 v3, v3, v4
	ds_store_b32 v2, v3
.LBB963_115:
	s_or_b32 exec_lo, exec_lo, s0
	v_dual_mov_b32 v3, 0 :: v_dual_mov_b32 v2, 0
	s_mov_b32 s0, exec_lo
	s_waitcnt lgkmcnt(0)
	s_barrier
	buffer_gl0_inv
	v_cmpx_lt_u32_e32 31, v0
	s_cbranch_execz .LBB963_117
; %bb.116:
	v_lshl_add_u32 v2, v55, 2, -4
	ds_load_b32 v2, v2
.LBB963_117:
	s_or_b32 exec_lo, exec_lo, s0
	v_add_nc_u32_e32 v4, -1, v54
	ds_load_b32 v16, v3 offset:12
	s_waitcnt lgkmcnt(1)
	v_add_nc_u32_e32 v1, v2, v1
	v_cmp_gt_i32_e32 vcc_lo, 0, v4
	v_cndmask_b32_e32 v4, v4, v54, vcc_lo
	s_delay_alu instid0(VALU_DEP_1)
	v_lshlrev_b32_e32 v4, 2, v4
	ds_bpermute_b32 v1, v4, v1
	s_and_saveexec_b32 s0, s2
	s_cbranch_execz .LBB963_119
; %bb.118:
	v_mov_b32_e32 v3, 0
	v_mov_b32_e32 v17, 2
	s_waitcnt lgkmcnt(1)
	global_store_b64 v3, v[16:17], s[18:19] offset:256
.LBB963_119:
	s_or_b32 exec_lo, exec_lo, s0
	v_cmp_eq_u32_e32 vcc_lo, 0, v54
	s_waitcnt lgkmcnt(0)
	s_waitcnt_vscnt null, 0x0
	s_barrier
	buffer_gl0_inv
	v_mov_b32_e32 v17, 0
	v_cndmask_b32_e32 v1, v1, v2, vcc_lo
	s_delay_alu instid0(VALU_DEP_1) | instskip(NEXT) | instid1(VALU_DEP_1)
	v_cndmask_b32_e64 v1, v1, 0, s2
	v_add_nc_u32_e32 v2, v1, v45
	s_delay_alu instid0(VALU_DEP_1) | instskip(NEXT) | instid1(VALU_DEP_1)
	v_add_nc_u32_e32 v3, v2, v46
	v_add_nc_u32_e32 v4, v3, v47
	s_delay_alu instid0(VALU_DEP_1) | instskip(NEXT) | instid1(VALU_DEP_1)
	v_add_nc_u32_e32 v5, v4, v49
	v_add_nc_u32_e32 v6, v5, v48
	s_delay_alu instid0(VALU_DEP_1) | instskip(NEXT) | instid1(VALU_DEP_1)
	v_add_nc_u32_e32 v7, v6, v50
	v_add_nc_u32_e32 v8, v7, v51
	s_delay_alu instid0(VALU_DEP_1) | instskip(NEXT) | instid1(VALU_DEP_1)
	v_add_nc_u32_e32 v9, v8, v44
	v_add_nc_u32_e32 v10, v9, v52
	s_delay_alu instid0(VALU_DEP_1)
	v_add_nc_u32_e32 v11, v10, v53
.LBB963_120:
	v_lshrrev_b32_e32 v47, 16, v31
	v_lshrrev_b32_e32 v48, 8, v31
	v_and_b32_e32 v31, 1, v31
	s_waitcnt lgkmcnt(0)
	v_cmp_gt_u32_e64 s0, 0x81, v16
	v_lshrrev_b32_e32 v34, 16, v18
	v_lshrrev_b32_e32 v46, 8, v32
	;; [unrolled: 1-line block ×4, first 2 shown]
	v_cmp_eq_u32_e64 s1, 1, v31
	s_and_b32 vcc_lo, exec_lo, s0
	s_cbranch_vccnz .LBB963_144
; %bb.121:
	s_delay_alu instid0(VALU_DEP_1)
	s_and_saveexec_b32 s3, s1
	s_cbranch_execz .LBB963_123
; %bb.122:
	v_sub_nc_u32_e32 v49, v1, v17
	s_delay_alu instid0(VALU_DEP_1)
	v_lshlrev_b32_e32 v49, 1, v49
	ds_store_b16 v49, v12
.LBB963_123:
	s_or_b32 exec_lo, exec_lo, s3
	v_and_b32_e32 v12, 1, v48
	s_mov_b32 s1, exec_lo
	s_delay_alu instid0(VALU_DEP_1)
	v_cmpx_eq_u32_e32 1, v12
	s_cbranch_execz .LBB963_125
; %bb.124:
	v_sub_nc_u32_e32 v12, v2, v17
	s_delay_alu instid0(VALU_DEP_1)
	v_lshlrev_b32_e32 v12, 1, v12
	ds_store_b16 v12, v42
.LBB963_125:
	s_or_b32 exec_lo, exec_lo, s1
	v_and_b32_e32 v12, 1, v47
	s_mov_b32 s1, exec_lo
	s_delay_alu instid0(VALU_DEP_1)
	v_cmpx_eq_u32_e32 1, v12
	;; [unrolled: 12-line block ×10, first 2 shown]
	s_cbranch_execz .LBB963_143
; %bb.142:
	v_sub_nc_u32_e32 v12, v11, v17
	s_delay_alu instid0(VALU_DEP_1)
	v_lshlrev_b32_e32 v12, 1, v12
	ds_store_b16 v12, v36
.LBB963_143:
	s_or_b32 exec_lo, exec_lo, s1
	s_waitcnt lgkmcnt(0)
	s_barrier
	buffer_gl0_inv
.LBB963_144:
	s_and_b32 vcc_lo, exec_lo, s0
	s_mov_b32 s0, -1
	s_barrier
	buffer_gl0_inv
	s_cbranch_vccnz .LBB963_148
; %bb.145:
	s_and_b32 vcc_lo, exec_lo, s0
	s_cbranch_vccnz .LBB963_182
.LBB963_146:
	s_and_b32 s0, s2, s14
	s_delay_alu instid0(SALU_CYCLE_1)
	s_and_saveexec_b32 s1, s0
	s_cbranch_execnz .LBB963_208
.LBB963_147:
	s_nop 0
	s_sendmsg sendmsg(MSG_DEALLOC_VGPRS)
	s_endpgm
.LBB963_148:
	v_lshlrev_b64 v[12:13], 2, v[19:20]
	v_add_nc_u32_e32 v14, v17, v16
	s_delay_alu instid0(VALU_DEP_1) | instskip(NEXT) | instid1(VALU_DEP_3)
	v_cmp_lt_u32_e32 vcc_lo, v1, v14
	v_add_co_u32 v12, s0, s16, v12
	s_delay_alu instid0(VALU_DEP_1) | instskip(SKIP_1) | instid1(SALU_CYCLE_1)
	v_add_co_ci_u32_e64 v13, s0, s17, v13, s0
	s_or_b32 s1, s15, vcc_lo
	s_and_saveexec_b32 s0, s1
	s_cbranch_execz .LBB963_151
; %bb.149:
	v_cmp_eq_u32_e32 vcc_lo, 1, v31
	s_and_b32 exec_lo, exec_lo, vcc_lo
	s_cbranch_execz .LBB963_151
; %bb.150:
	v_dual_mov_b32 v37, 0 :: v_dual_mov_b32 v36, v1
	s_delay_alu instid0(VALU_DEP_1) | instskip(NEXT) | instid1(VALU_DEP_1)
	v_lshlrev_b64 v[36:37], 2, v[36:37]
	v_add_co_u32 v36, vcc_lo, v12, v36
	s_delay_alu instid0(VALU_DEP_2)
	v_add_co_ci_u32_e32 v37, vcc_lo, v13, v37, vcc_lo
	global_store_b32 v[36:37], v29, off
.LBB963_151:
	s_or_b32 exec_lo, exec_lo, s0
	v_cmp_lt_u32_e32 vcc_lo, v2, v14
	s_or_b32 s1, s15, vcc_lo
	s_delay_alu instid0(SALU_CYCLE_1)
	s_and_saveexec_b32 s0, s1
	s_cbranch_execz .LBB963_154
; %bb.152:
	v_and_b32_e32 v15, 1, v48
	s_delay_alu instid0(VALU_DEP_1)
	v_cmp_eq_u32_e32 vcc_lo, 1, v15
	s_and_b32 exec_lo, exec_lo, vcc_lo
	s_cbranch_execz .LBB963_154
; %bb.153:
	v_dual_mov_b32 v37, 0 :: v_dual_mov_b32 v36, v2
	s_delay_alu instid0(VALU_DEP_1) | instskip(NEXT) | instid1(VALU_DEP_1)
	v_lshlrev_b64 v[36:37], 2, v[36:37]
	v_add_co_u32 v36, vcc_lo, v12, v36
	s_delay_alu instid0(VALU_DEP_2)
	v_add_co_ci_u32_e32 v37, vcc_lo, v13, v37, vcc_lo
	global_store_b32 v[36:37], v30, off
.LBB963_154:
	s_or_b32 exec_lo, exec_lo, s0
	v_cmp_lt_u32_e32 vcc_lo, v3, v14
	s_or_b32 s1, s15, vcc_lo
	s_delay_alu instid0(SALU_CYCLE_1)
	s_and_saveexec_b32 s0, s1
	s_cbranch_execz .LBB963_157
; %bb.155:
	v_and_b32_e32 v15, 1, v47
	s_delay_alu instid0(VALU_DEP_1)
	v_cmp_eq_u32_e32 vcc_lo, 1, v15
	s_and_b32 exec_lo, exec_lo, vcc_lo
	s_cbranch_execz .LBB963_157
; %bb.156:
	v_dual_mov_b32 v37, 0 :: v_dual_mov_b32 v36, v3
	s_delay_alu instid0(VALU_DEP_1) | instskip(NEXT) | instid1(VALU_DEP_1)
	v_lshlrev_b64 v[36:37], 2, v[36:37]
	v_add_co_u32 v36, vcc_lo, v12, v36
	s_delay_alu instid0(VALU_DEP_2)
	v_add_co_ci_u32_e32 v37, vcc_lo, v13, v37, vcc_lo
	global_store_b32 v[36:37], v27, off
.LBB963_157:
	;; [unrolled: 21-line block ×10, first 2 shown]
	s_or_b32 exec_lo, exec_lo, s0
	s_branch .LBB963_146
.LBB963_182:
	s_mov_b32 s0, exec_lo
	v_cmpx_eq_u32_e32 1, v31
	s_cbranch_execz .LBB963_184
; %bb.183:
	v_sub_nc_u32_e32 v1, v1, v17
	s_delay_alu instid0(VALU_DEP_1)
	v_lshlrev_b32_e32 v1, 2, v1
	ds_store_b32 v1, v29
.LBB963_184:
	s_or_b32 exec_lo, exec_lo, s0
	v_and_b32_e32 v1, 1, v48
	s_mov_b32 s0, exec_lo
	s_delay_alu instid0(VALU_DEP_1)
	v_cmpx_eq_u32_e32 1, v1
	s_cbranch_execz .LBB963_186
; %bb.185:
	v_sub_nc_u32_e32 v1, v2, v17
	s_delay_alu instid0(VALU_DEP_1)
	v_lshlrev_b32_e32 v1, 2, v1
	ds_store_b32 v1, v30
.LBB963_186:
	s_or_b32 exec_lo, exec_lo, s0
	v_and_b32_e32 v1, 1, v47
	s_mov_b32 s0, exec_lo
	s_delay_alu instid0(VALU_DEP_1)
	;; [unrolled: 12-line block ×10, first 2 shown]
	v_cmpx_eq_u32_e32 1, v1
	s_cbranch_execz .LBB963_204
; %bb.203:
	v_sub_nc_u32_e32 v1, v11, v17
	s_delay_alu instid0(VALU_DEP_1)
	v_lshlrev_b32_e32 v1, 2, v1
	ds_store_b32 v1, v35
.LBB963_204:
	s_or_b32 exec_lo, exec_lo, s0
	s_delay_alu instid0(SALU_CYCLE_1)
	s_mov_b32 s1, exec_lo
	s_waitcnt lgkmcnt(0)
	s_waitcnt_vscnt null, 0x0
	s_barrier
	buffer_gl0_inv
	v_cmpx_lt_u32_e64 v0, v16
	s_cbranch_execz .LBB963_207
; %bb.205:
	v_dual_mov_b32 v1, 0 :: v_dual_mov_b32 v2, v17
	v_lshlrev_b64 v[4:5], 2, v[19:20]
	s_mov_b32 s3, 0
	s_delay_alu instid0(VALU_DEP_2) | instskip(NEXT) | instid1(VALU_DEP_2)
	v_mov_b32_e32 v3, v1
	v_add_co_u32 v4, vcc_lo, s16, v4
	s_delay_alu instid0(VALU_DEP_2) | instskip(NEXT) | instid1(VALU_DEP_4)
	v_lshlrev_b64 v[2:3], 2, v[2:3]
	v_add_co_ci_u32_e32 v5, vcc_lo, s17, v5, vcc_lo
	s_delay_alu instid0(VALU_DEP_2) | instskip(SKIP_1) | instid1(VALU_DEP_3)
	v_add_co_u32 v2, vcc_lo, v4, v2
	v_lshlrev_b32_e32 v4, 2, v0
	v_add_co_ci_u32_e32 v3, vcc_lo, v5, v3, vcc_lo
	.p2align	6
.LBB963_206:                            ; =>This Inner Loop Header: Depth=1
	ds_load_b32 v7, v4
	v_lshlrev_b64 v[5:6], 2, v[0:1]
	v_add_nc_u32_e32 v0, 0x80, v0
	v_add_nc_u32_e32 v4, 0x200, v4
	s_delay_alu instid0(VALU_DEP_2) | instskip(NEXT) | instid1(VALU_DEP_4)
	v_cmp_ge_u32_e32 vcc_lo, v0, v16
	v_add_co_u32 v5, s0, v2, v5
	s_delay_alu instid0(VALU_DEP_1)
	v_add_co_ci_u32_e64 v6, s0, v3, v6, s0
	s_or_b32 s3, vcc_lo, s3
	s_waitcnt lgkmcnt(0)
	global_store_b32 v[5:6], v7, off
	s_and_not1_b32 exec_lo, exec_lo, s3
	s_cbranch_execnz .LBB963_206
.LBB963_207:
	s_or_b32 exec_lo, exec_lo, s1
	s_and_b32 s0, s2, s14
	s_delay_alu instid0(SALU_CYCLE_1)
	s_and_saveexec_b32 s1, s0
	s_cbranch_execz .LBB963_147
.LBB963_208:
	v_add_co_u32 v0, vcc_lo, v19, v16
	v_add_co_ci_u32_e32 v1, vcc_lo, 0, v20, vcc_lo
	v_mov_b32_e32 v2, 0
	s_delay_alu instid0(VALU_DEP_3) | instskip(NEXT) | instid1(VALU_DEP_3)
	v_add_co_u32 v0, vcc_lo, v0, v17
	v_add_co_ci_u32_e32 v1, vcc_lo, 0, v1, vcc_lo
	global_store_b64 v2, v[0:1], s[12:13]
	s_nop 0
	s_sendmsg sendmsg(MSG_DEALLOC_VGPRS)
	s_endpgm
.LBB963_209:
	s_or_b32 exec_lo, exec_lo, s1
	s_and_saveexec_b32 s1, s24
	s_cbranch_execnz .LBB963_76
	s_branch .LBB963_77
	.section	.rodata,"a",@progbits
	.p2align	6, 0x0
	.amdhsa_kernel _ZN7rocprim17ROCPRIM_400000_NS6detail17trampoline_kernelINS0_14default_configENS1_25partition_config_selectorILNS1_17partition_subalgoE9EtjbEEZZNS1_14partition_implILS5_9ELb0ES3_jN6thrust23THRUST_200600_302600_NS6detail15normal_iteratorINS9_10device_ptrItEEEENSB_INSC_IjEEEEPNS0_10empty_typeENS0_5tupleIJNS9_16discard_iteratorINS9_11use_defaultEEESH_EEENSJ_IJSG_SI_EEENS0_18inequality_wrapperINS9_8equal_toItEEEEPmJSH_EEE10hipError_tPvRmT3_T4_T5_T6_T7_T9_mT8_P12ihipStream_tbDpT10_ENKUlT_T0_E_clISt17integral_constantIbLb1EES1D_EEDaS18_S19_EUlS18_E_NS1_11comp_targetILNS1_3genE9ELNS1_11target_archE1100ELNS1_3gpuE3ELNS1_3repE0EEENS1_30default_config_static_selectorELNS0_4arch9wavefront6targetE0EEEvT1_
		.amdhsa_group_segment_fixed_size 5640
		.amdhsa_private_segment_fixed_size 0
		.amdhsa_kernarg_size 136
		.amdhsa_user_sgpr_count 15
		.amdhsa_user_sgpr_dispatch_ptr 0
		.amdhsa_user_sgpr_queue_ptr 0
		.amdhsa_user_sgpr_kernarg_segment_ptr 1
		.amdhsa_user_sgpr_dispatch_id 0
		.amdhsa_user_sgpr_private_segment_size 0
		.amdhsa_wavefront_size32 1
		.amdhsa_uses_dynamic_stack 0
		.amdhsa_enable_private_segment 0
		.amdhsa_system_sgpr_workgroup_id_x 1
		.amdhsa_system_sgpr_workgroup_id_y 0
		.amdhsa_system_sgpr_workgroup_id_z 0
		.amdhsa_system_sgpr_workgroup_info 0
		.amdhsa_system_vgpr_workitem_id 0
		.amdhsa_next_free_vgpr 63
		.amdhsa_next_free_sgpr 26
		.amdhsa_reserve_vcc 1
		.amdhsa_float_round_mode_32 0
		.amdhsa_float_round_mode_16_64 0
		.amdhsa_float_denorm_mode_32 3
		.amdhsa_float_denorm_mode_16_64 3
		.amdhsa_dx10_clamp 1
		.amdhsa_ieee_mode 1
		.amdhsa_fp16_overflow 0
		.amdhsa_workgroup_processor_mode 1
		.amdhsa_memory_ordered 1
		.amdhsa_forward_progress 0
		.amdhsa_shared_vgpr_count 0
		.amdhsa_exception_fp_ieee_invalid_op 0
		.amdhsa_exception_fp_denorm_src 0
		.amdhsa_exception_fp_ieee_div_zero 0
		.amdhsa_exception_fp_ieee_overflow 0
		.amdhsa_exception_fp_ieee_underflow 0
		.amdhsa_exception_fp_ieee_inexact 0
		.amdhsa_exception_int_div_zero 0
	.end_amdhsa_kernel
	.section	.text._ZN7rocprim17ROCPRIM_400000_NS6detail17trampoline_kernelINS0_14default_configENS1_25partition_config_selectorILNS1_17partition_subalgoE9EtjbEEZZNS1_14partition_implILS5_9ELb0ES3_jN6thrust23THRUST_200600_302600_NS6detail15normal_iteratorINS9_10device_ptrItEEEENSB_INSC_IjEEEEPNS0_10empty_typeENS0_5tupleIJNS9_16discard_iteratorINS9_11use_defaultEEESH_EEENSJ_IJSG_SI_EEENS0_18inequality_wrapperINS9_8equal_toItEEEEPmJSH_EEE10hipError_tPvRmT3_T4_T5_T6_T7_T9_mT8_P12ihipStream_tbDpT10_ENKUlT_T0_E_clISt17integral_constantIbLb1EES1D_EEDaS18_S19_EUlS18_E_NS1_11comp_targetILNS1_3genE9ELNS1_11target_archE1100ELNS1_3gpuE3ELNS1_3repE0EEENS1_30default_config_static_selectorELNS0_4arch9wavefront6targetE0EEEvT1_,"axG",@progbits,_ZN7rocprim17ROCPRIM_400000_NS6detail17trampoline_kernelINS0_14default_configENS1_25partition_config_selectorILNS1_17partition_subalgoE9EtjbEEZZNS1_14partition_implILS5_9ELb0ES3_jN6thrust23THRUST_200600_302600_NS6detail15normal_iteratorINS9_10device_ptrItEEEENSB_INSC_IjEEEEPNS0_10empty_typeENS0_5tupleIJNS9_16discard_iteratorINS9_11use_defaultEEESH_EEENSJ_IJSG_SI_EEENS0_18inequality_wrapperINS9_8equal_toItEEEEPmJSH_EEE10hipError_tPvRmT3_T4_T5_T6_T7_T9_mT8_P12ihipStream_tbDpT10_ENKUlT_T0_E_clISt17integral_constantIbLb1EES1D_EEDaS18_S19_EUlS18_E_NS1_11comp_targetILNS1_3genE9ELNS1_11target_archE1100ELNS1_3gpuE3ELNS1_3repE0EEENS1_30default_config_static_selectorELNS0_4arch9wavefront6targetE0EEEvT1_,comdat
.Lfunc_end963:
	.size	_ZN7rocprim17ROCPRIM_400000_NS6detail17trampoline_kernelINS0_14default_configENS1_25partition_config_selectorILNS1_17partition_subalgoE9EtjbEEZZNS1_14partition_implILS5_9ELb0ES3_jN6thrust23THRUST_200600_302600_NS6detail15normal_iteratorINS9_10device_ptrItEEEENSB_INSC_IjEEEEPNS0_10empty_typeENS0_5tupleIJNS9_16discard_iteratorINS9_11use_defaultEEESH_EEENSJ_IJSG_SI_EEENS0_18inequality_wrapperINS9_8equal_toItEEEEPmJSH_EEE10hipError_tPvRmT3_T4_T5_T6_T7_T9_mT8_P12ihipStream_tbDpT10_ENKUlT_T0_E_clISt17integral_constantIbLb1EES1D_EEDaS18_S19_EUlS18_E_NS1_11comp_targetILNS1_3genE9ELNS1_11target_archE1100ELNS1_3gpuE3ELNS1_3repE0EEENS1_30default_config_static_selectorELNS0_4arch9wavefront6targetE0EEEvT1_, .Lfunc_end963-_ZN7rocprim17ROCPRIM_400000_NS6detail17trampoline_kernelINS0_14default_configENS1_25partition_config_selectorILNS1_17partition_subalgoE9EtjbEEZZNS1_14partition_implILS5_9ELb0ES3_jN6thrust23THRUST_200600_302600_NS6detail15normal_iteratorINS9_10device_ptrItEEEENSB_INSC_IjEEEEPNS0_10empty_typeENS0_5tupleIJNS9_16discard_iteratorINS9_11use_defaultEEESH_EEENSJ_IJSG_SI_EEENS0_18inequality_wrapperINS9_8equal_toItEEEEPmJSH_EEE10hipError_tPvRmT3_T4_T5_T6_T7_T9_mT8_P12ihipStream_tbDpT10_ENKUlT_T0_E_clISt17integral_constantIbLb1EES1D_EEDaS18_S19_EUlS18_E_NS1_11comp_targetILNS1_3genE9ELNS1_11target_archE1100ELNS1_3gpuE3ELNS1_3repE0EEENS1_30default_config_static_selectorELNS0_4arch9wavefront6targetE0EEEvT1_
                                        ; -- End function
	.section	.AMDGPU.csdata,"",@progbits
; Kernel info:
; codeLenInByte = 9456
; NumSgprs: 28
; NumVgprs: 63
; ScratchSize: 0
; MemoryBound: 0
; FloatMode: 240
; IeeeMode: 1
; LDSByteSize: 5640 bytes/workgroup (compile time only)
; SGPRBlocks: 3
; VGPRBlocks: 7
; NumSGPRsForWavesPerEU: 28
; NumVGPRsForWavesPerEU: 63
; Occupancy: 16
; WaveLimiterHint : 1
; COMPUTE_PGM_RSRC2:SCRATCH_EN: 0
; COMPUTE_PGM_RSRC2:USER_SGPR: 15
; COMPUTE_PGM_RSRC2:TRAP_HANDLER: 0
; COMPUTE_PGM_RSRC2:TGID_X_EN: 1
; COMPUTE_PGM_RSRC2:TGID_Y_EN: 0
; COMPUTE_PGM_RSRC2:TGID_Z_EN: 0
; COMPUTE_PGM_RSRC2:TIDIG_COMP_CNT: 0
	.section	.text._ZN7rocprim17ROCPRIM_400000_NS6detail17trampoline_kernelINS0_14default_configENS1_25partition_config_selectorILNS1_17partition_subalgoE9EtjbEEZZNS1_14partition_implILS5_9ELb0ES3_jN6thrust23THRUST_200600_302600_NS6detail15normal_iteratorINS9_10device_ptrItEEEENSB_INSC_IjEEEEPNS0_10empty_typeENS0_5tupleIJNS9_16discard_iteratorINS9_11use_defaultEEESH_EEENSJ_IJSG_SI_EEENS0_18inequality_wrapperINS9_8equal_toItEEEEPmJSH_EEE10hipError_tPvRmT3_T4_T5_T6_T7_T9_mT8_P12ihipStream_tbDpT10_ENKUlT_T0_E_clISt17integral_constantIbLb1EES1D_EEDaS18_S19_EUlS18_E_NS1_11comp_targetILNS1_3genE8ELNS1_11target_archE1030ELNS1_3gpuE2ELNS1_3repE0EEENS1_30default_config_static_selectorELNS0_4arch9wavefront6targetE0EEEvT1_,"axG",@progbits,_ZN7rocprim17ROCPRIM_400000_NS6detail17trampoline_kernelINS0_14default_configENS1_25partition_config_selectorILNS1_17partition_subalgoE9EtjbEEZZNS1_14partition_implILS5_9ELb0ES3_jN6thrust23THRUST_200600_302600_NS6detail15normal_iteratorINS9_10device_ptrItEEEENSB_INSC_IjEEEEPNS0_10empty_typeENS0_5tupleIJNS9_16discard_iteratorINS9_11use_defaultEEESH_EEENSJ_IJSG_SI_EEENS0_18inequality_wrapperINS9_8equal_toItEEEEPmJSH_EEE10hipError_tPvRmT3_T4_T5_T6_T7_T9_mT8_P12ihipStream_tbDpT10_ENKUlT_T0_E_clISt17integral_constantIbLb1EES1D_EEDaS18_S19_EUlS18_E_NS1_11comp_targetILNS1_3genE8ELNS1_11target_archE1030ELNS1_3gpuE2ELNS1_3repE0EEENS1_30default_config_static_selectorELNS0_4arch9wavefront6targetE0EEEvT1_,comdat
	.protected	_ZN7rocprim17ROCPRIM_400000_NS6detail17trampoline_kernelINS0_14default_configENS1_25partition_config_selectorILNS1_17partition_subalgoE9EtjbEEZZNS1_14partition_implILS5_9ELb0ES3_jN6thrust23THRUST_200600_302600_NS6detail15normal_iteratorINS9_10device_ptrItEEEENSB_INSC_IjEEEEPNS0_10empty_typeENS0_5tupleIJNS9_16discard_iteratorINS9_11use_defaultEEESH_EEENSJ_IJSG_SI_EEENS0_18inequality_wrapperINS9_8equal_toItEEEEPmJSH_EEE10hipError_tPvRmT3_T4_T5_T6_T7_T9_mT8_P12ihipStream_tbDpT10_ENKUlT_T0_E_clISt17integral_constantIbLb1EES1D_EEDaS18_S19_EUlS18_E_NS1_11comp_targetILNS1_3genE8ELNS1_11target_archE1030ELNS1_3gpuE2ELNS1_3repE0EEENS1_30default_config_static_selectorELNS0_4arch9wavefront6targetE0EEEvT1_ ; -- Begin function _ZN7rocprim17ROCPRIM_400000_NS6detail17trampoline_kernelINS0_14default_configENS1_25partition_config_selectorILNS1_17partition_subalgoE9EtjbEEZZNS1_14partition_implILS5_9ELb0ES3_jN6thrust23THRUST_200600_302600_NS6detail15normal_iteratorINS9_10device_ptrItEEEENSB_INSC_IjEEEEPNS0_10empty_typeENS0_5tupleIJNS9_16discard_iteratorINS9_11use_defaultEEESH_EEENSJ_IJSG_SI_EEENS0_18inequality_wrapperINS9_8equal_toItEEEEPmJSH_EEE10hipError_tPvRmT3_T4_T5_T6_T7_T9_mT8_P12ihipStream_tbDpT10_ENKUlT_T0_E_clISt17integral_constantIbLb1EES1D_EEDaS18_S19_EUlS18_E_NS1_11comp_targetILNS1_3genE8ELNS1_11target_archE1030ELNS1_3gpuE2ELNS1_3repE0EEENS1_30default_config_static_selectorELNS0_4arch9wavefront6targetE0EEEvT1_
	.globl	_ZN7rocprim17ROCPRIM_400000_NS6detail17trampoline_kernelINS0_14default_configENS1_25partition_config_selectorILNS1_17partition_subalgoE9EtjbEEZZNS1_14partition_implILS5_9ELb0ES3_jN6thrust23THRUST_200600_302600_NS6detail15normal_iteratorINS9_10device_ptrItEEEENSB_INSC_IjEEEEPNS0_10empty_typeENS0_5tupleIJNS9_16discard_iteratorINS9_11use_defaultEEESH_EEENSJ_IJSG_SI_EEENS0_18inequality_wrapperINS9_8equal_toItEEEEPmJSH_EEE10hipError_tPvRmT3_T4_T5_T6_T7_T9_mT8_P12ihipStream_tbDpT10_ENKUlT_T0_E_clISt17integral_constantIbLb1EES1D_EEDaS18_S19_EUlS18_E_NS1_11comp_targetILNS1_3genE8ELNS1_11target_archE1030ELNS1_3gpuE2ELNS1_3repE0EEENS1_30default_config_static_selectorELNS0_4arch9wavefront6targetE0EEEvT1_
	.p2align	8
	.type	_ZN7rocprim17ROCPRIM_400000_NS6detail17trampoline_kernelINS0_14default_configENS1_25partition_config_selectorILNS1_17partition_subalgoE9EtjbEEZZNS1_14partition_implILS5_9ELb0ES3_jN6thrust23THRUST_200600_302600_NS6detail15normal_iteratorINS9_10device_ptrItEEEENSB_INSC_IjEEEEPNS0_10empty_typeENS0_5tupleIJNS9_16discard_iteratorINS9_11use_defaultEEESH_EEENSJ_IJSG_SI_EEENS0_18inequality_wrapperINS9_8equal_toItEEEEPmJSH_EEE10hipError_tPvRmT3_T4_T5_T6_T7_T9_mT8_P12ihipStream_tbDpT10_ENKUlT_T0_E_clISt17integral_constantIbLb1EES1D_EEDaS18_S19_EUlS18_E_NS1_11comp_targetILNS1_3genE8ELNS1_11target_archE1030ELNS1_3gpuE2ELNS1_3repE0EEENS1_30default_config_static_selectorELNS0_4arch9wavefront6targetE0EEEvT1_,@function
_ZN7rocprim17ROCPRIM_400000_NS6detail17trampoline_kernelINS0_14default_configENS1_25partition_config_selectorILNS1_17partition_subalgoE9EtjbEEZZNS1_14partition_implILS5_9ELb0ES3_jN6thrust23THRUST_200600_302600_NS6detail15normal_iteratorINS9_10device_ptrItEEEENSB_INSC_IjEEEEPNS0_10empty_typeENS0_5tupleIJNS9_16discard_iteratorINS9_11use_defaultEEESH_EEENSJ_IJSG_SI_EEENS0_18inequality_wrapperINS9_8equal_toItEEEEPmJSH_EEE10hipError_tPvRmT3_T4_T5_T6_T7_T9_mT8_P12ihipStream_tbDpT10_ENKUlT_T0_E_clISt17integral_constantIbLb1EES1D_EEDaS18_S19_EUlS18_E_NS1_11comp_targetILNS1_3genE8ELNS1_11target_archE1030ELNS1_3gpuE2ELNS1_3repE0EEENS1_30default_config_static_selectorELNS0_4arch9wavefront6targetE0EEEvT1_: ; @_ZN7rocprim17ROCPRIM_400000_NS6detail17trampoline_kernelINS0_14default_configENS1_25partition_config_selectorILNS1_17partition_subalgoE9EtjbEEZZNS1_14partition_implILS5_9ELb0ES3_jN6thrust23THRUST_200600_302600_NS6detail15normal_iteratorINS9_10device_ptrItEEEENSB_INSC_IjEEEEPNS0_10empty_typeENS0_5tupleIJNS9_16discard_iteratorINS9_11use_defaultEEESH_EEENSJ_IJSG_SI_EEENS0_18inequality_wrapperINS9_8equal_toItEEEEPmJSH_EEE10hipError_tPvRmT3_T4_T5_T6_T7_T9_mT8_P12ihipStream_tbDpT10_ENKUlT_T0_E_clISt17integral_constantIbLb1EES1D_EEDaS18_S19_EUlS18_E_NS1_11comp_targetILNS1_3genE8ELNS1_11target_archE1030ELNS1_3gpuE2ELNS1_3repE0EEENS1_30default_config_static_selectorELNS0_4arch9wavefront6targetE0EEEvT1_
; %bb.0:
	.section	.rodata,"a",@progbits
	.p2align	6, 0x0
	.amdhsa_kernel _ZN7rocprim17ROCPRIM_400000_NS6detail17trampoline_kernelINS0_14default_configENS1_25partition_config_selectorILNS1_17partition_subalgoE9EtjbEEZZNS1_14partition_implILS5_9ELb0ES3_jN6thrust23THRUST_200600_302600_NS6detail15normal_iteratorINS9_10device_ptrItEEEENSB_INSC_IjEEEEPNS0_10empty_typeENS0_5tupleIJNS9_16discard_iteratorINS9_11use_defaultEEESH_EEENSJ_IJSG_SI_EEENS0_18inequality_wrapperINS9_8equal_toItEEEEPmJSH_EEE10hipError_tPvRmT3_T4_T5_T6_T7_T9_mT8_P12ihipStream_tbDpT10_ENKUlT_T0_E_clISt17integral_constantIbLb1EES1D_EEDaS18_S19_EUlS18_E_NS1_11comp_targetILNS1_3genE8ELNS1_11target_archE1030ELNS1_3gpuE2ELNS1_3repE0EEENS1_30default_config_static_selectorELNS0_4arch9wavefront6targetE0EEEvT1_
		.amdhsa_group_segment_fixed_size 0
		.amdhsa_private_segment_fixed_size 0
		.amdhsa_kernarg_size 136
		.amdhsa_user_sgpr_count 15
		.amdhsa_user_sgpr_dispatch_ptr 0
		.amdhsa_user_sgpr_queue_ptr 0
		.amdhsa_user_sgpr_kernarg_segment_ptr 1
		.amdhsa_user_sgpr_dispatch_id 0
		.amdhsa_user_sgpr_private_segment_size 0
		.amdhsa_wavefront_size32 1
		.amdhsa_uses_dynamic_stack 0
		.amdhsa_enable_private_segment 0
		.amdhsa_system_sgpr_workgroup_id_x 1
		.amdhsa_system_sgpr_workgroup_id_y 0
		.amdhsa_system_sgpr_workgroup_id_z 0
		.amdhsa_system_sgpr_workgroup_info 0
		.amdhsa_system_vgpr_workitem_id 0
		.amdhsa_next_free_vgpr 1
		.amdhsa_next_free_sgpr 1
		.amdhsa_reserve_vcc 0
		.amdhsa_float_round_mode_32 0
		.amdhsa_float_round_mode_16_64 0
		.amdhsa_float_denorm_mode_32 3
		.amdhsa_float_denorm_mode_16_64 3
		.amdhsa_dx10_clamp 1
		.amdhsa_ieee_mode 1
		.amdhsa_fp16_overflow 0
		.amdhsa_workgroup_processor_mode 1
		.amdhsa_memory_ordered 1
		.amdhsa_forward_progress 0
		.amdhsa_shared_vgpr_count 0
		.amdhsa_exception_fp_ieee_invalid_op 0
		.amdhsa_exception_fp_denorm_src 0
		.amdhsa_exception_fp_ieee_div_zero 0
		.amdhsa_exception_fp_ieee_overflow 0
		.amdhsa_exception_fp_ieee_underflow 0
		.amdhsa_exception_fp_ieee_inexact 0
		.amdhsa_exception_int_div_zero 0
	.end_amdhsa_kernel
	.section	.text._ZN7rocprim17ROCPRIM_400000_NS6detail17trampoline_kernelINS0_14default_configENS1_25partition_config_selectorILNS1_17partition_subalgoE9EtjbEEZZNS1_14partition_implILS5_9ELb0ES3_jN6thrust23THRUST_200600_302600_NS6detail15normal_iteratorINS9_10device_ptrItEEEENSB_INSC_IjEEEEPNS0_10empty_typeENS0_5tupleIJNS9_16discard_iteratorINS9_11use_defaultEEESH_EEENSJ_IJSG_SI_EEENS0_18inequality_wrapperINS9_8equal_toItEEEEPmJSH_EEE10hipError_tPvRmT3_T4_T5_T6_T7_T9_mT8_P12ihipStream_tbDpT10_ENKUlT_T0_E_clISt17integral_constantIbLb1EES1D_EEDaS18_S19_EUlS18_E_NS1_11comp_targetILNS1_3genE8ELNS1_11target_archE1030ELNS1_3gpuE2ELNS1_3repE0EEENS1_30default_config_static_selectorELNS0_4arch9wavefront6targetE0EEEvT1_,"axG",@progbits,_ZN7rocprim17ROCPRIM_400000_NS6detail17trampoline_kernelINS0_14default_configENS1_25partition_config_selectorILNS1_17partition_subalgoE9EtjbEEZZNS1_14partition_implILS5_9ELb0ES3_jN6thrust23THRUST_200600_302600_NS6detail15normal_iteratorINS9_10device_ptrItEEEENSB_INSC_IjEEEEPNS0_10empty_typeENS0_5tupleIJNS9_16discard_iteratorINS9_11use_defaultEEESH_EEENSJ_IJSG_SI_EEENS0_18inequality_wrapperINS9_8equal_toItEEEEPmJSH_EEE10hipError_tPvRmT3_T4_T5_T6_T7_T9_mT8_P12ihipStream_tbDpT10_ENKUlT_T0_E_clISt17integral_constantIbLb1EES1D_EEDaS18_S19_EUlS18_E_NS1_11comp_targetILNS1_3genE8ELNS1_11target_archE1030ELNS1_3gpuE2ELNS1_3repE0EEENS1_30default_config_static_selectorELNS0_4arch9wavefront6targetE0EEEvT1_,comdat
.Lfunc_end964:
	.size	_ZN7rocprim17ROCPRIM_400000_NS6detail17trampoline_kernelINS0_14default_configENS1_25partition_config_selectorILNS1_17partition_subalgoE9EtjbEEZZNS1_14partition_implILS5_9ELb0ES3_jN6thrust23THRUST_200600_302600_NS6detail15normal_iteratorINS9_10device_ptrItEEEENSB_INSC_IjEEEEPNS0_10empty_typeENS0_5tupleIJNS9_16discard_iteratorINS9_11use_defaultEEESH_EEENSJ_IJSG_SI_EEENS0_18inequality_wrapperINS9_8equal_toItEEEEPmJSH_EEE10hipError_tPvRmT3_T4_T5_T6_T7_T9_mT8_P12ihipStream_tbDpT10_ENKUlT_T0_E_clISt17integral_constantIbLb1EES1D_EEDaS18_S19_EUlS18_E_NS1_11comp_targetILNS1_3genE8ELNS1_11target_archE1030ELNS1_3gpuE2ELNS1_3repE0EEENS1_30default_config_static_selectorELNS0_4arch9wavefront6targetE0EEEvT1_, .Lfunc_end964-_ZN7rocprim17ROCPRIM_400000_NS6detail17trampoline_kernelINS0_14default_configENS1_25partition_config_selectorILNS1_17partition_subalgoE9EtjbEEZZNS1_14partition_implILS5_9ELb0ES3_jN6thrust23THRUST_200600_302600_NS6detail15normal_iteratorINS9_10device_ptrItEEEENSB_INSC_IjEEEEPNS0_10empty_typeENS0_5tupleIJNS9_16discard_iteratorINS9_11use_defaultEEESH_EEENSJ_IJSG_SI_EEENS0_18inequality_wrapperINS9_8equal_toItEEEEPmJSH_EEE10hipError_tPvRmT3_T4_T5_T6_T7_T9_mT8_P12ihipStream_tbDpT10_ENKUlT_T0_E_clISt17integral_constantIbLb1EES1D_EEDaS18_S19_EUlS18_E_NS1_11comp_targetILNS1_3genE8ELNS1_11target_archE1030ELNS1_3gpuE2ELNS1_3repE0EEENS1_30default_config_static_selectorELNS0_4arch9wavefront6targetE0EEEvT1_
                                        ; -- End function
	.section	.AMDGPU.csdata,"",@progbits
; Kernel info:
; codeLenInByte = 0
; NumSgprs: 0
; NumVgprs: 0
; ScratchSize: 0
; MemoryBound: 0
; FloatMode: 240
; IeeeMode: 1
; LDSByteSize: 0 bytes/workgroup (compile time only)
; SGPRBlocks: 0
; VGPRBlocks: 0
; NumSGPRsForWavesPerEU: 1
; NumVGPRsForWavesPerEU: 1
; Occupancy: 16
; WaveLimiterHint : 0
; COMPUTE_PGM_RSRC2:SCRATCH_EN: 0
; COMPUTE_PGM_RSRC2:USER_SGPR: 15
; COMPUTE_PGM_RSRC2:TRAP_HANDLER: 0
; COMPUTE_PGM_RSRC2:TGID_X_EN: 1
; COMPUTE_PGM_RSRC2:TGID_Y_EN: 0
; COMPUTE_PGM_RSRC2:TGID_Z_EN: 0
; COMPUTE_PGM_RSRC2:TIDIG_COMP_CNT: 0
	.section	.text._ZN7rocprim17ROCPRIM_400000_NS6detail17trampoline_kernelINS0_14default_configENS1_25partition_config_selectorILNS1_17partition_subalgoE9EtjbEEZZNS1_14partition_implILS5_9ELb0ES3_jN6thrust23THRUST_200600_302600_NS6detail15normal_iteratorINS9_10device_ptrItEEEENSB_INSC_IjEEEEPNS0_10empty_typeENS0_5tupleIJNS9_16discard_iteratorINS9_11use_defaultEEESH_EEENSJ_IJSG_SI_EEENS0_18inequality_wrapperINS9_8equal_toItEEEEPmJSH_EEE10hipError_tPvRmT3_T4_T5_T6_T7_T9_mT8_P12ihipStream_tbDpT10_ENKUlT_T0_E_clISt17integral_constantIbLb1EES1C_IbLb0EEEEDaS18_S19_EUlS18_E_NS1_11comp_targetILNS1_3genE0ELNS1_11target_archE4294967295ELNS1_3gpuE0ELNS1_3repE0EEENS1_30default_config_static_selectorELNS0_4arch9wavefront6targetE0EEEvT1_,"axG",@progbits,_ZN7rocprim17ROCPRIM_400000_NS6detail17trampoline_kernelINS0_14default_configENS1_25partition_config_selectorILNS1_17partition_subalgoE9EtjbEEZZNS1_14partition_implILS5_9ELb0ES3_jN6thrust23THRUST_200600_302600_NS6detail15normal_iteratorINS9_10device_ptrItEEEENSB_INSC_IjEEEEPNS0_10empty_typeENS0_5tupleIJNS9_16discard_iteratorINS9_11use_defaultEEESH_EEENSJ_IJSG_SI_EEENS0_18inequality_wrapperINS9_8equal_toItEEEEPmJSH_EEE10hipError_tPvRmT3_T4_T5_T6_T7_T9_mT8_P12ihipStream_tbDpT10_ENKUlT_T0_E_clISt17integral_constantIbLb1EES1C_IbLb0EEEEDaS18_S19_EUlS18_E_NS1_11comp_targetILNS1_3genE0ELNS1_11target_archE4294967295ELNS1_3gpuE0ELNS1_3repE0EEENS1_30default_config_static_selectorELNS0_4arch9wavefront6targetE0EEEvT1_,comdat
	.protected	_ZN7rocprim17ROCPRIM_400000_NS6detail17trampoline_kernelINS0_14default_configENS1_25partition_config_selectorILNS1_17partition_subalgoE9EtjbEEZZNS1_14partition_implILS5_9ELb0ES3_jN6thrust23THRUST_200600_302600_NS6detail15normal_iteratorINS9_10device_ptrItEEEENSB_INSC_IjEEEEPNS0_10empty_typeENS0_5tupleIJNS9_16discard_iteratorINS9_11use_defaultEEESH_EEENSJ_IJSG_SI_EEENS0_18inequality_wrapperINS9_8equal_toItEEEEPmJSH_EEE10hipError_tPvRmT3_T4_T5_T6_T7_T9_mT8_P12ihipStream_tbDpT10_ENKUlT_T0_E_clISt17integral_constantIbLb1EES1C_IbLb0EEEEDaS18_S19_EUlS18_E_NS1_11comp_targetILNS1_3genE0ELNS1_11target_archE4294967295ELNS1_3gpuE0ELNS1_3repE0EEENS1_30default_config_static_selectorELNS0_4arch9wavefront6targetE0EEEvT1_ ; -- Begin function _ZN7rocprim17ROCPRIM_400000_NS6detail17trampoline_kernelINS0_14default_configENS1_25partition_config_selectorILNS1_17partition_subalgoE9EtjbEEZZNS1_14partition_implILS5_9ELb0ES3_jN6thrust23THRUST_200600_302600_NS6detail15normal_iteratorINS9_10device_ptrItEEEENSB_INSC_IjEEEEPNS0_10empty_typeENS0_5tupleIJNS9_16discard_iteratorINS9_11use_defaultEEESH_EEENSJ_IJSG_SI_EEENS0_18inequality_wrapperINS9_8equal_toItEEEEPmJSH_EEE10hipError_tPvRmT3_T4_T5_T6_T7_T9_mT8_P12ihipStream_tbDpT10_ENKUlT_T0_E_clISt17integral_constantIbLb1EES1C_IbLb0EEEEDaS18_S19_EUlS18_E_NS1_11comp_targetILNS1_3genE0ELNS1_11target_archE4294967295ELNS1_3gpuE0ELNS1_3repE0EEENS1_30default_config_static_selectorELNS0_4arch9wavefront6targetE0EEEvT1_
	.globl	_ZN7rocprim17ROCPRIM_400000_NS6detail17trampoline_kernelINS0_14default_configENS1_25partition_config_selectorILNS1_17partition_subalgoE9EtjbEEZZNS1_14partition_implILS5_9ELb0ES3_jN6thrust23THRUST_200600_302600_NS6detail15normal_iteratorINS9_10device_ptrItEEEENSB_INSC_IjEEEEPNS0_10empty_typeENS0_5tupleIJNS9_16discard_iteratorINS9_11use_defaultEEESH_EEENSJ_IJSG_SI_EEENS0_18inequality_wrapperINS9_8equal_toItEEEEPmJSH_EEE10hipError_tPvRmT3_T4_T5_T6_T7_T9_mT8_P12ihipStream_tbDpT10_ENKUlT_T0_E_clISt17integral_constantIbLb1EES1C_IbLb0EEEEDaS18_S19_EUlS18_E_NS1_11comp_targetILNS1_3genE0ELNS1_11target_archE4294967295ELNS1_3gpuE0ELNS1_3repE0EEENS1_30default_config_static_selectorELNS0_4arch9wavefront6targetE0EEEvT1_
	.p2align	8
	.type	_ZN7rocprim17ROCPRIM_400000_NS6detail17trampoline_kernelINS0_14default_configENS1_25partition_config_selectorILNS1_17partition_subalgoE9EtjbEEZZNS1_14partition_implILS5_9ELb0ES3_jN6thrust23THRUST_200600_302600_NS6detail15normal_iteratorINS9_10device_ptrItEEEENSB_INSC_IjEEEEPNS0_10empty_typeENS0_5tupleIJNS9_16discard_iteratorINS9_11use_defaultEEESH_EEENSJ_IJSG_SI_EEENS0_18inequality_wrapperINS9_8equal_toItEEEEPmJSH_EEE10hipError_tPvRmT3_T4_T5_T6_T7_T9_mT8_P12ihipStream_tbDpT10_ENKUlT_T0_E_clISt17integral_constantIbLb1EES1C_IbLb0EEEEDaS18_S19_EUlS18_E_NS1_11comp_targetILNS1_3genE0ELNS1_11target_archE4294967295ELNS1_3gpuE0ELNS1_3repE0EEENS1_30default_config_static_selectorELNS0_4arch9wavefront6targetE0EEEvT1_,@function
_ZN7rocprim17ROCPRIM_400000_NS6detail17trampoline_kernelINS0_14default_configENS1_25partition_config_selectorILNS1_17partition_subalgoE9EtjbEEZZNS1_14partition_implILS5_9ELb0ES3_jN6thrust23THRUST_200600_302600_NS6detail15normal_iteratorINS9_10device_ptrItEEEENSB_INSC_IjEEEEPNS0_10empty_typeENS0_5tupleIJNS9_16discard_iteratorINS9_11use_defaultEEESH_EEENSJ_IJSG_SI_EEENS0_18inequality_wrapperINS9_8equal_toItEEEEPmJSH_EEE10hipError_tPvRmT3_T4_T5_T6_T7_T9_mT8_P12ihipStream_tbDpT10_ENKUlT_T0_E_clISt17integral_constantIbLb1EES1C_IbLb0EEEEDaS18_S19_EUlS18_E_NS1_11comp_targetILNS1_3genE0ELNS1_11target_archE4294967295ELNS1_3gpuE0ELNS1_3repE0EEENS1_30default_config_static_selectorELNS0_4arch9wavefront6targetE0EEEvT1_: ; @_ZN7rocprim17ROCPRIM_400000_NS6detail17trampoline_kernelINS0_14default_configENS1_25partition_config_selectorILNS1_17partition_subalgoE9EtjbEEZZNS1_14partition_implILS5_9ELb0ES3_jN6thrust23THRUST_200600_302600_NS6detail15normal_iteratorINS9_10device_ptrItEEEENSB_INSC_IjEEEEPNS0_10empty_typeENS0_5tupleIJNS9_16discard_iteratorINS9_11use_defaultEEESH_EEENSJ_IJSG_SI_EEENS0_18inequality_wrapperINS9_8equal_toItEEEEPmJSH_EEE10hipError_tPvRmT3_T4_T5_T6_T7_T9_mT8_P12ihipStream_tbDpT10_ENKUlT_T0_E_clISt17integral_constantIbLb1EES1C_IbLb0EEEEDaS18_S19_EUlS18_E_NS1_11comp_targetILNS1_3genE0ELNS1_11target_archE4294967295ELNS1_3gpuE0ELNS1_3repE0EEENS1_30default_config_static_selectorELNS0_4arch9wavefront6targetE0EEEvT1_
; %bb.0:
	.section	.rodata,"a",@progbits
	.p2align	6, 0x0
	.amdhsa_kernel _ZN7rocprim17ROCPRIM_400000_NS6detail17trampoline_kernelINS0_14default_configENS1_25partition_config_selectorILNS1_17partition_subalgoE9EtjbEEZZNS1_14partition_implILS5_9ELb0ES3_jN6thrust23THRUST_200600_302600_NS6detail15normal_iteratorINS9_10device_ptrItEEEENSB_INSC_IjEEEEPNS0_10empty_typeENS0_5tupleIJNS9_16discard_iteratorINS9_11use_defaultEEESH_EEENSJ_IJSG_SI_EEENS0_18inequality_wrapperINS9_8equal_toItEEEEPmJSH_EEE10hipError_tPvRmT3_T4_T5_T6_T7_T9_mT8_P12ihipStream_tbDpT10_ENKUlT_T0_E_clISt17integral_constantIbLb1EES1C_IbLb0EEEEDaS18_S19_EUlS18_E_NS1_11comp_targetILNS1_3genE0ELNS1_11target_archE4294967295ELNS1_3gpuE0ELNS1_3repE0EEENS1_30default_config_static_selectorELNS0_4arch9wavefront6targetE0EEEvT1_
		.amdhsa_group_segment_fixed_size 0
		.amdhsa_private_segment_fixed_size 0
		.amdhsa_kernarg_size 120
		.amdhsa_user_sgpr_count 15
		.amdhsa_user_sgpr_dispatch_ptr 0
		.amdhsa_user_sgpr_queue_ptr 0
		.amdhsa_user_sgpr_kernarg_segment_ptr 1
		.amdhsa_user_sgpr_dispatch_id 0
		.amdhsa_user_sgpr_private_segment_size 0
		.amdhsa_wavefront_size32 1
		.amdhsa_uses_dynamic_stack 0
		.amdhsa_enable_private_segment 0
		.amdhsa_system_sgpr_workgroup_id_x 1
		.amdhsa_system_sgpr_workgroup_id_y 0
		.amdhsa_system_sgpr_workgroup_id_z 0
		.amdhsa_system_sgpr_workgroup_info 0
		.amdhsa_system_vgpr_workitem_id 0
		.amdhsa_next_free_vgpr 1
		.amdhsa_next_free_sgpr 1
		.amdhsa_reserve_vcc 0
		.amdhsa_float_round_mode_32 0
		.amdhsa_float_round_mode_16_64 0
		.amdhsa_float_denorm_mode_32 3
		.amdhsa_float_denorm_mode_16_64 3
		.amdhsa_dx10_clamp 1
		.amdhsa_ieee_mode 1
		.amdhsa_fp16_overflow 0
		.amdhsa_workgroup_processor_mode 1
		.amdhsa_memory_ordered 1
		.amdhsa_forward_progress 0
		.amdhsa_shared_vgpr_count 0
		.amdhsa_exception_fp_ieee_invalid_op 0
		.amdhsa_exception_fp_denorm_src 0
		.amdhsa_exception_fp_ieee_div_zero 0
		.amdhsa_exception_fp_ieee_overflow 0
		.amdhsa_exception_fp_ieee_underflow 0
		.amdhsa_exception_fp_ieee_inexact 0
		.amdhsa_exception_int_div_zero 0
	.end_amdhsa_kernel
	.section	.text._ZN7rocprim17ROCPRIM_400000_NS6detail17trampoline_kernelINS0_14default_configENS1_25partition_config_selectorILNS1_17partition_subalgoE9EtjbEEZZNS1_14partition_implILS5_9ELb0ES3_jN6thrust23THRUST_200600_302600_NS6detail15normal_iteratorINS9_10device_ptrItEEEENSB_INSC_IjEEEEPNS0_10empty_typeENS0_5tupleIJNS9_16discard_iteratorINS9_11use_defaultEEESH_EEENSJ_IJSG_SI_EEENS0_18inequality_wrapperINS9_8equal_toItEEEEPmJSH_EEE10hipError_tPvRmT3_T4_T5_T6_T7_T9_mT8_P12ihipStream_tbDpT10_ENKUlT_T0_E_clISt17integral_constantIbLb1EES1C_IbLb0EEEEDaS18_S19_EUlS18_E_NS1_11comp_targetILNS1_3genE0ELNS1_11target_archE4294967295ELNS1_3gpuE0ELNS1_3repE0EEENS1_30default_config_static_selectorELNS0_4arch9wavefront6targetE0EEEvT1_,"axG",@progbits,_ZN7rocprim17ROCPRIM_400000_NS6detail17trampoline_kernelINS0_14default_configENS1_25partition_config_selectorILNS1_17partition_subalgoE9EtjbEEZZNS1_14partition_implILS5_9ELb0ES3_jN6thrust23THRUST_200600_302600_NS6detail15normal_iteratorINS9_10device_ptrItEEEENSB_INSC_IjEEEEPNS0_10empty_typeENS0_5tupleIJNS9_16discard_iteratorINS9_11use_defaultEEESH_EEENSJ_IJSG_SI_EEENS0_18inequality_wrapperINS9_8equal_toItEEEEPmJSH_EEE10hipError_tPvRmT3_T4_T5_T6_T7_T9_mT8_P12ihipStream_tbDpT10_ENKUlT_T0_E_clISt17integral_constantIbLb1EES1C_IbLb0EEEEDaS18_S19_EUlS18_E_NS1_11comp_targetILNS1_3genE0ELNS1_11target_archE4294967295ELNS1_3gpuE0ELNS1_3repE0EEENS1_30default_config_static_selectorELNS0_4arch9wavefront6targetE0EEEvT1_,comdat
.Lfunc_end965:
	.size	_ZN7rocprim17ROCPRIM_400000_NS6detail17trampoline_kernelINS0_14default_configENS1_25partition_config_selectorILNS1_17partition_subalgoE9EtjbEEZZNS1_14partition_implILS5_9ELb0ES3_jN6thrust23THRUST_200600_302600_NS6detail15normal_iteratorINS9_10device_ptrItEEEENSB_INSC_IjEEEEPNS0_10empty_typeENS0_5tupleIJNS9_16discard_iteratorINS9_11use_defaultEEESH_EEENSJ_IJSG_SI_EEENS0_18inequality_wrapperINS9_8equal_toItEEEEPmJSH_EEE10hipError_tPvRmT3_T4_T5_T6_T7_T9_mT8_P12ihipStream_tbDpT10_ENKUlT_T0_E_clISt17integral_constantIbLb1EES1C_IbLb0EEEEDaS18_S19_EUlS18_E_NS1_11comp_targetILNS1_3genE0ELNS1_11target_archE4294967295ELNS1_3gpuE0ELNS1_3repE0EEENS1_30default_config_static_selectorELNS0_4arch9wavefront6targetE0EEEvT1_, .Lfunc_end965-_ZN7rocprim17ROCPRIM_400000_NS6detail17trampoline_kernelINS0_14default_configENS1_25partition_config_selectorILNS1_17partition_subalgoE9EtjbEEZZNS1_14partition_implILS5_9ELb0ES3_jN6thrust23THRUST_200600_302600_NS6detail15normal_iteratorINS9_10device_ptrItEEEENSB_INSC_IjEEEEPNS0_10empty_typeENS0_5tupleIJNS9_16discard_iteratorINS9_11use_defaultEEESH_EEENSJ_IJSG_SI_EEENS0_18inequality_wrapperINS9_8equal_toItEEEEPmJSH_EEE10hipError_tPvRmT3_T4_T5_T6_T7_T9_mT8_P12ihipStream_tbDpT10_ENKUlT_T0_E_clISt17integral_constantIbLb1EES1C_IbLb0EEEEDaS18_S19_EUlS18_E_NS1_11comp_targetILNS1_3genE0ELNS1_11target_archE4294967295ELNS1_3gpuE0ELNS1_3repE0EEENS1_30default_config_static_selectorELNS0_4arch9wavefront6targetE0EEEvT1_
                                        ; -- End function
	.section	.AMDGPU.csdata,"",@progbits
; Kernel info:
; codeLenInByte = 0
; NumSgprs: 0
; NumVgprs: 0
; ScratchSize: 0
; MemoryBound: 0
; FloatMode: 240
; IeeeMode: 1
; LDSByteSize: 0 bytes/workgroup (compile time only)
; SGPRBlocks: 0
; VGPRBlocks: 0
; NumSGPRsForWavesPerEU: 1
; NumVGPRsForWavesPerEU: 1
; Occupancy: 16
; WaveLimiterHint : 0
; COMPUTE_PGM_RSRC2:SCRATCH_EN: 0
; COMPUTE_PGM_RSRC2:USER_SGPR: 15
; COMPUTE_PGM_RSRC2:TRAP_HANDLER: 0
; COMPUTE_PGM_RSRC2:TGID_X_EN: 1
; COMPUTE_PGM_RSRC2:TGID_Y_EN: 0
; COMPUTE_PGM_RSRC2:TGID_Z_EN: 0
; COMPUTE_PGM_RSRC2:TIDIG_COMP_CNT: 0
	.section	.text._ZN7rocprim17ROCPRIM_400000_NS6detail17trampoline_kernelINS0_14default_configENS1_25partition_config_selectorILNS1_17partition_subalgoE9EtjbEEZZNS1_14partition_implILS5_9ELb0ES3_jN6thrust23THRUST_200600_302600_NS6detail15normal_iteratorINS9_10device_ptrItEEEENSB_INSC_IjEEEEPNS0_10empty_typeENS0_5tupleIJNS9_16discard_iteratorINS9_11use_defaultEEESH_EEENSJ_IJSG_SI_EEENS0_18inequality_wrapperINS9_8equal_toItEEEEPmJSH_EEE10hipError_tPvRmT3_T4_T5_T6_T7_T9_mT8_P12ihipStream_tbDpT10_ENKUlT_T0_E_clISt17integral_constantIbLb1EES1C_IbLb0EEEEDaS18_S19_EUlS18_E_NS1_11comp_targetILNS1_3genE5ELNS1_11target_archE942ELNS1_3gpuE9ELNS1_3repE0EEENS1_30default_config_static_selectorELNS0_4arch9wavefront6targetE0EEEvT1_,"axG",@progbits,_ZN7rocprim17ROCPRIM_400000_NS6detail17trampoline_kernelINS0_14default_configENS1_25partition_config_selectorILNS1_17partition_subalgoE9EtjbEEZZNS1_14partition_implILS5_9ELb0ES3_jN6thrust23THRUST_200600_302600_NS6detail15normal_iteratorINS9_10device_ptrItEEEENSB_INSC_IjEEEEPNS0_10empty_typeENS0_5tupleIJNS9_16discard_iteratorINS9_11use_defaultEEESH_EEENSJ_IJSG_SI_EEENS0_18inequality_wrapperINS9_8equal_toItEEEEPmJSH_EEE10hipError_tPvRmT3_T4_T5_T6_T7_T9_mT8_P12ihipStream_tbDpT10_ENKUlT_T0_E_clISt17integral_constantIbLb1EES1C_IbLb0EEEEDaS18_S19_EUlS18_E_NS1_11comp_targetILNS1_3genE5ELNS1_11target_archE942ELNS1_3gpuE9ELNS1_3repE0EEENS1_30default_config_static_selectorELNS0_4arch9wavefront6targetE0EEEvT1_,comdat
	.protected	_ZN7rocprim17ROCPRIM_400000_NS6detail17trampoline_kernelINS0_14default_configENS1_25partition_config_selectorILNS1_17partition_subalgoE9EtjbEEZZNS1_14partition_implILS5_9ELb0ES3_jN6thrust23THRUST_200600_302600_NS6detail15normal_iteratorINS9_10device_ptrItEEEENSB_INSC_IjEEEEPNS0_10empty_typeENS0_5tupleIJNS9_16discard_iteratorINS9_11use_defaultEEESH_EEENSJ_IJSG_SI_EEENS0_18inequality_wrapperINS9_8equal_toItEEEEPmJSH_EEE10hipError_tPvRmT3_T4_T5_T6_T7_T9_mT8_P12ihipStream_tbDpT10_ENKUlT_T0_E_clISt17integral_constantIbLb1EES1C_IbLb0EEEEDaS18_S19_EUlS18_E_NS1_11comp_targetILNS1_3genE5ELNS1_11target_archE942ELNS1_3gpuE9ELNS1_3repE0EEENS1_30default_config_static_selectorELNS0_4arch9wavefront6targetE0EEEvT1_ ; -- Begin function _ZN7rocprim17ROCPRIM_400000_NS6detail17trampoline_kernelINS0_14default_configENS1_25partition_config_selectorILNS1_17partition_subalgoE9EtjbEEZZNS1_14partition_implILS5_9ELb0ES3_jN6thrust23THRUST_200600_302600_NS6detail15normal_iteratorINS9_10device_ptrItEEEENSB_INSC_IjEEEEPNS0_10empty_typeENS0_5tupleIJNS9_16discard_iteratorINS9_11use_defaultEEESH_EEENSJ_IJSG_SI_EEENS0_18inequality_wrapperINS9_8equal_toItEEEEPmJSH_EEE10hipError_tPvRmT3_T4_T5_T6_T7_T9_mT8_P12ihipStream_tbDpT10_ENKUlT_T0_E_clISt17integral_constantIbLb1EES1C_IbLb0EEEEDaS18_S19_EUlS18_E_NS1_11comp_targetILNS1_3genE5ELNS1_11target_archE942ELNS1_3gpuE9ELNS1_3repE0EEENS1_30default_config_static_selectorELNS0_4arch9wavefront6targetE0EEEvT1_
	.globl	_ZN7rocprim17ROCPRIM_400000_NS6detail17trampoline_kernelINS0_14default_configENS1_25partition_config_selectorILNS1_17partition_subalgoE9EtjbEEZZNS1_14partition_implILS5_9ELb0ES3_jN6thrust23THRUST_200600_302600_NS6detail15normal_iteratorINS9_10device_ptrItEEEENSB_INSC_IjEEEEPNS0_10empty_typeENS0_5tupleIJNS9_16discard_iteratorINS9_11use_defaultEEESH_EEENSJ_IJSG_SI_EEENS0_18inequality_wrapperINS9_8equal_toItEEEEPmJSH_EEE10hipError_tPvRmT3_T4_T5_T6_T7_T9_mT8_P12ihipStream_tbDpT10_ENKUlT_T0_E_clISt17integral_constantIbLb1EES1C_IbLb0EEEEDaS18_S19_EUlS18_E_NS1_11comp_targetILNS1_3genE5ELNS1_11target_archE942ELNS1_3gpuE9ELNS1_3repE0EEENS1_30default_config_static_selectorELNS0_4arch9wavefront6targetE0EEEvT1_
	.p2align	8
	.type	_ZN7rocprim17ROCPRIM_400000_NS6detail17trampoline_kernelINS0_14default_configENS1_25partition_config_selectorILNS1_17partition_subalgoE9EtjbEEZZNS1_14partition_implILS5_9ELb0ES3_jN6thrust23THRUST_200600_302600_NS6detail15normal_iteratorINS9_10device_ptrItEEEENSB_INSC_IjEEEEPNS0_10empty_typeENS0_5tupleIJNS9_16discard_iteratorINS9_11use_defaultEEESH_EEENSJ_IJSG_SI_EEENS0_18inequality_wrapperINS9_8equal_toItEEEEPmJSH_EEE10hipError_tPvRmT3_T4_T5_T6_T7_T9_mT8_P12ihipStream_tbDpT10_ENKUlT_T0_E_clISt17integral_constantIbLb1EES1C_IbLb0EEEEDaS18_S19_EUlS18_E_NS1_11comp_targetILNS1_3genE5ELNS1_11target_archE942ELNS1_3gpuE9ELNS1_3repE0EEENS1_30default_config_static_selectorELNS0_4arch9wavefront6targetE0EEEvT1_,@function
_ZN7rocprim17ROCPRIM_400000_NS6detail17trampoline_kernelINS0_14default_configENS1_25partition_config_selectorILNS1_17partition_subalgoE9EtjbEEZZNS1_14partition_implILS5_9ELb0ES3_jN6thrust23THRUST_200600_302600_NS6detail15normal_iteratorINS9_10device_ptrItEEEENSB_INSC_IjEEEEPNS0_10empty_typeENS0_5tupleIJNS9_16discard_iteratorINS9_11use_defaultEEESH_EEENSJ_IJSG_SI_EEENS0_18inequality_wrapperINS9_8equal_toItEEEEPmJSH_EEE10hipError_tPvRmT3_T4_T5_T6_T7_T9_mT8_P12ihipStream_tbDpT10_ENKUlT_T0_E_clISt17integral_constantIbLb1EES1C_IbLb0EEEEDaS18_S19_EUlS18_E_NS1_11comp_targetILNS1_3genE5ELNS1_11target_archE942ELNS1_3gpuE9ELNS1_3repE0EEENS1_30default_config_static_selectorELNS0_4arch9wavefront6targetE0EEEvT1_: ; @_ZN7rocprim17ROCPRIM_400000_NS6detail17trampoline_kernelINS0_14default_configENS1_25partition_config_selectorILNS1_17partition_subalgoE9EtjbEEZZNS1_14partition_implILS5_9ELb0ES3_jN6thrust23THRUST_200600_302600_NS6detail15normal_iteratorINS9_10device_ptrItEEEENSB_INSC_IjEEEEPNS0_10empty_typeENS0_5tupleIJNS9_16discard_iteratorINS9_11use_defaultEEESH_EEENSJ_IJSG_SI_EEENS0_18inequality_wrapperINS9_8equal_toItEEEEPmJSH_EEE10hipError_tPvRmT3_T4_T5_T6_T7_T9_mT8_P12ihipStream_tbDpT10_ENKUlT_T0_E_clISt17integral_constantIbLb1EES1C_IbLb0EEEEDaS18_S19_EUlS18_E_NS1_11comp_targetILNS1_3genE5ELNS1_11target_archE942ELNS1_3gpuE9ELNS1_3repE0EEENS1_30default_config_static_selectorELNS0_4arch9wavefront6targetE0EEEvT1_
; %bb.0:
	.section	.rodata,"a",@progbits
	.p2align	6, 0x0
	.amdhsa_kernel _ZN7rocprim17ROCPRIM_400000_NS6detail17trampoline_kernelINS0_14default_configENS1_25partition_config_selectorILNS1_17partition_subalgoE9EtjbEEZZNS1_14partition_implILS5_9ELb0ES3_jN6thrust23THRUST_200600_302600_NS6detail15normal_iteratorINS9_10device_ptrItEEEENSB_INSC_IjEEEEPNS0_10empty_typeENS0_5tupleIJNS9_16discard_iteratorINS9_11use_defaultEEESH_EEENSJ_IJSG_SI_EEENS0_18inequality_wrapperINS9_8equal_toItEEEEPmJSH_EEE10hipError_tPvRmT3_T4_T5_T6_T7_T9_mT8_P12ihipStream_tbDpT10_ENKUlT_T0_E_clISt17integral_constantIbLb1EES1C_IbLb0EEEEDaS18_S19_EUlS18_E_NS1_11comp_targetILNS1_3genE5ELNS1_11target_archE942ELNS1_3gpuE9ELNS1_3repE0EEENS1_30default_config_static_selectorELNS0_4arch9wavefront6targetE0EEEvT1_
		.amdhsa_group_segment_fixed_size 0
		.amdhsa_private_segment_fixed_size 0
		.amdhsa_kernarg_size 120
		.amdhsa_user_sgpr_count 15
		.amdhsa_user_sgpr_dispatch_ptr 0
		.amdhsa_user_sgpr_queue_ptr 0
		.amdhsa_user_sgpr_kernarg_segment_ptr 1
		.amdhsa_user_sgpr_dispatch_id 0
		.amdhsa_user_sgpr_private_segment_size 0
		.amdhsa_wavefront_size32 1
		.amdhsa_uses_dynamic_stack 0
		.amdhsa_enable_private_segment 0
		.amdhsa_system_sgpr_workgroup_id_x 1
		.amdhsa_system_sgpr_workgroup_id_y 0
		.amdhsa_system_sgpr_workgroup_id_z 0
		.amdhsa_system_sgpr_workgroup_info 0
		.amdhsa_system_vgpr_workitem_id 0
		.amdhsa_next_free_vgpr 1
		.amdhsa_next_free_sgpr 1
		.amdhsa_reserve_vcc 0
		.amdhsa_float_round_mode_32 0
		.amdhsa_float_round_mode_16_64 0
		.amdhsa_float_denorm_mode_32 3
		.amdhsa_float_denorm_mode_16_64 3
		.amdhsa_dx10_clamp 1
		.amdhsa_ieee_mode 1
		.amdhsa_fp16_overflow 0
		.amdhsa_workgroup_processor_mode 1
		.amdhsa_memory_ordered 1
		.amdhsa_forward_progress 0
		.amdhsa_shared_vgpr_count 0
		.amdhsa_exception_fp_ieee_invalid_op 0
		.amdhsa_exception_fp_denorm_src 0
		.amdhsa_exception_fp_ieee_div_zero 0
		.amdhsa_exception_fp_ieee_overflow 0
		.amdhsa_exception_fp_ieee_underflow 0
		.amdhsa_exception_fp_ieee_inexact 0
		.amdhsa_exception_int_div_zero 0
	.end_amdhsa_kernel
	.section	.text._ZN7rocprim17ROCPRIM_400000_NS6detail17trampoline_kernelINS0_14default_configENS1_25partition_config_selectorILNS1_17partition_subalgoE9EtjbEEZZNS1_14partition_implILS5_9ELb0ES3_jN6thrust23THRUST_200600_302600_NS6detail15normal_iteratorINS9_10device_ptrItEEEENSB_INSC_IjEEEEPNS0_10empty_typeENS0_5tupleIJNS9_16discard_iteratorINS9_11use_defaultEEESH_EEENSJ_IJSG_SI_EEENS0_18inequality_wrapperINS9_8equal_toItEEEEPmJSH_EEE10hipError_tPvRmT3_T4_T5_T6_T7_T9_mT8_P12ihipStream_tbDpT10_ENKUlT_T0_E_clISt17integral_constantIbLb1EES1C_IbLb0EEEEDaS18_S19_EUlS18_E_NS1_11comp_targetILNS1_3genE5ELNS1_11target_archE942ELNS1_3gpuE9ELNS1_3repE0EEENS1_30default_config_static_selectorELNS0_4arch9wavefront6targetE0EEEvT1_,"axG",@progbits,_ZN7rocprim17ROCPRIM_400000_NS6detail17trampoline_kernelINS0_14default_configENS1_25partition_config_selectorILNS1_17partition_subalgoE9EtjbEEZZNS1_14partition_implILS5_9ELb0ES3_jN6thrust23THRUST_200600_302600_NS6detail15normal_iteratorINS9_10device_ptrItEEEENSB_INSC_IjEEEEPNS0_10empty_typeENS0_5tupleIJNS9_16discard_iteratorINS9_11use_defaultEEESH_EEENSJ_IJSG_SI_EEENS0_18inequality_wrapperINS9_8equal_toItEEEEPmJSH_EEE10hipError_tPvRmT3_T4_T5_T6_T7_T9_mT8_P12ihipStream_tbDpT10_ENKUlT_T0_E_clISt17integral_constantIbLb1EES1C_IbLb0EEEEDaS18_S19_EUlS18_E_NS1_11comp_targetILNS1_3genE5ELNS1_11target_archE942ELNS1_3gpuE9ELNS1_3repE0EEENS1_30default_config_static_selectorELNS0_4arch9wavefront6targetE0EEEvT1_,comdat
.Lfunc_end966:
	.size	_ZN7rocprim17ROCPRIM_400000_NS6detail17trampoline_kernelINS0_14default_configENS1_25partition_config_selectorILNS1_17partition_subalgoE9EtjbEEZZNS1_14partition_implILS5_9ELb0ES3_jN6thrust23THRUST_200600_302600_NS6detail15normal_iteratorINS9_10device_ptrItEEEENSB_INSC_IjEEEEPNS0_10empty_typeENS0_5tupleIJNS9_16discard_iteratorINS9_11use_defaultEEESH_EEENSJ_IJSG_SI_EEENS0_18inequality_wrapperINS9_8equal_toItEEEEPmJSH_EEE10hipError_tPvRmT3_T4_T5_T6_T7_T9_mT8_P12ihipStream_tbDpT10_ENKUlT_T0_E_clISt17integral_constantIbLb1EES1C_IbLb0EEEEDaS18_S19_EUlS18_E_NS1_11comp_targetILNS1_3genE5ELNS1_11target_archE942ELNS1_3gpuE9ELNS1_3repE0EEENS1_30default_config_static_selectorELNS0_4arch9wavefront6targetE0EEEvT1_, .Lfunc_end966-_ZN7rocprim17ROCPRIM_400000_NS6detail17trampoline_kernelINS0_14default_configENS1_25partition_config_selectorILNS1_17partition_subalgoE9EtjbEEZZNS1_14partition_implILS5_9ELb0ES3_jN6thrust23THRUST_200600_302600_NS6detail15normal_iteratorINS9_10device_ptrItEEEENSB_INSC_IjEEEEPNS0_10empty_typeENS0_5tupleIJNS9_16discard_iteratorINS9_11use_defaultEEESH_EEENSJ_IJSG_SI_EEENS0_18inequality_wrapperINS9_8equal_toItEEEEPmJSH_EEE10hipError_tPvRmT3_T4_T5_T6_T7_T9_mT8_P12ihipStream_tbDpT10_ENKUlT_T0_E_clISt17integral_constantIbLb1EES1C_IbLb0EEEEDaS18_S19_EUlS18_E_NS1_11comp_targetILNS1_3genE5ELNS1_11target_archE942ELNS1_3gpuE9ELNS1_3repE0EEENS1_30default_config_static_selectorELNS0_4arch9wavefront6targetE0EEEvT1_
                                        ; -- End function
	.section	.AMDGPU.csdata,"",@progbits
; Kernel info:
; codeLenInByte = 0
; NumSgprs: 0
; NumVgprs: 0
; ScratchSize: 0
; MemoryBound: 0
; FloatMode: 240
; IeeeMode: 1
; LDSByteSize: 0 bytes/workgroup (compile time only)
; SGPRBlocks: 0
; VGPRBlocks: 0
; NumSGPRsForWavesPerEU: 1
; NumVGPRsForWavesPerEU: 1
; Occupancy: 16
; WaveLimiterHint : 0
; COMPUTE_PGM_RSRC2:SCRATCH_EN: 0
; COMPUTE_PGM_RSRC2:USER_SGPR: 15
; COMPUTE_PGM_RSRC2:TRAP_HANDLER: 0
; COMPUTE_PGM_RSRC2:TGID_X_EN: 1
; COMPUTE_PGM_RSRC2:TGID_Y_EN: 0
; COMPUTE_PGM_RSRC2:TGID_Z_EN: 0
; COMPUTE_PGM_RSRC2:TIDIG_COMP_CNT: 0
	.section	.text._ZN7rocprim17ROCPRIM_400000_NS6detail17trampoline_kernelINS0_14default_configENS1_25partition_config_selectorILNS1_17partition_subalgoE9EtjbEEZZNS1_14partition_implILS5_9ELb0ES3_jN6thrust23THRUST_200600_302600_NS6detail15normal_iteratorINS9_10device_ptrItEEEENSB_INSC_IjEEEEPNS0_10empty_typeENS0_5tupleIJNS9_16discard_iteratorINS9_11use_defaultEEESH_EEENSJ_IJSG_SI_EEENS0_18inequality_wrapperINS9_8equal_toItEEEEPmJSH_EEE10hipError_tPvRmT3_T4_T5_T6_T7_T9_mT8_P12ihipStream_tbDpT10_ENKUlT_T0_E_clISt17integral_constantIbLb1EES1C_IbLb0EEEEDaS18_S19_EUlS18_E_NS1_11comp_targetILNS1_3genE4ELNS1_11target_archE910ELNS1_3gpuE8ELNS1_3repE0EEENS1_30default_config_static_selectorELNS0_4arch9wavefront6targetE0EEEvT1_,"axG",@progbits,_ZN7rocprim17ROCPRIM_400000_NS6detail17trampoline_kernelINS0_14default_configENS1_25partition_config_selectorILNS1_17partition_subalgoE9EtjbEEZZNS1_14partition_implILS5_9ELb0ES3_jN6thrust23THRUST_200600_302600_NS6detail15normal_iteratorINS9_10device_ptrItEEEENSB_INSC_IjEEEEPNS0_10empty_typeENS0_5tupleIJNS9_16discard_iteratorINS9_11use_defaultEEESH_EEENSJ_IJSG_SI_EEENS0_18inequality_wrapperINS9_8equal_toItEEEEPmJSH_EEE10hipError_tPvRmT3_T4_T5_T6_T7_T9_mT8_P12ihipStream_tbDpT10_ENKUlT_T0_E_clISt17integral_constantIbLb1EES1C_IbLb0EEEEDaS18_S19_EUlS18_E_NS1_11comp_targetILNS1_3genE4ELNS1_11target_archE910ELNS1_3gpuE8ELNS1_3repE0EEENS1_30default_config_static_selectorELNS0_4arch9wavefront6targetE0EEEvT1_,comdat
	.protected	_ZN7rocprim17ROCPRIM_400000_NS6detail17trampoline_kernelINS0_14default_configENS1_25partition_config_selectorILNS1_17partition_subalgoE9EtjbEEZZNS1_14partition_implILS5_9ELb0ES3_jN6thrust23THRUST_200600_302600_NS6detail15normal_iteratorINS9_10device_ptrItEEEENSB_INSC_IjEEEEPNS0_10empty_typeENS0_5tupleIJNS9_16discard_iteratorINS9_11use_defaultEEESH_EEENSJ_IJSG_SI_EEENS0_18inequality_wrapperINS9_8equal_toItEEEEPmJSH_EEE10hipError_tPvRmT3_T4_T5_T6_T7_T9_mT8_P12ihipStream_tbDpT10_ENKUlT_T0_E_clISt17integral_constantIbLb1EES1C_IbLb0EEEEDaS18_S19_EUlS18_E_NS1_11comp_targetILNS1_3genE4ELNS1_11target_archE910ELNS1_3gpuE8ELNS1_3repE0EEENS1_30default_config_static_selectorELNS0_4arch9wavefront6targetE0EEEvT1_ ; -- Begin function _ZN7rocprim17ROCPRIM_400000_NS6detail17trampoline_kernelINS0_14default_configENS1_25partition_config_selectorILNS1_17partition_subalgoE9EtjbEEZZNS1_14partition_implILS5_9ELb0ES3_jN6thrust23THRUST_200600_302600_NS6detail15normal_iteratorINS9_10device_ptrItEEEENSB_INSC_IjEEEEPNS0_10empty_typeENS0_5tupleIJNS9_16discard_iteratorINS9_11use_defaultEEESH_EEENSJ_IJSG_SI_EEENS0_18inequality_wrapperINS9_8equal_toItEEEEPmJSH_EEE10hipError_tPvRmT3_T4_T5_T6_T7_T9_mT8_P12ihipStream_tbDpT10_ENKUlT_T0_E_clISt17integral_constantIbLb1EES1C_IbLb0EEEEDaS18_S19_EUlS18_E_NS1_11comp_targetILNS1_3genE4ELNS1_11target_archE910ELNS1_3gpuE8ELNS1_3repE0EEENS1_30default_config_static_selectorELNS0_4arch9wavefront6targetE0EEEvT1_
	.globl	_ZN7rocprim17ROCPRIM_400000_NS6detail17trampoline_kernelINS0_14default_configENS1_25partition_config_selectorILNS1_17partition_subalgoE9EtjbEEZZNS1_14partition_implILS5_9ELb0ES3_jN6thrust23THRUST_200600_302600_NS6detail15normal_iteratorINS9_10device_ptrItEEEENSB_INSC_IjEEEEPNS0_10empty_typeENS0_5tupleIJNS9_16discard_iteratorINS9_11use_defaultEEESH_EEENSJ_IJSG_SI_EEENS0_18inequality_wrapperINS9_8equal_toItEEEEPmJSH_EEE10hipError_tPvRmT3_T4_T5_T6_T7_T9_mT8_P12ihipStream_tbDpT10_ENKUlT_T0_E_clISt17integral_constantIbLb1EES1C_IbLb0EEEEDaS18_S19_EUlS18_E_NS1_11comp_targetILNS1_3genE4ELNS1_11target_archE910ELNS1_3gpuE8ELNS1_3repE0EEENS1_30default_config_static_selectorELNS0_4arch9wavefront6targetE0EEEvT1_
	.p2align	8
	.type	_ZN7rocprim17ROCPRIM_400000_NS6detail17trampoline_kernelINS0_14default_configENS1_25partition_config_selectorILNS1_17partition_subalgoE9EtjbEEZZNS1_14partition_implILS5_9ELb0ES3_jN6thrust23THRUST_200600_302600_NS6detail15normal_iteratorINS9_10device_ptrItEEEENSB_INSC_IjEEEEPNS0_10empty_typeENS0_5tupleIJNS9_16discard_iteratorINS9_11use_defaultEEESH_EEENSJ_IJSG_SI_EEENS0_18inequality_wrapperINS9_8equal_toItEEEEPmJSH_EEE10hipError_tPvRmT3_T4_T5_T6_T7_T9_mT8_P12ihipStream_tbDpT10_ENKUlT_T0_E_clISt17integral_constantIbLb1EES1C_IbLb0EEEEDaS18_S19_EUlS18_E_NS1_11comp_targetILNS1_3genE4ELNS1_11target_archE910ELNS1_3gpuE8ELNS1_3repE0EEENS1_30default_config_static_selectorELNS0_4arch9wavefront6targetE0EEEvT1_,@function
_ZN7rocprim17ROCPRIM_400000_NS6detail17trampoline_kernelINS0_14default_configENS1_25partition_config_selectorILNS1_17partition_subalgoE9EtjbEEZZNS1_14partition_implILS5_9ELb0ES3_jN6thrust23THRUST_200600_302600_NS6detail15normal_iteratorINS9_10device_ptrItEEEENSB_INSC_IjEEEEPNS0_10empty_typeENS0_5tupleIJNS9_16discard_iteratorINS9_11use_defaultEEESH_EEENSJ_IJSG_SI_EEENS0_18inequality_wrapperINS9_8equal_toItEEEEPmJSH_EEE10hipError_tPvRmT3_T4_T5_T6_T7_T9_mT8_P12ihipStream_tbDpT10_ENKUlT_T0_E_clISt17integral_constantIbLb1EES1C_IbLb0EEEEDaS18_S19_EUlS18_E_NS1_11comp_targetILNS1_3genE4ELNS1_11target_archE910ELNS1_3gpuE8ELNS1_3repE0EEENS1_30default_config_static_selectorELNS0_4arch9wavefront6targetE0EEEvT1_: ; @_ZN7rocprim17ROCPRIM_400000_NS6detail17trampoline_kernelINS0_14default_configENS1_25partition_config_selectorILNS1_17partition_subalgoE9EtjbEEZZNS1_14partition_implILS5_9ELb0ES3_jN6thrust23THRUST_200600_302600_NS6detail15normal_iteratorINS9_10device_ptrItEEEENSB_INSC_IjEEEEPNS0_10empty_typeENS0_5tupleIJNS9_16discard_iteratorINS9_11use_defaultEEESH_EEENSJ_IJSG_SI_EEENS0_18inequality_wrapperINS9_8equal_toItEEEEPmJSH_EEE10hipError_tPvRmT3_T4_T5_T6_T7_T9_mT8_P12ihipStream_tbDpT10_ENKUlT_T0_E_clISt17integral_constantIbLb1EES1C_IbLb0EEEEDaS18_S19_EUlS18_E_NS1_11comp_targetILNS1_3genE4ELNS1_11target_archE910ELNS1_3gpuE8ELNS1_3repE0EEENS1_30default_config_static_selectorELNS0_4arch9wavefront6targetE0EEEvT1_
; %bb.0:
	.section	.rodata,"a",@progbits
	.p2align	6, 0x0
	.amdhsa_kernel _ZN7rocprim17ROCPRIM_400000_NS6detail17trampoline_kernelINS0_14default_configENS1_25partition_config_selectorILNS1_17partition_subalgoE9EtjbEEZZNS1_14partition_implILS5_9ELb0ES3_jN6thrust23THRUST_200600_302600_NS6detail15normal_iteratorINS9_10device_ptrItEEEENSB_INSC_IjEEEEPNS0_10empty_typeENS0_5tupleIJNS9_16discard_iteratorINS9_11use_defaultEEESH_EEENSJ_IJSG_SI_EEENS0_18inequality_wrapperINS9_8equal_toItEEEEPmJSH_EEE10hipError_tPvRmT3_T4_T5_T6_T7_T9_mT8_P12ihipStream_tbDpT10_ENKUlT_T0_E_clISt17integral_constantIbLb1EES1C_IbLb0EEEEDaS18_S19_EUlS18_E_NS1_11comp_targetILNS1_3genE4ELNS1_11target_archE910ELNS1_3gpuE8ELNS1_3repE0EEENS1_30default_config_static_selectorELNS0_4arch9wavefront6targetE0EEEvT1_
		.amdhsa_group_segment_fixed_size 0
		.amdhsa_private_segment_fixed_size 0
		.amdhsa_kernarg_size 120
		.amdhsa_user_sgpr_count 15
		.amdhsa_user_sgpr_dispatch_ptr 0
		.amdhsa_user_sgpr_queue_ptr 0
		.amdhsa_user_sgpr_kernarg_segment_ptr 1
		.amdhsa_user_sgpr_dispatch_id 0
		.amdhsa_user_sgpr_private_segment_size 0
		.amdhsa_wavefront_size32 1
		.amdhsa_uses_dynamic_stack 0
		.amdhsa_enable_private_segment 0
		.amdhsa_system_sgpr_workgroup_id_x 1
		.amdhsa_system_sgpr_workgroup_id_y 0
		.amdhsa_system_sgpr_workgroup_id_z 0
		.amdhsa_system_sgpr_workgroup_info 0
		.amdhsa_system_vgpr_workitem_id 0
		.amdhsa_next_free_vgpr 1
		.amdhsa_next_free_sgpr 1
		.amdhsa_reserve_vcc 0
		.amdhsa_float_round_mode_32 0
		.amdhsa_float_round_mode_16_64 0
		.amdhsa_float_denorm_mode_32 3
		.amdhsa_float_denorm_mode_16_64 3
		.amdhsa_dx10_clamp 1
		.amdhsa_ieee_mode 1
		.amdhsa_fp16_overflow 0
		.amdhsa_workgroup_processor_mode 1
		.amdhsa_memory_ordered 1
		.amdhsa_forward_progress 0
		.amdhsa_shared_vgpr_count 0
		.amdhsa_exception_fp_ieee_invalid_op 0
		.amdhsa_exception_fp_denorm_src 0
		.amdhsa_exception_fp_ieee_div_zero 0
		.amdhsa_exception_fp_ieee_overflow 0
		.amdhsa_exception_fp_ieee_underflow 0
		.amdhsa_exception_fp_ieee_inexact 0
		.amdhsa_exception_int_div_zero 0
	.end_amdhsa_kernel
	.section	.text._ZN7rocprim17ROCPRIM_400000_NS6detail17trampoline_kernelINS0_14default_configENS1_25partition_config_selectorILNS1_17partition_subalgoE9EtjbEEZZNS1_14partition_implILS5_9ELb0ES3_jN6thrust23THRUST_200600_302600_NS6detail15normal_iteratorINS9_10device_ptrItEEEENSB_INSC_IjEEEEPNS0_10empty_typeENS0_5tupleIJNS9_16discard_iteratorINS9_11use_defaultEEESH_EEENSJ_IJSG_SI_EEENS0_18inequality_wrapperINS9_8equal_toItEEEEPmJSH_EEE10hipError_tPvRmT3_T4_T5_T6_T7_T9_mT8_P12ihipStream_tbDpT10_ENKUlT_T0_E_clISt17integral_constantIbLb1EES1C_IbLb0EEEEDaS18_S19_EUlS18_E_NS1_11comp_targetILNS1_3genE4ELNS1_11target_archE910ELNS1_3gpuE8ELNS1_3repE0EEENS1_30default_config_static_selectorELNS0_4arch9wavefront6targetE0EEEvT1_,"axG",@progbits,_ZN7rocprim17ROCPRIM_400000_NS6detail17trampoline_kernelINS0_14default_configENS1_25partition_config_selectorILNS1_17partition_subalgoE9EtjbEEZZNS1_14partition_implILS5_9ELb0ES3_jN6thrust23THRUST_200600_302600_NS6detail15normal_iteratorINS9_10device_ptrItEEEENSB_INSC_IjEEEEPNS0_10empty_typeENS0_5tupleIJNS9_16discard_iteratorINS9_11use_defaultEEESH_EEENSJ_IJSG_SI_EEENS0_18inequality_wrapperINS9_8equal_toItEEEEPmJSH_EEE10hipError_tPvRmT3_T4_T5_T6_T7_T9_mT8_P12ihipStream_tbDpT10_ENKUlT_T0_E_clISt17integral_constantIbLb1EES1C_IbLb0EEEEDaS18_S19_EUlS18_E_NS1_11comp_targetILNS1_3genE4ELNS1_11target_archE910ELNS1_3gpuE8ELNS1_3repE0EEENS1_30default_config_static_selectorELNS0_4arch9wavefront6targetE0EEEvT1_,comdat
.Lfunc_end967:
	.size	_ZN7rocprim17ROCPRIM_400000_NS6detail17trampoline_kernelINS0_14default_configENS1_25partition_config_selectorILNS1_17partition_subalgoE9EtjbEEZZNS1_14partition_implILS5_9ELb0ES3_jN6thrust23THRUST_200600_302600_NS6detail15normal_iteratorINS9_10device_ptrItEEEENSB_INSC_IjEEEEPNS0_10empty_typeENS0_5tupleIJNS9_16discard_iteratorINS9_11use_defaultEEESH_EEENSJ_IJSG_SI_EEENS0_18inequality_wrapperINS9_8equal_toItEEEEPmJSH_EEE10hipError_tPvRmT3_T4_T5_T6_T7_T9_mT8_P12ihipStream_tbDpT10_ENKUlT_T0_E_clISt17integral_constantIbLb1EES1C_IbLb0EEEEDaS18_S19_EUlS18_E_NS1_11comp_targetILNS1_3genE4ELNS1_11target_archE910ELNS1_3gpuE8ELNS1_3repE0EEENS1_30default_config_static_selectorELNS0_4arch9wavefront6targetE0EEEvT1_, .Lfunc_end967-_ZN7rocprim17ROCPRIM_400000_NS6detail17trampoline_kernelINS0_14default_configENS1_25partition_config_selectorILNS1_17partition_subalgoE9EtjbEEZZNS1_14partition_implILS5_9ELb0ES3_jN6thrust23THRUST_200600_302600_NS6detail15normal_iteratorINS9_10device_ptrItEEEENSB_INSC_IjEEEEPNS0_10empty_typeENS0_5tupleIJNS9_16discard_iteratorINS9_11use_defaultEEESH_EEENSJ_IJSG_SI_EEENS0_18inequality_wrapperINS9_8equal_toItEEEEPmJSH_EEE10hipError_tPvRmT3_T4_T5_T6_T7_T9_mT8_P12ihipStream_tbDpT10_ENKUlT_T0_E_clISt17integral_constantIbLb1EES1C_IbLb0EEEEDaS18_S19_EUlS18_E_NS1_11comp_targetILNS1_3genE4ELNS1_11target_archE910ELNS1_3gpuE8ELNS1_3repE0EEENS1_30default_config_static_selectorELNS0_4arch9wavefront6targetE0EEEvT1_
                                        ; -- End function
	.section	.AMDGPU.csdata,"",@progbits
; Kernel info:
; codeLenInByte = 0
; NumSgprs: 0
; NumVgprs: 0
; ScratchSize: 0
; MemoryBound: 0
; FloatMode: 240
; IeeeMode: 1
; LDSByteSize: 0 bytes/workgroup (compile time only)
; SGPRBlocks: 0
; VGPRBlocks: 0
; NumSGPRsForWavesPerEU: 1
; NumVGPRsForWavesPerEU: 1
; Occupancy: 15
; WaveLimiterHint : 0
; COMPUTE_PGM_RSRC2:SCRATCH_EN: 0
; COMPUTE_PGM_RSRC2:USER_SGPR: 15
; COMPUTE_PGM_RSRC2:TRAP_HANDLER: 0
; COMPUTE_PGM_RSRC2:TGID_X_EN: 1
; COMPUTE_PGM_RSRC2:TGID_Y_EN: 0
; COMPUTE_PGM_RSRC2:TGID_Z_EN: 0
; COMPUTE_PGM_RSRC2:TIDIG_COMP_CNT: 0
	.section	.text._ZN7rocprim17ROCPRIM_400000_NS6detail17trampoline_kernelINS0_14default_configENS1_25partition_config_selectorILNS1_17partition_subalgoE9EtjbEEZZNS1_14partition_implILS5_9ELb0ES3_jN6thrust23THRUST_200600_302600_NS6detail15normal_iteratorINS9_10device_ptrItEEEENSB_INSC_IjEEEEPNS0_10empty_typeENS0_5tupleIJNS9_16discard_iteratorINS9_11use_defaultEEESH_EEENSJ_IJSG_SI_EEENS0_18inequality_wrapperINS9_8equal_toItEEEEPmJSH_EEE10hipError_tPvRmT3_T4_T5_T6_T7_T9_mT8_P12ihipStream_tbDpT10_ENKUlT_T0_E_clISt17integral_constantIbLb1EES1C_IbLb0EEEEDaS18_S19_EUlS18_E_NS1_11comp_targetILNS1_3genE3ELNS1_11target_archE908ELNS1_3gpuE7ELNS1_3repE0EEENS1_30default_config_static_selectorELNS0_4arch9wavefront6targetE0EEEvT1_,"axG",@progbits,_ZN7rocprim17ROCPRIM_400000_NS6detail17trampoline_kernelINS0_14default_configENS1_25partition_config_selectorILNS1_17partition_subalgoE9EtjbEEZZNS1_14partition_implILS5_9ELb0ES3_jN6thrust23THRUST_200600_302600_NS6detail15normal_iteratorINS9_10device_ptrItEEEENSB_INSC_IjEEEEPNS0_10empty_typeENS0_5tupleIJNS9_16discard_iteratorINS9_11use_defaultEEESH_EEENSJ_IJSG_SI_EEENS0_18inequality_wrapperINS9_8equal_toItEEEEPmJSH_EEE10hipError_tPvRmT3_T4_T5_T6_T7_T9_mT8_P12ihipStream_tbDpT10_ENKUlT_T0_E_clISt17integral_constantIbLb1EES1C_IbLb0EEEEDaS18_S19_EUlS18_E_NS1_11comp_targetILNS1_3genE3ELNS1_11target_archE908ELNS1_3gpuE7ELNS1_3repE0EEENS1_30default_config_static_selectorELNS0_4arch9wavefront6targetE0EEEvT1_,comdat
	.protected	_ZN7rocprim17ROCPRIM_400000_NS6detail17trampoline_kernelINS0_14default_configENS1_25partition_config_selectorILNS1_17partition_subalgoE9EtjbEEZZNS1_14partition_implILS5_9ELb0ES3_jN6thrust23THRUST_200600_302600_NS6detail15normal_iteratorINS9_10device_ptrItEEEENSB_INSC_IjEEEEPNS0_10empty_typeENS0_5tupleIJNS9_16discard_iteratorINS9_11use_defaultEEESH_EEENSJ_IJSG_SI_EEENS0_18inequality_wrapperINS9_8equal_toItEEEEPmJSH_EEE10hipError_tPvRmT3_T4_T5_T6_T7_T9_mT8_P12ihipStream_tbDpT10_ENKUlT_T0_E_clISt17integral_constantIbLb1EES1C_IbLb0EEEEDaS18_S19_EUlS18_E_NS1_11comp_targetILNS1_3genE3ELNS1_11target_archE908ELNS1_3gpuE7ELNS1_3repE0EEENS1_30default_config_static_selectorELNS0_4arch9wavefront6targetE0EEEvT1_ ; -- Begin function _ZN7rocprim17ROCPRIM_400000_NS6detail17trampoline_kernelINS0_14default_configENS1_25partition_config_selectorILNS1_17partition_subalgoE9EtjbEEZZNS1_14partition_implILS5_9ELb0ES3_jN6thrust23THRUST_200600_302600_NS6detail15normal_iteratorINS9_10device_ptrItEEEENSB_INSC_IjEEEEPNS0_10empty_typeENS0_5tupleIJNS9_16discard_iteratorINS9_11use_defaultEEESH_EEENSJ_IJSG_SI_EEENS0_18inequality_wrapperINS9_8equal_toItEEEEPmJSH_EEE10hipError_tPvRmT3_T4_T5_T6_T7_T9_mT8_P12ihipStream_tbDpT10_ENKUlT_T0_E_clISt17integral_constantIbLb1EES1C_IbLb0EEEEDaS18_S19_EUlS18_E_NS1_11comp_targetILNS1_3genE3ELNS1_11target_archE908ELNS1_3gpuE7ELNS1_3repE0EEENS1_30default_config_static_selectorELNS0_4arch9wavefront6targetE0EEEvT1_
	.globl	_ZN7rocprim17ROCPRIM_400000_NS6detail17trampoline_kernelINS0_14default_configENS1_25partition_config_selectorILNS1_17partition_subalgoE9EtjbEEZZNS1_14partition_implILS5_9ELb0ES3_jN6thrust23THRUST_200600_302600_NS6detail15normal_iteratorINS9_10device_ptrItEEEENSB_INSC_IjEEEEPNS0_10empty_typeENS0_5tupleIJNS9_16discard_iteratorINS9_11use_defaultEEESH_EEENSJ_IJSG_SI_EEENS0_18inequality_wrapperINS9_8equal_toItEEEEPmJSH_EEE10hipError_tPvRmT3_T4_T5_T6_T7_T9_mT8_P12ihipStream_tbDpT10_ENKUlT_T0_E_clISt17integral_constantIbLb1EES1C_IbLb0EEEEDaS18_S19_EUlS18_E_NS1_11comp_targetILNS1_3genE3ELNS1_11target_archE908ELNS1_3gpuE7ELNS1_3repE0EEENS1_30default_config_static_selectorELNS0_4arch9wavefront6targetE0EEEvT1_
	.p2align	8
	.type	_ZN7rocprim17ROCPRIM_400000_NS6detail17trampoline_kernelINS0_14default_configENS1_25partition_config_selectorILNS1_17partition_subalgoE9EtjbEEZZNS1_14partition_implILS5_9ELb0ES3_jN6thrust23THRUST_200600_302600_NS6detail15normal_iteratorINS9_10device_ptrItEEEENSB_INSC_IjEEEEPNS0_10empty_typeENS0_5tupleIJNS9_16discard_iteratorINS9_11use_defaultEEESH_EEENSJ_IJSG_SI_EEENS0_18inequality_wrapperINS9_8equal_toItEEEEPmJSH_EEE10hipError_tPvRmT3_T4_T5_T6_T7_T9_mT8_P12ihipStream_tbDpT10_ENKUlT_T0_E_clISt17integral_constantIbLb1EES1C_IbLb0EEEEDaS18_S19_EUlS18_E_NS1_11comp_targetILNS1_3genE3ELNS1_11target_archE908ELNS1_3gpuE7ELNS1_3repE0EEENS1_30default_config_static_selectorELNS0_4arch9wavefront6targetE0EEEvT1_,@function
_ZN7rocprim17ROCPRIM_400000_NS6detail17trampoline_kernelINS0_14default_configENS1_25partition_config_selectorILNS1_17partition_subalgoE9EtjbEEZZNS1_14partition_implILS5_9ELb0ES3_jN6thrust23THRUST_200600_302600_NS6detail15normal_iteratorINS9_10device_ptrItEEEENSB_INSC_IjEEEEPNS0_10empty_typeENS0_5tupleIJNS9_16discard_iteratorINS9_11use_defaultEEESH_EEENSJ_IJSG_SI_EEENS0_18inequality_wrapperINS9_8equal_toItEEEEPmJSH_EEE10hipError_tPvRmT3_T4_T5_T6_T7_T9_mT8_P12ihipStream_tbDpT10_ENKUlT_T0_E_clISt17integral_constantIbLb1EES1C_IbLb0EEEEDaS18_S19_EUlS18_E_NS1_11comp_targetILNS1_3genE3ELNS1_11target_archE908ELNS1_3gpuE7ELNS1_3repE0EEENS1_30default_config_static_selectorELNS0_4arch9wavefront6targetE0EEEvT1_: ; @_ZN7rocprim17ROCPRIM_400000_NS6detail17trampoline_kernelINS0_14default_configENS1_25partition_config_selectorILNS1_17partition_subalgoE9EtjbEEZZNS1_14partition_implILS5_9ELb0ES3_jN6thrust23THRUST_200600_302600_NS6detail15normal_iteratorINS9_10device_ptrItEEEENSB_INSC_IjEEEEPNS0_10empty_typeENS0_5tupleIJNS9_16discard_iteratorINS9_11use_defaultEEESH_EEENSJ_IJSG_SI_EEENS0_18inequality_wrapperINS9_8equal_toItEEEEPmJSH_EEE10hipError_tPvRmT3_T4_T5_T6_T7_T9_mT8_P12ihipStream_tbDpT10_ENKUlT_T0_E_clISt17integral_constantIbLb1EES1C_IbLb0EEEEDaS18_S19_EUlS18_E_NS1_11comp_targetILNS1_3genE3ELNS1_11target_archE908ELNS1_3gpuE7ELNS1_3repE0EEENS1_30default_config_static_selectorELNS0_4arch9wavefront6targetE0EEEvT1_
; %bb.0:
	.section	.rodata,"a",@progbits
	.p2align	6, 0x0
	.amdhsa_kernel _ZN7rocprim17ROCPRIM_400000_NS6detail17trampoline_kernelINS0_14default_configENS1_25partition_config_selectorILNS1_17partition_subalgoE9EtjbEEZZNS1_14partition_implILS5_9ELb0ES3_jN6thrust23THRUST_200600_302600_NS6detail15normal_iteratorINS9_10device_ptrItEEEENSB_INSC_IjEEEEPNS0_10empty_typeENS0_5tupleIJNS9_16discard_iteratorINS9_11use_defaultEEESH_EEENSJ_IJSG_SI_EEENS0_18inequality_wrapperINS9_8equal_toItEEEEPmJSH_EEE10hipError_tPvRmT3_T4_T5_T6_T7_T9_mT8_P12ihipStream_tbDpT10_ENKUlT_T0_E_clISt17integral_constantIbLb1EES1C_IbLb0EEEEDaS18_S19_EUlS18_E_NS1_11comp_targetILNS1_3genE3ELNS1_11target_archE908ELNS1_3gpuE7ELNS1_3repE0EEENS1_30default_config_static_selectorELNS0_4arch9wavefront6targetE0EEEvT1_
		.amdhsa_group_segment_fixed_size 0
		.amdhsa_private_segment_fixed_size 0
		.amdhsa_kernarg_size 120
		.amdhsa_user_sgpr_count 15
		.amdhsa_user_sgpr_dispatch_ptr 0
		.amdhsa_user_sgpr_queue_ptr 0
		.amdhsa_user_sgpr_kernarg_segment_ptr 1
		.amdhsa_user_sgpr_dispatch_id 0
		.amdhsa_user_sgpr_private_segment_size 0
		.amdhsa_wavefront_size32 1
		.amdhsa_uses_dynamic_stack 0
		.amdhsa_enable_private_segment 0
		.amdhsa_system_sgpr_workgroup_id_x 1
		.amdhsa_system_sgpr_workgroup_id_y 0
		.amdhsa_system_sgpr_workgroup_id_z 0
		.amdhsa_system_sgpr_workgroup_info 0
		.amdhsa_system_vgpr_workitem_id 0
		.amdhsa_next_free_vgpr 1
		.amdhsa_next_free_sgpr 1
		.amdhsa_reserve_vcc 0
		.amdhsa_float_round_mode_32 0
		.amdhsa_float_round_mode_16_64 0
		.amdhsa_float_denorm_mode_32 3
		.amdhsa_float_denorm_mode_16_64 3
		.amdhsa_dx10_clamp 1
		.amdhsa_ieee_mode 1
		.amdhsa_fp16_overflow 0
		.amdhsa_workgroup_processor_mode 1
		.amdhsa_memory_ordered 1
		.amdhsa_forward_progress 0
		.amdhsa_shared_vgpr_count 0
		.amdhsa_exception_fp_ieee_invalid_op 0
		.amdhsa_exception_fp_denorm_src 0
		.amdhsa_exception_fp_ieee_div_zero 0
		.amdhsa_exception_fp_ieee_overflow 0
		.amdhsa_exception_fp_ieee_underflow 0
		.amdhsa_exception_fp_ieee_inexact 0
		.amdhsa_exception_int_div_zero 0
	.end_amdhsa_kernel
	.section	.text._ZN7rocprim17ROCPRIM_400000_NS6detail17trampoline_kernelINS0_14default_configENS1_25partition_config_selectorILNS1_17partition_subalgoE9EtjbEEZZNS1_14partition_implILS5_9ELb0ES3_jN6thrust23THRUST_200600_302600_NS6detail15normal_iteratorINS9_10device_ptrItEEEENSB_INSC_IjEEEEPNS0_10empty_typeENS0_5tupleIJNS9_16discard_iteratorINS9_11use_defaultEEESH_EEENSJ_IJSG_SI_EEENS0_18inequality_wrapperINS9_8equal_toItEEEEPmJSH_EEE10hipError_tPvRmT3_T4_T5_T6_T7_T9_mT8_P12ihipStream_tbDpT10_ENKUlT_T0_E_clISt17integral_constantIbLb1EES1C_IbLb0EEEEDaS18_S19_EUlS18_E_NS1_11comp_targetILNS1_3genE3ELNS1_11target_archE908ELNS1_3gpuE7ELNS1_3repE0EEENS1_30default_config_static_selectorELNS0_4arch9wavefront6targetE0EEEvT1_,"axG",@progbits,_ZN7rocprim17ROCPRIM_400000_NS6detail17trampoline_kernelINS0_14default_configENS1_25partition_config_selectorILNS1_17partition_subalgoE9EtjbEEZZNS1_14partition_implILS5_9ELb0ES3_jN6thrust23THRUST_200600_302600_NS6detail15normal_iteratorINS9_10device_ptrItEEEENSB_INSC_IjEEEEPNS0_10empty_typeENS0_5tupleIJNS9_16discard_iteratorINS9_11use_defaultEEESH_EEENSJ_IJSG_SI_EEENS0_18inequality_wrapperINS9_8equal_toItEEEEPmJSH_EEE10hipError_tPvRmT3_T4_T5_T6_T7_T9_mT8_P12ihipStream_tbDpT10_ENKUlT_T0_E_clISt17integral_constantIbLb1EES1C_IbLb0EEEEDaS18_S19_EUlS18_E_NS1_11comp_targetILNS1_3genE3ELNS1_11target_archE908ELNS1_3gpuE7ELNS1_3repE0EEENS1_30default_config_static_selectorELNS0_4arch9wavefront6targetE0EEEvT1_,comdat
.Lfunc_end968:
	.size	_ZN7rocprim17ROCPRIM_400000_NS6detail17trampoline_kernelINS0_14default_configENS1_25partition_config_selectorILNS1_17partition_subalgoE9EtjbEEZZNS1_14partition_implILS5_9ELb0ES3_jN6thrust23THRUST_200600_302600_NS6detail15normal_iteratorINS9_10device_ptrItEEEENSB_INSC_IjEEEEPNS0_10empty_typeENS0_5tupleIJNS9_16discard_iteratorINS9_11use_defaultEEESH_EEENSJ_IJSG_SI_EEENS0_18inequality_wrapperINS9_8equal_toItEEEEPmJSH_EEE10hipError_tPvRmT3_T4_T5_T6_T7_T9_mT8_P12ihipStream_tbDpT10_ENKUlT_T0_E_clISt17integral_constantIbLb1EES1C_IbLb0EEEEDaS18_S19_EUlS18_E_NS1_11comp_targetILNS1_3genE3ELNS1_11target_archE908ELNS1_3gpuE7ELNS1_3repE0EEENS1_30default_config_static_selectorELNS0_4arch9wavefront6targetE0EEEvT1_, .Lfunc_end968-_ZN7rocprim17ROCPRIM_400000_NS6detail17trampoline_kernelINS0_14default_configENS1_25partition_config_selectorILNS1_17partition_subalgoE9EtjbEEZZNS1_14partition_implILS5_9ELb0ES3_jN6thrust23THRUST_200600_302600_NS6detail15normal_iteratorINS9_10device_ptrItEEEENSB_INSC_IjEEEEPNS0_10empty_typeENS0_5tupleIJNS9_16discard_iteratorINS9_11use_defaultEEESH_EEENSJ_IJSG_SI_EEENS0_18inequality_wrapperINS9_8equal_toItEEEEPmJSH_EEE10hipError_tPvRmT3_T4_T5_T6_T7_T9_mT8_P12ihipStream_tbDpT10_ENKUlT_T0_E_clISt17integral_constantIbLb1EES1C_IbLb0EEEEDaS18_S19_EUlS18_E_NS1_11comp_targetILNS1_3genE3ELNS1_11target_archE908ELNS1_3gpuE7ELNS1_3repE0EEENS1_30default_config_static_selectorELNS0_4arch9wavefront6targetE0EEEvT1_
                                        ; -- End function
	.section	.AMDGPU.csdata,"",@progbits
; Kernel info:
; codeLenInByte = 0
; NumSgprs: 0
; NumVgprs: 0
; ScratchSize: 0
; MemoryBound: 0
; FloatMode: 240
; IeeeMode: 1
; LDSByteSize: 0 bytes/workgroup (compile time only)
; SGPRBlocks: 0
; VGPRBlocks: 0
; NumSGPRsForWavesPerEU: 1
; NumVGPRsForWavesPerEU: 1
; Occupancy: 16
; WaveLimiterHint : 0
; COMPUTE_PGM_RSRC2:SCRATCH_EN: 0
; COMPUTE_PGM_RSRC2:USER_SGPR: 15
; COMPUTE_PGM_RSRC2:TRAP_HANDLER: 0
; COMPUTE_PGM_RSRC2:TGID_X_EN: 1
; COMPUTE_PGM_RSRC2:TGID_Y_EN: 0
; COMPUTE_PGM_RSRC2:TGID_Z_EN: 0
; COMPUTE_PGM_RSRC2:TIDIG_COMP_CNT: 0
	.section	.text._ZN7rocprim17ROCPRIM_400000_NS6detail17trampoline_kernelINS0_14default_configENS1_25partition_config_selectorILNS1_17partition_subalgoE9EtjbEEZZNS1_14partition_implILS5_9ELb0ES3_jN6thrust23THRUST_200600_302600_NS6detail15normal_iteratorINS9_10device_ptrItEEEENSB_INSC_IjEEEEPNS0_10empty_typeENS0_5tupleIJNS9_16discard_iteratorINS9_11use_defaultEEESH_EEENSJ_IJSG_SI_EEENS0_18inequality_wrapperINS9_8equal_toItEEEEPmJSH_EEE10hipError_tPvRmT3_T4_T5_T6_T7_T9_mT8_P12ihipStream_tbDpT10_ENKUlT_T0_E_clISt17integral_constantIbLb1EES1C_IbLb0EEEEDaS18_S19_EUlS18_E_NS1_11comp_targetILNS1_3genE2ELNS1_11target_archE906ELNS1_3gpuE6ELNS1_3repE0EEENS1_30default_config_static_selectorELNS0_4arch9wavefront6targetE0EEEvT1_,"axG",@progbits,_ZN7rocprim17ROCPRIM_400000_NS6detail17trampoline_kernelINS0_14default_configENS1_25partition_config_selectorILNS1_17partition_subalgoE9EtjbEEZZNS1_14partition_implILS5_9ELb0ES3_jN6thrust23THRUST_200600_302600_NS6detail15normal_iteratorINS9_10device_ptrItEEEENSB_INSC_IjEEEEPNS0_10empty_typeENS0_5tupleIJNS9_16discard_iteratorINS9_11use_defaultEEESH_EEENSJ_IJSG_SI_EEENS0_18inequality_wrapperINS9_8equal_toItEEEEPmJSH_EEE10hipError_tPvRmT3_T4_T5_T6_T7_T9_mT8_P12ihipStream_tbDpT10_ENKUlT_T0_E_clISt17integral_constantIbLb1EES1C_IbLb0EEEEDaS18_S19_EUlS18_E_NS1_11comp_targetILNS1_3genE2ELNS1_11target_archE906ELNS1_3gpuE6ELNS1_3repE0EEENS1_30default_config_static_selectorELNS0_4arch9wavefront6targetE0EEEvT1_,comdat
	.protected	_ZN7rocprim17ROCPRIM_400000_NS6detail17trampoline_kernelINS0_14default_configENS1_25partition_config_selectorILNS1_17partition_subalgoE9EtjbEEZZNS1_14partition_implILS5_9ELb0ES3_jN6thrust23THRUST_200600_302600_NS6detail15normal_iteratorINS9_10device_ptrItEEEENSB_INSC_IjEEEEPNS0_10empty_typeENS0_5tupleIJNS9_16discard_iteratorINS9_11use_defaultEEESH_EEENSJ_IJSG_SI_EEENS0_18inequality_wrapperINS9_8equal_toItEEEEPmJSH_EEE10hipError_tPvRmT3_T4_T5_T6_T7_T9_mT8_P12ihipStream_tbDpT10_ENKUlT_T0_E_clISt17integral_constantIbLb1EES1C_IbLb0EEEEDaS18_S19_EUlS18_E_NS1_11comp_targetILNS1_3genE2ELNS1_11target_archE906ELNS1_3gpuE6ELNS1_3repE0EEENS1_30default_config_static_selectorELNS0_4arch9wavefront6targetE0EEEvT1_ ; -- Begin function _ZN7rocprim17ROCPRIM_400000_NS6detail17trampoline_kernelINS0_14default_configENS1_25partition_config_selectorILNS1_17partition_subalgoE9EtjbEEZZNS1_14partition_implILS5_9ELb0ES3_jN6thrust23THRUST_200600_302600_NS6detail15normal_iteratorINS9_10device_ptrItEEEENSB_INSC_IjEEEEPNS0_10empty_typeENS0_5tupleIJNS9_16discard_iteratorINS9_11use_defaultEEESH_EEENSJ_IJSG_SI_EEENS0_18inequality_wrapperINS9_8equal_toItEEEEPmJSH_EEE10hipError_tPvRmT3_T4_T5_T6_T7_T9_mT8_P12ihipStream_tbDpT10_ENKUlT_T0_E_clISt17integral_constantIbLb1EES1C_IbLb0EEEEDaS18_S19_EUlS18_E_NS1_11comp_targetILNS1_3genE2ELNS1_11target_archE906ELNS1_3gpuE6ELNS1_3repE0EEENS1_30default_config_static_selectorELNS0_4arch9wavefront6targetE0EEEvT1_
	.globl	_ZN7rocprim17ROCPRIM_400000_NS6detail17trampoline_kernelINS0_14default_configENS1_25partition_config_selectorILNS1_17partition_subalgoE9EtjbEEZZNS1_14partition_implILS5_9ELb0ES3_jN6thrust23THRUST_200600_302600_NS6detail15normal_iteratorINS9_10device_ptrItEEEENSB_INSC_IjEEEEPNS0_10empty_typeENS0_5tupleIJNS9_16discard_iteratorINS9_11use_defaultEEESH_EEENSJ_IJSG_SI_EEENS0_18inequality_wrapperINS9_8equal_toItEEEEPmJSH_EEE10hipError_tPvRmT3_T4_T5_T6_T7_T9_mT8_P12ihipStream_tbDpT10_ENKUlT_T0_E_clISt17integral_constantIbLb1EES1C_IbLb0EEEEDaS18_S19_EUlS18_E_NS1_11comp_targetILNS1_3genE2ELNS1_11target_archE906ELNS1_3gpuE6ELNS1_3repE0EEENS1_30default_config_static_selectorELNS0_4arch9wavefront6targetE0EEEvT1_
	.p2align	8
	.type	_ZN7rocprim17ROCPRIM_400000_NS6detail17trampoline_kernelINS0_14default_configENS1_25partition_config_selectorILNS1_17partition_subalgoE9EtjbEEZZNS1_14partition_implILS5_9ELb0ES3_jN6thrust23THRUST_200600_302600_NS6detail15normal_iteratorINS9_10device_ptrItEEEENSB_INSC_IjEEEEPNS0_10empty_typeENS0_5tupleIJNS9_16discard_iteratorINS9_11use_defaultEEESH_EEENSJ_IJSG_SI_EEENS0_18inequality_wrapperINS9_8equal_toItEEEEPmJSH_EEE10hipError_tPvRmT3_T4_T5_T6_T7_T9_mT8_P12ihipStream_tbDpT10_ENKUlT_T0_E_clISt17integral_constantIbLb1EES1C_IbLb0EEEEDaS18_S19_EUlS18_E_NS1_11comp_targetILNS1_3genE2ELNS1_11target_archE906ELNS1_3gpuE6ELNS1_3repE0EEENS1_30default_config_static_selectorELNS0_4arch9wavefront6targetE0EEEvT1_,@function
_ZN7rocprim17ROCPRIM_400000_NS6detail17trampoline_kernelINS0_14default_configENS1_25partition_config_selectorILNS1_17partition_subalgoE9EtjbEEZZNS1_14partition_implILS5_9ELb0ES3_jN6thrust23THRUST_200600_302600_NS6detail15normal_iteratorINS9_10device_ptrItEEEENSB_INSC_IjEEEEPNS0_10empty_typeENS0_5tupleIJNS9_16discard_iteratorINS9_11use_defaultEEESH_EEENSJ_IJSG_SI_EEENS0_18inequality_wrapperINS9_8equal_toItEEEEPmJSH_EEE10hipError_tPvRmT3_T4_T5_T6_T7_T9_mT8_P12ihipStream_tbDpT10_ENKUlT_T0_E_clISt17integral_constantIbLb1EES1C_IbLb0EEEEDaS18_S19_EUlS18_E_NS1_11comp_targetILNS1_3genE2ELNS1_11target_archE906ELNS1_3gpuE6ELNS1_3repE0EEENS1_30default_config_static_selectorELNS0_4arch9wavefront6targetE0EEEvT1_: ; @_ZN7rocprim17ROCPRIM_400000_NS6detail17trampoline_kernelINS0_14default_configENS1_25partition_config_selectorILNS1_17partition_subalgoE9EtjbEEZZNS1_14partition_implILS5_9ELb0ES3_jN6thrust23THRUST_200600_302600_NS6detail15normal_iteratorINS9_10device_ptrItEEEENSB_INSC_IjEEEEPNS0_10empty_typeENS0_5tupleIJNS9_16discard_iteratorINS9_11use_defaultEEESH_EEENSJ_IJSG_SI_EEENS0_18inequality_wrapperINS9_8equal_toItEEEEPmJSH_EEE10hipError_tPvRmT3_T4_T5_T6_T7_T9_mT8_P12ihipStream_tbDpT10_ENKUlT_T0_E_clISt17integral_constantIbLb1EES1C_IbLb0EEEEDaS18_S19_EUlS18_E_NS1_11comp_targetILNS1_3genE2ELNS1_11target_archE906ELNS1_3gpuE6ELNS1_3repE0EEENS1_30default_config_static_selectorELNS0_4arch9wavefront6targetE0EEEvT1_
; %bb.0:
	.section	.rodata,"a",@progbits
	.p2align	6, 0x0
	.amdhsa_kernel _ZN7rocprim17ROCPRIM_400000_NS6detail17trampoline_kernelINS0_14default_configENS1_25partition_config_selectorILNS1_17partition_subalgoE9EtjbEEZZNS1_14partition_implILS5_9ELb0ES3_jN6thrust23THRUST_200600_302600_NS6detail15normal_iteratorINS9_10device_ptrItEEEENSB_INSC_IjEEEEPNS0_10empty_typeENS0_5tupleIJNS9_16discard_iteratorINS9_11use_defaultEEESH_EEENSJ_IJSG_SI_EEENS0_18inequality_wrapperINS9_8equal_toItEEEEPmJSH_EEE10hipError_tPvRmT3_T4_T5_T6_T7_T9_mT8_P12ihipStream_tbDpT10_ENKUlT_T0_E_clISt17integral_constantIbLb1EES1C_IbLb0EEEEDaS18_S19_EUlS18_E_NS1_11comp_targetILNS1_3genE2ELNS1_11target_archE906ELNS1_3gpuE6ELNS1_3repE0EEENS1_30default_config_static_selectorELNS0_4arch9wavefront6targetE0EEEvT1_
		.amdhsa_group_segment_fixed_size 0
		.amdhsa_private_segment_fixed_size 0
		.amdhsa_kernarg_size 120
		.amdhsa_user_sgpr_count 15
		.amdhsa_user_sgpr_dispatch_ptr 0
		.amdhsa_user_sgpr_queue_ptr 0
		.amdhsa_user_sgpr_kernarg_segment_ptr 1
		.amdhsa_user_sgpr_dispatch_id 0
		.amdhsa_user_sgpr_private_segment_size 0
		.amdhsa_wavefront_size32 1
		.amdhsa_uses_dynamic_stack 0
		.amdhsa_enable_private_segment 0
		.amdhsa_system_sgpr_workgroup_id_x 1
		.amdhsa_system_sgpr_workgroup_id_y 0
		.amdhsa_system_sgpr_workgroup_id_z 0
		.amdhsa_system_sgpr_workgroup_info 0
		.amdhsa_system_vgpr_workitem_id 0
		.amdhsa_next_free_vgpr 1
		.amdhsa_next_free_sgpr 1
		.amdhsa_reserve_vcc 0
		.amdhsa_float_round_mode_32 0
		.amdhsa_float_round_mode_16_64 0
		.amdhsa_float_denorm_mode_32 3
		.amdhsa_float_denorm_mode_16_64 3
		.amdhsa_dx10_clamp 1
		.amdhsa_ieee_mode 1
		.amdhsa_fp16_overflow 0
		.amdhsa_workgroup_processor_mode 1
		.amdhsa_memory_ordered 1
		.amdhsa_forward_progress 0
		.amdhsa_shared_vgpr_count 0
		.amdhsa_exception_fp_ieee_invalid_op 0
		.amdhsa_exception_fp_denorm_src 0
		.amdhsa_exception_fp_ieee_div_zero 0
		.amdhsa_exception_fp_ieee_overflow 0
		.amdhsa_exception_fp_ieee_underflow 0
		.amdhsa_exception_fp_ieee_inexact 0
		.amdhsa_exception_int_div_zero 0
	.end_amdhsa_kernel
	.section	.text._ZN7rocprim17ROCPRIM_400000_NS6detail17trampoline_kernelINS0_14default_configENS1_25partition_config_selectorILNS1_17partition_subalgoE9EtjbEEZZNS1_14partition_implILS5_9ELb0ES3_jN6thrust23THRUST_200600_302600_NS6detail15normal_iteratorINS9_10device_ptrItEEEENSB_INSC_IjEEEEPNS0_10empty_typeENS0_5tupleIJNS9_16discard_iteratorINS9_11use_defaultEEESH_EEENSJ_IJSG_SI_EEENS0_18inequality_wrapperINS9_8equal_toItEEEEPmJSH_EEE10hipError_tPvRmT3_T4_T5_T6_T7_T9_mT8_P12ihipStream_tbDpT10_ENKUlT_T0_E_clISt17integral_constantIbLb1EES1C_IbLb0EEEEDaS18_S19_EUlS18_E_NS1_11comp_targetILNS1_3genE2ELNS1_11target_archE906ELNS1_3gpuE6ELNS1_3repE0EEENS1_30default_config_static_selectorELNS0_4arch9wavefront6targetE0EEEvT1_,"axG",@progbits,_ZN7rocprim17ROCPRIM_400000_NS6detail17trampoline_kernelINS0_14default_configENS1_25partition_config_selectorILNS1_17partition_subalgoE9EtjbEEZZNS1_14partition_implILS5_9ELb0ES3_jN6thrust23THRUST_200600_302600_NS6detail15normal_iteratorINS9_10device_ptrItEEEENSB_INSC_IjEEEEPNS0_10empty_typeENS0_5tupleIJNS9_16discard_iteratorINS9_11use_defaultEEESH_EEENSJ_IJSG_SI_EEENS0_18inequality_wrapperINS9_8equal_toItEEEEPmJSH_EEE10hipError_tPvRmT3_T4_T5_T6_T7_T9_mT8_P12ihipStream_tbDpT10_ENKUlT_T0_E_clISt17integral_constantIbLb1EES1C_IbLb0EEEEDaS18_S19_EUlS18_E_NS1_11comp_targetILNS1_3genE2ELNS1_11target_archE906ELNS1_3gpuE6ELNS1_3repE0EEENS1_30default_config_static_selectorELNS0_4arch9wavefront6targetE0EEEvT1_,comdat
.Lfunc_end969:
	.size	_ZN7rocprim17ROCPRIM_400000_NS6detail17trampoline_kernelINS0_14default_configENS1_25partition_config_selectorILNS1_17partition_subalgoE9EtjbEEZZNS1_14partition_implILS5_9ELb0ES3_jN6thrust23THRUST_200600_302600_NS6detail15normal_iteratorINS9_10device_ptrItEEEENSB_INSC_IjEEEEPNS0_10empty_typeENS0_5tupleIJNS9_16discard_iteratorINS9_11use_defaultEEESH_EEENSJ_IJSG_SI_EEENS0_18inequality_wrapperINS9_8equal_toItEEEEPmJSH_EEE10hipError_tPvRmT3_T4_T5_T6_T7_T9_mT8_P12ihipStream_tbDpT10_ENKUlT_T0_E_clISt17integral_constantIbLb1EES1C_IbLb0EEEEDaS18_S19_EUlS18_E_NS1_11comp_targetILNS1_3genE2ELNS1_11target_archE906ELNS1_3gpuE6ELNS1_3repE0EEENS1_30default_config_static_selectorELNS0_4arch9wavefront6targetE0EEEvT1_, .Lfunc_end969-_ZN7rocprim17ROCPRIM_400000_NS6detail17trampoline_kernelINS0_14default_configENS1_25partition_config_selectorILNS1_17partition_subalgoE9EtjbEEZZNS1_14partition_implILS5_9ELb0ES3_jN6thrust23THRUST_200600_302600_NS6detail15normal_iteratorINS9_10device_ptrItEEEENSB_INSC_IjEEEEPNS0_10empty_typeENS0_5tupleIJNS9_16discard_iteratorINS9_11use_defaultEEESH_EEENSJ_IJSG_SI_EEENS0_18inequality_wrapperINS9_8equal_toItEEEEPmJSH_EEE10hipError_tPvRmT3_T4_T5_T6_T7_T9_mT8_P12ihipStream_tbDpT10_ENKUlT_T0_E_clISt17integral_constantIbLb1EES1C_IbLb0EEEEDaS18_S19_EUlS18_E_NS1_11comp_targetILNS1_3genE2ELNS1_11target_archE906ELNS1_3gpuE6ELNS1_3repE0EEENS1_30default_config_static_selectorELNS0_4arch9wavefront6targetE0EEEvT1_
                                        ; -- End function
	.section	.AMDGPU.csdata,"",@progbits
; Kernel info:
; codeLenInByte = 0
; NumSgprs: 0
; NumVgprs: 0
; ScratchSize: 0
; MemoryBound: 0
; FloatMode: 240
; IeeeMode: 1
; LDSByteSize: 0 bytes/workgroup (compile time only)
; SGPRBlocks: 0
; VGPRBlocks: 0
; NumSGPRsForWavesPerEU: 1
; NumVGPRsForWavesPerEU: 1
; Occupancy: 16
; WaveLimiterHint : 0
; COMPUTE_PGM_RSRC2:SCRATCH_EN: 0
; COMPUTE_PGM_RSRC2:USER_SGPR: 15
; COMPUTE_PGM_RSRC2:TRAP_HANDLER: 0
; COMPUTE_PGM_RSRC2:TGID_X_EN: 1
; COMPUTE_PGM_RSRC2:TGID_Y_EN: 0
; COMPUTE_PGM_RSRC2:TGID_Z_EN: 0
; COMPUTE_PGM_RSRC2:TIDIG_COMP_CNT: 0
	.section	.text._ZN7rocprim17ROCPRIM_400000_NS6detail17trampoline_kernelINS0_14default_configENS1_25partition_config_selectorILNS1_17partition_subalgoE9EtjbEEZZNS1_14partition_implILS5_9ELb0ES3_jN6thrust23THRUST_200600_302600_NS6detail15normal_iteratorINS9_10device_ptrItEEEENSB_INSC_IjEEEEPNS0_10empty_typeENS0_5tupleIJNS9_16discard_iteratorINS9_11use_defaultEEESH_EEENSJ_IJSG_SI_EEENS0_18inequality_wrapperINS9_8equal_toItEEEEPmJSH_EEE10hipError_tPvRmT3_T4_T5_T6_T7_T9_mT8_P12ihipStream_tbDpT10_ENKUlT_T0_E_clISt17integral_constantIbLb1EES1C_IbLb0EEEEDaS18_S19_EUlS18_E_NS1_11comp_targetILNS1_3genE10ELNS1_11target_archE1200ELNS1_3gpuE4ELNS1_3repE0EEENS1_30default_config_static_selectorELNS0_4arch9wavefront6targetE0EEEvT1_,"axG",@progbits,_ZN7rocprim17ROCPRIM_400000_NS6detail17trampoline_kernelINS0_14default_configENS1_25partition_config_selectorILNS1_17partition_subalgoE9EtjbEEZZNS1_14partition_implILS5_9ELb0ES3_jN6thrust23THRUST_200600_302600_NS6detail15normal_iteratorINS9_10device_ptrItEEEENSB_INSC_IjEEEEPNS0_10empty_typeENS0_5tupleIJNS9_16discard_iteratorINS9_11use_defaultEEESH_EEENSJ_IJSG_SI_EEENS0_18inequality_wrapperINS9_8equal_toItEEEEPmJSH_EEE10hipError_tPvRmT3_T4_T5_T6_T7_T9_mT8_P12ihipStream_tbDpT10_ENKUlT_T0_E_clISt17integral_constantIbLb1EES1C_IbLb0EEEEDaS18_S19_EUlS18_E_NS1_11comp_targetILNS1_3genE10ELNS1_11target_archE1200ELNS1_3gpuE4ELNS1_3repE0EEENS1_30default_config_static_selectorELNS0_4arch9wavefront6targetE0EEEvT1_,comdat
	.protected	_ZN7rocprim17ROCPRIM_400000_NS6detail17trampoline_kernelINS0_14default_configENS1_25partition_config_selectorILNS1_17partition_subalgoE9EtjbEEZZNS1_14partition_implILS5_9ELb0ES3_jN6thrust23THRUST_200600_302600_NS6detail15normal_iteratorINS9_10device_ptrItEEEENSB_INSC_IjEEEEPNS0_10empty_typeENS0_5tupleIJNS9_16discard_iteratorINS9_11use_defaultEEESH_EEENSJ_IJSG_SI_EEENS0_18inequality_wrapperINS9_8equal_toItEEEEPmJSH_EEE10hipError_tPvRmT3_T4_T5_T6_T7_T9_mT8_P12ihipStream_tbDpT10_ENKUlT_T0_E_clISt17integral_constantIbLb1EES1C_IbLb0EEEEDaS18_S19_EUlS18_E_NS1_11comp_targetILNS1_3genE10ELNS1_11target_archE1200ELNS1_3gpuE4ELNS1_3repE0EEENS1_30default_config_static_selectorELNS0_4arch9wavefront6targetE0EEEvT1_ ; -- Begin function _ZN7rocprim17ROCPRIM_400000_NS6detail17trampoline_kernelINS0_14default_configENS1_25partition_config_selectorILNS1_17partition_subalgoE9EtjbEEZZNS1_14partition_implILS5_9ELb0ES3_jN6thrust23THRUST_200600_302600_NS6detail15normal_iteratorINS9_10device_ptrItEEEENSB_INSC_IjEEEEPNS0_10empty_typeENS0_5tupleIJNS9_16discard_iteratorINS9_11use_defaultEEESH_EEENSJ_IJSG_SI_EEENS0_18inequality_wrapperINS9_8equal_toItEEEEPmJSH_EEE10hipError_tPvRmT3_T4_T5_T6_T7_T9_mT8_P12ihipStream_tbDpT10_ENKUlT_T0_E_clISt17integral_constantIbLb1EES1C_IbLb0EEEEDaS18_S19_EUlS18_E_NS1_11comp_targetILNS1_3genE10ELNS1_11target_archE1200ELNS1_3gpuE4ELNS1_3repE0EEENS1_30default_config_static_selectorELNS0_4arch9wavefront6targetE0EEEvT1_
	.globl	_ZN7rocprim17ROCPRIM_400000_NS6detail17trampoline_kernelINS0_14default_configENS1_25partition_config_selectorILNS1_17partition_subalgoE9EtjbEEZZNS1_14partition_implILS5_9ELb0ES3_jN6thrust23THRUST_200600_302600_NS6detail15normal_iteratorINS9_10device_ptrItEEEENSB_INSC_IjEEEEPNS0_10empty_typeENS0_5tupleIJNS9_16discard_iteratorINS9_11use_defaultEEESH_EEENSJ_IJSG_SI_EEENS0_18inequality_wrapperINS9_8equal_toItEEEEPmJSH_EEE10hipError_tPvRmT3_T4_T5_T6_T7_T9_mT8_P12ihipStream_tbDpT10_ENKUlT_T0_E_clISt17integral_constantIbLb1EES1C_IbLb0EEEEDaS18_S19_EUlS18_E_NS1_11comp_targetILNS1_3genE10ELNS1_11target_archE1200ELNS1_3gpuE4ELNS1_3repE0EEENS1_30default_config_static_selectorELNS0_4arch9wavefront6targetE0EEEvT1_
	.p2align	8
	.type	_ZN7rocprim17ROCPRIM_400000_NS6detail17trampoline_kernelINS0_14default_configENS1_25partition_config_selectorILNS1_17partition_subalgoE9EtjbEEZZNS1_14partition_implILS5_9ELb0ES3_jN6thrust23THRUST_200600_302600_NS6detail15normal_iteratorINS9_10device_ptrItEEEENSB_INSC_IjEEEEPNS0_10empty_typeENS0_5tupleIJNS9_16discard_iteratorINS9_11use_defaultEEESH_EEENSJ_IJSG_SI_EEENS0_18inequality_wrapperINS9_8equal_toItEEEEPmJSH_EEE10hipError_tPvRmT3_T4_T5_T6_T7_T9_mT8_P12ihipStream_tbDpT10_ENKUlT_T0_E_clISt17integral_constantIbLb1EES1C_IbLb0EEEEDaS18_S19_EUlS18_E_NS1_11comp_targetILNS1_3genE10ELNS1_11target_archE1200ELNS1_3gpuE4ELNS1_3repE0EEENS1_30default_config_static_selectorELNS0_4arch9wavefront6targetE0EEEvT1_,@function
_ZN7rocprim17ROCPRIM_400000_NS6detail17trampoline_kernelINS0_14default_configENS1_25partition_config_selectorILNS1_17partition_subalgoE9EtjbEEZZNS1_14partition_implILS5_9ELb0ES3_jN6thrust23THRUST_200600_302600_NS6detail15normal_iteratorINS9_10device_ptrItEEEENSB_INSC_IjEEEEPNS0_10empty_typeENS0_5tupleIJNS9_16discard_iteratorINS9_11use_defaultEEESH_EEENSJ_IJSG_SI_EEENS0_18inequality_wrapperINS9_8equal_toItEEEEPmJSH_EEE10hipError_tPvRmT3_T4_T5_T6_T7_T9_mT8_P12ihipStream_tbDpT10_ENKUlT_T0_E_clISt17integral_constantIbLb1EES1C_IbLb0EEEEDaS18_S19_EUlS18_E_NS1_11comp_targetILNS1_3genE10ELNS1_11target_archE1200ELNS1_3gpuE4ELNS1_3repE0EEENS1_30default_config_static_selectorELNS0_4arch9wavefront6targetE0EEEvT1_: ; @_ZN7rocprim17ROCPRIM_400000_NS6detail17trampoline_kernelINS0_14default_configENS1_25partition_config_selectorILNS1_17partition_subalgoE9EtjbEEZZNS1_14partition_implILS5_9ELb0ES3_jN6thrust23THRUST_200600_302600_NS6detail15normal_iteratorINS9_10device_ptrItEEEENSB_INSC_IjEEEEPNS0_10empty_typeENS0_5tupleIJNS9_16discard_iteratorINS9_11use_defaultEEESH_EEENSJ_IJSG_SI_EEENS0_18inequality_wrapperINS9_8equal_toItEEEEPmJSH_EEE10hipError_tPvRmT3_T4_T5_T6_T7_T9_mT8_P12ihipStream_tbDpT10_ENKUlT_T0_E_clISt17integral_constantIbLb1EES1C_IbLb0EEEEDaS18_S19_EUlS18_E_NS1_11comp_targetILNS1_3genE10ELNS1_11target_archE1200ELNS1_3gpuE4ELNS1_3repE0EEENS1_30default_config_static_selectorELNS0_4arch9wavefront6targetE0EEEvT1_
; %bb.0:
	.section	.rodata,"a",@progbits
	.p2align	6, 0x0
	.amdhsa_kernel _ZN7rocprim17ROCPRIM_400000_NS6detail17trampoline_kernelINS0_14default_configENS1_25partition_config_selectorILNS1_17partition_subalgoE9EtjbEEZZNS1_14partition_implILS5_9ELb0ES3_jN6thrust23THRUST_200600_302600_NS6detail15normal_iteratorINS9_10device_ptrItEEEENSB_INSC_IjEEEEPNS0_10empty_typeENS0_5tupleIJNS9_16discard_iteratorINS9_11use_defaultEEESH_EEENSJ_IJSG_SI_EEENS0_18inequality_wrapperINS9_8equal_toItEEEEPmJSH_EEE10hipError_tPvRmT3_T4_T5_T6_T7_T9_mT8_P12ihipStream_tbDpT10_ENKUlT_T0_E_clISt17integral_constantIbLb1EES1C_IbLb0EEEEDaS18_S19_EUlS18_E_NS1_11comp_targetILNS1_3genE10ELNS1_11target_archE1200ELNS1_3gpuE4ELNS1_3repE0EEENS1_30default_config_static_selectorELNS0_4arch9wavefront6targetE0EEEvT1_
		.amdhsa_group_segment_fixed_size 0
		.amdhsa_private_segment_fixed_size 0
		.amdhsa_kernarg_size 120
		.amdhsa_user_sgpr_count 15
		.amdhsa_user_sgpr_dispatch_ptr 0
		.amdhsa_user_sgpr_queue_ptr 0
		.amdhsa_user_sgpr_kernarg_segment_ptr 1
		.amdhsa_user_sgpr_dispatch_id 0
		.amdhsa_user_sgpr_private_segment_size 0
		.amdhsa_wavefront_size32 1
		.amdhsa_uses_dynamic_stack 0
		.amdhsa_enable_private_segment 0
		.amdhsa_system_sgpr_workgroup_id_x 1
		.amdhsa_system_sgpr_workgroup_id_y 0
		.amdhsa_system_sgpr_workgroup_id_z 0
		.amdhsa_system_sgpr_workgroup_info 0
		.amdhsa_system_vgpr_workitem_id 0
		.amdhsa_next_free_vgpr 1
		.amdhsa_next_free_sgpr 1
		.amdhsa_reserve_vcc 0
		.amdhsa_float_round_mode_32 0
		.amdhsa_float_round_mode_16_64 0
		.amdhsa_float_denorm_mode_32 3
		.amdhsa_float_denorm_mode_16_64 3
		.amdhsa_dx10_clamp 1
		.amdhsa_ieee_mode 1
		.amdhsa_fp16_overflow 0
		.amdhsa_workgroup_processor_mode 1
		.amdhsa_memory_ordered 1
		.amdhsa_forward_progress 0
		.amdhsa_shared_vgpr_count 0
		.amdhsa_exception_fp_ieee_invalid_op 0
		.amdhsa_exception_fp_denorm_src 0
		.amdhsa_exception_fp_ieee_div_zero 0
		.amdhsa_exception_fp_ieee_overflow 0
		.amdhsa_exception_fp_ieee_underflow 0
		.amdhsa_exception_fp_ieee_inexact 0
		.amdhsa_exception_int_div_zero 0
	.end_amdhsa_kernel
	.section	.text._ZN7rocprim17ROCPRIM_400000_NS6detail17trampoline_kernelINS0_14default_configENS1_25partition_config_selectorILNS1_17partition_subalgoE9EtjbEEZZNS1_14partition_implILS5_9ELb0ES3_jN6thrust23THRUST_200600_302600_NS6detail15normal_iteratorINS9_10device_ptrItEEEENSB_INSC_IjEEEEPNS0_10empty_typeENS0_5tupleIJNS9_16discard_iteratorINS9_11use_defaultEEESH_EEENSJ_IJSG_SI_EEENS0_18inequality_wrapperINS9_8equal_toItEEEEPmJSH_EEE10hipError_tPvRmT3_T4_T5_T6_T7_T9_mT8_P12ihipStream_tbDpT10_ENKUlT_T0_E_clISt17integral_constantIbLb1EES1C_IbLb0EEEEDaS18_S19_EUlS18_E_NS1_11comp_targetILNS1_3genE10ELNS1_11target_archE1200ELNS1_3gpuE4ELNS1_3repE0EEENS1_30default_config_static_selectorELNS0_4arch9wavefront6targetE0EEEvT1_,"axG",@progbits,_ZN7rocprim17ROCPRIM_400000_NS6detail17trampoline_kernelINS0_14default_configENS1_25partition_config_selectorILNS1_17partition_subalgoE9EtjbEEZZNS1_14partition_implILS5_9ELb0ES3_jN6thrust23THRUST_200600_302600_NS6detail15normal_iteratorINS9_10device_ptrItEEEENSB_INSC_IjEEEEPNS0_10empty_typeENS0_5tupleIJNS9_16discard_iteratorINS9_11use_defaultEEESH_EEENSJ_IJSG_SI_EEENS0_18inequality_wrapperINS9_8equal_toItEEEEPmJSH_EEE10hipError_tPvRmT3_T4_T5_T6_T7_T9_mT8_P12ihipStream_tbDpT10_ENKUlT_T0_E_clISt17integral_constantIbLb1EES1C_IbLb0EEEEDaS18_S19_EUlS18_E_NS1_11comp_targetILNS1_3genE10ELNS1_11target_archE1200ELNS1_3gpuE4ELNS1_3repE0EEENS1_30default_config_static_selectorELNS0_4arch9wavefront6targetE0EEEvT1_,comdat
.Lfunc_end970:
	.size	_ZN7rocprim17ROCPRIM_400000_NS6detail17trampoline_kernelINS0_14default_configENS1_25partition_config_selectorILNS1_17partition_subalgoE9EtjbEEZZNS1_14partition_implILS5_9ELb0ES3_jN6thrust23THRUST_200600_302600_NS6detail15normal_iteratorINS9_10device_ptrItEEEENSB_INSC_IjEEEEPNS0_10empty_typeENS0_5tupleIJNS9_16discard_iteratorINS9_11use_defaultEEESH_EEENSJ_IJSG_SI_EEENS0_18inequality_wrapperINS9_8equal_toItEEEEPmJSH_EEE10hipError_tPvRmT3_T4_T5_T6_T7_T9_mT8_P12ihipStream_tbDpT10_ENKUlT_T0_E_clISt17integral_constantIbLb1EES1C_IbLb0EEEEDaS18_S19_EUlS18_E_NS1_11comp_targetILNS1_3genE10ELNS1_11target_archE1200ELNS1_3gpuE4ELNS1_3repE0EEENS1_30default_config_static_selectorELNS0_4arch9wavefront6targetE0EEEvT1_, .Lfunc_end970-_ZN7rocprim17ROCPRIM_400000_NS6detail17trampoline_kernelINS0_14default_configENS1_25partition_config_selectorILNS1_17partition_subalgoE9EtjbEEZZNS1_14partition_implILS5_9ELb0ES3_jN6thrust23THRUST_200600_302600_NS6detail15normal_iteratorINS9_10device_ptrItEEEENSB_INSC_IjEEEEPNS0_10empty_typeENS0_5tupleIJNS9_16discard_iteratorINS9_11use_defaultEEESH_EEENSJ_IJSG_SI_EEENS0_18inequality_wrapperINS9_8equal_toItEEEEPmJSH_EEE10hipError_tPvRmT3_T4_T5_T6_T7_T9_mT8_P12ihipStream_tbDpT10_ENKUlT_T0_E_clISt17integral_constantIbLb1EES1C_IbLb0EEEEDaS18_S19_EUlS18_E_NS1_11comp_targetILNS1_3genE10ELNS1_11target_archE1200ELNS1_3gpuE4ELNS1_3repE0EEENS1_30default_config_static_selectorELNS0_4arch9wavefront6targetE0EEEvT1_
                                        ; -- End function
	.section	.AMDGPU.csdata,"",@progbits
; Kernel info:
; codeLenInByte = 0
; NumSgprs: 0
; NumVgprs: 0
; ScratchSize: 0
; MemoryBound: 0
; FloatMode: 240
; IeeeMode: 1
; LDSByteSize: 0 bytes/workgroup (compile time only)
; SGPRBlocks: 0
; VGPRBlocks: 0
; NumSGPRsForWavesPerEU: 1
; NumVGPRsForWavesPerEU: 1
; Occupancy: 16
; WaveLimiterHint : 0
; COMPUTE_PGM_RSRC2:SCRATCH_EN: 0
; COMPUTE_PGM_RSRC2:USER_SGPR: 15
; COMPUTE_PGM_RSRC2:TRAP_HANDLER: 0
; COMPUTE_PGM_RSRC2:TGID_X_EN: 1
; COMPUTE_PGM_RSRC2:TGID_Y_EN: 0
; COMPUTE_PGM_RSRC2:TGID_Z_EN: 0
; COMPUTE_PGM_RSRC2:TIDIG_COMP_CNT: 0
	.section	.text._ZN7rocprim17ROCPRIM_400000_NS6detail17trampoline_kernelINS0_14default_configENS1_25partition_config_selectorILNS1_17partition_subalgoE9EtjbEEZZNS1_14partition_implILS5_9ELb0ES3_jN6thrust23THRUST_200600_302600_NS6detail15normal_iteratorINS9_10device_ptrItEEEENSB_INSC_IjEEEEPNS0_10empty_typeENS0_5tupleIJNS9_16discard_iteratorINS9_11use_defaultEEESH_EEENSJ_IJSG_SI_EEENS0_18inequality_wrapperINS9_8equal_toItEEEEPmJSH_EEE10hipError_tPvRmT3_T4_T5_T6_T7_T9_mT8_P12ihipStream_tbDpT10_ENKUlT_T0_E_clISt17integral_constantIbLb1EES1C_IbLb0EEEEDaS18_S19_EUlS18_E_NS1_11comp_targetILNS1_3genE9ELNS1_11target_archE1100ELNS1_3gpuE3ELNS1_3repE0EEENS1_30default_config_static_selectorELNS0_4arch9wavefront6targetE0EEEvT1_,"axG",@progbits,_ZN7rocprim17ROCPRIM_400000_NS6detail17trampoline_kernelINS0_14default_configENS1_25partition_config_selectorILNS1_17partition_subalgoE9EtjbEEZZNS1_14partition_implILS5_9ELb0ES3_jN6thrust23THRUST_200600_302600_NS6detail15normal_iteratorINS9_10device_ptrItEEEENSB_INSC_IjEEEEPNS0_10empty_typeENS0_5tupleIJNS9_16discard_iteratorINS9_11use_defaultEEESH_EEENSJ_IJSG_SI_EEENS0_18inequality_wrapperINS9_8equal_toItEEEEPmJSH_EEE10hipError_tPvRmT3_T4_T5_T6_T7_T9_mT8_P12ihipStream_tbDpT10_ENKUlT_T0_E_clISt17integral_constantIbLb1EES1C_IbLb0EEEEDaS18_S19_EUlS18_E_NS1_11comp_targetILNS1_3genE9ELNS1_11target_archE1100ELNS1_3gpuE3ELNS1_3repE0EEENS1_30default_config_static_selectorELNS0_4arch9wavefront6targetE0EEEvT1_,comdat
	.protected	_ZN7rocprim17ROCPRIM_400000_NS6detail17trampoline_kernelINS0_14default_configENS1_25partition_config_selectorILNS1_17partition_subalgoE9EtjbEEZZNS1_14partition_implILS5_9ELb0ES3_jN6thrust23THRUST_200600_302600_NS6detail15normal_iteratorINS9_10device_ptrItEEEENSB_INSC_IjEEEEPNS0_10empty_typeENS0_5tupleIJNS9_16discard_iteratorINS9_11use_defaultEEESH_EEENSJ_IJSG_SI_EEENS0_18inequality_wrapperINS9_8equal_toItEEEEPmJSH_EEE10hipError_tPvRmT3_T4_T5_T6_T7_T9_mT8_P12ihipStream_tbDpT10_ENKUlT_T0_E_clISt17integral_constantIbLb1EES1C_IbLb0EEEEDaS18_S19_EUlS18_E_NS1_11comp_targetILNS1_3genE9ELNS1_11target_archE1100ELNS1_3gpuE3ELNS1_3repE0EEENS1_30default_config_static_selectorELNS0_4arch9wavefront6targetE0EEEvT1_ ; -- Begin function _ZN7rocprim17ROCPRIM_400000_NS6detail17trampoline_kernelINS0_14default_configENS1_25partition_config_selectorILNS1_17partition_subalgoE9EtjbEEZZNS1_14partition_implILS5_9ELb0ES3_jN6thrust23THRUST_200600_302600_NS6detail15normal_iteratorINS9_10device_ptrItEEEENSB_INSC_IjEEEEPNS0_10empty_typeENS0_5tupleIJNS9_16discard_iteratorINS9_11use_defaultEEESH_EEENSJ_IJSG_SI_EEENS0_18inequality_wrapperINS9_8equal_toItEEEEPmJSH_EEE10hipError_tPvRmT3_T4_T5_T6_T7_T9_mT8_P12ihipStream_tbDpT10_ENKUlT_T0_E_clISt17integral_constantIbLb1EES1C_IbLb0EEEEDaS18_S19_EUlS18_E_NS1_11comp_targetILNS1_3genE9ELNS1_11target_archE1100ELNS1_3gpuE3ELNS1_3repE0EEENS1_30default_config_static_selectorELNS0_4arch9wavefront6targetE0EEEvT1_
	.globl	_ZN7rocprim17ROCPRIM_400000_NS6detail17trampoline_kernelINS0_14default_configENS1_25partition_config_selectorILNS1_17partition_subalgoE9EtjbEEZZNS1_14partition_implILS5_9ELb0ES3_jN6thrust23THRUST_200600_302600_NS6detail15normal_iteratorINS9_10device_ptrItEEEENSB_INSC_IjEEEEPNS0_10empty_typeENS0_5tupleIJNS9_16discard_iteratorINS9_11use_defaultEEESH_EEENSJ_IJSG_SI_EEENS0_18inequality_wrapperINS9_8equal_toItEEEEPmJSH_EEE10hipError_tPvRmT3_T4_T5_T6_T7_T9_mT8_P12ihipStream_tbDpT10_ENKUlT_T0_E_clISt17integral_constantIbLb1EES1C_IbLb0EEEEDaS18_S19_EUlS18_E_NS1_11comp_targetILNS1_3genE9ELNS1_11target_archE1100ELNS1_3gpuE3ELNS1_3repE0EEENS1_30default_config_static_selectorELNS0_4arch9wavefront6targetE0EEEvT1_
	.p2align	8
	.type	_ZN7rocprim17ROCPRIM_400000_NS6detail17trampoline_kernelINS0_14default_configENS1_25partition_config_selectorILNS1_17partition_subalgoE9EtjbEEZZNS1_14partition_implILS5_9ELb0ES3_jN6thrust23THRUST_200600_302600_NS6detail15normal_iteratorINS9_10device_ptrItEEEENSB_INSC_IjEEEEPNS0_10empty_typeENS0_5tupleIJNS9_16discard_iteratorINS9_11use_defaultEEESH_EEENSJ_IJSG_SI_EEENS0_18inequality_wrapperINS9_8equal_toItEEEEPmJSH_EEE10hipError_tPvRmT3_T4_T5_T6_T7_T9_mT8_P12ihipStream_tbDpT10_ENKUlT_T0_E_clISt17integral_constantIbLb1EES1C_IbLb0EEEEDaS18_S19_EUlS18_E_NS1_11comp_targetILNS1_3genE9ELNS1_11target_archE1100ELNS1_3gpuE3ELNS1_3repE0EEENS1_30default_config_static_selectorELNS0_4arch9wavefront6targetE0EEEvT1_,@function
_ZN7rocprim17ROCPRIM_400000_NS6detail17trampoline_kernelINS0_14default_configENS1_25partition_config_selectorILNS1_17partition_subalgoE9EtjbEEZZNS1_14partition_implILS5_9ELb0ES3_jN6thrust23THRUST_200600_302600_NS6detail15normal_iteratorINS9_10device_ptrItEEEENSB_INSC_IjEEEEPNS0_10empty_typeENS0_5tupleIJNS9_16discard_iteratorINS9_11use_defaultEEESH_EEENSJ_IJSG_SI_EEENS0_18inequality_wrapperINS9_8equal_toItEEEEPmJSH_EEE10hipError_tPvRmT3_T4_T5_T6_T7_T9_mT8_P12ihipStream_tbDpT10_ENKUlT_T0_E_clISt17integral_constantIbLb1EES1C_IbLb0EEEEDaS18_S19_EUlS18_E_NS1_11comp_targetILNS1_3genE9ELNS1_11target_archE1100ELNS1_3gpuE3ELNS1_3repE0EEENS1_30default_config_static_selectorELNS0_4arch9wavefront6targetE0EEEvT1_: ; @_ZN7rocprim17ROCPRIM_400000_NS6detail17trampoline_kernelINS0_14default_configENS1_25partition_config_selectorILNS1_17partition_subalgoE9EtjbEEZZNS1_14partition_implILS5_9ELb0ES3_jN6thrust23THRUST_200600_302600_NS6detail15normal_iteratorINS9_10device_ptrItEEEENSB_INSC_IjEEEEPNS0_10empty_typeENS0_5tupleIJNS9_16discard_iteratorINS9_11use_defaultEEESH_EEENSJ_IJSG_SI_EEENS0_18inequality_wrapperINS9_8equal_toItEEEEPmJSH_EEE10hipError_tPvRmT3_T4_T5_T6_T7_T9_mT8_P12ihipStream_tbDpT10_ENKUlT_T0_E_clISt17integral_constantIbLb1EES1C_IbLb0EEEEDaS18_S19_EUlS18_E_NS1_11comp_targetILNS1_3genE9ELNS1_11target_archE1100ELNS1_3gpuE3ELNS1_3repE0EEENS1_30default_config_static_selectorELNS0_4arch9wavefront6targetE0EEEvT1_
; %bb.0:
	s_clause 0x4
	s_load_b128 s[4:7], s[0:1], 0x8
	s_load_b32 s14, s[0:1], 0x70
	s_load_b128 s[16:19], s[0:1], 0x48
	s_load_b64 s[2:3], s[0:1], 0x58
	s_load_b64 s[8:9], s[0:1], 0x18
	v_lshlrev_b32_e32 v9, 1, v0
	s_waitcnt lgkmcnt(0)
	s_lshl_b64 s[10:11], s[6:7], 1
	s_mul_i32 s20, s14, 0x580
	s_add_u32 s10, s4, s10
	s_addc_u32 s11, s5, s11
	s_add_i32 s4, s20, s6
	s_load_b64 s[12:13], s[18:19], 0x0
	s_sub_i32 s19, s2, s4
	s_add_i32 s14, s14, -1
	s_addk_i32 s19, 0x580
	s_add_u32 s4, s6, s20
	s_addc_u32 s5, s7, 0
	s_cmp_eq_u32 s15, s14
	v_cmp_ge_u64_e64 s2, s[4:5], s[2:3]
	s_cselect_b32 s14, -1, 0
	s_mov_b32 s5, 0
	s_mul_i32 s4, s15, 0x580
	s_delay_alu instid0(VALU_DEP_1)
	s_and_b32 s20, s14, s2
	s_lshl_b64 s[2:3], s[4:5], 1
	s_xor_b32 s18, s20, -1
	s_add_u32 s10, s10, s2
	s_addc_u32 s3, s11, s3
	s_and_b32 vcc_lo, exec_lo, s18
	s_mov_b32 s11, -1
	s_cbranch_vccz .LBB971_2
; %bb.1:
	v_add_co_u32 v1, s2, s10, v9
	s_delay_alu instid0(VALU_DEP_1)
	v_add_co_ci_u32_e64 v2, null, s3, 0, s2
	s_mov_b32 s11, s5
	s_clause 0xa
	flat_load_u16 v3, v[1:2]
	flat_load_u16 v4, v[1:2] offset:256
	flat_load_u16 v5, v[1:2] offset:512
	;; [unrolled: 1-line block ×10, first 2 shown]
	s_waitcnt vmcnt(10) lgkmcnt(0)
	ds_store_b16 v9, v3
	s_waitcnt vmcnt(9)
	ds_store_b16 v9, v4 offset:256
	s_waitcnt vmcnt(8)
	ds_store_b16 v9, v5 offset:512
	;; [unrolled: 2-line block ×10, first 2 shown]
	s_waitcnt lgkmcnt(0)
	s_barrier
.LBB971_2:
	v_cmp_gt_u32_e64 s2, s19, v0
	s_and_not1_b32 vcc_lo, exec_lo, s11
	s_cbranch_vccnz .LBB971_26
; %bb.3:
                                        ; implicit-def: $vgpr1_vgpr2_vgpr3_vgpr4_vgpr5_vgpr6_vgpr7_vgpr8
	s_delay_alu instid0(VALU_DEP_1)
	s_and_saveexec_b32 s11, s2
	s_cbranch_execz .LBB971_5
; %bb.4:
	v_add_co_u32 v1, s2, s10, v9
	s_delay_alu instid0(VALU_DEP_1)
	v_add_co_ci_u32_e64 v2, null, s3, 0, s2
	flat_load_d16_b16 v1, v[1:2]
.LBB971_5:
	s_or_b32 exec_lo, exec_lo, s11
	v_or_b32_e32 v7, 0x80, v0
	s_mov_b32 s2, exec_lo
	s_delay_alu instid0(VALU_DEP_1)
	v_cmpx_gt_u32_e64 s19, v7
	s_cbranch_execz .LBB971_7
; %bb.6:
	v_add_co_u32 v7, s11, s10, v9
	s_delay_alu instid0(VALU_DEP_1)
	v_add_co_ci_u32_e64 v8, null, s3, 0, s11
	s_waitcnt vmcnt(0) lgkmcnt(0)
	flat_load_d16_hi_b16 v1, v[7:8] offset:256
.LBB971_7:
	s_or_b32 exec_lo, exec_lo, s2
	v_or_b32_e32 v7, 0x100, v0
	s_mov_b32 s2, exec_lo
	s_delay_alu instid0(VALU_DEP_1)
	v_cmpx_gt_u32_e64 s19, v7
	s_cbranch_execz .LBB971_9
; %bb.8:
	v_add_co_u32 v7, s11, s10, v9
	s_delay_alu instid0(VALU_DEP_1)
	v_add_co_ci_u32_e64 v8, null, s3, 0, s11
	flat_load_d16_b16 v2, v[7:8] offset:512
.LBB971_9:
	s_or_b32 exec_lo, exec_lo, s2
	v_or_b32_e32 v7, 0x180, v0
	s_mov_b32 s2, exec_lo
	s_delay_alu instid0(VALU_DEP_1)
	v_cmpx_gt_u32_e64 s19, v7
	s_cbranch_execz .LBB971_11
; %bb.10:
	v_add_co_u32 v7, s11, s10, v9
	s_delay_alu instid0(VALU_DEP_1)
	v_add_co_ci_u32_e64 v8, null, s3, 0, s11
	s_waitcnt vmcnt(0) lgkmcnt(0)
	flat_load_d16_hi_b16 v2, v[7:8] offset:768
.LBB971_11:
	s_or_b32 exec_lo, exec_lo, s2
	v_or_b32_e32 v7, 0x200, v0
	s_mov_b32 s2, exec_lo
	s_delay_alu instid0(VALU_DEP_1)
	v_cmpx_gt_u32_e64 s19, v7
	s_cbranch_execz .LBB971_13
; %bb.12:
	v_add_co_u32 v7, s11, s10, v9
	s_delay_alu instid0(VALU_DEP_1)
	v_add_co_ci_u32_e64 v8, null, s3, 0, s11
	flat_load_d16_b16 v3, v[7:8] offset:1024
.LBB971_13:
	;; [unrolled: 25-line block ×5, first 2 shown]
	s_or_b32 exec_lo, exec_lo, s2
	s_waitcnt vmcnt(0) lgkmcnt(0)
	ds_store_b16 v9, v1
	ds_store_b16_d16_hi v9, v1 offset:256
	ds_store_b16 v9, v2 offset:512
	ds_store_b16_d16_hi v9, v2 offset:768
	ds_store_b16 v9, v3 offset:1024
	;; [unrolled: 2-line block ×5, first 2 shown]
	s_waitcnt lgkmcnt(0)
	s_barrier
.LBB971_26:
	v_mul_u32_u24_e32 v1, 11, v0
	s_waitcnt lgkmcnt(0)
	buffer_gl0_inv
	s_lshl_b64 s[22:23], s[6:7], 2
	s_delay_alu instid0(SALU_CYCLE_1)
	s_add_u32 s2, s8, s22
	v_lshlrev_b32_e32 v2, 1, v1
	s_addc_u32 s8, s9, s23
	s_lshl_b64 s[4:5], s[4:5], 2
	ds_load_b128 v[12:15], v2
	ds_load_u16 v36, v2 offset:16
	ds_load_u16 v35, v2 offset:18
	;; [unrolled: 1-line block ×3, first 2 shown]
	s_add_u32 s2, s2, s4
	s_addc_u32 s4, s8, s5
	s_and_b32 vcc_lo, exec_lo, s18
	s_mov_b32 s5, -1
	s_waitcnt lgkmcnt(0)
	s_barrier
	buffer_gl0_inv
	s_cbranch_vccz .LBB971_28
; %bb.27:
	v_lshlrev_b32_e32 v7, 2, v0
	s_delay_alu instid0(VALU_DEP_1) | instskip(NEXT) | instid1(VALU_DEP_1)
	v_add_co_u32 v3, s5, s2, v7
	v_add_co_ci_u32_e64 v4, null, s4, 0, s5
	s_mov_b32 s5, 0
	s_delay_alu instid0(VALU_DEP_2) | instskip(NEXT) | instid1(VALU_DEP_2)
	v_add_co_u32 v5, vcc_lo, 0x1000, v3
	v_add_co_ci_u32_e32 v6, vcc_lo, 0, v4, vcc_lo
	s_clause 0xa
	flat_load_b32 v8, v[3:4]
	flat_load_b32 v10, v[3:4] offset:512
	flat_load_b32 v11, v[3:4] offset:1024
	;; [unrolled: 1-line block ×7, first 2 shown]
	flat_load_b32 v4, v[5:6]
	flat_load_b32 v20, v[5:6] offset:512
	flat_load_b32 v5, v[5:6] offset:1024
	s_waitcnt vmcnt(9) lgkmcnt(9)
	ds_store_2addr_stride64_b32 v7, v8, v10 offset1:2
	s_waitcnt vmcnt(7) lgkmcnt(8)
	ds_store_2addr_stride64_b32 v7, v11, v16 offset0:4 offset1:6
	s_waitcnt vmcnt(5) lgkmcnt(7)
	ds_store_2addr_stride64_b32 v7, v17, v18 offset0:8 offset1:10
	;; [unrolled: 2-line block ×4, first 2 shown]
	s_waitcnt vmcnt(0) lgkmcnt(5)
	ds_store_b32 v7, v5 offset:5120
	s_waitcnt lgkmcnt(0)
	s_barrier
.LBB971_28:
	s_and_not1_b32 vcc_lo, exec_lo, s5
	s_cbranch_vccnz .LBB971_52
; %bb.29:
	s_mov_b32 s5, exec_lo
                                        ; implicit-def: $vgpr3
	v_cmpx_gt_u32_e64 s19, v0
	s_cbranch_execz .LBB971_31
; %bb.30:
	v_lshlrev_b32_e32 v3, 2, v0
	s_delay_alu instid0(VALU_DEP_1) | instskip(NEXT) | instid1(VALU_DEP_1)
	v_add_co_u32 v3, s8, s2, v3
	v_add_co_ci_u32_e64 v4, null, s4, 0, s8
	flat_load_b32 v3, v[3:4]
.LBB971_31:
	s_or_b32 exec_lo, exec_lo, s5
	v_or_b32_e32 v4, 0x80, v0
	s_delay_alu instid0(VALU_DEP_1)
	v_cmp_gt_u32_e32 vcc_lo, s19, v4
                                        ; implicit-def: $vgpr4
	s_and_saveexec_b32 s5, vcc_lo
	s_cbranch_execz .LBB971_33
; %bb.32:
	v_lshlrev_b32_e32 v4, 2, v0
	s_delay_alu instid0(VALU_DEP_1) | instskip(NEXT) | instid1(VALU_DEP_1)
	v_add_co_u32 v4, s8, s2, v4
	v_add_co_ci_u32_e64 v5, null, s4, 0, s8
	flat_load_b32 v4, v[4:5] offset:512
.LBB971_33:
	s_or_b32 exec_lo, exec_lo, s5
	v_or_b32_e32 v5, 0x100, v0
	s_delay_alu instid0(VALU_DEP_1)
	v_cmp_gt_u32_e32 vcc_lo, s19, v5
                                        ; implicit-def: $vgpr5
	s_and_saveexec_b32 s5, vcc_lo
	s_cbranch_execz .LBB971_35
; %bb.34:
	v_lshlrev_b32_e32 v5, 2, v0
	s_delay_alu instid0(VALU_DEP_1) | instskip(NEXT) | instid1(VALU_DEP_1)
	v_add_co_u32 v5, s8, s2, v5
	v_add_co_ci_u32_e64 v6, null, s4, 0, s8
	flat_load_b32 v5, v[5:6] offset:1024
.LBB971_35:
	s_or_b32 exec_lo, exec_lo, s5
	v_or_b32_e32 v6, 0x180, v0
	s_delay_alu instid0(VALU_DEP_1)
	v_cmp_gt_u32_e32 vcc_lo, s19, v6
                                        ; implicit-def: $vgpr6
	s_and_saveexec_b32 s5, vcc_lo
	s_cbranch_execz .LBB971_37
; %bb.36:
	v_lshlrev_b32_e32 v6, 2, v0
	s_delay_alu instid0(VALU_DEP_1) | instskip(NEXT) | instid1(VALU_DEP_1)
	v_add_co_u32 v6, s8, s2, v6
	v_add_co_ci_u32_e64 v7, null, s4, 0, s8
	flat_load_b32 v6, v[6:7] offset:1536
.LBB971_37:
	s_or_b32 exec_lo, exec_lo, s5
	v_or_b32_e32 v7, 0x200, v0
	s_delay_alu instid0(VALU_DEP_1)
	v_cmp_gt_u32_e32 vcc_lo, s19, v7
                                        ; implicit-def: $vgpr7
	s_and_saveexec_b32 s5, vcc_lo
	s_cbranch_execz .LBB971_39
; %bb.38:
	v_lshlrev_b32_e32 v7, 2, v0
	s_delay_alu instid0(VALU_DEP_1) | instskip(NEXT) | instid1(VALU_DEP_1)
	v_add_co_u32 v7, s8, s2, v7
	v_add_co_ci_u32_e64 v8, null, s4, 0, s8
	flat_load_b32 v7, v[7:8] offset:2048
.LBB971_39:
	s_or_b32 exec_lo, exec_lo, s5
	v_or_b32_e32 v8, 0x280, v0
	s_delay_alu instid0(VALU_DEP_1)
	v_cmp_gt_u32_e32 vcc_lo, s19, v8
                                        ; implicit-def: $vgpr8
	s_and_saveexec_b32 s5, vcc_lo
	s_cbranch_execz .LBB971_41
; %bb.40:
	v_lshlrev_b32_e32 v8, 2, v0
	s_delay_alu instid0(VALU_DEP_1) | instskip(NEXT) | instid1(VALU_DEP_1)
	v_add_co_u32 v10, s8, s2, v8
	v_add_co_ci_u32_e64 v11, null, s4, 0, s8
	flat_load_b32 v8, v[10:11] offset:2560
.LBB971_41:
	s_or_b32 exec_lo, exec_lo, s5
	v_or_b32_e32 v10, 0x300, v0
	s_delay_alu instid0(VALU_DEP_1)
	v_cmp_gt_u32_e32 vcc_lo, s19, v10
                                        ; implicit-def: $vgpr10
	s_and_saveexec_b32 s5, vcc_lo
	s_cbranch_execz .LBB971_43
; %bb.42:
	v_lshlrev_b32_e32 v10, 2, v0
	s_delay_alu instid0(VALU_DEP_1) | instskip(NEXT) | instid1(VALU_DEP_1)
	v_add_co_u32 v10, s8, s2, v10
	v_add_co_ci_u32_e64 v11, null, s4, 0, s8
	flat_load_b32 v10, v[10:11] offset:3072
.LBB971_43:
	s_or_b32 exec_lo, exec_lo, s5
	v_or_b32_e32 v11, 0x380, v0
	s_delay_alu instid0(VALU_DEP_1)
	v_cmp_gt_u32_e32 vcc_lo, s19, v11
                                        ; implicit-def: $vgpr11
	s_and_saveexec_b32 s5, vcc_lo
	s_cbranch_execz .LBB971_45
; %bb.44:
	v_lshlrev_b32_e32 v11, 2, v0
	s_delay_alu instid0(VALU_DEP_1) | instskip(NEXT) | instid1(VALU_DEP_1)
	v_add_co_u32 v16, s8, s2, v11
	v_add_co_ci_u32_e64 v17, null, s4, 0, s8
	flat_load_b32 v11, v[16:17] offset:3584
.LBB971_45:
	s_or_b32 exec_lo, exec_lo, s5
	v_or_b32_e32 v17, 0x400, v0
	s_mov_b32 s5, exec_lo
                                        ; implicit-def: $vgpr16
	s_delay_alu instid0(VALU_DEP_1)
	v_cmpx_gt_u32_e64 s19, v17
	s_cbranch_execz .LBB971_47
; %bb.46:
	v_lshlrev_b32_e32 v16, 2, v17
	s_delay_alu instid0(VALU_DEP_1) | instskip(NEXT) | instid1(VALU_DEP_1)
	v_add_co_u32 v16, s8, s2, v16
	v_add_co_ci_u32_e64 v17, null, s4, 0, s8
	flat_load_b32 v16, v[16:17]
.LBB971_47:
	s_or_b32 exec_lo, exec_lo, s5
	v_or_b32_e32 v18, 0x480, v0
	s_mov_b32 s5, exec_lo
                                        ; implicit-def: $vgpr17
	s_delay_alu instid0(VALU_DEP_1)
	v_cmpx_gt_u32_e64 s19, v18
	s_cbranch_execz .LBB971_49
; %bb.48:
	v_lshlrev_b32_e32 v17, 2, v18
	s_delay_alu instid0(VALU_DEP_1) | instskip(NEXT) | instid1(VALU_DEP_1)
	v_add_co_u32 v17, s8, s2, v17
	v_add_co_ci_u32_e64 v18, null, s4, 0, s8
	flat_load_b32 v17, v[17:18]
.LBB971_49:
	s_or_b32 exec_lo, exec_lo, s5
	v_or_b32_e32 v19, 0x500, v0
	s_mov_b32 s5, exec_lo
                                        ; implicit-def: $vgpr18
	s_delay_alu instid0(VALU_DEP_1)
	v_cmpx_gt_u32_e64 s19, v19
	s_cbranch_execz .LBB971_51
; %bb.50:
	v_lshlrev_b32_e32 v18, 2, v19
	s_delay_alu instid0(VALU_DEP_1) | instskip(NEXT) | instid1(VALU_DEP_1)
	v_add_co_u32 v18, s2, s2, v18
	v_add_co_ci_u32_e64 v19, null, s4, 0, s2
	flat_load_b32 v18, v[18:19]
.LBB971_51:
	s_or_b32 exec_lo, exec_lo, s5
	v_mad_i32_i24 v2, 0xffffffee, v0, v2
	s_waitcnt vmcnt(0) lgkmcnt(0)
	ds_store_2addr_stride64_b32 v2, v3, v4 offset1:2
	ds_store_2addr_stride64_b32 v2, v5, v6 offset0:4 offset1:6
	ds_store_2addr_stride64_b32 v2, v7, v8 offset0:8 offset1:10
	;; [unrolled: 1-line block ×4, first 2 shown]
	ds_store_b32 v2, v18 offset:5120
	s_waitcnt lgkmcnt(0)
	s_barrier
.LBB971_52:
	v_lshlrev_b32_e32 v41, 2, v1
	buffer_gl0_inv
	s_cmp_lg_u32 s15, 0
	v_lshrrev_b32_e32 v40, 16, v12
	s_cselect_b32 s21, -1, 0
	ds_load_2addr_b32 v[27:28], v41 offset1:1
	ds_load_2addr_b32 v[25:26], v41 offset0:2 offset1:3
	ds_load_2addr_b32 v[23:24], v41 offset0:4 offset1:5
	;; [unrolled: 1-line block ×4, first 2 shown]
	ds_load_b32 v33, v41 offset:40
	s_cmp_lg_u64 s[6:7], 0
	v_lshrrev_b32_e32 v39, 16, v13
	s_cselect_b32 s2, -1, 0
	v_lshrrev_b32_e32 v38, 16, v14
	v_lshrrev_b32_e32 v37, 16, v15
	v_add_nc_u32_e32 v5, 1, v1
	v_add_nc_u32_e32 v6, 2, v1
	;; [unrolled: 1-line block ×10, first 2 shown]
	s_or_b32 s2, s21, s2
	s_mov_b32 s22, 0
	s_and_b32 vcc_lo, exec_lo, s2
	s_waitcnt lgkmcnt(0)
	s_barrier
	buffer_gl0_inv
	s_cbranch_vccz .LBB971_57
; %bb.53:
	v_add_co_u32 v16, s2, -2, s10
	s_delay_alu instid0(VALU_DEP_1)
	v_add_co_ci_u32_e64 v17, null, -1, s3, s2
	s_mov_b32 s3, -1
	s_and_b32 vcc_lo, exec_lo, s18
	flat_load_u16 v16, v[16:17]
	ds_store_b16 v9, v34
	s_cbranch_vccz .LBB971_59
; %bb.54:
	s_waitcnt vmcnt(0) lgkmcnt(1)
	v_mov_b32_e32 v17, v16
	s_mov_b32 s3, 0
	s_mov_b32 s2, exec_lo
	s_waitcnt lgkmcnt(0)
	s_barrier
	buffer_gl0_inv
	v_cmpx_ne_u32_e32 0, v0
	s_cbranch_execz .LBB971_56
; %bb.55:
	v_add_nc_u32_e32 v17, -2, v9
	ds_load_u16 v17, v17
.LBB971_56:
	s_or_b32 exec_lo, exec_lo, s2
	v_cmp_ne_u16_e32 vcc_lo, v15, v37
	s_waitcnt lgkmcnt(0)
	v_cmp_ne_u16_e64 s2, v17, v12
	v_cndmask_b32_e64 v18, 0, 1, vcc_lo
	v_cmp_ne_u16_e32 vcc_lo, v38, v15
	s_delay_alu instid0(VALU_DEP_2) | instskip(SKIP_2) | instid1(VALU_DEP_2)
	v_lshlrev_b16 v18, 8, v18
	v_cndmask_b32_e64 v29, 0, 1, vcc_lo
	v_cmp_ne_u16_e32 vcc_lo, v14, v38
	v_or_b32_e32 v18, v29, v18
	v_cndmask_b32_e64 v30, 0, 1, vcc_lo
	v_cmp_ne_u16_e32 vcc_lo, v39, v14
	s_delay_alu instid0(VALU_DEP_3) | instskip(NEXT) | instid1(VALU_DEP_3)
	v_lshlrev_b32_e32 v18, 16, v18
	v_lshlrev_b16 v30, 8, v30
	v_cndmask_b32_e64 v32, 0, 1, vcc_lo
	v_cmp_ne_u16_e32 vcc_lo, v13, v39
	s_delay_alu instid0(VALU_DEP_2) | instskip(SKIP_2) | instid1(VALU_DEP_3)
	v_or_b32_e32 v30, v32, v30
	v_cndmask_b32_e64 v42, 0, 1, vcc_lo
	v_cmp_ne_u16_e32 vcc_lo, v40, v13
	v_and_b32_e32 v30, 0xffff, v30
	s_delay_alu instid0(VALU_DEP_3) | instskip(SKIP_2) | instid1(VALU_DEP_4)
	v_lshlrev_b16 v42, 8, v42
	v_cndmask_b32_e64 v44, 0, 1, vcc_lo
	v_cmp_ne_u16_e32 vcc_lo, v12, v40
	v_or_b32_e32 v30, v30, v18
	s_delay_alu instid0(VALU_DEP_3) | instskip(SKIP_2) | instid1(VALU_DEP_3)
	v_or_b32_e32 v42, v44, v42
	v_cndmask_b32_e64 v45, 0, 1, vcc_lo
	v_cmp_ne_u16_e32 vcc_lo, v35, v34
	v_lshlrev_b32_e32 v29, 16, v42
	s_delay_alu instid0(VALU_DEP_3) | instskip(SKIP_2) | instid1(VALU_DEP_3)
	v_lshlrev_b16 v44, 8, v45
	v_cndmask_b32_e64 v43, 0, 1, vcc_lo
	v_cmp_ne_u16_e32 vcc_lo, v36, v35
	v_and_b32_e32 v44, 0xffff, v44
	v_cndmask_b32_e64 v32, 0, 1, vcc_lo
	v_cmp_ne_u16_e32 vcc_lo, v37, v36
	s_delay_alu instid0(VALU_DEP_3)
	v_or_b32_e32 v29, v44, v29
	v_cndmask_b32_e64 v42, 0, 1, vcc_lo
	s_and_b32 vcc_lo, exec_lo, s3
	s_cbranch_vccnz .LBB971_60
	s_branch .LBB971_63
.LBB971_57:
                                        ; implicit-def: $sgpr2
                                        ; implicit-def: $vgpr43
                                        ; implicit-def: $vgpr32
                                        ; implicit-def: $vgpr42
                                        ; implicit-def: $vgpr30
	s_branch .LBB971_64
.LBB971_58:
                                        ; implicit-def: $vgpr16_vgpr17_vgpr18
	s_and_saveexec_b32 s3, s22
	s_cbranch_execnz .LBB971_72
	s_branch .LBB971_73
.LBB971_59:
                                        ; implicit-def: $sgpr2
                                        ; implicit-def: $vgpr43
                                        ; implicit-def: $vgpr32
                                        ; implicit-def: $vgpr42
                                        ; implicit-def: $vgpr30
	s_and_b32 vcc_lo, exec_lo, s3
	s_cbranch_vccz .LBB971_63
.LBB971_60:
	s_mov_b32 s2, exec_lo
	s_waitcnt vmcnt(0) lgkmcnt(0)
	s_barrier
	buffer_gl0_inv
	v_cmpx_ne_u32_e32 0, v0
	s_cbranch_execz .LBB971_62
; %bb.61:
	v_add_nc_u32_e32 v9, -2, v9
	ds_load_u16 v16, v9
.LBB971_62:
	s_or_b32 exec_lo, exec_lo, s2
	v_cmp_gt_u32_e32 vcc_lo, s19, v10
	v_cmp_ne_u16_e64 s2, v35, v34
	v_cmp_gt_u32_e64 s3, s19, v11
	v_cmp_ne_u16_e64 s4, v36, v35
	v_cmp_gt_u32_e64 s5, s19, v5
	v_cmp_ne_u16_e64 s6, v12, v40
	s_and_b32 s2, vcc_lo, s2
	v_cmp_gt_u32_e32 vcc_lo, s19, v2
	v_cndmask_b32_e64 v43, 0, 1, s2
	v_cmp_ne_u16_e64 s2, v15, v37
	s_and_b32 s3, s3, s4
	v_cmp_ne_u16_e64 s4, v38, v15
	v_cndmask_b32_e64 v32, 0, 1, s3
	v_cmp_gt_u32_e64 s3, s19, v4
	s_and_b32 s2, vcc_lo, s2
	v_cmp_gt_u32_e32 vcc_lo, s19, v7
	v_cndmask_b32_e64 v9, 0, 1, s2
	v_cmp_ne_u16_e64 s2, v14, v38
	s_and_b32 s3, s3, s4
	v_cmp_ne_u16_e64 s4, v13, v39
	v_cndmask_b32_e64 v17, 0, 1, s3
	v_cmp_gt_u32_e64 s3, s19, v3
	;; [unrolled: 8-line block ×3, first 2 shown]
	s_and_b32 s2, vcc_lo, s2
	v_lshlrev_b16 v18, 8, v18
	v_cndmask_b32_e64 v30, 0, 1, s2
	v_lshlrev_b16 v29, 8, v29
	s_and_b32 s2, s3, s4
	v_lshlrev_b16 v9, 8, v9
	v_cndmask_b32_e64 v42, 0, 1, s2
	s_and_b32 s2, s5, s6
	v_or_b32_e32 v18, v30, v18
	v_cndmask_b32_e64 v44, 0, 1, s2
	v_or_b32_e32 v9, v17, v9
	v_or_b32_e32 v29, v42, v29
	v_cmp_gt_u32_e32 vcc_lo, s19, v31
	v_cmp_ne_u16_e64 s2, v37, v36
	v_lshlrev_b16 v42, 8, v44
	v_and_b32_e32 v18, 0xffff, v18
	v_lshlrev_b32_e32 v17, 16, v29
	v_lshlrev_b32_e32 v9, 16, v9
	s_and_b32 s2, vcc_lo, s2
	v_and_b32_e32 v29, 0xffff, v42
	v_cndmask_b32_e64 v42, 0, 1, s2
	v_cmp_gt_u32_e32 vcc_lo, s19, v1
	s_waitcnt lgkmcnt(0)
	v_cmp_ne_u16_e64 s2, v16, v12
	v_or_b32_e32 v30, v18, v9
	v_or_b32_e32 v29, v29, v17
	s_delay_alu instid0(VALU_DEP_3)
	s_and_b32 s2, vcc_lo, s2
.LBB971_63:
	s_mov_b32 s22, -1
	s_cbranch_execnz .LBB971_58
.LBB971_64:
	v_mad_i32_i24 v9, 0xffffffd6, v0, v41
	v_cmp_ne_u16_e64 s2, v35, v34
	v_cmp_ne_u16_e64 s9, v36, v35
	;; [unrolled: 1-line block ×10, first 2 shown]
	s_and_b32 vcc_lo, exec_lo, s18
	ds_store_b16 v9, v34
	s_cbranch_vccz .LBB971_68
; %bb.65:
	s_waitcnt vmcnt(0) lgkmcnt(2)
	v_cndmask_b32_e64 v16, 0, 1, s11
	v_cndmask_b32_e64 v32, 0, 1, s9
	;; [unrolled: 1-line block ×5, first 2 shown]
	v_lshlrev_b16 v16, 8, v16
	v_cndmask_b32_e64 v44, 0, 1, s4
	v_cndmask_b32_e64 v42, 0, 1, s10
	;; [unrolled: 1-line block ×4, first 2 shown]
	v_lshlrev_b16 v17, 8, v17
	v_lshlrev_b16 v45, 8, v32
	v_or_b32_e32 v16, v29, v16
	v_lshlrev_b16 v29, 8, v30
	v_lshlrev_b16 v30, 8, v44
	v_or_b32_e32 v17, v18, v17
	v_or_b32_e32 v18, v42, v45
	v_and_b32_e32 v16, 0xffff, v16
	v_or_b32_e32 v29, v43, v29
	v_or_b32_e32 v30, 1, v30
	v_lshlrev_b32_e32 v17, 16, v17
	v_and_b32_e32 v18, 0xffff, v18
	v_cndmask_b32_e64 v43, 0, 1, s2
	v_lshlrev_b32_e32 v29, 16, v29
	v_and_b32_e32 v44, 0xffff, v30
	v_or_b32_e32 v30, v16, v17
	s_mov_b32 s3, 0
	v_lshl_or_b32 v18, v43, 16, v18
	s_mov_b32 s4, exec_lo
	v_or_b32_e32 v29, v44, v29
	s_waitcnt lgkmcnt(0)
	s_barrier
	buffer_gl0_inv
                                        ; implicit-def: $sgpr2
	v_cmpx_ne_u32_e32 0, v0
	s_xor_b32 s4, exec_lo, s4
	s_cbranch_execz .LBB971_67
; %bb.66:
	v_add_nc_u32_e32 v16, -2, v9
	s_or_b32 s22, s22, exec_lo
	ds_load_u16 v16, v16
	s_waitcnt lgkmcnt(0)
	v_cmp_ne_u16_e32 vcc_lo, v16, v12
                                        ; implicit-def: $vgpr16_vgpr17_vgpr18
	s_and_b32 s2, vcc_lo, exec_lo
.LBB971_67:
	s_or_b32 exec_lo, exec_lo, s4
	s_delay_alu instid0(SALU_CYCLE_1)
	s_and_b32 vcc_lo, exec_lo, s3
	s_cbranch_vccnz .LBB971_69
	s_branch .LBB971_71
.LBB971_68:
                                        ; implicit-def: $sgpr2
                                        ; implicit-def: $vgpr43
                                        ; implicit-def: $vgpr32
                                        ; implicit-def: $vgpr42
                                        ; implicit-def: $vgpr30
                                        ; implicit-def: $vgpr16_vgpr17_vgpr18
	s_cbranch_execz .LBB971_71
.LBB971_69:
	v_cmp_gt_u32_e32 vcc_lo, s19, v11
	v_cmp_ne_u16_e64 s2, v36, v35
	v_cmp_gt_u32_e64 s5, s19, v31
	v_cmp_ne_u16_e64 s6, v37, v36
	v_cmp_gt_u32_e64 s3, s19, v10
	v_cmp_ne_u16_e64 s4, v35, v34
	s_and_b32 s2, vcc_lo, s2
	v_cmp_gt_u32_e32 vcc_lo, s19, v2
	v_cndmask_b32_e64 v32, 0, 1, s2
	v_cmp_ne_u16_e64 s2, v15, v37
	s_and_b32 s5, s5, s6
	v_cmp_ne_u16_e64 s6, v38, v15
	v_cndmask_b32_e64 v42, 0, 1, s5
	v_cmp_gt_u32_e64 s5, s19, v4
	s_and_b32 s2, vcc_lo, s2
	v_cmp_gt_u32_e32 vcc_lo, s19, v7
	s_waitcnt vmcnt(0) lgkmcnt(2)
	v_cndmask_b32_e64 v16, 0, 1, s2
	v_cmp_ne_u16_e64 s2, v14, v38
	s_and_b32 s5, s5, s6
	v_cmp_ne_u16_e64 s6, v39, v14
	v_cndmask_b32_e64 v17, 0, 1, s5
	v_cmp_gt_u32_e64 s5, s19, v8
	s_and_b32 s2, vcc_lo, s2
	v_cmp_gt_u32_e32 vcc_lo, s19, v3
	v_cndmask_b32_e64 v18, 0, 1, s2
	v_cmp_ne_u16_e64 s2, v13, v39
	s_and_b32 s5, s5, s6
	v_cmp_ne_u16_e64 s6, v40, v13
	v_cndmask_b32_e64 v29, 0, 1, s5
	v_cmp_gt_u32_e64 s5, s19, v6
	s_and_b32 s2, vcc_lo, s2
	v_cmp_gt_u32_e32 vcc_lo, s19, v5
	v_cndmask_b32_e64 v30, 0, 1, s2
	v_cmp_ne_u16_e64 s2, v12, v40
	v_lshlrev_b16 v18, 8, v18
	v_lshlrev_b16 v16, 8, v16
	s_and_b32 s5, s5, s6
	v_lshlrev_b16 v45, 8, v32
	s_and_b32 s2, vcc_lo, s2
	v_cndmask_b32_e64 v43, 0, 1, s5
	v_cndmask_b32_e64 v44, 0, 1, s2
	v_or_b32_e32 v18, v29, v18
	v_or_b32_e32 v16, v17, v16
	v_lshlrev_b16 v17, 8, v30
	v_or_b32_e32 v30, v42, v45
	v_lshlrev_b16 v29, 8, v44
	s_and_b32 s2, s3, s4
	v_and_b32_e32 v18, 0xffff, v18
	v_or_b32_e32 v17, v43, v17
	v_lshlrev_b32_e32 v16, 16, v16
	v_or_b32_e32 v29, 1, v29
	v_and_b32_e32 v44, 0xffff, v30
	v_cndmask_b32_e64 v43, 0, 1, s2
	v_lshlrev_b32_e32 v17, 16, v17
	v_or_b32_e32 v30, v18, v16
	v_and_b32_e32 v29, 0xffff, v29
	s_mov_b32 s3, exec_lo
	v_lshl_or_b32 v18, v43, 16, v44
	s_waitcnt lgkmcnt(0)
	s_barrier
	v_or_b32_e32 v29, v29, v17
	buffer_gl0_inv
                                        ; implicit-def: $sgpr2
	v_cmpx_ne_u32_e32 0, v0
	s_cbranch_execz .LBB971_205
; %bb.70:
	v_add_nc_u32_e32 v9, -2, v9
	v_cmp_gt_u32_e32 vcc_lo, s19, v1
	s_or_b32 s22, s22, exec_lo
                                        ; implicit-def: $vgpr16_vgpr17_vgpr18
	ds_load_u16 v9, v9
	s_waitcnt lgkmcnt(0)
	v_cmp_ne_u16_e64 s2, v9, v12
	s_delay_alu instid0(VALU_DEP_1) | instskip(NEXT) | instid1(SALU_CYCLE_1)
	s_and_b32 s2, vcc_lo, s2
	s_and_b32 s2, s2, exec_lo
	s_or_b32 exec_lo, exec_lo, s3
.LBB971_71:
	s_and_saveexec_b32 s3, s22
	s_cbranch_execz .LBB971_73
.LBB971_72:
	s_waitcnt vmcnt(0) lgkmcnt(1)
	v_lshrrev_b32_e32 v16, 24, v29
	v_lshrrev_b32_e32 v17, 16, v29
	;; [unrolled: 1-line block ×3, first 2 shown]
	v_cndmask_b32_e64 v9, 0, 1, s2
	v_lshlrev_b16 v29, 8, v32
	v_and_b32_e32 v32, 0xff, v42
	v_lshlrev_b16 v16, 8, v16
	v_and_b32_e32 v17, 0xff, v17
	v_lshlrev_b16 v18, 8, v18
	v_and_b32_e32 v42, 0xff, v43
	v_or_b32_e32 v29, v32, v29
	s_delay_alu instid0(VALU_DEP_4) | instskip(NEXT) | instid1(VALU_DEP_4)
	v_or_b32_e32 v16, v17, v16
	v_or_b32_e32 v9, v9, v18
	s_delay_alu instid0(VALU_DEP_4) | instskip(NEXT) | instid1(VALU_DEP_4)
	v_lshlrev_b32_e32 v17, 16, v42
	v_and_b32_e32 v18, 0xffff, v29
	s_delay_alu instid0(VALU_DEP_4) | instskip(NEXT) | instid1(VALU_DEP_4)
	v_lshlrev_b32_e32 v16, 16, v16
	v_and_b32_e32 v9, 0xffff, v9
	s_delay_alu instid0(VALU_DEP_3) | instskip(NEXT) | instid1(VALU_DEP_2)
	v_or_b32_e32 v18, v18, v17
	v_or_b32_e32 v29, v9, v16
.LBB971_73:
	s_or_b32 exec_lo, exec_lo, s3
	s_load_b64 s[10:11], s[0:1], 0x68
	s_and_not1_b32 vcc_lo, exec_lo, s20
	s_cbranch_vccnz .LBB971_75
; %bb.74:
	v_cmp_gt_u32_e32 vcc_lo, s19, v1
	v_cmp_gt_u32_e64 s2, s19, v5
	v_and_b32_e32 v5, 0xffffff00, v30
	v_cmp_gt_u32_e64 s4, s19, v6
	v_cmp_gt_u32_e64 s6, s19, v3
	v_cndmask_b32_e32 v1, 0, v29, vcc_lo
	v_and_b32_e32 v9, 0xff000000, v18
	v_cmp_gt_u32_e32 vcc_lo, s19, v31
	v_cmp_gt_u32_e64 s3, s19, v11
	v_cmp_gt_u32_e64 s5, s19, v10
	v_and_b32_e32 v1, 0xff, v1
	s_delay_alu instid0(VALU_DEP_1) | instskip(SKIP_1) | instid1(VALU_DEP_2)
	v_cndmask_b32_e64 v1, v1, v29, s2
	v_cmp_gt_u32_e64 s2, s19, v8
	v_and_b32_e32 v1, 0xffff, v1
	s_delay_alu instid0(VALU_DEP_2) | instskip(NEXT) | instid1(VALU_DEP_2)
	v_cndmask_b32_e64 v5, v5, v30, s2
	v_cndmask_b32_e64 v1, v1, v29, s4
	s_delay_alu instid0(VALU_DEP_2) | instskip(SKIP_1) | instid1(VALU_DEP_3)
	v_and_b32_e32 v5, 0xffff00ff, v5
	v_cmp_gt_u32_e64 s4, s19, v7
	v_and_b32_e32 v1, 0xffffff, v1
	s_delay_alu instid0(VALU_DEP_2) | instskip(NEXT) | instid1(VALU_DEP_2)
	v_cndmask_b32_e64 v5, v5, v30, s4
	v_cndmask_b32_e64 v1, v1, v29, s6
	s_delay_alu instid0(VALU_DEP_2) | instskip(NEXT) | instid1(VALU_DEP_2)
	v_and_b32_e32 v3, 0xff00ffff, v5
	v_cndmask_b32_e64 v1, v1, v29, s2
	v_cmp_gt_u32_e64 s2, s19, v4
	s_delay_alu instid0(VALU_DEP_2) | instskip(NEXT) | instid1(VALU_DEP_2)
	v_cndmask_b32_e64 v1, v1, v29, s4
	v_cndmask_b32_e64 v3, v3, v30, s2
	v_cndmask_b32_e32 v9, v9, v18, vcc_lo
	v_cmp_gt_u32_e64 s4, s19, v2
	s_delay_alu instid0(VALU_DEP_4) | instskip(NEXT) | instid1(VALU_DEP_4)
	v_cndmask_b32_e64 v1, v1, v29, s2
	v_and_b32_e32 v2, 0xffffff, v3
	s_delay_alu instid0(VALU_DEP_4) | instskip(NEXT) | instid1(VALU_DEP_1)
	v_and_b32_e32 v9, 0xff0000ff, v9
	v_cndmask_b32_e64 v8, v9, v18, s3
	s_or_b32 s3, s5, s3
	s_delay_alu instid0(SALU_CYCLE_1) | instskip(NEXT) | instid1(VALU_DEP_1)
	s_or_b32 s2, s3, vcc_lo
	v_and_b32_e32 v6, 0xff00ffff, v8
	s_or_b32 vcc_lo, s2, s4
	v_dual_cndmask_b32 v30, v2, v30 :: v_dual_cndmask_b32 v1, v1, v29
	s_delay_alu instid0(VALU_DEP_2) | instskip(NEXT) | instid1(VALU_DEP_2)
	v_cndmask_b32_e64 v6, v6, v18, s5
	v_perm_b32 v29, v1, v1, 0x3020104
	s_delay_alu instid0(VALU_DEP_2) | instskip(SKIP_1) | instid1(VALU_DEP_2)
	v_lshrrev_b32_e32 v5, 8, v6
	v_and_b32_e32 v4, 0xff, v6
	v_lshlrev_b16 v5, 8, v5
	s_delay_alu instid0(VALU_DEP_1) | instskip(NEXT) | instid1(VALU_DEP_1)
	v_or_b32_e32 v3, v4, v5
	v_and_b32_e32 v2, 0xffff, v3
	s_delay_alu instid0(VALU_DEP_1)
	v_and_or_b32 v18, 0xff0000, v6, v2
.LBB971_75:
	v_and_b32_e32 v43, 0xff, v29
	v_bfe_u32 v44, v29, 8, 8
	v_alignbit_b32 v1, v30, v29, 24
	v_bfe_u32 v45, v29, 16, 8
	v_and_b32_e32 v46, 0xff, v30
	v_bfe_u32 v48, v30, 8, 8
	v_bfe_u32 v49, v30, 16, 8
	v_and_b32_e32 v47, 0xff, v1
	v_add3_u32 v1, v44, v43, v45
	v_lshrrev_b32_e32 v42, 24, v30
	v_mbcnt_lo_u32_b32 v52, -1, 0
	v_and_b32_e32 v50, 0xff, v18
	v_bfe_u32 v51, v18, 8, 8
	v_add3_u32 v1, v1, v47, v46
	v_bfe_u32 v3, v18, 16, 8
	v_and_b32_e32 v2, 15, v52
	v_or_b32_e32 v4, 31, v0
	v_and_b32_e32 v5, 16, v52
	v_add3_u32 v1, v1, v48, v49
	v_lshrrev_b32_e32 v53, 5, v0
	v_cmp_eq_u32_e64 s7, 0, v2
	v_cmp_lt_u32_e64 s6, 1, v2
	v_cmp_lt_u32_e64 s5, 3, v2
	v_add3_u32 v1, v1, v42, v50
	v_cmp_lt_u32_e64 s4, 7, v2
	v_cmp_eq_u32_e64 s3, 0, v5
	v_cmp_eq_u32_e64 s2, v4, v0
	s_and_b32 vcc_lo, exec_lo, s21
	v_add3_u32 v54, v1, v51, v3
	s_mov_b32 s19, -1
	s_waitcnt vmcnt(0) lgkmcnt(0)
	s_barrier
	buffer_gl0_inv
	s_cbranch_vccz .LBB971_106
; %bb.76:
	v_mov_b32_dpp v1, v54 row_shr:1 row_mask:0xf bank_mask:0xf
	s_delay_alu instid0(VALU_DEP_1) | instskip(NEXT) | instid1(VALU_DEP_1)
	v_cndmask_b32_e64 v1, v1, 0, s7
	v_add_nc_u32_e32 v1, v1, v54
	s_delay_alu instid0(VALU_DEP_1) | instskip(NEXT) | instid1(VALU_DEP_1)
	v_mov_b32_dpp v2, v1 row_shr:2 row_mask:0xf bank_mask:0xf
	v_cndmask_b32_e64 v2, 0, v2, s6
	s_delay_alu instid0(VALU_DEP_1) | instskip(NEXT) | instid1(VALU_DEP_1)
	v_add_nc_u32_e32 v1, v1, v2
	v_mov_b32_dpp v2, v1 row_shr:4 row_mask:0xf bank_mask:0xf
	s_delay_alu instid0(VALU_DEP_1) | instskip(NEXT) | instid1(VALU_DEP_1)
	v_cndmask_b32_e64 v2, 0, v2, s5
	v_add_nc_u32_e32 v1, v1, v2
	s_delay_alu instid0(VALU_DEP_1) | instskip(NEXT) | instid1(VALU_DEP_1)
	v_mov_b32_dpp v2, v1 row_shr:8 row_mask:0xf bank_mask:0xf
	v_cndmask_b32_e64 v2, 0, v2, s4
	s_delay_alu instid0(VALU_DEP_1) | instskip(SKIP_3) | instid1(VALU_DEP_1)
	v_add_nc_u32_e32 v1, v1, v2
	ds_swizzle_b32 v2, v1 offset:swizzle(BROADCAST,32,15)
	s_waitcnt lgkmcnt(0)
	v_cndmask_b32_e64 v2, v2, 0, s3
	v_add_nc_u32_e32 v1, v1, v2
	s_and_saveexec_b32 s8, s2
	s_cbranch_execz .LBB971_78
; %bb.77:
	v_lshlrev_b32_e32 v2, 2, v53
	ds_store_b32 v2, v1
.LBB971_78:
	s_or_b32 exec_lo, exec_lo, s8
	s_delay_alu instid0(SALU_CYCLE_1)
	s_mov_b32 s8, exec_lo
	s_waitcnt lgkmcnt(0)
	s_barrier
	buffer_gl0_inv
	v_cmpx_gt_u32_e32 4, v0
	s_cbranch_execz .LBB971_80
; %bb.79:
	v_and_b32_e32 v4, 3, v52
	s_delay_alu instid0(VALU_DEP_1) | instskip(SKIP_4) | instid1(VALU_DEP_1)
	v_cmp_ne_u32_e32 vcc_lo, 0, v4
	v_lshlrev_b32_e32 v2, 2, v0
	ds_load_b32 v3, v2
	s_waitcnt lgkmcnt(0)
	v_mov_b32_dpp v5, v3 row_shr:1 row_mask:0xf bank_mask:0xf
	v_cndmask_b32_e32 v5, 0, v5, vcc_lo
	v_cmp_lt_u32_e32 vcc_lo, 1, v4
	s_delay_alu instid0(VALU_DEP_2) | instskip(NEXT) | instid1(VALU_DEP_1)
	v_add_nc_u32_e32 v3, v5, v3
	v_mov_b32_dpp v5, v3 row_shr:2 row_mask:0xf bank_mask:0xf
	s_delay_alu instid0(VALU_DEP_1) | instskip(NEXT) | instid1(VALU_DEP_1)
	v_cndmask_b32_e32 v4, 0, v5, vcc_lo
	v_add_nc_u32_e32 v3, v3, v4
	ds_store_b32 v2, v3
.LBB971_80:
	s_or_b32 exec_lo, exec_lo, s8
	v_cmp_gt_u32_e32 vcc_lo, 32, v0
	s_mov_b32 s9, exec_lo
	s_waitcnt lgkmcnt(0)
	s_barrier
	buffer_gl0_inv
                                        ; implicit-def: $vgpr9
	v_cmpx_lt_u32_e32 31, v0
	s_cbranch_execz .LBB971_82
; %bb.81:
	v_lshl_add_u32 v2, v53, 2, -4
	ds_load_b32 v9, v2
	s_waitcnt lgkmcnt(0)
	v_add_nc_u32_e32 v1, v9, v1
.LBB971_82:
	s_or_b32 exec_lo, exec_lo, s9
	v_add_nc_u32_e32 v2, -1, v52
	s_delay_alu instid0(VALU_DEP_1) | instskip(NEXT) | instid1(VALU_DEP_1)
	v_cmp_gt_i32_e64 s8, 0, v2
	v_cndmask_b32_e64 v2, v2, v52, s8
	v_cmp_eq_u32_e64 s8, 0, v52
	s_delay_alu instid0(VALU_DEP_2)
	v_lshlrev_b32_e32 v2, 2, v2
	ds_bpermute_b32 v10, v2, v1
	s_and_saveexec_b32 s9, vcc_lo
	s_cbranch_execz .LBB971_105
; %bb.83:
	v_mov_b32_e32 v5, 0
	ds_load_b32 v1, v5 offset:12
	s_and_saveexec_b32 s19, s8
	s_cbranch_execz .LBB971_85
; %bb.84:
	s_add_i32 s20, s15, 32
	s_mov_b32 s21, 0
	v_mov_b32_e32 v2, 1
	s_lshl_b64 s[20:21], s[20:21], 3
	s_delay_alu instid0(SALU_CYCLE_1)
	s_add_u32 s20, s10, s20
	s_addc_u32 s21, s11, s21
	s_waitcnt lgkmcnt(0)
	global_store_b64 v5, v[1:2], s[20:21]
.LBB971_85:
	s_or_b32 exec_lo, exec_lo, s19
	v_xad_u32 v3, v52, -1, s15
	s_mov_b32 s20, 0
	s_mov_b32 s19, exec_lo
	s_delay_alu instid0(VALU_DEP_1) | instskip(NEXT) | instid1(VALU_DEP_1)
	v_add_nc_u32_e32 v4, 32, v3
	v_lshlrev_b64 v[4:5], 3, v[4:5]
	s_delay_alu instid0(VALU_DEP_1) | instskip(NEXT) | instid1(VALU_DEP_2)
	v_add_co_u32 v7, vcc_lo, s10, v4
	v_add_co_ci_u32_e32 v8, vcc_lo, s11, v5, vcc_lo
	global_load_b64 v[5:6], v[7:8], off glc
	s_waitcnt vmcnt(0)
	v_and_b32_e32 v2, 0xff, v6
	s_delay_alu instid0(VALU_DEP_1)
	v_cmpx_eq_u16_e32 0, v2
	s_cbranch_execz .LBB971_91
; %bb.86:
	s_mov_b32 s21, 1
	.p2align	6
.LBB971_87:                             ; =>This Loop Header: Depth=1
                                        ;     Child Loop BB971_88 Depth 2
	s_delay_alu instid0(SALU_CYCLE_1)
	s_max_u32 s22, s21, 1
.LBB971_88:                             ;   Parent Loop BB971_87 Depth=1
                                        ; =>  This Inner Loop Header: Depth=2
	s_delay_alu instid0(SALU_CYCLE_1)
	s_add_i32 s22, s22, -1
	s_sleep 1
	s_cmp_eq_u32 s22, 0
	s_cbranch_scc0 .LBB971_88
; %bb.89:                               ;   in Loop: Header=BB971_87 Depth=1
	global_load_b64 v[5:6], v[7:8], off glc
	s_cmp_lt_u32 s21, 32
	s_cselect_b32 s22, -1, 0
	s_delay_alu instid0(SALU_CYCLE_1) | instskip(SKIP_3) | instid1(VALU_DEP_1)
	s_cmp_lg_u32 s22, 0
	s_addc_u32 s21, s21, 0
	s_waitcnt vmcnt(0)
	v_and_b32_e32 v2, 0xff, v6
	v_cmp_ne_u16_e32 vcc_lo, 0, v2
	s_or_b32 s20, vcc_lo, s20
	s_delay_alu instid0(SALU_CYCLE_1)
	s_and_not1_b32 exec_lo, exec_lo, s20
	s_cbranch_execnz .LBB971_87
; %bb.90:
	s_or_b32 exec_lo, exec_lo, s20
.LBB971_91:
	s_delay_alu instid0(SALU_CYCLE_1)
	s_or_b32 exec_lo, exec_lo, s19
	v_cmp_ne_u32_e32 vcc_lo, 31, v52
	v_lshlrev_b32_e64 v16, v52, -1
	v_add_nc_u32_e32 v31, 2, v52
	v_add_nc_u32_e32 v55, 4, v52
	;; [unrolled: 1-line block ×3, first 2 shown]
	v_add_co_ci_u32_e32 v2, vcc_lo, 0, v52, vcc_lo
	v_add_nc_u32_e32 v59, 16, v52
	s_delay_alu instid0(VALU_DEP_2)
	v_lshlrev_b32_e32 v11, 2, v2
	v_and_b32_e32 v2, 0xff, v6
	ds_bpermute_b32 v4, v11, v5
	v_cmp_eq_u16_e32 vcc_lo, 2, v2
	v_and_or_b32 v2, vcc_lo, v16, 0x80000000
	v_cmp_gt_u32_e32 vcc_lo, 30, v52
	s_delay_alu instid0(VALU_DEP_2) | instskip(SKIP_1) | instid1(VALU_DEP_2)
	v_ctz_i32_b32_e32 v2, v2
	v_cndmask_b32_e64 v7, 0, 1, vcc_lo
	v_cmp_lt_u32_e32 vcc_lo, v52, v2
	s_waitcnt lgkmcnt(0)
	s_delay_alu instid0(VALU_DEP_2) | instskip(NEXT) | instid1(VALU_DEP_1)
	v_dual_cndmask_b32 v4, 0, v4 :: v_dual_lshlrev_b32 v7, 1, v7
	v_add_lshl_u32 v17, v7, v52, 2
	v_cmp_gt_u32_e32 vcc_lo, 28, v52
	s_delay_alu instid0(VALU_DEP_3) | instskip(SKIP_4) | instid1(VALU_DEP_1)
	v_add_nc_u32_e32 v4, v4, v5
	v_cndmask_b32_e64 v7, 0, 1, vcc_lo
	v_cmp_le_u32_e32 vcc_lo, v31, v2
	ds_bpermute_b32 v5, v17, v4
	v_lshlrev_b32_e32 v7, 2, v7
	v_add_lshl_u32 v32, v7, v52, 2
	s_waitcnt lgkmcnt(0)
	v_cndmask_b32_e32 v5, 0, v5, vcc_lo
	v_cmp_gt_u32_e32 vcc_lo, 24, v52
	s_delay_alu instid0(VALU_DEP_2) | instskip(SKIP_4) | instid1(VALU_DEP_1)
	v_add_nc_u32_e32 v4, v4, v5
	v_cndmask_b32_e64 v7, 0, 1, vcc_lo
	v_cmp_le_u32_e32 vcc_lo, v55, v2
	ds_bpermute_b32 v5, v32, v4
	v_lshlrev_b32_e32 v7, 3, v7
	v_add_lshl_u32 v56, v7, v52, 2
	s_waitcnt lgkmcnt(0)
	v_cndmask_b32_e32 v5, 0, v5, vcc_lo
	v_cmp_gt_u32_e32 vcc_lo, 16, v52
	s_delay_alu instid0(VALU_DEP_2) | instskip(SKIP_4) | instid1(VALU_DEP_1)
	v_add_nc_u32_e32 v4, v4, v5
	v_cndmask_b32_e64 v7, 0, 1, vcc_lo
	v_cmp_le_u32_e32 vcc_lo, v57, v2
	ds_bpermute_b32 v5, v56, v4
	v_lshlrev_b32_e32 v7, 4, v7
	v_add_lshl_u32 v58, v7, v52, 2
	s_waitcnt lgkmcnt(0)
	v_cndmask_b32_e32 v5, 0, v5, vcc_lo
	v_cmp_le_u32_e32 vcc_lo, v59, v2
	s_delay_alu instid0(VALU_DEP_2) | instskip(SKIP_3) | instid1(VALU_DEP_1)
	v_add_nc_u32_e32 v4, v4, v5
	ds_bpermute_b32 v5, v58, v4
	s_waitcnt lgkmcnt(0)
	v_cndmask_b32_e32 v2, 0, v5, vcc_lo
	v_dual_mov_b32 v4, 0 :: v_dual_add_nc_u32 v5, v4, v2
	s_branch .LBB971_93
.LBB971_92:                             ;   in Loop: Header=BB971_93 Depth=1
	s_or_b32 exec_lo, exec_lo, s19
	ds_bpermute_b32 v8, v11, v5
	v_and_b32_e32 v7, 0xff, v6
	v_subrev_nc_u32_e32 v3, 32, v3
	s_delay_alu instid0(VALU_DEP_2) | instskip(SKIP_1) | instid1(VALU_DEP_1)
	v_cmp_eq_u16_e32 vcc_lo, 2, v7
	v_and_or_b32 v7, vcc_lo, v16, 0x80000000
	v_ctz_i32_b32_e32 v7, v7
	s_delay_alu instid0(VALU_DEP_1) | instskip(SKIP_3) | instid1(VALU_DEP_2)
	v_cmp_lt_u32_e32 vcc_lo, v52, v7
	s_waitcnt lgkmcnt(0)
	v_cndmask_b32_e32 v8, 0, v8, vcc_lo
	v_cmp_le_u32_e32 vcc_lo, v31, v7
	v_add_nc_u32_e32 v5, v8, v5
	ds_bpermute_b32 v8, v17, v5
	s_waitcnt lgkmcnt(0)
	v_cndmask_b32_e32 v8, 0, v8, vcc_lo
	v_cmp_le_u32_e32 vcc_lo, v55, v7
	s_delay_alu instid0(VALU_DEP_2) | instskip(SKIP_4) | instid1(VALU_DEP_2)
	v_add_nc_u32_e32 v5, v5, v8
	ds_bpermute_b32 v8, v32, v5
	s_waitcnt lgkmcnt(0)
	v_cndmask_b32_e32 v8, 0, v8, vcc_lo
	v_cmp_le_u32_e32 vcc_lo, v57, v7
	v_add_nc_u32_e32 v5, v5, v8
	ds_bpermute_b32 v8, v56, v5
	s_waitcnt lgkmcnt(0)
	v_cndmask_b32_e32 v8, 0, v8, vcc_lo
	v_cmp_le_u32_e32 vcc_lo, v59, v7
	s_delay_alu instid0(VALU_DEP_2) | instskip(SKIP_3) | instid1(VALU_DEP_1)
	v_add_nc_u32_e32 v5, v5, v8
	ds_bpermute_b32 v8, v58, v5
	s_waitcnt lgkmcnt(0)
	v_cndmask_b32_e32 v7, 0, v8, vcc_lo
	v_add3_u32 v5, v7, v2, v5
.LBB971_93:                             ; =>This Loop Header: Depth=1
                                        ;     Child Loop BB971_96 Depth 2
                                        ;       Child Loop BB971_97 Depth 3
	v_and_b32_e32 v2, 0xff, v6
	s_delay_alu instid0(VALU_DEP_1) | instskip(SKIP_2) | instid1(VALU_DEP_1)
	v_cmp_ne_u16_e32 vcc_lo, 2, v2
	v_cndmask_b32_e64 v2, 0, 1, vcc_lo
	;;#ASMSTART
	;;#ASMEND
	v_cmp_ne_u32_e32 vcc_lo, 0, v2
	v_mov_b32_e32 v2, v5
	s_cmp_lg_u32 vcc_lo, exec_lo
	s_cbranch_scc1 .LBB971_100
; %bb.94:                               ;   in Loop: Header=BB971_93 Depth=1
	v_lshlrev_b64 v[5:6], 3, v[3:4]
	s_mov_b32 s19, exec_lo
	s_delay_alu instid0(VALU_DEP_1) | instskip(NEXT) | instid1(VALU_DEP_2)
	v_add_co_u32 v7, vcc_lo, s10, v5
	v_add_co_ci_u32_e32 v8, vcc_lo, s11, v6, vcc_lo
	global_load_b64 v[5:6], v[7:8], off glc
	s_waitcnt vmcnt(0)
	v_and_b32_e32 v60, 0xff, v6
	s_delay_alu instid0(VALU_DEP_1)
	v_cmpx_eq_u16_e32 0, v60
	s_cbranch_execz .LBB971_92
; %bb.95:                               ;   in Loop: Header=BB971_93 Depth=1
	s_mov_b32 s21, 1
	s_mov_b32 s20, 0
	.p2align	6
.LBB971_96:                             ;   Parent Loop BB971_93 Depth=1
                                        ; =>  This Loop Header: Depth=2
                                        ;       Child Loop BB971_97 Depth 3
	s_max_u32 s22, s21, 1
.LBB971_97:                             ;   Parent Loop BB971_93 Depth=1
                                        ;     Parent Loop BB971_96 Depth=2
                                        ; =>    This Inner Loop Header: Depth=3
	s_delay_alu instid0(SALU_CYCLE_1)
	s_add_i32 s22, s22, -1
	s_sleep 1
	s_cmp_eq_u32 s22, 0
	s_cbranch_scc0 .LBB971_97
; %bb.98:                               ;   in Loop: Header=BB971_96 Depth=2
	global_load_b64 v[5:6], v[7:8], off glc
	s_cmp_lt_u32 s21, 32
	s_cselect_b32 s22, -1, 0
	s_delay_alu instid0(SALU_CYCLE_1) | instskip(SKIP_3) | instid1(VALU_DEP_1)
	s_cmp_lg_u32 s22, 0
	s_addc_u32 s21, s21, 0
	s_waitcnt vmcnt(0)
	v_and_b32_e32 v60, 0xff, v6
	v_cmp_ne_u16_e32 vcc_lo, 0, v60
	s_or_b32 s20, vcc_lo, s20
	s_delay_alu instid0(SALU_CYCLE_1)
	s_and_not1_b32 exec_lo, exec_lo, s20
	s_cbranch_execnz .LBB971_96
; %bb.99:                               ;   in Loop: Header=BB971_93 Depth=1
	s_or_b32 exec_lo, exec_lo, s20
	s_branch .LBB971_92
.LBB971_100:                            ;   in Loop: Header=BB971_93 Depth=1
                                        ; implicit-def: $vgpr5
                                        ; implicit-def: $vgpr6
	s_cbranch_execz .LBB971_93
; %bb.101:
	s_and_saveexec_b32 s19, s8
	s_cbranch_execz .LBB971_103
; %bb.102:
	s_add_i32 s20, s15, 32
	s_mov_b32 s21, 0
	v_dual_mov_b32 v4, 2 :: v_dual_add_nc_u32 v3, v2, v1
	s_lshl_b64 s[20:21], s[20:21], 3
	v_mov_b32_e32 v5, 0
	s_add_u32 s20, s10, s20
	s_addc_u32 s21, s11, s21
	global_store_b64 v5, v[3:4], s[20:21]
	ds_store_b64 v5, v[1:2] offset:5632
.LBB971_103:
	s_or_b32 exec_lo, exec_lo, s19
	v_cmp_eq_u32_e32 vcc_lo, 0, v0
	s_and_b32 exec_lo, exec_lo, vcc_lo
	s_cbranch_execz .LBB971_105
; %bb.104:
	v_mov_b32_e32 v1, 0
	ds_store_b32 v1, v2 offset:12
.LBB971_105:
	s_or_b32 exec_lo, exec_lo, s9
	s_waitcnt lgkmcnt(0)
	v_cndmask_b32_e64 v2, v10, v9, s8
	v_cmp_ne_u32_e32 vcc_lo, 0, v0
	v_mov_b32_e32 v11, 0
	s_waitcnt_vscnt null, 0x0
	s_barrier
	buffer_gl0_inv
	v_cndmask_b32_e32 v2, 0, v2, vcc_lo
	ds_load_b32 v1, v11 offset:12
	s_waitcnt lgkmcnt(0)
	s_barrier
	buffer_gl0_inv
	ds_load_b64 v[16:17], v11 offset:5632
	v_add_nc_u32_e32 v1, v1, v2
	s_delay_alu instid0(VALU_DEP_1) | instskip(NEXT) | instid1(VALU_DEP_1)
	v_add_nc_u32_e32 v2, v1, v43
	v_add_nc_u32_e32 v3, v2, v44
	s_delay_alu instid0(VALU_DEP_1) | instskip(NEXT) | instid1(VALU_DEP_1)
	v_add_nc_u32_e32 v4, v3, v45
	;; [unrolled: 3-line block ×5, first 2 shown]
	v_add_nc_u32_e32 v11, v10, v51
	s_load_b64 s[8:9], s[0:1], 0x38
	v_lshrrev_b64 v[31:32], 24, v[29:30]
	s_branch .LBB971_116
.LBB971_106:
                                        ; implicit-def: $vgpr17
                                        ; implicit-def: $vgpr1_vgpr2_vgpr3_vgpr4_vgpr5_vgpr6_vgpr7_vgpr8_vgpr9_vgpr10_vgpr11
	s_load_b64 s[8:9], s[0:1], 0x38
	v_lshrrev_b64 v[31:32], 24, v[29:30]
	s_and_b32 vcc_lo, exec_lo, s19
	s_cbranch_vccz .LBB971_116
; %bb.107:
	v_mov_b32_dpp v1, v54 row_shr:1 row_mask:0xf bank_mask:0xf
	s_delay_alu instid0(VALU_DEP_1) | instskip(NEXT) | instid1(VALU_DEP_1)
	v_cndmask_b32_e64 v1, v1, 0, s7
	v_add_nc_u32_e32 v1, v1, v54
	s_delay_alu instid0(VALU_DEP_1) | instskip(NEXT) | instid1(VALU_DEP_1)
	v_mov_b32_dpp v2, v1 row_shr:2 row_mask:0xf bank_mask:0xf
	v_cndmask_b32_e64 v2, 0, v2, s6
	s_delay_alu instid0(VALU_DEP_1) | instskip(NEXT) | instid1(VALU_DEP_1)
	v_add_nc_u32_e32 v1, v1, v2
	v_mov_b32_dpp v2, v1 row_shr:4 row_mask:0xf bank_mask:0xf
	s_delay_alu instid0(VALU_DEP_1) | instskip(NEXT) | instid1(VALU_DEP_1)
	v_cndmask_b32_e64 v2, 0, v2, s5
	v_add_nc_u32_e32 v1, v1, v2
	s_delay_alu instid0(VALU_DEP_1) | instskip(NEXT) | instid1(VALU_DEP_1)
	v_mov_b32_dpp v2, v1 row_shr:8 row_mask:0xf bank_mask:0xf
	v_cndmask_b32_e64 v2, 0, v2, s4
	s_delay_alu instid0(VALU_DEP_1) | instskip(SKIP_3) | instid1(VALU_DEP_1)
	v_add_nc_u32_e32 v1, v1, v2
	ds_swizzle_b32 v2, v1 offset:swizzle(BROADCAST,32,15)
	s_waitcnt lgkmcnt(0)
	v_cndmask_b32_e64 v2, v2, 0, s3
	v_add_nc_u32_e32 v1, v1, v2
	s_and_saveexec_b32 s0, s2
	s_cbranch_execz .LBB971_109
; %bb.108:
	v_lshlrev_b32_e32 v2, 2, v53
	ds_store_b32 v2, v1
.LBB971_109:
	s_or_b32 exec_lo, exec_lo, s0
	s_delay_alu instid0(SALU_CYCLE_1)
	s_mov_b32 s0, exec_lo
	s_waitcnt lgkmcnt(0)
	s_barrier
	buffer_gl0_inv
	v_cmpx_gt_u32_e32 4, v0
	s_cbranch_execz .LBB971_111
; %bb.110:
	v_mad_i32_i24 v2, 0xffffffd8, v0, v41
	ds_load_b32 v3, v2
	s_waitcnt lgkmcnt(0)
	v_mov_b32_dpp v5, v3 row_shr:1 row_mask:0xf bank_mask:0xf
	v_and_b32_e32 v4, 3, v52
	s_delay_alu instid0(VALU_DEP_1) | instskip(NEXT) | instid1(VALU_DEP_3)
	v_cmp_ne_u32_e32 vcc_lo, 0, v4
	v_cndmask_b32_e32 v5, 0, v5, vcc_lo
	v_cmp_lt_u32_e32 vcc_lo, 1, v4
	s_delay_alu instid0(VALU_DEP_2) | instskip(NEXT) | instid1(VALU_DEP_1)
	v_add_nc_u32_e32 v3, v5, v3
	v_mov_b32_dpp v5, v3 row_shr:2 row_mask:0xf bank_mask:0xf
	s_delay_alu instid0(VALU_DEP_1) | instskip(NEXT) | instid1(VALU_DEP_1)
	v_cndmask_b32_e32 v4, 0, v5, vcc_lo
	v_add_nc_u32_e32 v3, v3, v4
	ds_store_b32 v2, v3
.LBB971_111:
	s_or_b32 exec_lo, exec_lo, s0
	v_dual_mov_b32 v3, 0 :: v_dual_mov_b32 v2, 0
	s_mov_b32 s0, exec_lo
	s_waitcnt lgkmcnt(0)
	s_barrier
	buffer_gl0_inv
	v_cmpx_lt_u32_e32 31, v0
	s_cbranch_execz .LBB971_113
; %bb.112:
	v_lshl_add_u32 v2, v53, 2, -4
	ds_load_b32 v2, v2
.LBB971_113:
	s_or_b32 exec_lo, exec_lo, s0
	v_add_nc_u32_e32 v4, -1, v52
	ds_load_b32 v16, v3 offset:12
	s_waitcnt lgkmcnt(1)
	v_add_nc_u32_e32 v1, v2, v1
	v_cmp_gt_i32_e32 vcc_lo, 0, v4
	v_cndmask_b32_e32 v4, v4, v52, vcc_lo
	v_cmp_eq_u32_e32 vcc_lo, 0, v0
	s_delay_alu instid0(VALU_DEP_2)
	v_lshlrev_b32_e32 v4, 2, v4
	ds_bpermute_b32 v1, v4, v1
	s_and_saveexec_b32 s0, vcc_lo
	s_cbranch_execz .LBB971_115
; %bb.114:
	v_mov_b32_e32 v3, 0
	v_mov_b32_e32 v17, 2
	s_waitcnt lgkmcnt(1)
	global_store_b64 v3, v[16:17], s[10:11] offset:256
.LBB971_115:
	s_or_b32 exec_lo, exec_lo, s0
	v_cmp_eq_u32_e64 s0, 0, v52
	s_waitcnt lgkmcnt(0)
	s_waitcnt_vscnt null, 0x0
	s_barrier
	buffer_gl0_inv
	v_mov_b32_e32 v17, 0
	v_cndmask_b32_e64 v1, v1, v2, s0
	s_delay_alu instid0(VALU_DEP_1) | instskip(NEXT) | instid1(VALU_DEP_1)
	v_cndmask_b32_e64 v1, v1, 0, vcc_lo
	v_add_nc_u32_e32 v2, v1, v43
	s_delay_alu instid0(VALU_DEP_1) | instskip(NEXT) | instid1(VALU_DEP_1)
	v_add_nc_u32_e32 v3, v2, v44
	v_add_nc_u32_e32 v4, v3, v45
	s_delay_alu instid0(VALU_DEP_1) | instskip(NEXT) | instid1(VALU_DEP_1)
	v_add_nc_u32_e32 v5, v4, v47
	;; [unrolled: 3-line block ×4, first 2 shown]
	v_add_nc_u32_e32 v10, v9, v50
	s_delay_alu instid0(VALU_DEP_1)
	v_add_nc_u32_e32 v11, v10, v51
.LBB971_116:
	v_lshrrev_b32_e32 v45, 16, v29
	v_lshrrev_b32_e32 v46, 8, v29
	v_and_b32_e32 v29, 1, v29
	s_waitcnt lgkmcnt(0)
	v_cmp_gt_u32_e64 s0, 0x81, v16
	v_lshrrev_b32_e32 v32, 16, v18
	v_lshrrev_b32_e32 v44, 8, v30
	;; [unrolled: 1-line block ×4, first 2 shown]
	v_cmp_eq_u32_e64 s1, 1, v29
	s_and_b32 vcc_lo, exec_lo, s0
	s_cbranch_vccnz .LBB971_140
; %bb.117:
	s_delay_alu instid0(VALU_DEP_1)
	s_and_saveexec_b32 s2, s1
	s_cbranch_execz .LBB971_119
; %bb.118:
	v_sub_nc_u32_e32 v47, v1, v17
	s_delay_alu instid0(VALU_DEP_1)
	v_lshlrev_b32_e32 v47, 1, v47
	ds_store_b16 v47, v12
.LBB971_119:
	s_or_b32 exec_lo, exec_lo, s2
	v_and_b32_e32 v12, 1, v46
	s_mov_b32 s1, exec_lo
	s_delay_alu instid0(VALU_DEP_1)
	v_cmpx_eq_u32_e32 1, v12
	s_cbranch_execz .LBB971_121
; %bb.120:
	v_sub_nc_u32_e32 v12, v2, v17
	s_delay_alu instid0(VALU_DEP_1)
	v_lshlrev_b32_e32 v12, 1, v12
	ds_store_b16 v12, v40
.LBB971_121:
	s_or_b32 exec_lo, exec_lo, s1
	v_and_b32_e32 v12, 1, v45
	s_mov_b32 s1, exec_lo
	s_delay_alu instid0(VALU_DEP_1)
	v_cmpx_eq_u32_e32 1, v12
	s_cbranch_execz .LBB971_123
; %bb.122:
	v_sub_nc_u32_e32 v12, v3, v17
	s_delay_alu instid0(VALU_DEP_1)
	v_lshlrev_b32_e32 v12, 1, v12
	ds_store_b16 v12, v13
.LBB971_123:
	s_or_b32 exec_lo, exec_lo, s1
	v_and_b32_e32 v12, 1, v31
	s_mov_b32 s1, exec_lo
	s_delay_alu instid0(VALU_DEP_1)
	v_cmpx_eq_u32_e32 1, v12
	s_cbranch_execz .LBB971_125
; %bb.124:
	v_sub_nc_u32_e32 v12, v4, v17
	s_delay_alu instid0(VALU_DEP_1)
	v_lshlrev_b32_e32 v12, 1, v12
	ds_store_b16 v12, v39
.LBB971_125:
	s_or_b32 exec_lo, exec_lo, s1
	v_and_b32_e32 v12, 1, v30
	s_mov_b32 s1, exec_lo
	s_delay_alu instid0(VALU_DEP_1)
	v_cmpx_eq_u32_e32 1, v12
	s_cbranch_execz .LBB971_127
; %bb.126:
	v_sub_nc_u32_e32 v12, v5, v17
	s_delay_alu instid0(VALU_DEP_1)
	v_lshlrev_b32_e32 v12, 1, v12
	ds_store_b16 v12, v14
.LBB971_127:
	s_or_b32 exec_lo, exec_lo, s1
	v_and_b32_e32 v12, 1, v44
	s_mov_b32 s1, exec_lo
	s_delay_alu instid0(VALU_DEP_1)
	v_cmpx_eq_u32_e32 1, v12
	s_cbranch_execz .LBB971_129
; %bb.128:
	v_sub_nc_u32_e32 v12, v6, v17
	s_delay_alu instid0(VALU_DEP_1)
	v_lshlrev_b32_e32 v12, 1, v12
	ds_store_b16 v12, v38
.LBB971_129:
	s_or_b32 exec_lo, exec_lo, s1
	v_and_b32_e32 v12, 1, v43
	s_mov_b32 s1, exec_lo
	s_delay_alu instid0(VALU_DEP_1)
	v_cmpx_eq_u32_e32 1, v12
	s_cbranch_execz .LBB971_131
; %bb.130:
	v_sub_nc_u32_e32 v12, v7, v17
	s_delay_alu instid0(VALU_DEP_1)
	v_lshlrev_b32_e32 v12, 1, v12
	ds_store_b16 v12, v15
.LBB971_131:
	s_or_b32 exec_lo, exec_lo, s1
	v_and_b32_e32 v12, 1, v42
	s_mov_b32 s1, exec_lo
	s_delay_alu instid0(VALU_DEP_1)
	v_cmpx_eq_u32_e32 1, v12
	s_cbranch_execz .LBB971_133
; %bb.132:
	v_sub_nc_u32_e32 v12, v8, v17
	s_delay_alu instid0(VALU_DEP_1)
	v_lshlrev_b32_e32 v12, 1, v12
	ds_store_b16 v12, v37
.LBB971_133:
	s_or_b32 exec_lo, exec_lo, s1
	v_and_b32_e32 v12, 1, v18
	s_mov_b32 s1, exec_lo
	s_delay_alu instid0(VALU_DEP_1)
	v_cmpx_eq_u32_e32 1, v12
	s_cbranch_execz .LBB971_135
; %bb.134:
	v_sub_nc_u32_e32 v12, v9, v17
	s_delay_alu instid0(VALU_DEP_1)
	v_lshlrev_b32_e32 v12, 1, v12
	ds_store_b16 v12, v36
.LBB971_135:
	s_or_b32 exec_lo, exec_lo, s1
	v_and_b32_e32 v12, 1, v41
	s_mov_b32 s1, exec_lo
	s_delay_alu instid0(VALU_DEP_1)
	v_cmpx_eq_u32_e32 1, v12
	s_cbranch_execz .LBB971_137
; %bb.136:
	v_sub_nc_u32_e32 v12, v10, v17
	s_delay_alu instid0(VALU_DEP_1)
	v_lshlrev_b32_e32 v12, 1, v12
	ds_store_b16 v12, v35
.LBB971_137:
	s_or_b32 exec_lo, exec_lo, s1
	v_and_b32_e32 v12, 1, v32
	s_mov_b32 s1, exec_lo
	s_delay_alu instid0(VALU_DEP_1)
	v_cmpx_eq_u32_e32 1, v12
	s_cbranch_execz .LBB971_139
; %bb.138:
	v_sub_nc_u32_e32 v12, v11, v17
	s_delay_alu instid0(VALU_DEP_1)
	v_lshlrev_b32_e32 v12, 1, v12
	ds_store_b16 v12, v34
.LBB971_139:
	s_or_b32 exec_lo, exec_lo, s1
	s_waitcnt lgkmcnt(0)
	s_barrier
	buffer_gl0_inv
.LBB971_140:
	s_and_b32 vcc_lo, exec_lo, s0
	s_mov_b32 s0, -1
	s_barrier
	buffer_gl0_inv
	s_cbranch_vccnz .LBB971_144
; %bb.141:
	s_and_b32 vcc_lo, exec_lo, s0
	s_cbranch_vccnz .LBB971_178
.LBB971_142:
	v_cmp_eq_u32_e32 vcc_lo, 0, v0
	s_and_b32 s0, vcc_lo, s14
	s_delay_alu instid0(SALU_CYCLE_1)
	s_and_saveexec_b32 s1, s0
	s_cbranch_execnz .LBB971_204
.LBB971_143:
	s_nop 0
	s_sendmsg sendmsg(MSG_DEALLOC_VGPRS)
	s_endpgm
.LBB971_144:
	v_add_nc_u32_e32 v12, v17, v16
	s_lshl_b64 s[0:1], s[12:13], 2
	s_delay_alu instid0(SALU_CYCLE_1) | instskip(SKIP_1) | instid1(VALU_DEP_1)
	s_add_u32 s0, s8, s0
	s_addc_u32 s1, s9, s1
	v_cmp_lt_u32_e32 vcc_lo, v1, v12
	s_or_b32 s3, s18, vcc_lo
	s_delay_alu instid0(SALU_CYCLE_1)
	s_and_saveexec_b32 s2, s3
	s_cbranch_execz .LBB971_147
; %bb.145:
	v_cmp_eq_u32_e32 vcc_lo, 1, v29
	s_and_b32 exec_lo, exec_lo, vcc_lo
	s_cbranch_execz .LBB971_147
; %bb.146:
	v_dual_mov_b32 v14, 0 :: v_dual_mov_b32 v13, v1
	s_delay_alu instid0(VALU_DEP_1) | instskip(NEXT) | instid1(VALU_DEP_1)
	v_lshlrev_b64 v[13:14], 2, v[13:14]
	v_add_co_u32 v13, vcc_lo, s0, v13
	s_delay_alu instid0(VALU_DEP_2)
	v_add_co_ci_u32_e32 v14, vcc_lo, s1, v14, vcc_lo
	global_store_b32 v[13:14], v27, off
.LBB971_147:
	s_or_b32 exec_lo, exec_lo, s2
	v_cmp_lt_u32_e32 vcc_lo, v2, v12
	s_or_b32 s3, s18, vcc_lo
	s_delay_alu instid0(SALU_CYCLE_1)
	s_and_saveexec_b32 s2, s3
	s_cbranch_execz .LBB971_150
; %bb.148:
	v_and_b32_e32 v13, 1, v46
	s_delay_alu instid0(VALU_DEP_1)
	v_cmp_eq_u32_e32 vcc_lo, 1, v13
	s_and_b32 exec_lo, exec_lo, vcc_lo
	s_cbranch_execz .LBB971_150
; %bb.149:
	v_dual_mov_b32 v14, 0 :: v_dual_mov_b32 v13, v2
	s_delay_alu instid0(VALU_DEP_1) | instskip(NEXT) | instid1(VALU_DEP_1)
	v_lshlrev_b64 v[13:14], 2, v[13:14]
	v_add_co_u32 v13, vcc_lo, s0, v13
	s_delay_alu instid0(VALU_DEP_2)
	v_add_co_ci_u32_e32 v14, vcc_lo, s1, v14, vcc_lo
	global_store_b32 v[13:14], v28, off
.LBB971_150:
	s_or_b32 exec_lo, exec_lo, s2
	v_cmp_lt_u32_e32 vcc_lo, v3, v12
	s_or_b32 s3, s18, vcc_lo
	s_delay_alu instid0(SALU_CYCLE_1)
	s_and_saveexec_b32 s2, s3
	s_cbranch_execz .LBB971_153
; %bb.151:
	v_and_b32_e32 v13, 1, v45
	s_delay_alu instid0(VALU_DEP_1)
	v_cmp_eq_u32_e32 vcc_lo, 1, v13
	s_and_b32 exec_lo, exec_lo, vcc_lo
	s_cbranch_execz .LBB971_153
; %bb.152:
	v_dual_mov_b32 v14, 0 :: v_dual_mov_b32 v13, v3
	s_delay_alu instid0(VALU_DEP_1) | instskip(NEXT) | instid1(VALU_DEP_1)
	v_lshlrev_b64 v[13:14], 2, v[13:14]
	v_add_co_u32 v13, vcc_lo, s0, v13
	s_delay_alu instid0(VALU_DEP_2)
	v_add_co_ci_u32_e32 v14, vcc_lo, s1, v14, vcc_lo
	global_store_b32 v[13:14], v25, off
.LBB971_153:
	;; [unrolled: 21-line block ×10, first 2 shown]
	s_or_b32 exec_lo, exec_lo, s2
	s_branch .LBB971_142
.LBB971_178:
	s_mov_b32 s0, exec_lo
	v_cmpx_eq_u32_e32 1, v29
	s_cbranch_execz .LBB971_180
; %bb.179:
	v_sub_nc_u32_e32 v1, v1, v17
	s_delay_alu instid0(VALU_DEP_1)
	v_lshlrev_b32_e32 v1, 2, v1
	ds_store_b32 v1, v27
.LBB971_180:
	s_or_b32 exec_lo, exec_lo, s0
	v_and_b32_e32 v1, 1, v46
	s_mov_b32 s0, exec_lo
	s_delay_alu instid0(VALU_DEP_1)
	v_cmpx_eq_u32_e32 1, v1
	s_cbranch_execz .LBB971_182
; %bb.181:
	v_sub_nc_u32_e32 v1, v2, v17
	s_delay_alu instid0(VALU_DEP_1)
	v_lshlrev_b32_e32 v1, 2, v1
	ds_store_b32 v1, v28
.LBB971_182:
	s_or_b32 exec_lo, exec_lo, s0
	v_and_b32_e32 v1, 1, v45
	s_mov_b32 s0, exec_lo
	s_delay_alu instid0(VALU_DEP_1)
	;; [unrolled: 12-line block ×10, first 2 shown]
	v_cmpx_eq_u32_e32 1, v1
	s_cbranch_execz .LBB971_200
; %bb.199:
	v_sub_nc_u32_e32 v1, v11, v17
	s_delay_alu instid0(VALU_DEP_1)
	v_lshlrev_b32_e32 v1, 2, v1
	ds_store_b32 v1, v33
.LBB971_200:
	s_or_b32 exec_lo, exec_lo, s0
	s_delay_alu instid0(SALU_CYCLE_1)
	s_mov_b32 s1, exec_lo
	s_waitcnt lgkmcnt(0)
	s_waitcnt_vscnt null, 0x0
	s_barrier
	buffer_gl0_inv
	v_cmpx_lt_u32_e64 v0, v16
	s_cbranch_execz .LBB971_203
; %bb.201:
	v_dual_mov_b32 v2, 0 :: v_dual_mov_b32 v1, v17
	s_lshl_b64 s[2:3], s[12:13], 2
	v_lshlrev_b32_e32 v3, 2, v0
	s_add_u32 s0, s8, s2
	s_addc_u32 s2, s9, s3
	v_lshlrev_b64 v[4:5], 2, v[1:2]
	v_mov_b32_e32 v1, v0
	s_delay_alu instid0(VALU_DEP_2) | instskip(NEXT) | instid1(VALU_DEP_3)
	v_add_co_u32 v4, vcc_lo, s0, v4
	v_add_co_ci_u32_e32 v5, vcc_lo, s2, v5, vcc_lo
	s_mov_b32 s2, 0
	.p2align	6
.LBB971_202:                            ; =>This Inner Loop Header: Depth=1
	ds_load_b32 v8, v3
	v_lshlrev_b64 v[6:7], 2, v[1:2]
	v_add_nc_u32_e32 v1, 0x80, v1
	v_add_nc_u32_e32 v3, 0x200, v3
	s_delay_alu instid0(VALU_DEP_2) | instskip(NEXT) | instid1(VALU_DEP_4)
	v_cmp_ge_u32_e32 vcc_lo, v1, v16
	v_add_co_u32 v6, s0, v4, v6
	s_delay_alu instid0(VALU_DEP_1)
	v_add_co_ci_u32_e64 v7, s0, v5, v7, s0
	s_or_b32 s2, vcc_lo, s2
	s_waitcnt lgkmcnt(0)
	global_store_b32 v[6:7], v8, off
	s_and_not1_b32 exec_lo, exec_lo, s2
	s_cbranch_execnz .LBB971_202
.LBB971_203:
	s_or_b32 exec_lo, exec_lo, s1
	v_cmp_eq_u32_e32 vcc_lo, 0, v0
	s_and_b32 s0, vcc_lo, s14
	s_delay_alu instid0(SALU_CYCLE_1)
	s_and_saveexec_b32 s1, s0
	s_cbranch_execz .LBB971_143
.LBB971_204:
	v_add_co_u32 v0, s0, s12, v16
	s_delay_alu instid0(VALU_DEP_1) | instskip(SKIP_1) | instid1(VALU_DEP_3)
	v_add_co_ci_u32_e64 v1, null, s13, 0, s0
	v_mov_b32_e32 v2, 0
	v_add_co_u32 v0, vcc_lo, v0, v17
	s_delay_alu instid0(VALU_DEP_3)
	v_add_co_ci_u32_e32 v1, vcc_lo, 0, v1, vcc_lo
	global_store_b64 v2, v[0:1], s[16:17]
	s_nop 0
	s_sendmsg sendmsg(MSG_DEALLOC_VGPRS)
	s_endpgm
.LBB971_205:
	s_or_b32 exec_lo, exec_lo, s3
	s_and_saveexec_b32 s3, s22
	s_cbranch_execnz .LBB971_72
	s_branch .LBB971_73
	.section	.rodata,"a",@progbits
	.p2align	6, 0x0
	.amdhsa_kernel _ZN7rocprim17ROCPRIM_400000_NS6detail17trampoline_kernelINS0_14default_configENS1_25partition_config_selectorILNS1_17partition_subalgoE9EtjbEEZZNS1_14partition_implILS5_9ELb0ES3_jN6thrust23THRUST_200600_302600_NS6detail15normal_iteratorINS9_10device_ptrItEEEENSB_INSC_IjEEEEPNS0_10empty_typeENS0_5tupleIJNS9_16discard_iteratorINS9_11use_defaultEEESH_EEENSJ_IJSG_SI_EEENS0_18inequality_wrapperINS9_8equal_toItEEEEPmJSH_EEE10hipError_tPvRmT3_T4_T5_T6_T7_T9_mT8_P12ihipStream_tbDpT10_ENKUlT_T0_E_clISt17integral_constantIbLb1EES1C_IbLb0EEEEDaS18_S19_EUlS18_E_NS1_11comp_targetILNS1_3genE9ELNS1_11target_archE1100ELNS1_3gpuE3ELNS1_3repE0EEENS1_30default_config_static_selectorELNS0_4arch9wavefront6targetE0EEEvT1_
		.amdhsa_group_segment_fixed_size 5640
		.amdhsa_private_segment_fixed_size 0
		.amdhsa_kernarg_size 120
		.amdhsa_user_sgpr_count 15
		.amdhsa_user_sgpr_dispatch_ptr 0
		.amdhsa_user_sgpr_queue_ptr 0
		.amdhsa_user_sgpr_kernarg_segment_ptr 1
		.amdhsa_user_sgpr_dispatch_id 0
		.amdhsa_user_sgpr_private_segment_size 0
		.amdhsa_wavefront_size32 1
		.amdhsa_uses_dynamic_stack 0
		.amdhsa_enable_private_segment 0
		.amdhsa_system_sgpr_workgroup_id_x 1
		.amdhsa_system_sgpr_workgroup_id_y 0
		.amdhsa_system_sgpr_workgroup_id_z 0
		.amdhsa_system_sgpr_workgroup_info 0
		.amdhsa_system_vgpr_workitem_id 0
		.amdhsa_next_free_vgpr 61
		.amdhsa_next_free_sgpr 24
		.amdhsa_reserve_vcc 1
		.amdhsa_float_round_mode_32 0
		.amdhsa_float_round_mode_16_64 0
		.amdhsa_float_denorm_mode_32 3
		.amdhsa_float_denorm_mode_16_64 3
		.amdhsa_dx10_clamp 1
		.amdhsa_ieee_mode 1
		.amdhsa_fp16_overflow 0
		.amdhsa_workgroup_processor_mode 1
		.amdhsa_memory_ordered 1
		.amdhsa_forward_progress 0
		.amdhsa_shared_vgpr_count 0
		.amdhsa_exception_fp_ieee_invalid_op 0
		.amdhsa_exception_fp_denorm_src 0
		.amdhsa_exception_fp_ieee_div_zero 0
		.amdhsa_exception_fp_ieee_overflow 0
		.amdhsa_exception_fp_ieee_underflow 0
		.amdhsa_exception_fp_ieee_inexact 0
		.amdhsa_exception_int_div_zero 0
	.end_amdhsa_kernel
	.section	.text._ZN7rocprim17ROCPRIM_400000_NS6detail17trampoline_kernelINS0_14default_configENS1_25partition_config_selectorILNS1_17partition_subalgoE9EtjbEEZZNS1_14partition_implILS5_9ELb0ES3_jN6thrust23THRUST_200600_302600_NS6detail15normal_iteratorINS9_10device_ptrItEEEENSB_INSC_IjEEEEPNS0_10empty_typeENS0_5tupleIJNS9_16discard_iteratorINS9_11use_defaultEEESH_EEENSJ_IJSG_SI_EEENS0_18inequality_wrapperINS9_8equal_toItEEEEPmJSH_EEE10hipError_tPvRmT3_T4_T5_T6_T7_T9_mT8_P12ihipStream_tbDpT10_ENKUlT_T0_E_clISt17integral_constantIbLb1EES1C_IbLb0EEEEDaS18_S19_EUlS18_E_NS1_11comp_targetILNS1_3genE9ELNS1_11target_archE1100ELNS1_3gpuE3ELNS1_3repE0EEENS1_30default_config_static_selectorELNS0_4arch9wavefront6targetE0EEEvT1_,"axG",@progbits,_ZN7rocprim17ROCPRIM_400000_NS6detail17trampoline_kernelINS0_14default_configENS1_25partition_config_selectorILNS1_17partition_subalgoE9EtjbEEZZNS1_14partition_implILS5_9ELb0ES3_jN6thrust23THRUST_200600_302600_NS6detail15normal_iteratorINS9_10device_ptrItEEEENSB_INSC_IjEEEEPNS0_10empty_typeENS0_5tupleIJNS9_16discard_iteratorINS9_11use_defaultEEESH_EEENSJ_IJSG_SI_EEENS0_18inequality_wrapperINS9_8equal_toItEEEEPmJSH_EEE10hipError_tPvRmT3_T4_T5_T6_T7_T9_mT8_P12ihipStream_tbDpT10_ENKUlT_T0_E_clISt17integral_constantIbLb1EES1C_IbLb0EEEEDaS18_S19_EUlS18_E_NS1_11comp_targetILNS1_3genE9ELNS1_11target_archE1100ELNS1_3gpuE3ELNS1_3repE0EEENS1_30default_config_static_selectorELNS0_4arch9wavefront6targetE0EEEvT1_,comdat
.Lfunc_end971:
	.size	_ZN7rocprim17ROCPRIM_400000_NS6detail17trampoline_kernelINS0_14default_configENS1_25partition_config_selectorILNS1_17partition_subalgoE9EtjbEEZZNS1_14partition_implILS5_9ELb0ES3_jN6thrust23THRUST_200600_302600_NS6detail15normal_iteratorINS9_10device_ptrItEEEENSB_INSC_IjEEEEPNS0_10empty_typeENS0_5tupleIJNS9_16discard_iteratorINS9_11use_defaultEEESH_EEENSJ_IJSG_SI_EEENS0_18inequality_wrapperINS9_8equal_toItEEEEPmJSH_EEE10hipError_tPvRmT3_T4_T5_T6_T7_T9_mT8_P12ihipStream_tbDpT10_ENKUlT_T0_E_clISt17integral_constantIbLb1EES1C_IbLb0EEEEDaS18_S19_EUlS18_E_NS1_11comp_targetILNS1_3genE9ELNS1_11target_archE1100ELNS1_3gpuE3ELNS1_3repE0EEENS1_30default_config_static_selectorELNS0_4arch9wavefront6targetE0EEEvT1_, .Lfunc_end971-_ZN7rocprim17ROCPRIM_400000_NS6detail17trampoline_kernelINS0_14default_configENS1_25partition_config_selectorILNS1_17partition_subalgoE9EtjbEEZZNS1_14partition_implILS5_9ELb0ES3_jN6thrust23THRUST_200600_302600_NS6detail15normal_iteratorINS9_10device_ptrItEEEENSB_INSC_IjEEEEPNS0_10empty_typeENS0_5tupleIJNS9_16discard_iteratorINS9_11use_defaultEEESH_EEENSJ_IJSG_SI_EEENS0_18inequality_wrapperINS9_8equal_toItEEEEPmJSH_EEE10hipError_tPvRmT3_T4_T5_T6_T7_T9_mT8_P12ihipStream_tbDpT10_ENKUlT_T0_E_clISt17integral_constantIbLb1EES1C_IbLb0EEEEDaS18_S19_EUlS18_E_NS1_11comp_targetILNS1_3genE9ELNS1_11target_archE1100ELNS1_3gpuE3ELNS1_3repE0EEENS1_30default_config_static_selectorELNS0_4arch9wavefront6targetE0EEEvT1_
                                        ; -- End function
	.section	.AMDGPU.csdata,"",@progbits
; Kernel info:
; codeLenInByte = 9316
; NumSgprs: 26
; NumVgprs: 61
; ScratchSize: 0
; MemoryBound: 0
; FloatMode: 240
; IeeeMode: 1
; LDSByteSize: 5640 bytes/workgroup (compile time only)
; SGPRBlocks: 3
; VGPRBlocks: 7
; NumSGPRsForWavesPerEU: 26
; NumVGPRsForWavesPerEU: 61
; Occupancy: 16
; WaveLimiterHint : 1
; COMPUTE_PGM_RSRC2:SCRATCH_EN: 0
; COMPUTE_PGM_RSRC2:USER_SGPR: 15
; COMPUTE_PGM_RSRC2:TRAP_HANDLER: 0
; COMPUTE_PGM_RSRC2:TGID_X_EN: 1
; COMPUTE_PGM_RSRC2:TGID_Y_EN: 0
; COMPUTE_PGM_RSRC2:TGID_Z_EN: 0
; COMPUTE_PGM_RSRC2:TIDIG_COMP_CNT: 0
	.section	.text._ZN7rocprim17ROCPRIM_400000_NS6detail17trampoline_kernelINS0_14default_configENS1_25partition_config_selectorILNS1_17partition_subalgoE9EtjbEEZZNS1_14partition_implILS5_9ELb0ES3_jN6thrust23THRUST_200600_302600_NS6detail15normal_iteratorINS9_10device_ptrItEEEENSB_INSC_IjEEEEPNS0_10empty_typeENS0_5tupleIJNS9_16discard_iteratorINS9_11use_defaultEEESH_EEENSJ_IJSG_SI_EEENS0_18inequality_wrapperINS9_8equal_toItEEEEPmJSH_EEE10hipError_tPvRmT3_T4_T5_T6_T7_T9_mT8_P12ihipStream_tbDpT10_ENKUlT_T0_E_clISt17integral_constantIbLb1EES1C_IbLb0EEEEDaS18_S19_EUlS18_E_NS1_11comp_targetILNS1_3genE8ELNS1_11target_archE1030ELNS1_3gpuE2ELNS1_3repE0EEENS1_30default_config_static_selectorELNS0_4arch9wavefront6targetE0EEEvT1_,"axG",@progbits,_ZN7rocprim17ROCPRIM_400000_NS6detail17trampoline_kernelINS0_14default_configENS1_25partition_config_selectorILNS1_17partition_subalgoE9EtjbEEZZNS1_14partition_implILS5_9ELb0ES3_jN6thrust23THRUST_200600_302600_NS6detail15normal_iteratorINS9_10device_ptrItEEEENSB_INSC_IjEEEEPNS0_10empty_typeENS0_5tupleIJNS9_16discard_iteratorINS9_11use_defaultEEESH_EEENSJ_IJSG_SI_EEENS0_18inequality_wrapperINS9_8equal_toItEEEEPmJSH_EEE10hipError_tPvRmT3_T4_T5_T6_T7_T9_mT8_P12ihipStream_tbDpT10_ENKUlT_T0_E_clISt17integral_constantIbLb1EES1C_IbLb0EEEEDaS18_S19_EUlS18_E_NS1_11comp_targetILNS1_3genE8ELNS1_11target_archE1030ELNS1_3gpuE2ELNS1_3repE0EEENS1_30default_config_static_selectorELNS0_4arch9wavefront6targetE0EEEvT1_,comdat
	.protected	_ZN7rocprim17ROCPRIM_400000_NS6detail17trampoline_kernelINS0_14default_configENS1_25partition_config_selectorILNS1_17partition_subalgoE9EtjbEEZZNS1_14partition_implILS5_9ELb0ES3_jN6thrust23THRUST_200600_302600_NS6detail15normal_iteratorINS9_10device_ptrItEEEENSB_INSC_IjEEEEPNS0_10empty_typeENS0_5tupleIJNS9_16discard_iteratorINS9_11use_defaultEEESH_EEENSJ_IJSG_SI_EEENS0_18inequality_wrapperINS9_8equal_toItEEEEPmJSH_EEE10hipError_tPvRmT3_T4_T5_T6_T7_T9_mT8_P12ihipStream_tbDpT10_ENKUlT_T0_E_clISt17integral_constantIbLb1EES1C_IbLb0EEEEDaS18_S19_EUlS18_E_NS1_11comp_targetILNS1_3genE8ELNS1_11target_archE1030ELNS1_3gpuE2ELNS1_3repE0EEENS1_30default_config_static_selectorELNS0_4arch9wavefront6targetE0EEEvT1_ ; -- Begin function _ZN7rocprim17ROCPRIM_400000_NS6detail17trampoline_kernelINS0_14default_configENS1_25partition_config_selectorILNS1_17partition_subalgoE9EtjbEEZZNS1_14partition_implILS5_9ELb0ES3_jN6thrust23THRUST_200600_302600_NS6detail15normal_iteratorINS9_10device_ptrItEEEENSB_INSC_IjEEEEPNS0_10empty_typeENS0_5tupleIJNS9_16discard_iteratorINS9_11use_defaultEEESH_EEENSJ_IJSG_SI_EEENS0_18inequality_wrapperINS9_8equal_toItEEEEPmJSH_EEE10hipError_tPvRmT3_T4_T5_T6_T7_T9_mT8_P12ihipStream_tbDpT10_ENKUlT_T0_E_clISt17integral_constantIbLb1EES1C_IbLb0EEEEDaS18_S19_EUlS18_E_NS1_11comp_targetILNS1_3genE8ELNS1_11target_archE1030ELNS1_3gpuE2ELNS1_3repE0EEENS1_30default_config_static_selectorELNS0_4arch9wavefront6targetE0EEEvT1_
	.globl	_ZN7rocprim17ROCPRIM_400000_NS6detail17trampoline_kernelINS0_14default_configENS1_25partition_config_selectorILNS1_17partition_subalgoE9EtjbEEZZNS1_14partition_implILS5_9ELb0ES3_jN6thrust23THRUST_200600_302600_NS6detail15normal_iteratorINS9_10device_ptrItEEEENSB_INSC_IjEEEEPNS0_10empty_typeENS0_5tupleIJNS9_16discard_iteratorINS9_11use_defaultEEESH_EEENSJ_IJSG_SI_EEENS0_18inequality_wrapperINS9_8equal_toItEEEEPmJSH_EEE10hipError_tPvRmT3_T4_T5_T6_T7_T9_mT8_P12ihipStream_tbDpT10_ENKUlT_T0_E_clISt17integral_constantIbLb1EES1C_IbLb0EEEEDaS18_S19_EUlS18_E_NS1_11comp_targetILNS1_3genE8ELNS1_11target_archE1030ELNS1_3gpuE2ELNS1_3repE0EEENS1_30default_config_static_selectorELNS0_4arch9wavefront6targetE0EEEvT1_
	.p2align	8
	.type	_ZN7rocprim17ROCPRIM_400000_NS6detail17trampoline_kernelINS0_14default_configENS1_25partition_config_selectorILNS1_17partition_subalgoE9EtjbEEZZNS1_14partition_implILS5_9ELb0ES3_jN6thrust23THRUST_200600_302600_NS6detail15normal_iteratorINS9_10device_ptrItEEEENSB_INSC_IjEEEEPNS0_10empty_typeENS0_5tupleIJNS9_16discard_iteratorINS9_11use_defaultEEESH_EEENSJ_IJSG_SI_EEENS0_18inequality_wrapperINS9_8equal_toItEEEEPmJSH_EEE10hipError_tPvRmT3_T4_T5_T6_T7_T9_mT8_P12ihipStream_tbDpT10_ENKUlT_T0_E_clISt17integral_constantIbLb1EES1C_IbLb0EEEEDaS18_S19_EUlS18_E_NS1_11comp_targetILNS1_3genE8ELNS1_11target_archE1030ELNS1_3gpuE2ELNS1_3repE0EEENS1_30default_config_static_selectorELNS0_4arch9wavefront6targetE0EEEvT1_,@function
_ZN7rocprim17ROCPRIM_400000_NS6detail17trampoline_kernelINS0_14default_configENS1_25partition_config_selectorILNS1_17partition_subalgoE9EtjbEEZZNS1_14partition_implILS5_9ELb0ES3_jN6thrust23THRUST_200600_302600_NS6detail15normal_iteratorINS9_10device_ptrItEEEENSB_INSC_IjEEEEPNS0_10empty_typeENS0_5tupleIJNS9_16discard_iteratorINS9_11use_defaultEEESH_EEENSJ_IJSG_SI_EEENS0_18inequality_wrapperINS9_8equal_toItEEEEPmJSH_EEE10hipError_tPvRmT3_T4_T5_T6_T7_T9_mT8_P12ihipStream_tbDpT10_ENKUlT_T0_E_clISt17integral_constantIbLb1EES1C_IbLb0EEEEDaS18_S19_EUlS18_E_NS1_11comp_targetILNS1_3genE8ELNS1_11target_archE1030ELNS1_3gpuE2ELNS1_3repE0EEENS1_30default_config_static_selectorELNS0_4arch9wavefront6targetE0EEEvT1_: ; @_ZN7rocprim17ROCPRIM_400000_NS6detail17trampoline_kernelINS0_14default_configENS1_25partition_config_selectorILNS1_17partition_subalgoE9EtjbEEZZNS1_14partition_implILS5_9ELb0ES3_jN6thrust23THRUST_200600_302600_NS6detail15normal_iteratorINS9_10device_ptrItEEEENSB_INSC_IjEEEEPNS0_10empty_typeENS0_5tupleIJNS9_16discard_iteratorINS9_11use_defaultEEESH_EEENSJ_IJSG_SI_EEENS0_18inequality_wrapperINS9_8equal_toItEEEEPmJSH_EEE10hipError_tPvRmT3_T4_T5_T6_T7_T9_mT8_P12ihipStream_tbDpT10_ENKUlT_T0_E_clISt17integral_constantIbLb1EES1C_IbLb0EEEEDaS18_S19_EUlS18_E_NS1_11comp_targetILNS1_3genE8ELNS1_11target_archE1030ELNS1_3gpuE2ELNS1_3repE0EEENS1_30default_config_static_selectorELNS0_4arch9wavefront6targetE0EEEvT1_
; %bb.0:
	.section	.rodata,"a",@progbits
	.p2align	6, 0x0
	.amdhsa_kernel _ZN7rocprim17ROCPRIM_400000_NS6detail17trampoline_kernelINS0_14default_configENS1_25partition_config_selectorILNS1_17partition_subalgoE9EtjbEEZZNS1_14partition_implILS5_9ELb0ES3_jN6thrust23THRUST_200600_302600_NS6detail15normal_iteratorINS9_10device_ptrItEEEENSB_INSC_IjEEEEPNS0_10empty_typeENS0_5tupleIJNS9_16discard_iteratorINS9_11use_defaultEEESH_EEENSJ_IJSG_SI_EEENS0_18inequality_wrapperINS9_8equal_toItEEEEPmJSH_EEE10hipError_tPvRmT3_T4_T5_T6_T7_T9_mT8_P12ihipStream_tbDpT10_ENKUlT_T0_E_clISt17integral_constantIbLb1EES1C_IbLb0EEEEDaS18_S19_EUlS18_E_NS1_11comp_targetILNS1_3genE8ELNS1_11target_archE1030ELNS1_3gpuE2ELNS1_3repE0EEENS1_30default_config_static_selectorELNS0_4arch9wavefront6targetE0EEEvT1_
		.amdhsa_group_segment_fixed_size 0
		.amdhsa_private_segment_fixed_size 0
		.amdhsa_kernarg_size 120
		.amdhsa_user_sgpr_count 15
		.amdhsa_user_sgpr_dispatch_ptr 0
		.amdhsa_user_sgpr_queue_ptr 0
		.amdhsa_user_sgpr_kernarg_segment_ptr 1
		.amdhsa_user_sgpr_dispatch_id 0
		.amdhsa_user_sgpr_private_segment_size 0
		.amdhsa_wavefront_size32 1
		.amdhsa_uses_dynamic_stack 0
		.amdhsa_enable_private_segment 0
		.amdhsa_system_sgpr_workgroup_id_x 1
		.amdhsa_system_sgpr_workgroup_id_y 0
		.amdhsa_system_sgpr_workgroup_id_z 0
		.amdhsa_system_sgpr_workgroup_info 0
		.amdhsa_system_vgpr_workitem_id 0
		.amdhsa_next_free_vgpr 1
		.amdhsa_next_free_sgpr 1
		.amdhsa_reserve_vcc 0
		.amdhsa_float_round_mode_32 0
		.amdhsa_float_round_mode_16_64 0
		.amdhsa_float_denorm_mode_32 3
		.amdhsa_float_denorm_mode_16_64 3
		.amdhsa_dx10_clamp 1
		.amdhsa_ieee_mode 1
		.amdhsa_fp16_overflow 0
		.amdhsa_workgroup_processor_mode 1
		.amdhsa_memory_ordered 1
		.amdhsa_forward_progress 0
		.amdhsa_shared_vgpr_count 0
		.amdhsa_exception_fp_ieee_invalid_op 0
		.amdhsa_exception_fp_denorm_src 0
		.amdhsa_exception_fp_ieee_div_zero 0
		.amdhsa_exception_fp_ieee_overflow 0
		.amdhsa_exception_fp_ieee_underflow 0
		.amdhsa_exception_fp_ieee_inexact 0
		.amdhsa_exception_int_div_zero 0
	.end_amdhsa_kernel
	.section	.text._ZN7rocprim17ROCPRIM_400000_NS6detail17trampoline_kernelINS0_14default_configENS1_25partition_config_selectorILNS1_17partition_subalgoE9EtjbEEZZNS1_14partition_implILS5_9ELb0ES3_jN6thrust23THRUST_200600_302600_NS6detail15normal_iteratorINS9_10device_ptrItEEEENSB_INSC_IjEEEEPNS0_10empty_typeENS0_5tupleIJNS9_16discard_iteratorINS9_11use_defaultEEESH_EEENSJ_IJSG_SI_EEENS0_18inequality_wrapperINS9_8equal_toItEEEEPmJSH_EEE10hipError_tPvRmT3_T4_T5_T6_T7_T9_mT8_P12ihipStream_tbDpT10_ENKUlT_T0_E_clISt17integral_constantIbLb1EES1C_IbLb0EEEEDaS18_S19_EUlS18_E_NS1_11comp_targetILNS1_3genE8ELNS1_11target_archE1030ELNS1_3gpuE2ELNS1_3repE0EEENS1_30default_config_static_selectorELNS0_4arch9wavefront6targetE0EEEvT1_,"axG",@progbits,_ZN7rocprim17ROCPRIM_400000_NS6detail17trampoline_kernelINS0_14default_configENS1_25partition_config_selectorILNS1_17partition_subalgoE9EtjbEEZZNS1_14partition_implILS5_9ELb0ES3_jN6thrust23THRUST_200600_302600_NS6detail15normal_iteratorINS9_10device_ptrItEEEENSB_INSC_IjEEEEPNS0_10empty_typeENS0_5tupleIJNS9_16discard_iteratorINS9_11use_defaultEEESH_EEENSJ_IJSG_SI_EEENS0_18inequality_wrapperINS9_8equal_toItEEEEPmJSH_EEE10hipError_tPvRmT3_T4_T5_T6_T7_T9_mT8_P12ihipStream_tbDpT10_ENKUlT_T0_E_clISt17integral_constantIbLb1EES1C_IbLb0EEEEDaS18_S19_EUlS18_E_NS1_11comp_targetILNS1_3genE8ELNS1_11target_archE1030ELNS1_3gpuE2ELNS1_3repE0EEENS1_30default_config_static_selectorELNS0_4arch9wavefront6targetE0EEEvT1_,comdat
.Lfunc_end972:
	.size	_ZN7rocprim17ROCPRIM_400000_NS6detail17trampoline_kernelINS0_14default_configENS1_25partition_config_selectorILNS1_17partition_subalgoE9EtjbEEZZNS1_14partition_implILS5_9ELb0ES3_jN6thrust23THRUST_200600_302600_NS6detail15normal_iteratorINS9_10device_ptrItEEEENSB_INSC_IjEEEEPNS0_10empty_typeENS0_5tupleIJNS9_16discard_iteratorINS9_11use_defaultEEESH_EEENSJ_IJSG_SI_EEENS0_18inequality_wrapperINS9_8equal_toItEEEEPmJSH_EEE10hipError_tPvRmT3_T4_T5_T6_T7_T9_mT8_P12ihipStream_tbDpT10_ENKUlT_T0_E_clISt17integral_constantIbLb1EES1C_IbLb0EEEEDaS18_S19_EUlS18_E_NS1_11comp_targetILNS1_3genE8ELNS1_11target_archE1030ELNS1_3gpuE2ELNS1_3repE0EEENS1_30default_config_static_selectorELNS0_4arch9wavefront6targetE0EEEvT1_, .Lfunc_end972-_ZN7rocprim17ROCPRIM_400000_NS6detail17trampoline_kernelINS0_14default_configENS1_25partition_config_selectorILNS1_17partition_subalgoE9EtjbEEZZNS1_14partition_implILS5_9ELb0ES3_jN6thrust23THRUST_200600_302600_NS6detail15normal_iteratorINS9_10device_ptrItEEEENSB_INSC_IjEEEEPNS0_10empty_typeENS0_5tupleIJNS9_16discard_iteratorINS9_11use_defaultEEESH_EEENSJ_IJSG_SI_EEENS0_18inequality_wrapperINS9_8equal_toItEEEEPmJSH_EEE10hipError_tPvRmT3_T4_T5_T6_T7_T9_mT8_P12ihipStream_tbDpT10_ENKUlT_T0_E_clISt17integral_constantIbLb1EES1C_IbLb0EEEEDaS18_S19_EUlS18_E_NS1_11comp_targetILNS1_3genE8ELNS1_11target_archE1030ELNS1_3gpuE2ELNS1_3repE0EEENS1_30default_config_static_selectorELNS0_4arch9wavefront6targetE0EEEvT1_
                                        ; -- End function
	.section	.AMDGPU.csdata,"",@progbits
; Kernel info:
; codeLenInByte = 0
; NumSgprs: 0
; NumVgprs: 0
; ScratchSize: 0
; MemoryBound: 0
; FloatMode: 240
; IeeeMode: 1
; LDSByteSize: 0 bytes/workgroup (compile time only)
; SGPRBlocks: 0
; VGPRBlocks: 0
; NumSGPRsForWavesPerEU: 1
; NumVGPRsForWavesPerEU: 1
; Occupancy: 16
; WaveLimiterHint : 0
; COMPUTE_PGM_RSRC2:SCRATCH_EN: 0
; COMPUTE_PGM_RSRC2:USER_SGPR: 15
; COMPUTE_PGM_RSRC2:TRAP_HANDLER: 0
; COMPUTE_PGM_RSRC2:TGID_X_EN: 1
; COMPUTE_PGM_RSRC2:TGID_Y_EN: 0
; COMPUTE_PGM_RSRC2:TGID_Z_EN: 0
; COMPUTE_PGM_RSRC2:TIDIG_COMP_CNT: 0
	.section	.text._ZN7rocprim17ROCPRIM_400000_NS6detail17trampoline_kernelINS0_14default_configENS1_25partition_config_selectorILNS1_17partition_subalgoE9EtjbEEZZNS1_14partition_implILS5_9ELb0ES3_jN6thrust23THRUST_200600_302600_NS6detail15normal_iteratorINS9_10device_ptrItEEEENSB_INSC_IjEEEEPNS0_10empty_typeENS0_5tupleIJNS9_16discard_iteratorINS9_11use_defaultEEESH_EEENSJ_IJSG_SI_EEENS0_18inequality_wrapperINS9_8equal_toItEEEEPmJSH_EEE10hipError_tPvRmT3_T4_T5_T6_T7_T9_mT8_P12ihipStream_tbDpT10_ENKUlT_T0_E_clISt17integral_constantIbLb0EES1C_IbLb1EEEEDaS18_S19_EUlS18_E_NS1_11comp_targetILNS1_3genE0ELNS1_11target_archE4294967295ELNS1_3gpuE0ELNS1_3repE0EEENS1_30default_config_static_selectorELNS0_4arch9wavefront6targetE0EEEvT1_,"axG",@progbits,_ZN7rocprim17ROCPRIM_400000_NS6detail17trampoline_kernelINS0_14default_configENS1_25partition_config_selectorILNS1_17partition_subalgoE9EtjbEEZZNS1_14partition_implILS5_9ELb0ES3_jN6thrust23THRUST_200600_302600_NS6detail15normal_iteratorINS9_10device_ptrItEEEENSB_INSC_IjEEEEPNS0_10empty_typeENS0_5tupleIJNS9_16discard_iteratorINS9_11use_defaultEEESH_EEENSJ_IJSG_SI_EEENS0_18inequality_wrapperINS9_8equal_toItEEEEPmJSH_EEE10hipError_tPvRmT3_T4_T5_T6_T7_T9_mT8_P12ihipStream_tbDpT10_ENKUlT_T0_E_clISt17integral_constantIbLb0EES1C_IbLb1EEEEDaS18_S19_EUlS18_E_NS1_11comp_targetILNS1_3genE0ELNS1_11target_archE4294967295ELNS1_3gpuE0ELNS1_3repE0EEENS1_30default_config_static_selectorELNS0_4arch9wavefront6targetE0EEEvT1_,comdat
	.protected	_ZN7rocprim17ROCPRIM_400000_NS6detail17trampoline_kernelINS0_14default_configENS1_25partition_config_selectorILNS1_17partition_subalgoE9EtjbEEZZNS1_14partition_implILS5_9ELb0ES3_jN6thrust23THRUST_200600_302600_NS6detail15normal_iteratorINS9_10device_ptrItEEEENSB_INSC_IjEEEEPNS0_10empty_typeENS0_5tupleIJNS9_16discard_iteratorINS9_11use_defaultEEESH_EEENSJ_IJSG_SI_EEENS0_18inequality_wrapperINS9_8equal_toItEEEEPmJSH_EEE10hipError_tPvRmT3_T4_T5_T6_T7_T9_mT8_P12ihipStream_tbDpT10_ENKUlT_T0_E_clISt17integral_constantIbLb0EES1C_IbLb1EEEEDaS18_S19_EUlS18_E_NS1_11comp_targetILNS1_3genE0ELNS1_11target_archE4294967295ELNS1_3gpuE0ELNS1_3repE0EEENS1_30default_config_static_selectorELNS0_4arch9wavefront6targetE0EEEvT1_ ; -- Begin function _ZN7rocprim17ROCPRIM_400000_NS6detail17trampoline_kernelINS0_14default_configENS1_25partition_config_selectorILNS1_17partition_subalgoE9EtjbEEZZNS1_14partition_implILS5_9ELb0ES3_jN6thrust23THRUST_200600_302600_NS6detail15normal_iteratorINS9_10device_ptrItEEEENSB_INSC_IjEEEEPNS0_10empty_typeENS0_5tupleIJNS9_16discard_iteratorINS9_11use_defaultEEESH_EEENSJ_IJSG_SI_EEENS0_18inequality_wrapperINS9_8equal_toItEEEEPmJSH_EEE10hipError_tPvRmT3_T4_T5_T6_T7_T9_mT8_P12ihipStream_tbDpT10_ENKUlT_T0_E_clISt17integral_constantIbLb0EES1C_IbLb1EEEEDaS18_S19_EUlS18_E_NS1_11comp_targetILNS1_3genE0ELNS1_11target_archE4294967295ELNS1_3gpuE0ELNS1_3repE0EEENS1_30default_config_static_selectorELNS0_4arch9wavefront6targetE0EEEvT1_
	.globl	_ZN7rocprim17ROCPRIM_400000_NS6detail17trampoline_kernelINS0_14default_configENS1_25partition_config_selectorILNS1_17partition_subalgoE9EtjbEEZZNS1_14partition_implILS5_9ELb0ES3_jN6thrust23THRUST_200600_302600_NS6detail15normal_iteratorINS9_10device_ptrItEEEENSB_INSC_IjEEEEPNS0_10empty_typeENS0_5tupleIJNS9_16discard_iteratorINS9_11use_defaultEEESH_EEENSJ_IJSG_SI_EEENS0_18inequality_wrapperINS9_8equal_toItEEEEPmJSH_EEE10hipError_tPvRmT3_T4_T5_T6_T7_T9_mT8_P12ihipStream_tbDpT10_ENKUlT_T0_E_clISt17integral_constantIbLb0EES1C_IbLb1EEEEDaS18_S19_EUlS18_E_NS1_11comp_targetILNS1_3genE0ELNS1_11target_archE4294967295ELNS1_3gpuE0ELNS1_3repE0EEENS1_30default_config_static_selectorELNS0_4arch9wavefront6targetE0EEEvT1_
	.p2align	8
	.type	_ZN7rocprim17ROCPRIM_400000_NS6detail17trampoline_kernelINS0_14default_configENS1_25partition_config_selectorILNS1_17partition_subalgoE9EtjbEEZZNS1_14partition_implILS5_9ELb0ES3_jN6thrust23THRUST_200600_302600_NS6detail15normal_iteratorINS9_10device_ptrItEEEENSB_INSC_IjEEEEPNS0_10empty_typeENS0_5tupleIJNS9_16discard_iteratorINS9_11use_defaultEEESH_EEENSJ_IJSG_SI_EEENS0_18inequality_wrapperINS9_8equal_toItEEEEPmJSH_EEE10hipError_tPvRmT3_T4_T5_T6_T7_T9_mT8_P12ihipStream_tbDpT10_ENKUlT_T0_E_clISt17integral_constantIbLb0EES1C_IbLb1EEEEDaS18_S19_EUlS18_E_NS1_11comp_targetILNS1_3genE0ELNS1_11target_archE4294967295ELNS1_3gpuE0ELNS1_3repE0EEENS1_30default_config_static_selectorELNS0_4arch9wavefront6targetE0EEEvT1_,@function
_ZN7rocprim17ROCPRIM_400000_NS6detail17trampoline_kernelINS0_14default_configENS1_25partition_config_selectorILNS1_17partition_subalgoE9EtjbEEZZNS1_14partition_implILS5_9ELb0ES3_jN6thrust23THRUST_200600_302600_NS6detail15normal_iteratorINS9_10device_ptrItEEEENSB_INSC_IjEEEEPNS0_10empty_typeENS0_5tupleIJNS9_16discard_iteratorINS9_11use_defaultEEESH_EEENSJ_IJSG_SI_EEENS0_18inequality_wrapperINS9_8equal_toItEEEEPmJSH_EEE10hipError_tPvRmT3_T4_T5_T6_T7_T9_mT8_P12ihipStream_tbDpT10_ENKUlT_T0_E_clISt17integral_constantIbLb0EES1C_IbLb1EEEEDaS18_S19_EUlS18_E_NS1_11comp_targetILNS1_3genE0ELNS1_11target_archE4294967295ELNS1_3gpuE0ELNS1_3repE0EEENS1_30default_config_static_selectorELNS0_4arch9wavefront6targetE0EEEvT1_: ; @_ZN7rocprim17ROCPRIM_400000_NS6detail17trampoline_kernelINS0_14default_configENS1_25partition_config_selectorILNS1_17partition_subalgoE9EtjbEEZZNS1_14partition_implILS5_9ELb0ES3_jN6thrust23THRUST_200600_302600_NS6detail15normal_iteratorINS9_10device_ptrItEEEENSB_INSC_IjEEEEPNS0_10empty_typeENS0_5tupleIJNS9_16discard_iteratorINS9_11use_defaultEEESH_EEENSJ_IJSG_SI_EEENS0_18inequality_wrapperINS9_8equal_toItEEEEPmJSH_EEE10hipError_tPvRmT3_T4_T5_T6_T7_T9_mT8_P12ihipStream_tbDpT10_ENKUlT_T0_E_clISt17integral_constantIbLb0EES1C_IbLb1EEEEDaS18_S19_EUlS18_E_NS1_11comp_targetILNS1_3genE0ELNS1_11target_archE4294967295ELNS1_3gpuE0ELNS1_3repE0EEENS1_30default_config_static_selectorELNS0_4arch9wavefront6targetE0EEEvT1_
; %bb.0:
	.section	.rodata,"a",@progbits
	.p2align	6, 0x0
	.amdhsa_kernel _ZN7rocprim17ROCPRIM_400000_NS6detail17trampoline_kernelINS0_14default_configENS1_25partition_config_selectorILNS1_17partition_subalgoE9EtjbEEZZNS1_14partition_implILS5_9ELb0ES3_jN6thrust23THRUST_200600_302600_NS6detail15normal_iteratorINS9_10device_ptrItEEEENSB_INSC_IjEEEEPNS0_10empty_typeENS0_5tupleIJNS9_16discard_iteratorINS9_11use_defaultEEESH_EEENSJ_IJSG_SI_EEENS0_18inequality_wrapperINS9_8equal_toItEEEEPmJSH_EEE10hipError_tPvRmT3_T4_T5_T6_T7_T9_mT8_P12ihipStream_tbDpT10_ENKUlT_T0_E_clISt17integral_constantIbLb0EES1C_IbLb1EEEEDaS18_S19_EUlS18_E_NS1_11comp_targetILNS1_3genE0ELNS1_11target_archE4294967295ELNS1_3gpuE0ELNS1_3repE0EEENS1_30default_config_static_selectorELNS0_4arch9wavefront6targetE0EEEvT1_
		.amdhsa_group_segment_fixed_size 0
		.amdhsa_private_segment_fixed_size 0
		.amdhsa_kernarg_size 136
		.amdhsa_user_sgpr_count 15
		.amdhsa_user_sgpr_dispatch_ptr 0
		.amdhsa_user_sgpr_queue_ptr 0
		.amdhsa_user_sgpr_kernarg_segment_ptr 1
		.amdhsa_user_sgpr_dispatch_id 0
		.amdhsa_user_sgpr_private_segment_size 0
		.amdhsa_wavefront_size32 1
		.amdhsa_uses_dynamic_stack 0
		.amdhsa_enable_private_segment 0
		.amdhsa_system_sgpr_workgroup_id_x 1
		.amdhsa_system_sgpr_workgroup_id_y 0
		.amdhsa_system_sgpr_workgroup_id_z 0
		.amdhsa_system_sgpr_workgroup_info 0
		.amdhsa_system_vgpr_workitem_id 0
		.amdhsa_next_free_vgpr 1
		.amdhsa_next_free_sgpr 1
		.amdhsa_reserve_vcc 0
		.amdhsa_float_round_mode_32 0
		.amdhsa_float_round_mode_16_64 0
		.amdhsa_float_denorm_mode_32 3
		.amdhsa_float_denorm_mode_16_64 3
		.amdhsa_dx10_clamp 1
		.amdhsa_ieee_mode 1
		.amdhsa_fp16_overflow 0
		.amdhsa_workgroup_processor_mode 1
		.amdhsa_memory_ordered 1
		.amdhsa_forward_progress 0
		.amdhsa_shared_vgpr_count 0
		.amdhsa_exception_fp_ieee_invalid_op 0
		.amdhsa_exception_fp_denorm_src 0
		.amdhsa_exception_fp_ieee_div_zero 0
		.amdhsa_exception_fp_ieee_overflow 0
		.amdhsa_exception_fp_ieee_underflow 0
		.amdhsa_exception_fp_ieee_inexact 0
		.amdhsa_exception_int_div_zero 0
	.end_amdhsa_kernel
	.section	.text._ZN7rocprim17ROCPRIM_400000_NS6detail17trampoline_kernelINS0_14default_configENS1_25partition_config_selectorILNS1_17partition_subalgoE9EtjbEEZZNS1_14partition_implILS5_9ELb0ES3_jN6thrust23THRUST_200600_302600_NS6detail15normal_iteratorINS9_10device_ptrItEEEENSB_INSC_IjEEEEPNS0_10empty_typeENS0_5tupleIJNS9_16discard_iteratorINS9_11use_defaultEEESH_EEENSJ_IJSG_SI_EEENS0_18inequality_wrapperINS9_8equal_toItEEEEPmJSH_EEE10hipError_tPvRmT3_T4_T5_T6_T7_T9_mT8_P12ihipStream_tbDpT10_ENKUlT_T0_E_clISt17integral_constantIbLb0EES1C_IbLb1EEEEDaS18_S19_EUlS18_E_NS1_11comp_targetILNS1_3genE0ELNS1_11target_archE4294967295ELNS1_3gpuE0ELNS1_3repE0EEENS1_30default_config_static_selectorELNS0_4arch9wavefront6targetE0EEEvT1_,"axG",@progbits,_ZN7rocprim17ROCPRIM_400000_NS6detail17trampoline_kernelINS0_14default_configENS1_25partition_config_selectorILNS1_17partition_subalgoE9EtjbEEZZNS1_14partition_implILS5_9ELb0ES3_jN6thrust23THRUST_200600_302600_NS6detail15normal_iteratorINS9_10device_ptrItEEEENSB_INSC_IjEEEEPNS0_10empty_typeENS0_5tupleIJNS9_16discard_iteratorINS9_11use_defaultEEESH_EEENSJ_IJSG_SI_EEENS0_18inequality_wrapperINS9_8equal_toItEEEEPmJSH_EEE10hipError_tPvRmT3_T4_T5_T6_T7_T9_mT8_P12ihipStream_tbDpT10_ENKUlT_T0_E_clISt17integral_constantIbLb0EES1C_IbLb1EEEEDaS18_S19_EUlS18_E_NS1_11comp_targetILNS1_3genE0ELNS1_11target_archE4294967295ELNS1_3gpuE0ELNS1_3repE0EEENS1_30default_config_static_selectorELNS0_4arch9wavefront6targetE0EEEvT1_,comdat
.Lfunc_end973:
	.size	_ZN7rocprim17ROCPRIM_400000_NS6detail17trampoline_kernelINS0_14default_configENS1_25partition_config_selectorILNS1_17partition_subalgoE9EtjbEEZZNS1_14partition_implILS5_9ELb0ES3_jN6thrust23THRUST_200600_302600_NS6detail15normal_iteratorINS9_10device_ptrItEEEENSB_INSC_IjEEEEPNS0_10empty_typeENS0_5tupleIJNS9_16discard_iteratorINS9_11use_defaultEEESH_EEENSJ_IJSG_SI_EEENS0_18inequality_wrapperINS9_8equal_toItEEEEPmJSH_EEE10hipError_tPvRmT3_T4_T5_T6_T7_T9_mT8_P12ihipStream_tbDpT10_ENKUlT_T0_E_clISt17integral_constantIbLb0EES1C_IbLb1EEEEDaS18_S19_EUlS18_E_NS1_11comp_targetILNS1_3genE0ELNS1_11target_archE4294967295ELNS1_3gpuE0ELNS1_3repE0EEENS1_30default_config_static_selectorELNS0_4arch9wavefront6targetE0EEEvT1_, .Lfunc_end973-_ZN7rocprim17ROCPRIM_400000_NS6detail17trampoline_kernelINS0_14default_configENS1_25partition_config_selectorILNS1_17partition_subalgoE9EtjbEEZZNS1_14partition_implILS5_9ELb0ES3_jN6thrust23THRUST_200600_302600_NS6detail15normal_iteratorINS9_10device_ptrItEEEENSB_INSC_IjEEEEPNS0_10empty_typeENS0_5tupleIJNS9_16discard_iteratorINS9_11use_defaultEEESH_EEENSJ_IJSG_SI_EEENS0_18inequality_wrapperINS9_8equal_toItEEEEPmJSH_EEE10hipError_tPvRmT3_T4_T5_T6_T7_T9_mT8_P12ihipStream_tbDpT10_ENKUlT_T0_E_clISt17integral_constantIbLb0EES1C_IbLb1EEEEDaS18_S19_EUlS18_E_NS1_11comp_targetILNS1_3genE0ELNS1_11target_archE4294967295ELNS1_3gpuE0ELNS1_3repE0EEENS1_30default_config_static_selectorELNS0_4arch9wavefront6targetE0EEEvT1_
                                        ; -- End function
	.section	.AMDGPU.csdata,"",@progbits
; Kernel info:
; codeLenInByte = 0
; NumSgprs: 0
; NumVgprs: 0
; ScratchSize: 0
; MemoryBound: 0
; FloatMode: 240
; IeeeMode: 1
; LDSByteSize: 0 bytes/workgroup (compile time only)
; SGPRBlocks: 0
; VGPRBlocks: 0
; NumSGPRsForWavesPerEU: 1
; NumVGPRsForWavesPerEU: 1
; Occupancy: 16
; WaveLimiterHint : 0
; COMPUTE_PGM_RSRC2:SCRATCH_EN: 0
; COMPUTE_PGM_RSRC2:USER_SGPR: 15
; COMPUTE_PGM_RSRC2:TRAP_HANDLER: 0
; COMPUTE_PGM_RSRC2:TGID_X_EN: 1
; COMPUTE_PGM_RSRC2:TGID_Y_EN: 0
; COMPUTE_PGM_RSRC2:TGID_Z_EN: 0
; COMPUTE_PGM_RSRC2:TIDIG_COMP_CNT: 0
	.section	.text._ZN7rocprim17ROCPRIM_400000_NS6detail17trampoline_kernelINS0_14default_configENS1_25partition_config_selectorILNS1_17partition_subalgoE9EtjbEEZZNS1_14partition_implILS5_9ELb0ES3_jN6thrust23THRUST_200600_302600_NS6detail15normal_iteratorINS9_10device_ptrItEEEENSB_INSC_IjEEEEPNS0_10empty_typeENS0_5tupleIJNS9_16discard_iteratorINS9_11use_defaultEEESH_EEENSJ_IJSG_SI_EEENS0_18inequality_wrapperINS9_8equal_toItEEEEPmJSH_EEE10hipError_tPvRmT3_T4_T5_T6_T7_T9_mT8_P12ihipStream_tbDpT10_ENKUlT_T0_E_clISt17integral_constantIbLb0EES1C_IbLb1EEEEDaS18_S19_EUlS18_E_NS1_11comp_targetILNS1_3genE5ELNS1_11target_archE942ELNS1_3gpuE9ELNS1_3repE0EEENS1_30default_config_static_selectorELNS0_4arch9wavefront6targetE0EEEvT1_,"axG",@progbits,_ZN7rocprim17ROCPRIM_400000_NS6detail17trampoline_kernelINS0_14default_configENS1_25partition_config_selectorILNS1_17partition_subalgoE9EtjbEEZZNS1_14partition_implILS5_9ELb0ES3_jN6thrust23THRUST_200600_302600_NS6detail15normal_iteratorINS9_10device_ptrItEEEENSB_INSC_IjEEEEPNS0_10empty_typeENS0_5tupleIJNS9_16discard_iteratorINS9_11use_defaultEEESH_EEENSJ_IJSG_SI_EEENS0_18inequality_wrapperINS9_8equal_toItEEEEPmJSH_EEE10hipError_tPvRmT3_T4_T5_T6_T7_T9_mT8_P12ihipStream_tbDpT10_ENKUlT_T0_E_clISt17integral_constantIbLb0EES1C_IbLb1EEEEDaS18_S19_EUlS18_E_NS1_11comp_targetILNS1_3genE5ELNS1_11target_archE942ELNS1_3gpuE9ELNS1_3repE0EEENS1_30default_config_static_selectorELNS0_4arch9wavefront6targetE0EEEvT1_,comdat
	.protected	_ZN7rocprim17ROCPRIM_400000_NS6detail17trampoline_kernelINS0_14default_configENS1_25partition_config_selectorILNS1_17partition_subalgoE9EtjbEEZZNS1_14partition_implILS5_9ELb0ES3_jN6thrust23THRUST_200600_302600_NS6detail15normal_iteratorINS9_10device_ptrItEEEENSB_INSC_IjEEEEPNS0_10empty_typeENS0_5tupleIJNS9_16discard_iteratorINS9_11use_defaultEEESH_EEENSJ_IJSG_SI_EEENS0_18inequality_wrapperINS9_8equal_toItEEEEPmJSH_EEE10hipError_tPvRmT3_T4_T5_T6_T7_T9_mT8_P12ihipStream_tbDpT10_ENKUlT_T0_E_clISt17integral_constantIbLb0EES1C_IbLb1EEEEDaS18_S19_EUlS18_E_NS1_11comp_targetILNS1_3genE5ELNS1_11target_archE942ELNS1_3gpuE9ELNS1_3repE0EEENS1_30default_config_static_selectorELNS0_4arch9wavefront6targetE0EEEvT1_ ; -- Begin function _ZN7rocprim17ROCPRIM_400000_NS6detail17trampoline_kernelINS0_14default_configENS1_25partition_config_selectorILNS1_17partition_subalgoE9EtjbEEZZNS1_14partition_implILS5_9ELb0ES3_jN6thrust23THRUST_200600_302600_NS6detail15normal_iteratorINS9_10device_ptrItEEEENSB_INSC_IjEEEEPNS0_10empty_typeENS0_5tupleIJNS9_16discard_iteratorINS9_11use_defaultEEESH_EEENSJ_IJSG_SI_EEENS0_18inequality_wrapperINS9_8equal_toItEEEEPmJSH_EEE10hipError_tPvRmT3_T4_T5_T6_T7_T9_mT8_P12ihipStream_tbDpT10_ENKUlT_T0_E_clISt17integral_constantIbLb0EES1C_IbLb1EEEEDaS18_S19_EUlS18_E_NS1_11comp_targetILNS1_3genE5ELNS1_11target_archE942ELNS1_3gpuE9ELNS1_3repE0EEENS1_30default_config_static_selectorELNS0_4arch9wavefront6targetE0EEEvT1_
	.globl	_ZN7rocprim17ROCPRIM_400000_NS6detail17trampoline_kernelINS0_14default_configENS1_25partition_config_selectorILNS1_17partition_subalgoE9EtjbEEZZNS1_14partition_implILS5_9ELb0ES3_jN6thrust23THRUST_200600_302600_NS6detail15normal_iteratorINS9_10device_ptrItEEEENSB_INSC_IjEEEEPNS0_10empty_typeENS0_5tupleIJNS9_16discard_iteratorINS9_11use_defaultEEESH_EEENSJ_IJSG_SI_EEENS0_18inequality_wrapperINS9_8equal_toItEEEEPmJSH_EEE10hipError_tPvRmT3_T4_T5_T6_T7_T9_mT8_P12ihipStream_tbDpT10_ENKUlT_T0_E_clISt17integral_constantIbLb0EES1C_IbLb1EEEEDaS18_S19_EUlS18_E_NS1_11comp_targetILNS1_3genE5ELNS1_11target_archE942ELNS1_3gpuE9ELNS1_3repE0EEENS1_30default_config_static_selectorELNS0_4arch9wavefront6targetE0EEEvT1_
	.p2align	8
	.type	_ZN7rocprim17ROCPRIM_400000_NS6detail17trampoline_kernelINS0_14default_configENS1_25partition_config_selectorILNS1_17partition_subalgoE9EtjbEEZZNS1_14partition_implILS5_9ELb0ES3_jN6thrust23THRUST_200600_302600_NS6detail15normal_iteratorINS9_10device_ptrItEEEENSB_INSC_IjEEEEPNS0_10empty_typeENS0_5tupleIJNS9_16discard_iteratorINS9_11use_defaultEEESH_EEENSJ_IJSG_SI_EEENS0_18inequality_wrapperINS9_8equal_toItEEEEPmJSH_EEE10hipError_tPvRmT3_T4_T5_T6_T7_T9_mT8_P12ihipStream_tbDpT10_ENKUlT_T0_E_clISt17integral_constantIbLb0EES1C_IbLb1EEEEDaS18_S19_EUlS18_E_NS1_11comp_targetILNS1_3genE5ELNS1_11target_archE942ELNS1_3gpuE9ELNS1_3repE0EEENS1_30default_config_static_selectorELNS0_4arch9wavefront6targetE0EEEvT1_,@function
_ZN7rocprim17ROCPRIM_400000_NS6detail17trampoline_kernelINS0_14default_configENS1_25partition_config_selectorILNS1_17partition_subalgoE9EtjbEEZZNS1_14partition_implILS5_9ELb0ES3_jN6thrust23THRUST_200600_302600_NS6detail15normal_iteratorINS9_10device_ptrItEEEENSB_INSC_IjEEEEPNS0_10empty_typeENS0_5tupleIJNS9_16discard_iteratorINS9_11use_defaultEEESH_EEENSJ_IJSG_SI_EEENS0_18inequality_wrapperINS9_8equal_toItEEEEPmJSH_EEE10hipError_tPvRmT3_T4_T5_T6_T7_T9_mT8_P12ihipStream_tbDpT10_ENKUlT_T0_E_clISt17integral_constantIbLb0EES1C_IbLb1EEEEDaS18_S19_EUlS18_E_NS1_11comp_targetILNS1_3genE5ELNS1_11target_archE942ELNS1_3gpuE9ELNS1_3repE0EEENS1_30default_config_static_selectorELNS0_4arch9wavefront6targetE0EEEvT1_: ; @_ZN7rocprim17ROCPRIM_400000_NS6detail17trampoline_kernelINS0_14default_configENS1_25partition_config_selectorILNS1_17partition_subalgoE9EtjbEEZZNS1_14partition_implILS5_9ELb0ES3_jN6thrust23THRUST_200600_302600_NS6detail15normal_iteratorINS9_10device_ptrItEEEENSB_INSC_IjEEEEPNS0_10empty_typeENS0_5tupleIJNS9_16discard_iteratorINS9_11use_defaultEEESH_EEENSJ_IJSG_SI_EEENS0_18inequality_wrapperINS9_8equal_toItEEEEPmJSH_EEE10hipError_tPvRmT3_T4_T5_T6_T7_T9_mT8_P12ihipStream_tbDpT10_ENKUlT_T0_E_clISt17integral_constantIbLb0EES1C_IbLb1EEEEDaS18_S19_EUlS18_E_NS1_11comp_targetILNS1_3genE5ELNS1_11target_archE942ELNS1_3gpuE9ELNS1_3repE0EEENS1_30default_config_static_selectorELNS0_4arch9wavefront6targetE0EEEvT1_
; %bb.0:
	.section	.rodata,"a",@progbits
	.p2align	6, 0x0
	.amdhsa_kernel _ZN7rocprim17ROCPRIM_400000_NS6detail17trampoline_kernelINS0_14default_configENS1_25partition_config_selectorILNS1_17partition_subalgoE9EtjbEEZZNS1_14partition_implILS5_9ELb0ES3_jN6thrust23THRUST_200600_302600_NS6detail15normal_iteratorINS9_10device_ptrItEEEENSB_INSC_IjEEEEPNS0_10empty_typeENS0_5tupleIJNS9_16discard_iteratorINS9_11use_defaultEEESH_EEENSJ_IJSG_SI_EEENS0_18inequality_wrapperINS9_8equal_toItEEEEPmJSH_EEE10hipError_tPvRmT3_T4_T5_T6_T7_T9_mT8_P12ihipStream_tbDpT10_ENKUlT_T0_E_clISt17integral_constantIbLb0EES1C_IbLb1EEEEDaS18_S19_EUlS18_E_NS1_11comp_targetILNS1_3genE5ELNS1_11target_archE942ELNS1_3gpuE9ELNS1_3repE0EEENS1_30default_config_static_selectorELNS0_4arch9wavefront6targetE0EEEvT1_
		.amdhsa_group_segment_fixed_size 0
		.amdhsa_private_segment_fixed_size 0
		.amdhsa_kernarg_size 136
		.amdhsa_user_sgpr_count 15
		.amdhsa_user_sgpr_dispatch_ptr 0
		.amdhsa_user_sgpr_queue_ptr 0
		.amdhsa_user_sgpr_kernarg_segment_ptr 1
		.amdhsa_user_sgpr_dispatch_id 0
		.amdhsa_user_sgpr_private_segment_size 0
		.amdhsa_wavefront_size32 1
		.amdhsa_uses_dynamic_stack 0
		.amdhsa_enable_private_segment 0
		.amdhsa_system_sgpr_workgroup_id_x 1
		.amdhsa_system_sgpr_workgroup_id_y 0
		.amdhsa_system_sgpr_workgroup_id_z 0
		.amdhsa_system_sgpr_workgroup_info 0
		.amdhsa_system_vgpr_workitem_id 0
		.amdhsa_next_free_vgpr 1
		.amdhsa_next_free_sgpr 1
		.amdhsa_reserve_vcc 0
		.amdhsa_float_round_mode_32 0
		.amdhsa_float_round_mode_16_64 0
		.amdhsa_float_denorm_mode_32 3
		.amdhsa_float_denorm_mode_16_64 3
		.amdhsa_dx10_clamp 1
		.amdhsa_ieee_mode 1
		.amdhsa_fp16_overflow 0
		.amdhsa_workgroup_processor_mode 1
		.amdhsa_memory_ordered 1
		.amdhsa_forward_progress 0
		.amdhsa_shared_vgpr_count 0
		.amdhsa_exception_fp_ieee_invalid_op 0
		.amdhsa_exception_fp_denorm_src 0
		.amdhsa_exception_fp_ieee_div_zero 0
		.amdhsa_exception_fp_ieee_overflow 0
		.amdhsa_exception_fp_ieee_underflow 0
		.amdhsa_exception_fp_ieee_inexact 0
		.amdhsa_exception_int_div_zero 0
	.end_amdhsa_kernel
	.section	.text._ZN7rocprim17ROCPRIM_400000_NS6detail17trampoline_kernelINS0_14default_configENS1_25partition_config_selectorILNS1_17partition_subalgoE9EtjbEEZZNS1_14partition_implILS5_9ELb0ES3_jN6thrust23THRUST_200600_302600_NS6detail15normal_iteratorINS9_10device_ptrItEEEENSB_INSC_IjEEEEPNS0_10empty_typeENS0_5tupleIJNS9_16discard_iteratorINS9_11use_defaultEEESH_EEENSJ_IJSG_SI_EEENS0_18inequality_wrapperINS9_8equal_toItEEEEPmJSH_EEE10hipError_tPvRmT3_T4_T5_T6_T7_T9_mT8_P12ihipStream_tbDpT10_ENKUlT_T0_E_clISt17integral_constantIbLb0EES1C_IbLb1EEEEDaS18_S19_EUlS18_E_NS1_11comp_targetILNS1_3genE5ELNS1_11target_archE942ELNS1_3gpuE9ELNS1_3repE0EEENS1_30default_config_static_selectorELNS0_4arch9wavefront6targetE0EEEvT1_,"axG",@progbits,_ZN7rocprim17ROCPRIM_400000_NS6detail17trampoline_kernelINS0_14default_configENS1_25partition_config_selectorILNS1_17partition_subalgoE9EtjbEEZZNS1_14partition_implILS5_9ELb0ES3_jN6thrust23THRUST_200600_302600_NS6detail15normal_iteratorINS9_10device_ptrItEEEENSB_INSC_IjEEEEPNS0_10empty_typeENS0_5tupleIJNS9_16discard_iteratorINS9_11use_defaultEEESH_EEENSJ_IJSG_SI_EEENS0_18inequality_wrapperINS9_8equal_toItEEEEPmJSH_EEE10hipError_tPvRmT3_T4_T5_T6_T7_T9_mT8_P12ihipStream_tbDpT10_ENKUlT_T0_E_clISt17integral_constantIbLb0EES1C_IbLb1EEEEDaS18_S19_EUlS18_E_NS1_11comp_targetILNS1_3genE5ELNS1_11target_archE942ELNS1_3gpuE9ELNS1_3repE0EEENS1_30default_config_static_selectorELNS0_4arch9wavefront6targetE0EEEvT1_,comdat
.Lfunc_end974:
	.size	_ZN7rocprim17ROCPRIM_400000_NS6detail17trampoline_kernelINS0_14default_configENS1_25partition_config_selectorILNS1_17partition_subalgoE9EtjbEEZZNS1_14partition_implILS5_9ELb0ES3_jN6thrust23THRUST_200600_302600_NS6detail15normal_iteratorINS9_10device_ptrItEEEENSB_INSC_IjEEEEPNS0_10empty_typeENS0_5tupleIJNS9_16discard_iteratorINS9_11use_defaultEEESH_EEENSJ_IJSG_SI_EEENS0_18inequality_wrapperINS9_8equal_toItEEEEPmJSH_EEE10hipError_tPvRmT3_T4_T5_T6_T7_T9_mT8_P12ihipStream_tbDpT10_ENKUlT_T0_E_clISt17integral_constantIbLb0EES1C_IbLb1EEEEDaS18_S19_EUlS18_E_NS1_11comp_targetILNS1_3genE5ELNS1_11target_archE942ELNS1_3gpuE9ELNS1_3repE0EEENS1_30default_config_static_selectorELNS0_4arch9wavefront6targetE0EEEvT1_, .Lfunc_end974-_ZN7rocprim17ROCPRIM_400000_NS6detail17trampoline_kernelINS0_14default_configENS1_25partition_config_selectorILNS1_17partition_subalgoE9EtjbEEZZNS1_14partition_implILS5_9ELb0ES3_jN6thrust23THRUST_200600_302600_NS6detail15normal_iteratorINS9_10device_ptrItEEEENSB_INSC_IjEEEEPNS0_10empty_typeENS0_5tupleIJNS9_16discard_iteratorINS9_11use_defaultEEESH_EEENSJ_IJSG_SI_EEENS0_18inequality_wrapperINS9_8equal_toItEEEEPmJSH_EEE10hipError_tPvRmT3_T4_T5_T6_T7_T9_mT8_P12ihipStream_tbDpT10_ENKUlT_T0_E_clISt17integral_constantIbLb0EES1C_IbLb1EEEEDaS18_S19_EUlS18_E_NS1_11comp_targetILNS1_3genE5ELNS1_11target_archE942ELNS1_3gpuE9ELNS1_3repE0EEENS1_30default_config_static_selectorELNS0_4arch9wavefront6targetE0EEEvT1_
                                        ; -- End function
	.section	.AMDGPU.csdata,"",@progbits
; Kernel info:
; codeLenInByte = 0
; NumSgprs: 0
; NumVgprs: 0
; ScratchSize: 0
; MemoryBound: 0
; FloatMode: 240
; IeeeMode: 1
; LDSByteSize: 0 bytes/workgroup (compile time only)
; SGPRBlocks: 0
; VGPRBlocks: 0
; NumSGPRsForWavesPerEU: 1
; NumVGPRsForWavesPerEU: 1
; Occupancy: 16
; WaveLimiterHint : 0
; COMPUTE_PGM_RSRC2:SCRATCH_EN: 0
; COMPUTE_PGM_RSRC2:USER_SGPR: 15
; COMPUTE_PGM_RSRC2:TRAP_HANDLER: 0
; COMPUTE_PGM_RSRC2:TGID_X_EN: 1
; COMPUTE_PGM_RSRC2:TGID_Y_EN: 0
; COMPUTE_PGM_RSRC2:TGID_Z_EN: 0
; COMPUTE_PGM_RSRC2:TIDIG_COMP_CNT: 0
	.section	.text._ZN7rocprim17ROCPRIM_400000_NS6detail17trampoline_kernelINS0_14default_configENS1_25partition_config_selectorILNS1_17partition_subalgoE9EtjbEEZZNS1_14partition_implILS5_9ELb0ES3_jN6thrust23THRUST_200600_302600_NS6detail15normal_iteratorINS9_10device_ptrItEEEENSB_INSC_IjEEEEPNS0_10empty_typeENS0_5tupleIJNS9_16discard_iteratorINS9_11use_defaultEEESH_EEENSJ_IJSG_SI_EEENS0_18inequality_wrapperINS9_8equal_toItEEEEPmJSH_EEE10hipError_tPvRmT3_T4_T5_T6_T7_T9_mT8_P12ihipStream_tbDpT10_ENKUlT_T0_E_clISt17integral_constantIbLb0EES1C_IbLb1EEEEDaS18_S19_EUlS18_E_NS1_11comp_targetILNS1_3genE4ELNS1_11target_archE910ELNS1_3gpuE8ELNS1_3repE0EEENS1_30default_config_static_selectorELNS0_4arch9wavefront6targetE0EEEvT1_,"axG",@progbits,_ZN7rocprim17ROCPRIM_400000_NS6detail17trampoline_kernelINS0_14default_configENS1_25partition_config_selectorILNS1_17partition_subalgoE9EtjbEEZZNS1_14partition_implILS5_9ELb0ES3_jN6thrust23THRUST_200600_302600_NS6detail15normal_iteratorINS9_10device_ptrItEEEENSB_INSC_IjEEEEPNS0_10empty_typeENS0_5tupleIJNS9_16discard_iteratorINS9_11use_defaultEEESH_EEENSJ_IJSG_SI_EEENS0_18inequality_wrapperINS9_8equal_toItEEEEPmJSH_EEE10hipError_tPvRmT3_T4_T5_T6_T7_T9_mT8_P12ihipStream_tbDpT10_ENKUlT_T0_E_clISt17integral_constantIbLb0EES1C_IbLb1EEEEDaS18_S19_EUlS18_E_NS1_11comp_targetILNS1_3genE4ELNS1_11target_archE910ELNS1_3gpuE8ELNS1_3repE0EEENS1_30default_config_static_selectorELNS0_4arch9wavefront6targetE0EEEvT1_,comdat
	.protected	_ZN7rocprim17ROCPRIM_400000_NS6detail17trampoline_kernelINS0_14default_configENS1_25partition_config_selectorILNS1_17partition_subalgoE9EtjbEEZZNS1_14partition_implILS5_9ELb0ES3_jN6thrust23THRUST_200600_302600_NS6detail15normal_iteratorINS9_10device_ptrItEEEENSB_INSC_IjEEEEPNS0_10empty_typeENS0_5tupleIJNS9_16discard_iteratorINS9_11use_defaultEEESH_EEENSJ_IJSG_SI_EEENS0_18inequality_wrapperINS9_8equal_toItEEEEPmJSH_EEE10hipError_tPvRmT3_T4_T5_T6_T7_T9_mT8_P12ihipStream_tbDpT10_ENKUlT_T0_E_clISt17integral_constantIbLb0EES1C_IbLb1EEEEDaS18_S19_EUlS18_E_NS1_11comp_targetILNS1_3genE4ELNS1_11target_archE910ELNS1_3gpuE8ELNS1_3repE0EEENS1_30default_config_static_selectorELNS0_4arch9wavefront6targetE0EEEvT1_ ; -- Begin function _ZN7rocprim17ROCPRIM_400000_NS6detail17trampoline_kernelINS0_14default_configENS1_25partition_config_selectorILNS1_17partition_subalgoE9EtjbEEZZNS1_14partition_implILS5_9ELb0ES3_jN6thrust23THRUST_200600_302600_NS6detail15normal_iteratorINS9_10device_ptrItEEEENSB_INSC_IjEEEEPNS0_10empty_typeENS0_5tupleIJNS9_16discard_iteratorINS9_11use_defaultEEESH_EEENSJ_IJSG_SI_EEENS0_18inequality_wrapperINS9_8equal_toItEEEEPmJSH_EEE10hipError_tPvRmT3_T4_T5_T6_T7_T9_mT8_P12ihipStream_tbDpT10_ENKUlT_T0_E_clISt17integral_constantIbLb0EES1C_IbLb1EEEEDaS18_S19_EUlS18_E_NS1_11comp_targetILNS1_3genE4ELNS1_11target_archE910ELNS1_3gpuE8ELNS1_3repE0EEENS1_30default_config_static_selectorELNS0_4arch9wavefront6targetE0EEEvT1_
	.globl	_ZN7rocprim17ROCPRIM_400000_NS6detail17trampoline_kernelINS0_14default_configENS1_25partition_config_selectorILNS1_17partition_subalgoE9EtjbEEZZNS1_14partition_implILS5_9ELb0ES3_jN6thrust23THRUST_200600_302600_NS6detail15normal_iteratorINS9_10device_ptrItEEEENSB_INSC_IjEEEEPNS0_10empty_typeENS0_5tupleIJNS9_16discard_iteratorINS9_11use_defaultEEESH_EEENSJ_IJSG_SI_EEENS0_18inequality_wrapperINS9_8equal_toItEEEEPmJSH_EEE10hipError_tPvRmT3_T4_T5_T6_T7_T9_mT8_P12ihipStream_tbDpT10_ENKUlT_T0_E_clISt17integral_constantIbLb0EES1C_IbLb1EEEEDaS18_S19_EUlS18_E_NS1_11comp_targetILNS1_3genE4ELNS1_11target_archE910ELNS1_3gpuE8ELNS1_3repE0EEENS1_30default_config_static_selectorELNS0_4arch9wavefront6targetE0EEEvT1_
	.p2align	8
	.type	_ZN7rocprim17ROCPRIM_400000_NS6detail17trampoline_kernelINS0_14default_configENS1_25partition_config_selectorILNS1_17partition_subalgoE9EtjbEEZZNS1_14partition_implILS5_9ELb0ES3_jN6thrust23THRUST_200600_302600_NS6detail15normal_iteratorINS9_10device_ptrItEEEENSB_INSC_IjEEEEPNS0_10empty_typeENS0_5tupleIJNS9_16discard_iteratorINS9_11use_defaultEEESH_EEENSJ_IJSG_SI_EEENS0_18inequality_wrapperINS9_8equal_toItEEEEPmJSH_EEE10hipError_tPvRmT3_T4_T5_T6_T7_T9_mT8_P12ihipStream_tbDpT10_ENKUlT_T0_E_clISt17integral_constantIbLb0EES1C_IbLb1EEEEDaS18_S19_EUlS18_E_NS1_11comp_targetILNS1_3genE4ELNS1_11target_archE910ELNS1_3gpuE8ELNS1_3repE0EEENS1_30default_config_static_selectorELNS0_4arch9wavefront6targetE0EEEvT1_,@function
_ZN7rocprim17ROCPRIM_400000_NS6detail17trampoline_kernelINS0_14default_configENS1_25partition_config_selectorILNS1_17partition_subalgoE9EtjbEEZZNS1_14partition_implILS5_9ELb0ES3_jN6thrust23THRUST_200600_302600_NS6detail15normal_iteratorINS9_10device_ptrItEEEENSB_INSC_IjEEEEPNS0_10empty_typeENS0_5tupleIJNS9_16discard_iteratorINS9_11use_defaultEEESH_EEENSJ_IJSG_SI_EEENS0_18inequality_wrapperINS9_8equal_toItEEEEPmJSH_EEE10hipError_tPvRmT3_T4_T5_T6_T7_T9_mT8_P12ihipStream_tbDpT10_ENKUlT_T0_E_clISt17integral_constantIbLb0EES1C_IbLb1EEEEDaS18_S19_EUlS18_E_NS1_11comp_targetILNS1_3genE4ELNS1_11target_archE910ELNS1_3gpuE8ELNS1_3repE0EEENS1_30default_config_static_selectorELNS0_4arch9wavefront6targetE0EEEvT1_: ; @_ZN7rocprim17ROCPRIM_400000_NS6detail17trampoline_kernelINS0_14default_configENS1_25partition_config_selectorILNS1_17partition_subalgoE9EtjbEEZZNS1_14partition_implILS5_9ELb0ES3_jN6thrust23THRUST_200600_302600_NS6detail15normal_iteratorINS9_10device_ptrItEEEENSB_INSC_IjEEEEPNS0_10empty_typeENS0_5tupleIJNS9_16discard_iteratorINS9_11use_defaultEEESH_EEENSJ_IJSG_SI_EEENS0_18inequality_wrapperINS9_8equal_toItEEEEPmJSH_EEE10hipError_tPvRmT3_T4_T5_T6_T7_T9_mT8_P12ihipStream_tbDpT10_ENKUlT_T0_E_clISt17integral_constantIbLb0EES1C_IbLb1EEEEDaS18_S19_EUlS18_E_NS1_11comp_targetILNS1_3genE4ELNS1_11target_archE910ELNS1_3gpuE8ELNS1_3repE0EEENS1_30default_config_static_selectorELNS0_4arch9wavefront6targetE0EEEvT1_
; %bb.0:
	.section	.rodata,"a",@progbits
	.p2align	6, 0x0
	.amdhsa_kernel _ZN7rocprim17ROCPRIM_400000_NS6detail17trampoline_kernelINS0_14default_configENS1_25partition_config_selectorILNS1_17partition_subalgoE9EtjbEEZZNS1_14partition_implILS5_9ELb0ES3_jN6thrust23THRUST_200600_302600_NS6detail15normal_iteratorINS9_10device_ptrItEEEENSB_INSC_IjEEEEPNS0_10empty_typeENS0_5tupleIJNS9_16discard_iteratorINS9_11use_defaultEEESH_EEENSJ_IJSG_SI_EEENS0_18inequality_wrapperINS9_8equal_toItEEEEPmJSH_EEE10hipError_tPvRmT3_T4_T5_T6_T7_T9_mT8_P12ihipStream_tbDpT10_ENKUlT_T0_E_clISt17integral_constantIbLb0EES1C_IbLb1EEEEDaS18_S19_EUlS18_E_NS1_11comp_targetILNS1_3genE4ELNS1_11target_archE910ELNS1_3gpuE8ELNS1_3repE0EEENS1_30default_config_static_selectorELNS0_4arch9wavefront6targetE0EEEvT1_
		.amdhsa_group_segment_fixed_size 0
		.amdhsa_private_segment_fixed_size 0
		.amdhsa_kernarg_size 136
		.amdhsa_user_sgpr_count 15
		.amdhsa_user_sgpr_dispatch_ptr 0
		.amdhsa_user_sgpr_queue_ptr 0
		.amdhsa_user_sgpr_kernarg_segment_ptr 1
		.amdhsa_user_sgpr_dispatch_id 0
		.amdhsa_user_sgpr_private_segment_size 0
		.amdhsa_wavefront_size32 1
		.amdhsa_uses_dynamic_stack 0
		.amdhsa_enable_private_segment 0
		.amdhsa_system_sgpr_workgroup_id_x 1
		.amdhsa_system_sgpr_workgroup_id_y 0
		.amdhsa_system_sgpr_workgroup_id_z 0
		.amdhsa_system_sgpr_workgroup_info 0
		.amdhsa_system_vgpr_workitem_id 0
		.amdhsa_next_free_vgpr 1
		.amdhsa_next_free_sgpr 1
		.amdhsa_reserve_vcc 0
		.amdhsa_float_round_mode_32 0
		.amdhsa_float_round_mode_16_64 0
		.amdhsa_float_denorm_mode_32 3
		.amdhsa_float_denorm_mode_16_64 3
		.amdhsa_dx10_clamp 1
		.amdhsa_ieee_mode 1
		.amdhsa_fp16_overflow 0
		.amdhsa_workgroup_processor_mode 1
		.amdhsa_memory_ordered 1
		.amdhsa_forward_progress 0
		.amdhsa_shared_vgpr_count 0
		.amdhsa_exception_fp_ieee_invalid_op 0
		.amdhsa_exception_fp_denorm_src 0
		.amdhsa_exception_fp_ieee_div_zero 0
		.amdhsa_exception_fp_ieee_overflow 0
		.amdhsa_exception_fp_ieee_underflow 0
		.amdhsa_exception_fp_ieee_inexact 0
		.amdhsa_exception_int_div_zero 0
	.end_amdhsa_kernel
	.section	.text._ZN7rocprim17ROCPRIM_400000_NS6detail17trampoline_kernelINS0_14default_configENS1_25partition_config_selectorILNS1_17partition_subalgoE9EtjbEEZZNS1_14partition_implILS5_9ELb0ES3_jN6thrust23THRUST_200600_302600_NS6detail15normal_iteratorINS9_10device_ptrItEEEENSB_INSC_IjEEEEPNS0_10empty_typeENS0_5tupleIJNS9_16discard_iteratorINS9_11use_defaultEEESH_EEENSJ_IJSG_SI_EEENS0_18inequality_wrapperINS9_8equal_toItEEEEPmJSH_EEE10hipError_tPvRmT3_T4_T5_T6_T7_T9_mT8_P12ihipStream_tbDpT10_ENKUlT_T0_E_clISt17integral_constantIbLb0EES1C_IbLb1EEEEDaS18_S19_EUlS18_E_NS1_11comp_targetILNS1_3genE4ELNS1_11target_archE910ELNS1_3gpuE8ELNS1_3repE0EEENS1_30default_config_static_selectorELNS0_4arch9wavefront6targetE0EEEvT1_,"axG",@progbits,_ZN7rocprim17ROCPRIM_400000_NS6detail17trampoline_kernelINS0_14default_configENS1_25partition_config_selectorILNS1_17partition_subalgoE9EtjbEEZZNS1_14partition_implILS5_9ELb0ES3_jN6thrust23THRUST_200600_302600_NS6detail15normal_iteratorINS9_10device_ptrItEEEENSB_INSC_IjEEEEPNS0_10empty_typeENS0_5tupleIJNS9_16discard_iteratorINS9_11use_defaultEEESH_EEENSJ_IJSG_SI_EEENS0_18inequality_wrapperINS9_8equal_toItEEEEPmJSH_EEE10hipError_tPvRmT3_T4_T5_T6_T7_T9_mT8_P12ihipStream_tbDpT10_ENKUlT_T0_E_clISt17integral_constantIbLb0EES1C_IbLb1EEEEDaS18_S19_EUlS18_E_NS1_11comp_targetILNS1_3genE4ELNS1_11target_archE910ELNS1_3gpuE8ELNS1_3repE0EEENS1_30default_config_static_selectorELNS0_4arch9wavefront6targetE0EEEvT1_,comdat
.Lfunc_end975:
	.size	_ZN7rocprim17ROCPRIM_400000_NS6detail17trampoline_kernelINS0_14default_configENS1_25partition_config_selectorILNS1_17partition_subalgoE9EtjbEEZZNS1_14partition_implILS5_9ELb0ES3_jN6thrust23THRUST_200600_302600_NS6detail15normal_iteratorINS9_10device_ptrItEEEENSB_INSC_IjEEEEPNS0_10empty_typeENS0_5tupleIJNS9_16discard_iteratorINS9_11use_defaultEEESH_EEENSJ_IJSG_SI_EEENS0_18inequality_wrapperINS9_8equal_toItEEEEPmJSH_EEE10hipError_tPvRmT3_T4_T5_T6_T7_T9_mT8_P12ihipStream_tbDpT10_ENKUlT_T0_E_clISt17integral_constantIbLb0EES1C_IbLb1EEEEDaS18_S19_EUlS18_E_NS1_11comp_targetILNS1_3genE4ELNS1_11target_archE910ELNS1_3gpuE8ELNS1_3repE0EEENS1_30default_config_static_selectorELNS0_4arch9wavefront6targetE0EEEvT1_, .Lfunc_end975-_ZN7rocprim17ROCPRIM_400000_NS6detail17trampoline_kernelINS0_14default_configENS1_25partition_config_selectorILNS1_17partition_subalgoE9EtjbEEZZNS1_14partition_implILS5_9ELb0ES3_jN6thrust23THRUST_200600_302600_NS6detail15normal_iteratorINS9_10device_ptrItEEEENSB_INSC_IjEEEEPNS0_10empty_typeENS0_5tupleIJNS9_16discard_iteratorINS9_11use_defaultEEESH_EEENSJ_IJSG_SI_EEENS0_18inequality_wrapperINS9_8equal_toItEEEEPmJSH_EEE10hipError_tPvRmT3_T4_T5_T6_T7_T9_mT8_P12ihipStream_tbDpT10_ENKUlT_T0_E_clISt17integral_constantIbLb0EES1C_IbLb1EEEEDaS18_S19_EUlS18_E_NS1_11comp_targetILNS1_3genE4ELNS1_11target_archE910ELNS1_3gpuE8ELNS1_3repE0EEENS1_30default_config_static_selectorELNS0_4arch9wavefront6targetE0EEEvT1_
                                        ; -- End function
	.section	.AMDGPU.csdata,"",@progbits
; Kernel info:
; codeLenInByte = 0
; NumSgprs: 0
; NumVgprs: 0
; ScratchSize: 0
; MemoryBound: 0
; FloatMode: 240
; IeeeMode: 1
; LDSByteSize: 0 bytes/workgroup (compile time only)
; SGPRBlocks: 0
; VGPRBlocks: 0
; NumSGPRsForWavesPerEU: 1
; NumVGPRsForWavesPerEU: 1
; Occupancy: 15
; WaveLimiterHint : 0
; COMPUTE_PGM_RSRC2:SCRATCH_EN: 0
; COMPUTE_PGM_RSRC2:USER_SGPR: 15
; COMPUTE_PGM_RSRC2:TRAP_HANDLER: 0
; COMPUTE_PGM_RSRC2:TGID_X_EN: 1
; COMPUTE_PGM_RSRC2:TGID_Y_EN: 0
; COMPUTE_PGM_RSRC2:TGID_Z_EN: 0
; COMPUTE_PGM_RSRC2:TIDIG_COMP_CNT: 0
	.section	.text._ZN7rocprim17ROCPRIM_400000_NS6detail17trampoline_kernelINS0_14default_configENS1_25partition_config_selectorILNS1_17partition_subalgoE9EtjbEEZZNS1_14partition_implILS5_9ELb0ES3_jN6thrust23THRUST_200600_302600_NS6detail15normal_iteratorINS9_10device_ptrItEEEENSB_INSC_IjEEEEPNS0_10empty_typeENS0_5tupleIJNS9_16discard_iteratorINS9_11use_defaultEEESH_EEENSJ_IJSG_SI_EEENS0_18inequality_wrapperINS9_8equal_toItEEEEPmJSH_EEE10hipError_tPvRmT3_T4_T5_T6_T7_T9_mT8_P12ihipStream_tbDpT10_ENKUlT_T0_E_clISt17integral_constantIbLb0EES1C_IbLb1EEEEDaS18_S19_EUlS18_E_NS1_11comp_targetILNS1_3genE3ELNS1_11target_archE908ELNS1_3gpuE7ELNS1_3repE0EEENS1_30default_config_static_selectorELNS0_4arch9wavefront6targetE0EEEvT1_,"axG",@progbits,_ZN7rocprim17ROCPRIM_400000_NS6detail17trampoline_kernelINS0_14default_configENS1_25partition_config_selectorILNS1_17partition_subalgoE9EtjbEEZZNS1_14partition_implILS5_9ELb0ES3_jN6thrust23THRUST_200600_302600_NS6detail15normal_iteratorINS9_10device_ptrItEEEENSB_INSC_IjEEEEPNS0_10empty_typeENS0_5tupleIJNS9_16discard_iteratorINS9_11use_defaultEEESH_EEENSJ_IJSG_SI_EEENS0_18inequality_wrapperINS9_8equal_toItEEEEPmJSH_EEE10hipError_tPvRmT3_T4_T5_T6_T7_T9_mT8_P12ihipStream_tbDpT10_ENKUlT_T0_E_clISt17integral_constantIbLb0EES1C_IbLb1EEEEDaS18_S19_EUlS18_E_NS1_11comp_targetILNS1_3genE3ELNS1_11target_archE908ELNS1_3gpuE7ELNS1_3repE0EEENS1_30default_config_static_selectorELNS0_4arch9wavefront6targetE0EEEvT1_,comdat
	.protected	_ZN7rocprim17ROCPRIM_400000_NS6detail17trampoline_kernelINS0_14default_configENS1_25partition_config_selectorILNS1_17partition_subalgoE9EtjbEEZZNS1_14partition_implILS5_9ELb0ES3_jN6thrust23THRUST_200600_302600_NS6detail15normal_iteratorINS9_10device_ptrItEEEENSB_INSC_IjEEEEPNS0_10empty_typeENS0_5tupleIJNS9_16discard_iteratorINS9_11use_defaultEEESH_EEENSJ_IJSG_SI_EEENS0_18inequality_wrapperINS9_8equal_toItEEEEPmJSH_EEE10hipError_tPvRmT3_T4_T5_T6_T7_T9_mT8_P12ihipStream_tbDpT10_ENKUlT_T0_E_clISt17integral_constantIbLb0EES1C_IbLb1EEEEDaS18_S19_EUlS18_E_NS1_11comp_targetILNS1_3genE3ELNS1_11target_archE908ELNS1_3gpuE7ELNS1_3repE0EEENS1_30default_config_static_selectorELNS0_4arch9wavefront6targetE0EEEvT1_ ; -- Begin function _ZN7rocprim17ROCPRIM_400000_NS6detail17trampoline_kernelINS0_14default_configENS1_25partition_config_selectorILNS1_17partition_subalgoE9EtjbEEZZNS1_14partition_implILS5_9ELb0ES3_jN6thrust23THRUST_200600_302600_NS6detail15normal_iteratorINS9_10device_ptrItEEEENSB_INSC_IjEEEEPNS0_10empty_typeENS0_5tupleIJNS9_16discard_iteratorINS9_11use_defaultEEESH_EEENSJ_IJSG_SI_EEENS0_18inequality_wrapperINS9_8equal_toItEEEEPmJSH_EEE10hipError_tPvRmT3_T4_T5_T6_T7_T9_mT8_P12ihipStream_tbDpT10_ENKUlT_T0_E_clISt17integral_constantIbLb0EES1C_IbLb1EEEEDaS18_S19_EUlS18_E_NS1_11comp_targetILNS1_3genE3ELNS1_11target_archE908ELNS1_3gpuE7ELNS1_3repE0EEENS1_30default_config_static_selectorELNS0_4arch9wavefront6targetE0EEEvT1_
	.globl	_ZN7rocprim17ROCPRIM_400000_NS6detail17trampoline_kernelINS0_14default_configENS1_25partition_config_selectorILNS1_17partition_subalgoE9EtjbEEZZNS1_14partition_implILS5_9ELb0ES3_jN6thrust23THRUST_200600_302600_NS6detail15normal_iteratorINS9_10device_ptrItEEEENSB_INSC_IjEEEEPNS0_10empty_typeENS0_5tupleIJNS9_16discard_iteratorINS9_11use_defaultEEESH_EEENSJ_IJSG_SI_EEENS0_18inequality_wrapperINS9_8equal_toItEEEEPmJSH_EEE10hipError_tPvRmT3_T4_T5_T6_T7_T9_mT8_P12ihipStream_tbDpT10_ENKUlT_T0_E_clISt17integral_constantIbLb0EES1C_IbLb1EEEEDaS18_S19_EUlS18_E_NS1_11comp_targetILNS1_3genE3ELNS1_11target_archE908ELNS1_3gpuE7ELNS1_3repE0EEENS1_30default_config_static_selectorELNS0_4arch9wavefront6targetE0EEEvT1_
	.p2align	8
	.type	_ZN7rocprim17ROCPRIM_400000_NS6detail17trampoline_kernelINS0_14default_configENS1_25partition_config_selectorILNS1_17partition_subalgoE9EtjbEEZZNS1_14partition_implILS5_9ELb0ES3_jN6thrust23THRUST_200600_302600_NS6detail15normal_iteratorINS9_10device_ptrItEEEENSB_INSC_IjEEEEPNS0_10empty_typeENS0_5tupleIJNS9_16discard_iteratorINS9_11use_defaultEEESH_EEENSJ_IJSG_SI_EEENS0_18inequality_wrapperINS9_8equal_toItEEEEPmJSH_EEE10hipError_tPvRmT3_T4_T5_T6_T7_T9_mT8_P12ihipStream_tbDpT10_ENKUlT_T0_E_clISt17integral_constantIbLb0EES1C_IbLb1EEEEDaS18_S19_EUlS18_E_NS1_11comp_targetILNS1_3genE3ELNS1_11target_archE908ELNS1_3gpuE7ELNS1_3repE0EEENS1_30default_config_static_selectorELNS0_4arch9wavefront6targetE0EEEvT1_,@function
_ZN7rocprim17ROCPRIM_400000_NS6detail17trampoline_kernelINS0_14default_configENS1_25partition_config_selectorILNS1_17partition_subalgoE9EtjbEEZZNS1_14partition_implILS5_9ELb0ES3_jN6thrust23THRUST_200600_302600_NS6detail15normal_iteratorINS9_10device_ptrItEEEENSB_INSC_IjEEEEPNS0_10empty_typeENS0_5tupleIJNS9_16discard_iteratorINS9_11use_defaultEEESH_EEENSJ_IJSG_SI_EEENS0_18inequality_wrapperINS9_8equal_toItEEEEPmJSH_EEE10hipError_tPvRmT3_T4_T5_T6_T7_T9_mT8_P12ihipStream_tbDpT10_ENKUlT_T0_E_clISt17integral_constantIbLb0EES1C_IbLb1EEEEDaS18_S19_EUlS18_E_NS1_11comp_targetILNS1_3genE3ELNS1_11target_archE908ELNS1_3gpuE7ELNS1_3repE0EEENS1_30default_config_static_selectorELNS0_4arch9wavefront6targetE0EEEvT1_: ; @_ZN7rocprim17ROCPRIM_400000_NS6detail17trampoline_kernelINS0_14default_configENS1_25partition_config_selectorILNS1_17partition_subalgoE9EtjbEEZZNS1_14partition_implILS5_9ELb0ES3_jN6thrust23THRUST_200600_302600_NS6detail15normal_iteratorINS9_10device_ptrItEEEENSB_INSC_IjEEEEPNS0_10empty_typeENS0_5tupleIJNS9_16discard_iteratorINS9_11use_defaultEEESH_EEENSJ_IJSG_SI_EEENS0_18inequality_wrapperINS9_8equal_toItEEEEPmJSH_EEE10hipError_tPvRmT3_T4_T5_T6_T7_T9_mT8_P12ihipStream_tbDpT10_ENKUlT_T0_E_clISt17integral_constantIbLb0EES1C_IbLb1EEEEDaS18_S19_EUlS18_E_NS1_11comp_targetILNS1_3genE3ELNS1_11target_archE908ELNS1_3gpuE7ELNS1_3repE0EEENS1_30default_config_static_selectorELNS0_4arch9wavefront6targetE0EEEvT1_
; %bb.0:
	.section	.rodata,"a",@progbits
	.p2align	6, 0x0
	.amdhsa_kernel _ZN7rocprim17ROCPRIM_400000_NS6detail17trampoline_kernelINS0_14default_configENS1_25partition_config_selectorILNS1_17partition_subalgoE9EtjbEEZZNS1_14partition_implILS5_9ELb0ES3_jN6thrust23THRUST_200600_302600_NS6detail15normal_iteratorINS9_10device_ptrItEEEENSB_INSC_IjEEEEPNS0_10empty_typeENS0_5tupleIJNS9_16discard_iteratorINS9_11use_defaultEEESH_EEENSJ_IJSG_SI_EEENS0_18inequality_wrapperINS9_8equal_toItEEEEPmJSH_EEE10hipError_tPvRmT3_T4_T5_T6_T7_T9_mT8_P12ihipStream_tbDpT10_ENKUlT_T0_E_clISt17integral_constantIbLb0EES1C_IbLb1EEEEDaS18_S19_EUlS18_E_NS1_11comp_targetILNS1_3genE3ELNS1_11target_archE908ELNS1_3gpuE7ELNS1_3repE0EEENS1_30default_config_static_selectorELNS0_4arch9wavefront6targetE0EEEvT1_
		.amdhsa_group_segment_fixed_size 0
		.amdhsa_private_segment_fixed_size 0
		.amdhsa_kernarg_size 136
		.amdhsa_user_sgpr_count 15
		.amdhsa_user_sgpr_dispatch_ptr 0
		.amdhsa_user_sgpr_queue_ptr 0
		.amdhsa_user_sgpr_kernarg_segment_ptr 1
		.amdhsa_user_sgpr_dispatch_id 0
		.amdhsa_user_sgpr_private_segment_size 0
		.amdhsa_wavefront_size32 1
		.amdhsa_uses_dynamic_stack 0
		.amdhsa_enable_private_segment 0
		.amdhsa_system_sgpr_workgroup_id_x 1
		.amdhsa_system_sgpr_workgroup_id_y 0
		.amdhsa_system_sgpr_workgroup_id_z 0
		.amdhsa_system_sgpr_workgroup_info 0
		.amdhsa_system_vgpr_workitem_id 0
		.amdhsa_next_free_vgpr 1
		.amdhsa_next_free_sgpr 1
		.amdhsa_reserve_vcc 0
		.amdhsa_float_round_mode_32 0
		.amdhsa_float_round_mode_16_64 0
		.amdhsa_float_denorm_mode_32 3
		.amdhsa_float_denorm_mode_16_64 3
		.amdhsa_dx10_clamp 1
		.amdhsa_ieee_mode 1
		.amdhsa_fp16_overflow 0
		.amdhsa_workgroup_processor_mode 1
		.amdhsa_memory_ordered 1
		.amdhsa_forward_progress 0
		.amdhsa_shared_vgpr_count 0
		.amdhsa_exception_fp_ieee_invalid_op 0
		.amdhsa_exception_fp_denorm_src 0
		.amdhsa_exception_fp_ieee_div_zero 0
		.amdhsa_exception_fp_ieee_overflow 0
		.amdhsa_exception_fp_ieee_underflow 0
		.amdhsa_exception_fp_ieee_inexact 0
		.amdhsa_exception_int_div_zero 0
	.end_amdhsa_kernel
	.section	.text._ZN7rocprim17ROCPRIM_400000_NS6detail17trampoline_kernelINS0_14default_configENS1_25partition_config_selectorILNS1_17partition_subalgoE9EtjbEEZZNS1_14partition_implILS5_9ELb0ES3_jN6thrust23THRUST_200600_302600_NS6detail15normal_iteratorINS9_10device_ptrItEEEENSB_INSC_IjEEEEPNS0_10empty_typeENS0_5tupleIJNS9_16discard_iteratorINS9_11use_defaultEEESH_EEENSJ_IJSG_SI_EEENS0_18inequality_wrapperINS9_8equal_toItEEEEPmJSH_EEE10hipError_tPvRmT3_T4_T5_T6_T7_T9_mT8_P12ihipStream_tbDpT10_ENKUlT_T0_E_clISt17integral_constantIbLb0EES1C_IbLb1EEEEDaS18_S19_EUlS18_E_NS1_11comp_targetILNS1_3genE3ELNS1_11target_archE908ELNS1_3gpuE7ELNS1_3repE0EEENS1_30default_config_static_selectorELNS0_4arch9wavefront6targetE0EEEvT1_,"axG",@progbits,_ZN7rocprim17ROCPRIM_400000_NS6detail17trampoline_kernelINS0_14default_configENS1_25partition_config_selectorILNS1_17partition_subalgoE9EtjbEEZZNS1_14partition_implILS5_9ELb0ES3_jN6thrust23THRUST_200600_302600_NS6detail15normal_iteratorINS9_10device_ptrItEEEENSB_INSC_IjEEEEPNS0_10empty_typeENS0_5tupleIJNS9_16discard_iteratorINS9_11use_defaultEEESH_EEENSJ_IJSG_SI_EEENS0_18inequality_wrapperINS9_8equal_toItEEEEPmJSH_EEE10hipError_tPvRmT3_T4_T5_T6_T7_T9_mT8_P12ihipStream_tbDpT10_ENKUlT_T0_E_clISt17integral_constantIbLb0EES1C_IbLb1EEEEDaS18_S19_EUlS18_E_NS1_11comp_targetILNS1_3genE3ELNS1_11target_archE908ELNS1_3gpuE7ELNS1_3repE0EEENS1_30default_config_static_selectorELNS0_4arch9wavefront6targetE0EEEvT1_,comdat
.Lfunc_end976:
	.size	_ZN7rocprim17ROCPRIM_400000_NS6detail17trampoline_kernelINS0_14default_configENS1_25partition_config_selectorILNS1_17partition_subalgoE9EtjbEEZZNS1_14partition_implILS5_9ELb0ES3_jN6thrust23THRUST_200600_302600_NS6detail15normal_iteratorINS9_10device_ptrItEEEENSB_INSC_IjEEEEPNS0_10empty_typeENS0_5tupleIJNS9_16discard_iteratorINS9_11use_defaultEEESH_EEENSJ_IJSG_SI_EEENS0_18inequality_wrapperINS9_8equal_toItEEEEPmJSH_EEE10hipError_tPvRmT3_T4_T5_T6_T7_T9_mT8_P12ihipStream_tbDpT10_ENKUlT_T0_E_clISt17integral_constantIbLb0EES1C_IbLb1EEEEDaS18_S19_EUlS18_E_NS1_11comp_targetILNS1_3genE3ELNS1_11target_archE908ELNS1_3gpuE7ELNS1_3repE0EEENS1_30default_config_static_selectorELNS0_4arch9wavefront6targetE0EEEvT1_, .Lfunc_end976-_ZN7rocprim17ROCPRIM_400000_NS6detail17trampoline_kernelINS0_14default_configENS1_25partition_config_selectorILNS1_17partition_subalgoE9EtjbEEZZNS1_14partition_implILS5_9ELb0ES3_jN6thrust23THRUST_200600_302600_NS6detail15normal_iteratorINS9_10device_ptrItEEEENSB_INSC_IjEEEEPNS0_10empty_typeENS0_5tupleIJNS9_16discard_iteratorINS9_11use_defaultEEESH_EEENSJ_IJSG_SI_EEENS0_18inequality_wrapperINS9_8equal_toItEEEEPmJSH_EEE10hipError_tPvRmT3_T4_T5_T6_T7_T9_mT8_P12ihipStream_tbDpT10_ENKUlT_T0_E_clISt17integral_constantIbLb0EES1C_IbLb1EEEEDaS18_S19_EUlS18_E_NS1_11comp_targetILNS1_3genE3ELNS1_11target_archE908ELNS1_3gpuE7ELNS1_3repE0EEENS1_30default_config_static_selectorELNS0_4arch9wavefront6targetE0EEEvT1_
                                        ; -- End function
	.section	.AMDGPU.csdata,"",@progbits
; Kernel info:
; codeLenInByte = 0
; NumSgprs: 0
; NumVgprs: 0
; ScratchSize: 0
; MemoryBound: 0
; FloatMode: 240
; IeeeMode: 1
; LDSByteSize: 0 bytes/workgroup (compile time only)
; SGPRBlocks: 0
; VGPRBlocks: 0
; NumSGPRsForWavesPerEU: 1
; NumVGPRsForWavesPerEU: 1
; Occupancy: 16
; WaveLimiterHint : 0
; COMPUTE_PGM_RSRC2:SCRATCH_EN: 0
; COMPUTE_PGM_RSRC2:USER_SGPR: 15
; COMPUTE_PGM_RSRC2:TRAP_HANDLER: 0
; COMPUTE_PGM_RSRC2:TGID_X_EN: 1
; COMPUTE_PGM_RSRC2:TGID_Y_EN: 0
; COMPUTE_PGM_RSRC2:TGID_Z_EN: 0
; COMPUTE_PGM_RSRC2:TIDIG_COMP_CNT: 0
	.section	.text._ZN7rocprim17ROCPRIM_400000_NS6detail17trampoline_kernelINS0_14default_configENS1_25partition_config_selectorILNS1_17partition_subalgoE9EtjbEEZZNS1_14partition_implILS5_9ELb0ES3_jN6thrust23THRUST_200600_302600_NS6detail15normal_iteratorINS9_10device_ptrItEEEENSB_INSC_IjEEEEPNS0_10empty_typeENS0_5tupleIJNS9_16discard_iteratorINS9_11use_defaultEEESH_EEENSJ_IJSG_SI_EEENS0_18inequality_wrapperINS9_8equal_toItEEEEPmJSH_EEE10hipError_tPvRmT3_T4_T5_T6_T7_T9_mT8_P12ihipStream_tbDpT10_ENKUlT_T0_E_clISt17integral_constantIbLb0EES1C_IbLb1EEEEDaS18_S19_EUlS18_E_NS1_11comp_targetILNS1_3genE2ELNS1_11target_archE906ELNS1_3gpuE6ELNS1_3repE0EEENS1_30default_config_static_selectorELNS0_4arch9wavefront6targetE0EEEvT1_,"axG",@progbits,_ZN7rocprim17ROCPRIM_400000_NS6detail17trampoline_kernelINS0_14default_configENS1_25partition_config_selectorILNS1_17partition_subalgoE9EtjbEEZZNS1_14partition_implILS5_9ELb0ES3_jN6thrust23THRUST_200600_302600_NS6detail15normal_iteratorINS9_10device_ptrItEEEENSB_INSC_IjEEEEPNS0_10empty_typeENS0_5tupleIJNS9_16discard_iteratorINS9_11use_defaultEEESH_EEENSJ_IJSG_SI_EEENS0_18inequality_wrapperINS9_8equal_toItEEEEPmJSH_EEE10hipError_tPvRmT3_T4_T5_T6_T7_T9_mT8_P12ihipStream_tbDpT10_ENKUlT_T0_E_clISt17integral_constantIbLb0EES1C_IbLb1EEEEDaS18_S19_EUlS18_E_NS1_11comp_targetILNS1_3genE2ELNS1_11target_archE906ELNS1_3gpuE6ELNS1_3repE0EEENS1_30default_config_static_selectorELNS0_4arch9wavefront6targetE0EEEvT1_,comdat
	.protected	_ZN7rocprim17ROCPRIM_400000_NS6detail17trampoline_kernelINS0_14default_configENS1_25partition_config_selectorILNS1_17partition_subalgoE9EtjbEEZZNS1_14partition_implILS5_9ELb0ES3_jN6thrust23THRUST_200600_302600_NS6detail15normal_iteratorINS9_10device_ptrItEEEENSB_INSC_IjEEEEPNS0_10empty_typeENS0_5tupleIJNS9_16discard_iteratorINS9_11use_defaultEEESH_EEENSJ_IJSG_SI_EEENS0_18inequality_wrapperINS9_8equal_toItEEEEPmJSH_EEE10hipError_tPvRmT3_T4_T5_T6_T7_T9_mT8_P12ihipStream_tbDpT10_ENKUlT_T0_E_clISt17integral_constantIbLb0EES1C_IbLb1EEEEDaS18_S19_EUlS18_E_NS1_11comp_targetILNS1_3genE2ELNS1_11target_archE906ELNS1_3gpuE6ELNS1_3repE0EEENS1_30default_config_static_selectorELNS0_4arch9wavefront6targetE0EEEvT1_ ; -- Begin function _ZN7rocprim17ROCPRIM_400000_NS6detail17trampoline_kernelINS0_14default_configENS1_25partition_config_selectorILNS1_17partition_subalgoE9EtjbEEZZNS1_14partition_implILS5_9ELb0ES3_jN6thrust23THRUST_200600_302600_NS6detail15normal_iteratorINS9_10device_ptrItEEEENSB_INSC_IjEEEEPNS0_10empty_typeENS0_5tupleIJNS9_16discard_iteratorINS9_11use_defaultEEESH_EEENSJ_IJSG_SI_EEENS0_18inequality_wrapperINS9_8equal_toItEEEEPmJSH_EEE10hipError_tPvRmT3_T4_T5_T6_T7_T9_mT8_P12ihipStream_tbDpT10_ENKUlT_T0_E_clISt17integral_constantIbLb0EES1C_IbLb1EEEEDaS18_S19_EUlS18_E_NS1_11comp_targetILNS1_3genE2ELNS1_11target_archE906ELNS1_3gpuE6ELNS1_3repE0EEENS1_30default_config_static_selectorELNS0_4arch9wavefront6targetE0EEEvT1_
	.globl	_ZN7rocprim17ROCPRIM_400000_NS6detail17trampoline_kernelINS0_14default_configENS1_25partition_config_selectorILNS1_17partition_subalgoE9EtjbEEZZNS1_14partition_implILS5_9ELb0ES3_jN6thrust23THRUST_200600_302600_NS6detail15normal_iteratorINS9_10device_ptrItEEEENSB_INSC_IjEEEEPNS0_10empty_typeENS0_5tupleIJNS9_16discard_iteratorINS9_11use_defaultEEESH_EEENSJ_IJSG_SI_EEENS0_18inequality_wrapperINS9_8equal_toItEEEEPmJSH_EEE10hipError_tPvRmT3_T4_T5_T6_T7_T9_mT8_P12ihipStream_tbDpT10_ENKUlT_T0_E_clISt17integral_constantIbLb0EES1C_IbLb1EEEEDaS18_S19_EUlS18_E_NS1_11comp_targetILNS1_3genE2ELNS1_11target_archE906ELNS1_3gpuE6ELNS1_3repE0EEENS1_30default_config_static_selectorELNS0_4arch9wavefront6targetE0EEEvT1_
	.p2align	8
	.type	_ZN7rocprim17ROCPRIM_400000_NS6detail17trampoline_kernelINS0_14default_configENS1_25partition_config_selectorILNS1_17partition_subalgoE9EtjbEEZZNS1_14partition_implILS5_9ELb0ES3_jN6thrust23THRUST_200600_302600_NS6detail15normal_iteratorINS9_10device_ptrItEEEENSB_INSC_IjEEEEPNS0_10empty_typeENS0_5tupleIJNS9_16discard_iteratorINS9_11use_defaultEEESH_EEENSJ_IJSG_SI_EEENS0_18inequality_wrapperINS9_8equal_toItEEEEPmJSH_EEE10hipError_tPvRmT3_T4_T5_T6_T7_T9_mT8_P12ihipStream_tbDpT10_ENKUlT_T0_E_clISt17integral_constantIbLb0EES1C_IbLb1EEEEDaS18_S19_EUlS18_E_NS1_11comp_targetILNS1_3genE2ELNS1_11target_archE906ELNS1_3gpuE6ELNS1_3repE0EEENS1_30default_config_static_selectorELNS0_4arch9wavefront6targetE0EEEvT1_,@function
_ZN7rocprim17ROCPRIM_400000_NS6detail17trampoline_kernelINS0_14default_configENS1_25partition_config_selectorILNS1_17partition_subalgoE9EtjbEEZZNS1_14partition_implILS5_9ELb0ES3_jN6thrust23THRUST_200600_302600_NS6detail15normal_iteratorINS9_10device_ptrItEEEENSB_INSC_IjEEEEPNS0_10empty_typeENS0_5tupleIJNS9_16discard_iteratorINS9_11use_defaultEEESH_EEENSJ_IJSG_SI_EEENS0_18inequality_wrapperINS9_8equal_toItEEEEPmJSH_EEE10hipError_tPvRmT3_T4_T5_T6_T7_T9_mT8_P12ihipStream_tbDpT10_ENKUlT_T0_E_clISt17integral_constantIbLb0EES1C_IbLb1EEEEDaS18_S19_EUlS18_E_NS1_11comp_targetILNS1_3genE2ELNS1_11target_archE906ELNS1_3gpuE6ELNS1_3repE0EEENS1_30default_config_static_selectorELNS0_4arch9wavefront6targetE0EEEvT1_: ; @_ZN7rocprim17ROCPRIM_400000_NS6detail17trampoline_kernelINS0_14default_configENS1_25partition_config_selectorILNS1_17partition_subalgoE9EtjbEEZZNS1_14partition_implILS5_9ELb0ES3_jN6thrust23THRUST_200600_302600_NS6detail15normal_iteratorINS9_10device_ptrItEEEENSB_INSC_IjEEEEPNS0_10empty_typeENS0_5tupleIJNS9_16discard_iteratorINS9_11use_defaultEEESH_EEENSJ_IJSG_SI_EEENS0_18inequality_wrapperINS9_8equal_toItEEEEPmJSH_EEE10hipError_tPvRmT3_T4_T5_T6_T7_T9_mT8_P12ihipStream_tbDpT10_ENKUlT_T0_E_clISt17integral_constantIbLb0EES1C_IbLb1EEEEDaS18_S19_EUlS18_E_NS1_11comp_targetILNS1_3genE2ELNS1_11target_archE906ELNS1_3gpuE6ELNS1_3repE0EEENS1_30default_config_static_selectorELNS0_4arch9wavefront6targetE0EEEvT1_
; %bb.0:
	.section	.rodata,"a",@progbits
	.p2align	6, 0x0
	.amdhsa_kernel _ZN7rocprim17ROCPRIM_400000_NS6detail17trampoline_kernelINS0_14default_configENS1_25partition_config_selectorILNS1_17partition_subalgoE9EtjbEEZZNS1_14partition_implILS5_9ELb0ES3_jN6thrust23THRUST_200600_302600_NS6detail15normal_iteratorINS9_10device_ptrItEEEENSB_INSC_IjEEEEPNS0_10empty_typeENS0_5tupleIJNS9_16discard_iteratorINS9_11use_defaultEEESH_EEENSJ_IJSG_SI_EEENS0_18inequality_wrapperINS9_8equal_toItEEEEPmJSH_EEE10hipError_tPvRmT3_T4_T5_T6_T7_T9_mT8_P12ihipStream_tbDpT10_ENKUlT_T0_E_clISt17integral_constantIbLb0EES1C_IbLb1EEEEDaS18_S19_EUlS18_E_NS1_11comp_targetILNS1_3genE2ELNS1_11target_archE906ELNS1_3gpuE6ELNS1_3repE0EEENS1_30default_config_static_selectorELNS0_4arch9wavefront6targetE0EEEvT1_
		.amdhsa_group_segment_fixed_size 0
		.amdhsa_private_segment_fixed_size 0
		.amdhsa_kernarg_size 136
		.amdhsa_user_sgpr_count 15
		.amdhsa_user_sgpr_dispatch_ptr 0
		.amdhsa_user_sgpr_queue_ptr 0
		.amdhsa_user_sgpr_kernarg_segment_ptr 1
		.amdhsa_user_sgpr_dispatch_id 0
		.amdhsa_user_sgpr_private_segment_size 0
		.amdhsa_wavefront_size32 1
		.amdhsa_uses_dynamic_stack 0
		.amdhsa_enable_private_segment 0
		.amdhsa_system_sgpr_workgroup_id_x 1
		.amdhsa_system_sgpr_workgroup_id_y 0
		.amdhsa_system_sgpr_workgroup_id_z 0
		.amdhsa_system_sgpr_workgroup_info 0
		.amdhsa_system_vgpr_workitem_id 0
		.amdhsa_next_free_vgpr 1
		.amdhsa_next_free_sgpr 1
		.amdhsa_reserve_vcc 0
		.amdhsa_float_round_mode_32 0
		.amdhsa_float_round_mode_16_64 0
		.amdhsa_float_denorm_mode_32 3
		.amdhsa_float_denorm_mode_16_64 3
		.amdhsa_dx10_clamp 1
		.amdhsa_ieee_mode 1
		.amdhsa_fp16_overflow 0
		.amdhsa_workgroup_processor_mode 1
		.amdhsa_memory_ordered 1
		.amdhsa_forward_progress 0
		.amdhsa_shared_vgpr_count 0
		.amdhsa_exception_fp_ieee_invalid_op 0
		.amdhsa_exception_fp_denorm_src 0
		.amdhsa_exception_fp_ieee_div_zero 0
		.amdhsa_exception_fp_ieee_overflow 0
		.amdhsa_exception_fp_ieee_underflow 0
		.amdhsa_exception_fp_ieee_inexact 0
		.amdhsa_exception_int_div_zero 0
	.end_amdhsa_kernel
	.section	.text._ZN7rocprim17ROCPRIM_400000_NS6detail17trampoline_kernelINS0_14default_configENS1_25partition_config_selectorILNS1_17partition_subalgoE9EtjbEEZZNS1_14partition_implILS5_9ELb0ES3_jN6thrust23THRUST_200600_302600_NS6detail15normal_iteratorINS9_10device_ptrItEEEENSB_INSC_IjEEEEPNS0_10empty_typeENS0_5tupleIJNS9_16discard_iteratorINS9_11use_defaultEEESH_EEENSJ_IJSG_SI_EEENS0_18inequality_wrapperINS9_8equal_toItEEEEPmJSH_EEE10hipError_tPvRmT3_T4_T5_T6_T7_T9_mT8_P12ihipStream_tbDpT10_ENKUlT_T0_E_clISt17integral_constantIbLb0EES1C_IbLb1EEEEDaS18_S19_EUlS18_E_NS1_11comp_targetILNS1_3genE2ELNS1_11target_archE906ELNS1_3gpuE6ELNS1_3repE0EEENS1_30default_config_static_selectorELNS0_4arch9wavefront6targetE0EEEvT1_,"axG",@progbits,_ZN7rocprim17ROCPRIM_400000_NS6detail17trampoline_kernelINS0_14default_configENS1_25partition_config_selectorILNS1_17partition_subalgoE9EtjbEEZZNS1_14partition_implILS5_9ELb0ES3_jN6thrust23THRUST_200600_302600_NS6detail15normal_iteratorINS9_10device_ptrItEEEENSB_INSC_IjEEEEPNS0_10empty_typeENS0_5tupleIJNS9_16discard_iteratorINS9_11use_defaultEEESH_EEENSJ_IJSG_SI_EEENS0_18inequality_wrapperINS9_8equal_toItEEEEPmJSH_EEE10hipError_tPvRmT3_T4_T5_T6_T7_T9_mT8_P12ihipStream_tbDpT10_ENKUlT_T0_E_clISt17integral_constantIbLb0EES1C_IbLb1EEEEDaS18_S19_EUlS18_E_NS1_11comp_targetILNS1_3genE2ELNS1_11target_archE906ELNS1_3gpuE6ELNS1_3repE0EEENS1_30default_config_static_selectorELNS0_4arch9wavefront6targetE0EEEvT1_,comdat
.Lfunc_end977:
	.size	_ZN7rocprim17ROCPRIM_400000_NS6detail17trampoline_kernelINS0_14default_configENS1_25partition_config_selectorILNS1_17partition_subalgoE9EtjbEEZZNS1_14partition_implILS5_9ELb0ES3_jN6thrust23THRUST_200600_302600_NS6detail15normal_iteratorINS9_10device_ptrItEEEENSB_INSC_IjEEEEPNS0_10empty_typeENS0_5tupleIJNS9_16discard_iteratorINS9_11use_defaultEEESH_EEENSJ_IJSG_SI_EEENS0_18inequality_wrapperINS9_8equal_toItEEEEPmJSH_EEE10hipError_tPvRmT3_T4_T5_T6_T7_T9_mT8_P12ihipStream_tbDpT10_ENKUlT_T0_E_clISt17integral_constantIbLb0EES1C_IbLb1EEEEDaS18_S19_EUlS18_E_NS1_11comp_targetILNS1_3genE2ELNS1_11target_archE906ELNS1_3gpuE6ELNS1_3repE0EEENS1_30default_config_static_selectorELNS0_4arch9wavefront6targetE0EEEvT1_, .Lfunc_end977-_ZN7rocprim17ROCPRIM_400000_NS6detail17trampoline_kernelINS0_14default_configENS1_25partition_config_selectorILNS1_17partition_subalgoE9EtjbEEZZNS1_14partition_implILS5_9ELb0ES3_jN6thrust23THRUST_200600_302600_NS6detail15normal_iteratorINS9_10device_ptrItEEEENSB_INSC_IjEEEEPNS0_10empty_typeENS0_5tupleIJNS9_16discard_iteratorINS9_11use_defaultEEESH_EEENSJ_IJSG_SI_EEENS0_18inequality_wrapperINS9_8equal_toItEEEEPmJSH_EEE10hipError_tPvRmT3_T4_T5_T6_T7_T9_mT8_P12ihipStream_tbDpT10_ENKUlT_T0_E_clISt17integral_constantIbLb0EES1C_IbLb1EEEEDaS18_S19_EUlS18_E_NS1_11comp_targetILNS1_3genE2ELNS1_11target_archE906ELNS1_3gpuE6ELNS1_3repE0EEENS1_30default_config_static_selectorELNS0_4arch9wavefront6targetE0EEEvT1_
                                        ; -- End function
	.section	.AMDGPU.csdata,"",@progbits
; Kernel info:
; codeLenInByte = 0
; NumSgprs: 0
; NumVgprs: 0
; ScratchSize: 0
; MemoryBound: 0
; FloatMode: 240
; IeeeMode: 1
; LDSByteSize: 0 bytes/workgroup (compile time only)
; SGPRBlocks: 0
; VGPRBlocks: 0
; NumSGPRsForWavesPerEU: 1
; NumVGPRsForWavesPerEU: 1
; Occupancy: 16
; WaveLimiterHint : 0
; COMPUTE_PGM_RSRC2:SCRATCH_EN: 0
; COMPUTE_PGM_RSRC2:USER_SGPR: 15
; COMPUTE_PGM_RSRC2:TRAP_HANDLER: 0
; COMPUTE_PGM_RSRC2:TGID_X_EN: 1
; COMPUTE_PGM_RSRC2:TGID_Y_EN: 0
; COMPUTE_PGM_RSRC2:TGID_Z_EN: 0
; COMPUTE_PGM_RSRC2:TIDIG_COMP_CNT: 0
	.section	.text._ZN7rocprim17ROCPRIM_400000_NS6detail17trampoline_kernelINS0_14default_configENS1_25partition_config_selectorILNS1_17partition_subalgoE9EtjbEEZZNS1_14partition_implILS5_9ELb0ES3_jN6thrust23THRUST_200600_302600_NS6detail15normal_iteratorINS9_10device_ptrItEEEENSB_INSC_IjEEEEPNS0_10empty_typeENS0_5tupleIJNS9_16discard_iteratorINS9_11use_defaultEEESH_EEENSJ_IJSG_SI_EEENS0_18inequality_wrapperINS9_8equal_toItEEEEPmJSH_EEE10hipError_tPvRmT3_T4_T5_T6_T7_T9_mT8_P12ihipStream_tbDpT10_ENKUlT_T0_E_clISt17integral_constantIbLb0EES1C_IbLb1EEEEDaS18_S19_EUlS18_E_NS1_11comp_targetILNS1_3genE10ELNS1_11target_archE1200ELNS1_3gpuE4ELNS1_3repE0EEENS1_30default_config_static_selectorELNS0_4arch9wavefront6targetE0EEEvT1_,"axG",@progbits,_ZN7rocprim17ROCPRIM_400000_NS6detail17trampoline_kernelINS0_14default_configENS1_25partition_config_selectorILNS1_17partition_subalgoE9EtjbEEZZNS1_14partition_implILS5_9ELb0ES3_jN6thrust23THRUST_200600_302600_NS6detail15normal_iteratorINS9_10device_ptrItEEEENSB_INSC_IjEEEEPNS0_10empty_typeENS0_5tupleIJNS9_16discard_iteratorINS9_11use_defaultEEESH_EEENSJ_IJSG_SI_EEENS0_18inequality_wrapperINS9_8equal_toItEEEEPmJSH_EEE10hipError_tPvRmT3_T4_T5_T6_T7_T9_mT8_P12ihipStream_tbDpT10_ENKUlT_T0_E_clISt17integral_constantIbLb0EES1C_IbLb1EEEEDaS18_S19_EUlS18_E_NS1_11comp_targetILNS1_3genE10ELNS1_11target_archE1200ELNS1_3gpuE4ELNS1_3repE0EEENS1_30default_config_static_selectorELNS0_4arch9wavefront6targetE0EEEvT1_,comdat
	.protected	_ZN7rocprim17ROCPRIM_400000_NS6detail17trampoline_kernelINS0_14default_configENS1_25partition_config_selectorILNS1_17partition_subalgoE9EtjbEEZZNS1_14partition_implILS5_9ELb0ES3_jN6thrust23THRUST_200600_302600_NS6detail15normal_iteratorINS9_10device_ptrItEEEENSB_INSC_IjEEEEPNS0_10empty_typeENS0_5tupleIJNS9_16discard_iteratorINS9_11use_defaultEEESH_EEENSJ_IJSG_SI_EEENS0_18inequality_wrapperINS9_8equal_toItEEEEPmJSH_EEE10hipError_tPvRmT3_T4_T5_T6_T7_T9_mT8_P12ihipStream_tbDpT10_ENKUlT_T0_E_clISt17integral_constantIbLb0EES1C_IbLb1EEEEDaS18_S19_EUlS18_E_NS1_11comp_targetILNS1_3genE10ELNS1_11target_archE1200ELNS1_3gpuE4ELNS1_3repE0EEENS1_30default_config_static_selectorELNS0_4arch9wavefront6targetE0EEEvT1_ ; -- Begin function _ZN7rocprim17ROCPRIM_400000_NS6detail17trampoline_kernelINS0_14default_configENS1_25partition_config_selectorILNS1_17partition_subalgoE9EtjbEEZZNS1_14partition_implILS5_9ELb0ES3_jN6thrust23THRUST_200600_302600_NS6detail15normal_iteratorINS9_10device_ptrItEEEENSB_INSC_IjEEEEPNS0_10empty_typeENS0_5tupleIJNS9_16discard_iteratorINS9_11use_defaultEEESH_EEENSJ_IJSG_SI_EEENS0_18inequality_wrapperINS9_8equal_toItEEEEPmJSH_EEE10hipError_tPvRmT3_T4_T5_T6_T7_T9_mT8_P12ihipStream_tbDpT10_ENKUlT_T0_E_clISt17integral_constantIbLb0EES1C_IbLb1EEEEDaS18_S19_EUlS18_E_NS1_11comp_targetILNS1_3genE10ELNS1_11target_archE1200ELNS1_3gpuE4ELNS1_3repE0EEENS1_30default_config_static_selectorELNS0_4arch9wavefront6targetE0EEEvT1_
	.globl	_ZN7rocprim17ROCPRIM_400000_NS6detail17trampoline_kernelINS0_14default_configENS1_25partition_config_selectorILNS1_17partition_subalgoE9EtjbEEZZNS1_14partition_implILS5_9ELb0ES3_jN6thrust23THRUST_200600_302600_NS6detail15normal_iteratorINS9_10device_ptrItEEEENSB_INSC_IjEEEEPNS0_10empty_typeENS0_5tupleIJNS9_16discard_iteratorINS9_11use_defaultEEESH_EEENSJ_IJSG_SI_EEENS0_18inequality_wrapperINS9_8equal_toItEEEEPmJSH_EEE10hipError_tPvRmT3_T4_T5_T6_T7_T9_mT8_P12ihipStream_tbDpT10_ENKUlT_T0_E_clISt17integral_constantIbLb0EES1C_IbLb1EEEEDaS18_S19_EUlS18_E_NS1_11comp_targetILNS1_3genE10ELNS1_11target_archE1200ELNS1_3gpuE4ELNS1_3repE0EEENS1_30default_config_static_selectorELNS0_4arch9wavefront6targetE0EEEvT1_
	.p2align	8
	.type	_ZN7rocprim17ROCPRIM_400000_NS6detail17trampoline_kernelINS0_14default_configENS1_25partition_config_selectorILNS1_17partition_subalgoE9EtjbEEZZNS1_14partition_implILS5_9ELb0ES3_jN6thrust23THRUST_200600_302600_NS6detail15normal_iteratorINS9_10device_ptrItEEEENSB_INSC_IjEEEEPNS0_10empty_typeENS0_5tupleIJNS9_16discard_iteratorINS9_11use_defaultEEESH_EEENSJ_IJSG_SI_EEENS0_18inequality_wrapperINS9_8equal_toItEEEEPmJSH_EEE10hipError_tPvRmT3_T4_T5_T6_T7_T9_mT8_P12ihipStream_tbDpT10_ENKUlT_T0_E_clISt17integral_constantIbLb0EES1C_IbLb1EEEEDaS18_S19_EUlS18_E_NS1_11comp_targetILNS1_3genE10ELNS1_11target_archE1200ELNS1_3gpuE4ELNS1_3repE0EEENS1_30default_config_static_selectorELNS0_4arch9wavefront6targetE0EEEvT1_,@function
_ZN7rocprim17ROCPRIM_400000_NS6detail17trampoline_kernelINS0_14default_configENS1_25partition_config_selectorILNS1_17partition_subalgoE9EtjbEEZZNS1_14partition_implILS5_9ELb0ES3_jN6thrust23THRUST_200600_302600_NS6detail15normal_iteratorINS9_10device_ptrItEEEENSB_INSC_IjEEEEPNS0_10empty_typeENS0_5tupleIJNS9_16discard_iteratorINS9_11use_defaultEEESH_EEENSJ_IJSG_SI_EEENS0_18inequality_wrapperINS9_8equal_toItEEEEPmJSH_EEE10hipError_tPvRmT3_T4_T5_T6_T7_T9_mT8_P12ihipStream_tbDpT10_ENKUlT_T0_E_clISt17integral_constantIbLb0EES1C_IbLb1EEEEDaS18_S19_EUlS18_E_NS1_11comp_targetILNS1_3genE10ELNS1_11target_archE1200ELNS1_3gpuE4ELNS1_3repE0EEENS1_30default_config_static_selectorELNS0_4arch9wavefront6targetE0EEEvT1_: ; @_ZN7rocprim17ROCPRIM_400000_NS6detail17trampoline_kernelINS0_14default_configENS1_25partition_config_selectorILNS1_17partition_subalgoE9EtjbEEZZNS1_14partition_implILS5_9ELb0ES3_jN6thrust23THRUST_200600_302600_NS6detail15normal_iteratorINS9_10device_ptrItEEEENSB_INSC_IjEEEEPNS0_10empty_typeENS0_5tupleIJNS9_16discard_iteratorINS9_11use_defaultEEESH_EEENSJ_IJSG_SI_EEENS0_18inequality_wrapperINS9_8equal_toItEEEEPmJSH_EEE10hipError_tPvRmT3_T4_T5_T6_T7_T9_mT8_P12ihipStream_tbDpT10_ENKUlT_T0_E_clISt17integral_constantIbLb0EES1C_IbLb1EEEEDaS18_S19_EUlS18_E_NS1_11comp_targetILNS1_3genE10ELNS1_11target_archE1200ELNS1_3gpuE4ELNS1_3repE0EEENS1_30default_config_static_selectorELNS0_4arch9wavefront6targetE0EEEvT1_
; %bb.0:
	.section	.rodata,"a",@progbits
	.p2align	6, 0x0
	.amdhsa_kernel _ZN7rocprim17ROCPRIM_400000_NS6detail17trampoline_kernelINS0_14default_configENS1_25partition_config_selectorILNS1_17partition_subalgoE9EtjbEEZZNS1_14partition_implILS5_9ELb0ES3_jN6thrust23THRUST_200600_302600_NS6detail15normal_iteratorINS9_10device_ptrItEEEENSB_INSC_IjEEEEPNS0_10empty_typeENS0_5tupleIJNS9_16discard_iteratorINS9_11use_defaultEEESH_EEENSJ_IJSG_SI_EEENS0_18inequality_wrapperINS9_8equal_toItEEEEPmJSH_EEE10hipError_tPvRmT3_T4_T5_T6_T7_T9_mT8_P12ihipStream_tbDpT10_ENKUlT_T0_E_clISt17integral_constantIbLb0EES1C_IbLb1EEEEDaS18_S19_EUlS18_E_NS1_11comp_targetILNS1_3genE10ELNS1_11target_archE1200ELNS1_3gpuE4ELNS1_3repE0EEENS1_30default_config_static_selectorELNS0_4arch9wavefront6targetE0EEEvT1_
		.amdhsa_group_segment_fixed_size 0
		.amdhsa_private_segment_fixed_size 0
		.amdhsa_kernarg_size 136
		.amdhsa_user_sgpr_count 15
		.amdhsa_user_sgpr_dispatch_ptr 0
		.amdhsa_user_sgpr_queue_ptr 0
		.amdhsa_user_sgpr_kernarg_segment_ptr 1
		.amdhsa_user_sgpr_dispatch_id 0
		.amdhsa_user_sgpr_private_segment_size 0
		.amdhsa_wavefront_size32 1
		.amdhsa_uses_dynamic_stack 0
		.amdhsa_enable_private_segment 0
		.amdhsa_system_sgpr_workgroup_id_x 1
		.amdhsa_system_sgpr_workgroup_id_y 0
		.amdhsa_system_sgpr_workgroup_id_z 0
		.amdhsa_system_sgpr_workgroup_info 0
		.amdhsa_system_vgpr_workitem_id 0
		.amdhsa_next_free_vgpr 1
		.amdhsa_next_free_sgpr 1
		.amdhsa_reserve_vcc 0
		.amdhsa_float_round_mode_32 0
		.amdhsa_float_round_mode_16_64 0
		.amdhsa_float_denorm_mode_32 3
		.amdhsa_float_denorm_mode_16_64 3
		.amdhsa_dx10_clamp 1
		.amdhsa_ieee_mode 1
		.amdhsa_fp16_overflow 0
		.amdhsa_workgroup_processor_mode 1
		.amdhsa_memory_ordered 1
		.amdhsa_forward_progress 0
		.amdhsa_shared_vgpr_count 0
		.amdhsa_exception_fp_ieee_invalid_op 0
		.amdhsa_exception_fp_denorm_src 0
		.amdhsa_exception_fp_ieee_div_zero 0
		.amdhsa_exception_fp_ieee_overflow 0
		.amdhsa_exception_fp_ieee_underflow 0
		.amdhsa_exception_fp_ieee_inexact 0
		.amdhsa_exception_int_div_zero 0
	.end_amdhsa_kernel
	.section	.text._ZN7rocprim17ROCPRIM_400000_NS6detail17trampoline_kernelINS0_14default_configENS1_25partition_config_selectorILNS1_17partition_subalgoE9EtjbEEZZNS1_14partition_implILS5_9ELb0ES3_jN6thrust23THRUST_200600_302600_NS6detail15normal_iteratorINS9_10device_ptrItEEEENSB_INSC_IjEEEEPNS0_10empty_typeENS0_5tupleIJNS9_16discard_iteratorINS9_11use_defaultEEESH_EEENSJ_IJSG_SI_EEENS0_18inequality_wrapperINS9_8equal_toItEEEEPmJSH_EEE10hipError_tPvRmT3_T4_T5_T6_T7_T9_mT8_P12ihipStream_tbDpT10_ENKUlT_T0_E_clISt17integral_constantIbLb0EES1C_IbLb1EEEEDaS18_S19_EUlS18_E_NS1_11comp_targetILNS1_3genE10ELNS1_11target_archE1200ELNS1_3gpuE4ELNS1_3repE0EEENS1_30default_config_static_selectorELNS0_4arch9wavefront6targetE0EEEvT1_,"axG",@progbits,_ZN7rocprim17ROCPRIM_400000_NS6detail17trampoline_kernelINS0_14default_configENS1_25partition_config_selectorILNS1_17partition_subalgoE9EtjbEEZZNS1_14partition_implILS5_9ELb0ES3_jN6thrust23THRUST_200600_302600_NS6detail15normal_iteratorINS9_10device_ptrItEEEENSB_INSC_IjEEEEPNS0_10empty_typeENS0_5tupleIJNS9_16discard_iteratorINS9_11use_defaultEEESH_EEENSJ_IJSG_SI_EEENS0_18inequality_wrapperINS9_8equal_toItEEEEPmJSH_EEE10hipError_tPvRmT3_T4_T5_T6_T7_T9_mT8_P12ihipStream_tbDpT10_ENKUlT_T0_E_clISt17integral_constantIbLb0EES1C_IbLb1EEEEDaS18_S19_EUlS18_E_NS1_11comp_targetILNS1_3genE10ELNS1_11target_archE1200ELNS1_3gpuE4ELNS1_3repE0EEENS1_30default_config_static_selectorELNS0_4arch9wavefront6targetE0EEEvT1_,comdat
.Lfunc_end978:
	.size	_ZN7rocprim17ROCPRIM_400000_NS6detail17trampoline_kernelINS0_14default_configENS1_25partition_config_selectorILNS1_17partition_subalgoE9EtjbEEZZNS1_14partition_implILS5_9ELb0ES3_jN6thrust23THRUST_200600_302600_NS6detail15normal_iteratorINS9_10device_ptrItEEEENSB_INSC_IjEEEEPNS0_10empty_typeENS0_5tupleIJNS9_16discard_iteratorINS9_11use_defaultEEESH_EEENSJ_IJSG_SI_EEENS0_18inequality_wrapperINS9_8equal_toItEEEEPmJSH_EEE10hipError_tPvRmT3_T4_T5_T6_T7_T9_mT8_P12ihipStream_tbDpT10_ENKUlT_T0_E_clISt17integral_constantIbLb0EES1C_IbLb1EEEEDaS18_S19_EUlS18_E_NS1_11comp_targetILNS1_3genE10ELNS1_11target_archE1200ELNS1_3gpuE4ELNS1_3repE0EEENS1_30default_config_static_selectorELNS0_4arch9wavefront6targetE0EEEvT1_, .Lfunc_end978-_ZN7rocprim17ROCPRIM_400000_NS6detail17trampoline_kernelINS0_14default_configENS1_25partition_config_selectorILNS1_17partition_subalgoE9EtjbEEZZNS1_14partition_implILS5_9ELb0ES3_jN6thrust23THRUST_200600_302600_NS6detail15normal_iteratorINS9_10device_ptrItEEEENSB_INSC_IjEEEEPNS0_10empty_typeENS0_5tupleIJNS9_16discard_iteratorINS9_11use_defaultEEESH_EEENSJ_IJSG_SI_EEENS0_18inequality_wrapperINS9_8equal_toItEEEEPmJSH_EEE10hipError_tPvRmT3_T4_T5_T6_T7_T9_mT8_P12ihipStream_tbDpT10_ENKUlT_T0_E_clISt17integral_constantIbLb0EES1C_IbLb1EEEEDaS18_S19_EUlS18_E_NS1_11comp_targetILNS1_3genE10ELNS1_11target_archE1200ELNS1_3gpuE4ELNS1_3repE0EEENS1_30default_config_static_selectorELNS0_4arch9wavefront6targetE0EEEvT1_
                                        ; -- End function
	.section	.AMDGPU.csdata,"",@progbits
; Kernel info:
; codeLenInByte = 0
; NumSgprs: 0
; NumVgprs: 0
; ScratchSize: 0
; MemoryBound: 0
; FloatMode: 240
; IeeeMode: 1
; LDSByteSize: 0 bytes/workgroup (compile time only)
; SGPRBlocks: 0
; VGPRBlocks: 0
; NumSGPRsForWavesPerEU: 1
; NumVGPRsForWavesPerEU: 1
; Occupancy: 16
; WaveLimiterHint : 0
; COMPUTE_PGM_RSRC2:SCRATCH_EN: 0
; COMPUTE_PGM_RSRC2:USER_SGPR: 15
; COMPUTE_PGM_RSRC2:TRAP_HANDLER: 0
; COMPUTE_PGM_RSRC2:TGID_X_EN: 1
; COMPUTE_PGM_RSRC2:TGID_Y_EN: 0
; COMPUTE_PGM_RSRC2:TGID_Z_EN: 0
; COMPUTE_PGM_RSRC2:TIDIG_COMP_CNT: 0
	.section	.text._ZN7rocprim17ROCPRIM_400000_NS6detail17trampoline_kernelINS0_14default_configENS1_25partition_config_selectorILNS1_17partition_subalgoE9EtjbEEZZNS1_14partition_implILS5_9ELb0ES3_jN6thrust23THRUST_200600_302600_NS6detail15normal_iteratorINS9_10device_ptrItEEEENSB_INSC_IjEEEEPNS0_10empty_typeENS0_5tupleIJNS9_16discard_iteratorINS9_11use_defaultEEESH_EEENSJ_IJSG_SI_EEENS0_18inequality_wrapperINS9_8equal_toItEEEEPmJSH_EEE10hipError_tPvRmT3_T4_T5_T6_T7_T9_mT8_P12ihipStream_tbDpT10_ENKUlT_T0_E_clISt17integral_constantIbLb0EES1C_IbLb1EEEEDaS18_S19_EUlS18_E_NS1_11comp_targetILNS1_3genE9ELNS1_11target_archE1100ELNS1_3gpuE3ELNS1_3repE0EEENS1_30default_config_static_selectorELNS0_4arch9wavefront6targetE0EEEvT1_,"axG",@progbits,_ZN7rocprim17ROCPRIM_400000_NS6detail17trampoline_kernelINS0_14default_configENS1_25partition_config_selectorILNS1_17partition_subalgoE9EtjbEEZZNS1_14partition_implILS5_9ELb0ES3_jN6thrust23THRUST_200600_302600_NS6detail15normal_iteratorINS9_10device_ptrItEEEENSB_INSC_IjEEEEPNS0_10empty_typeENS0_5tupleIJNS9_16discard_iteratorINS9_11use_defaultEEESH_EEENSJ_IJSG_SI_EEENS0_18inequality_wrapperINS9_8equal_toItEEEEPmJSH_EEE10hipError_tPvRmT3_T4_T5_T6_T7_T9_mT8_P12ihipStream_tbDpT10_ENKUlT_T0_E_clISt17integral_constantIbLb0EES1C_IbLb1EEEEDaS18_S19_EUlS18_E_NS1_11comp_targetILNS1_3genE9ELNS1_11target_archE1100ELNS1_3gpuE3ELNS1_3repE0EEENS1_30default_config_static_selectorELNS0_4arch9wavefront6targetE0EEEvT1_,comdat
	.protected	_ZN7rocprim17ROCPRIM_400000_NS6detail17trampoline_kernelINS0_14default_configENS1_25partition_config_selectorILNS1_17partition_subalgoE9EtjbEEZZNS1_14partition_implILS5_9ELb0ES3_jN6thrust23THRUST_200600_302600_NS6detail15normal_iteratorINS9_10device_ptrItEEEENSB_INSC_IjEEEEPNS0_10empty_typeENS0_5tupleIJNS9_16discard_iteratorINS9_11use_defaultEEESH_EEENSJ_IJSG_SI_EEENS0_18inequality_wrapperINS9_8equal_toItEEEEPmJSH_EEE10hipError_tPvRmT3_T4_T5_T6_T7_T9_mT8_P12ihipStream_tbDpT10_ENKUlT_T0_E_clISt17integral_constantIbLb0EES1C_IbLb1EEEEDaS18_S19_EUlS18_E_NS1_11comp_targetILNS1_3genE9ELNS1_11target_archE1100ELNS1_3gpuE3ELNS1_3repE0EEENS1_30default_config_static_selectorELNS0_4arch9wavefront6targetE0EEEvT1_ ; -- Begin function _ZN7rocprim17ROCPRIM_400000_NS6detail17trampoline_kernelINS0_14default_configENS1_25partition_config_selectorILNS1_17partition_subalgoE9EtjbEEZZNS1_14partition_implILS5_9ELb0ES3_jN6thrust23THRUST_200600_302600_NS6detail15normal_iteratorINS9_10device_ptrItEEEENSB_INSC_IjEEEEPNS0_10empty_typeENS0_5tupleIJNS9_16discard_iteratorINS9_11use_defaultEEESH_EEENSJ_IJSG_SI_EEENS0_18inequality_wrapperINS9_8equal_toItEEEEPmJSH_EEE10hipError_tPvRmT3_T4_T5_T6_T7_T9_mT8_P12ihipStream_tbDpT10_ENKUlT_T0_E_clISt17integral_constantIbLb0EES1C_IbLb1EEEEDaS18_S19_EUlS18_E_NS1_11comp_targetILNS1_3genE9ELNS1_11target_archE1100ELNS1_3gpuE3ELNS1_3repE0EEENS1_30default_config_static_selectorELNS0_4arch9wavefront6targetE0EEEvT1_
	.globl	_ZN7rocprim17ROCPRIM_400000_NS6detail17trampoline_kernelINS0_14default_configENS1_25partition_config_selectorILNS1_17partition_subalgoE9EtjbEEZZNS1_14partition_implILS5_9ELb0ES3_jN6thrust23THRUST_200600_302600_NS6detail15normal_iteratorINS9_10device_ptrItEEEENSB_INSC_IjEEEEPNS0_10empty_typeENS0_5tupleIJNS9_16discard_iteratorINS9_11use_defaultEEESH_EEENSJ_IJSG_SI_EEENS0_18inequality_wrapperINS9_8equal_toItEEEEPmJSH_EEE10hipError_tPvRmT3_T4_T5_T6_T7_T9_mT8_P12ihipStream_tbDpT10_ENKUlT_T0_E_clISt17integral_constantIbLb0EES1C_IbLb1EEEEDaS18_S19_EUlS18_E_NS1_11comp_targetILNS1_3genE9ELNS1_11target_archE1100ELNS1_3gpuE3ELNS1_3repE0EEENS1_30default_config_static_selectorELNS0_4arch9wavefront6targetE0EEEvT1_
	.p2align	8
	.type	_ZN7rocprim17ROCPRIM_400000_NS6detail17trampoline_kernelINS0_14default_configENS1_25partition_config_selectorILNS1_17partition_subalgoE9EtjbEEZZNS1_14partition_implILS5_9ELb0ES3_jN6thrust23THRUST_200600_302600_NS6detail15normal_iteratorINS9_10device_ptrItEEEENSB_INSC_IjEEEEPNS0_10empty_typeENS0_5tupleIJNS9_16discard_iteratorINS9_11use_defaultEEESH_EEENSJ_IJSG_SI_EEENS0_18inequality_wrapperINS9_8equal_toItEEEEPmJSH_EEE10hipError_tPvRmT3_T4_T5_T6_T7_T9_mT8_P12ihipStream_tbDpT10_ENKUlT_T0_E_clISt17integral_constantIbLb0EES1C_IbLb1EEEEDaS18_S19_EUlS18_E_NS1_11comp_targetILNS1_3genE9ELNS1_11target_archE1100ELNS1_3gpuE3ELNS1_3repE0EEENS1_30default_config_static_selectorELNS0_4arch9wavefront6targetE0EEEvT1_,@function
_ZN7rocprim17ROCPRIM_400000_NS6detail17trampoline_kernelINS0_14default_configENS1_25partition_config_selectorILNS1_17partition_subalgoE9EtjbEEZZNS1_14partition_implILS5_9ELb0ES3_jN6thrust23THRUST_200600_302600_NS6detail15normal_iteratorINS9_10device_ptrItEEEENSB_INSC_IjEEEEPNS0_10empty_typeENS0_5tupleIJNS9_16discard_iteratorINS9_11use_defaultEEESH_EEENSJ_IJSG_SI_EEENS0_18inequality_wrapperINS9_8equal_toItEEEEPmJSH_EEE10hipError_tPvRmT3_T4_T5_T6_T7_T9_mT8_P12ihipStream_tbDpT10_ENKUlT_T0_E_clISt17integral_constantIbLb0EES1C_IbLb1EEEEDaS18_S19_EUlS18_E_NS1_11comp_targetILNS1_3genE9ELNS1_11target_archE1100ELNS1_3gpuE3ELNS1_3repE0EEENS1_30default_config_static_selectorELNS0_4arch9wavefront6targetE0EEEvT1_: ; @_ZN7rocprim17ROCPRIM_400000_NS6detail17trampoline_kernelINS0_14default_configENS1_25partition_config_selectorILNS1_17partition_subalgoE9EtjbEEZZNS1_14partition_implILS5_9ELb0ES3_jN6thrust23THRUST_200600_302600_NS6detail15normal_iteratorINS9_10device_ptrItEEEENSB_INSC_IjEEEEPNS0_10empty_typeENS0_5tupleIJNS9_16discard_iteratorINS9_11use_defaultEEESH_EEENSJ_IJSG_SI_EEENS0_18inequality_wrapperINS9_8equal_toItEEEEPmJSH_EEE10hipError_tPvRmT3_T4_T5_T6_T7_T9_mT8_P12ihipStream_tbDpT10_ENKUlT_T0_E_clISt17integral_constantIbLb0EES1C_IbLb1EEEEDaS18_S19_EUlS18_E_NS1_11comp_targetILNS1_3genE9ELNS1_11target_archE1100ELNS1_3gpuE3ELNS1_3repE0EEENS1_30default_config_static_selectorELNS0_4arch9wavefront6targetE0EEEvT1_
; %bb.0:
	s_clause 0x5
	s_load_b128 s[4:7], s[0:1], 0x8
	s_load_b64 s[8:9], s[0:1], 0x18
	s_load_b64 s[16:17], s[0:1], 0x38
	s_load_b128 s[12:15], s[0:1], 0x48
	s_load_b64 s[10:11], s[0:1], 0x58
	s_load_b64 s[18:19], s[0:1], 0x68
	v_cmp_ne_u32_e64 s3, 0, v0
	v_cmp_eq_u32_e64 s2, 0, v0
	s_delay_alu instid0(VALU_DEP_1)
	s_and_saveexec_b32 s20, s2
	s_cbranch_execz .LBB979_4
; %bb.1:
	s_mov_b32 s22, exec_lo
	s_mov_b32 s21, exec_lo
	v_mbcnt_lo_u32_b32 v1, s22, 0
                                        ; implicit-def: $vgpr2
	s_delay_alu instid0(VALU_DEP_1)
	v_cmpx_eq_u32_e32 0, v1
	s_cbranch_execz .LBB979_3
; %bb.2:
	s_load_b64 s[24:25], s[0:1], 0x78
	s_bcnt1_i32_b32 s22, s22
	s_delay_alu instid0(SALU_CYCLE_1)
	v_dual_mov_b32 v2, 0 :: v_dual_mov_b32 v3, s22
	s_waitcnt lgkmcnt(0)
	global_atomic_add_u32 v2, v2, v3, s[24:25] glc
.LBB979_3:
	s_or_b32 exec_lo, exec_lo, s21
	s_waitcnt vmcnt(0)
	v_readfirstlane_b32 s21, v2
	s_delay_alu instid0(VALU_DEP_1)
	v_dual_mov_b32 v2, 0 :: v_dual_add_nc_u32 v1, s21, v1
	ds_store_b32 v2, v1
.LBB979_4:
	s_or_b32 exec_lo, exec_lo, s20
	v_mov_b32_e32 v1, 0
	s_waitcnt lgkmcnt(0)
	s_barrier
	buffer_gl0_inv
	s_load_b32 s0, s[0:1], 0x70
	ds_load_b32 v2, v1
	s_waitcnt lgkmcnt(0)
	s_barrier
	buffer_gl0_inv
	global_load_b64 v[19:20], v1, s[14:15]
	s_lshl_b64 s[14:15], s[6:7], 1
	v_lshlrev_b32_e32 v9, 1, v0
	s_add_u32 s23, s4, s14
	s_addc_u32 s24, s5, s15
	s_mov_b32 s5, 0
	s_mul_i32 s1, s0, 0x580
	v_readfirstlane_b32 s20, v2
	s_add_i32 s4, s1, s6
	s_delay_alu instid0(SALU_CYCLE_1)
	s_sub_i32 s21, s10, s4
	s_add_i32 s4, s0, -1
	s_addk_i32 s21, 0x580
	s_add_u32 s0, s6, s1
	s_addc_u32 s1, s7, 0
	s_cmp_eq_u32 s20, s4
	v_cmp_ge_u64_e64 s0, s[0:1], s[10:11]
	s_cselect_b32 s14, -1, 0
	s_mul_i32 s4, s20, 0x580
	s_mov_b32 s11, -1
	s_delay_alu instid0(VALU_DEP_1)
	s_and_b32 s22, s0, s14
	s_lshl_b64 s[0:1], s[4:5], 1
	s_xor_b32 s15, s22, -1
	s_add_u32 s10, s23, s0
	s_addc_u32 s1, s24, s1
	s_and_b32 vcc_lo, exec_lo, s15
	s_cbranch_vccz .LBB979_6
; %bb.5:
	v_add_co_u32 v1, s0, s10, v9
	s_delay_alu instid0(VALU_DEP_1)
	v_add_co_ci_u32_e64 v2, null, s1, 0, s0
	s_mov_b32 s11, s5
	s_clause 0xa
	flat_load_u16 v3, v[1:2]
	flat_load_u16 v4, v[1:2] offset:256
	flat_load_u16 v5, v[1:2] offset:512
	;; [unrolled: 1-line block ×10, first 2 shown]
	s_waitcnt vmcnt(10) lgkmcnt(10)
	ds_store_b16 v9, v3
	s_waitcnt vmcnt(9) lgkmcnt(10)
	ds_store_b16 v9, v4 offset:256
	s_waitcnt vmcnt(8) lgkmcnt(10)
	ds_store_b16 v9, v5 offset:512
	s_waitcnt vmcnt(7) lgkmcnt(10)
	ds_store_b16 v9, v6 offset:768
	s_waitcnt vmcnt(6) lgkmcnt(10)
	ds_store_b16 v9, v7 offset:1024
	s_waitcnt vmcnt(5) lgkmcnt(10)
	ds_store_b16 v9, v8 offset:1280
	s_waitcnt vmcnt(4) lgkmcnt(10)
	ds_store_b16 v9, v10 offset:1536
	s_waitcnt vmcnt(3) lgkmcnt(10)
	ds_store_b16 v9, v11 offset:1792
	s_waitcnt vmcnt(2) lgkmcnt(10)
	ds_store_b16 v9, v12 offset:2048
	s_waitcnt vmcnt(1) lgkmcnt(10)
	ds_store_b16 v9, v13 offset:2304
	s_waitcnt vmcnt(0) lgkmcnt(10)
	ds_store_b16 v9, v1 offset:2560
	s_waitcnt lgkmcnt(0)
	s_barrier
.LBB979_6:
	v_cmp_gt_u32_e64 s0, s21, v0
	s_and_not1_b32 vcc_lo, exec_lo, s11
	s_cbranch_vccnz .LBB979_30
; %bb.7:
                                        ; implicit-def: $vgpr1_vgpr2_vgpr3_vgpr4_vgpr5_vgpr6_vgpr7_vgpr8
	s_delay_alu instid0(VALU_DEP_1)
	s_and_saveexec_b32 s11, s0
	s_cbranch_execz .LBB979_9
; %bb.8:
	v_add_co_u32 v1, s0, s10, v9
	s_delay_alu instid0(VALU_DEP_1)
	v_add_co_ci_u32_e64 v2, null, s1, 0, s0
	flat_load_d16_b16 v1, v[1:2]
.LBB979_9:
	s_or_b32 exec_lo, exec_lo, s11
	v_or_b32_e32 v7, 0x80, v0
	s_mov_b32 s0, exec_lo
	s_delay_alu instid0(VALU_DEP_1)
	v_cmpx_gt_u32_e64 s21, v7
	s_cbranch_execz .LBB979_11
; %bb.10:
	v_add_co_u32 v7, s11, s10, v9
	s_delay_alu instid0(VALU_DEP_1)
	v_add_co_ci_u32_e64 v8, null, s1, 0, s11
	s_waitcnt vmcnt(0) lgkmcnt(0)
	flat_load_d16_hi_b16 v1, v[7:8] offset:256
.LBB979_11:
	s_or_b32 exec_lo, exec_lo, s0
	v_or_b32_e32 v7, 0x100, v0
	s_mov_b32 s0, exec_lo
	s_delay_alu instid0(VALU_DEP_1)
	v_cmpx_gt_u32_e64 s21, v7
	s_cbranch_execz .LBB979_13
; %bb.12:
	v_add_co_u32 v7, s11, s10, v9
	s_delay_alu instid0(VALU_DEP_1)
	v_add_co_ci_u32_e64 v8, null, s1, 0, s11
	flat_load_d16_b16 v2, v[7:8] offset:512
.LBB979_13:
	s_or_b32 exec_lo, exec_lo, s0
	v_or_b32_e32 v7, 0x180, v0
	s_mov_b32 s0, exec_lo
	s_delay_alu instid0(VALU_DEP_1)
	v_cmpx_gt_u32_e64 s21, v7
	s_cbranch_execz .LBB979_15
; %bb.14:
	v_add_co_u32 v7, s11, s10, v9
	s_delay_alu instid0(VALU_DEP_1)
	v_add_co_ci_u32_e64 v8, null, s1, 0, s11
	s_waitcnt vmcnt(0) lgkmcnt(0)
	flat_load_d16_hi_b16 v2, v[7:8] offset:768
.LBB979_15:
	s_or_b32 exec_lo, exec_lo, s0
	v_or_b32_e32 v7, 0x200, v0
	s_mov_b32 s0, exec_lo
	s_delay_alu instid0(VALU_DEP_1)
	v_cmpx_gt_u32_e64 s21, v7
	s_cbranch_execz .LBB979_17
; %bb.16:
	v_add_co_u32 v7, s11, s10, v9
	s_delay_alu instid0(VALU_DEP_1)
	v_add_co_ci_u32_e64 v8, null, s1, 0, s11
	flat_load_d16_b16 v3, v[7:8] offset:1024
.LBB979_17:
	;; [unrolled: 25-line block ×5, first 2 shown]
	s_or_b32 exec_lo, exec_lo, s0
	s_waitcnt vmcnt(0) lgkmcnt(0)
	ds_store_b16 v9, v1
	ds_store_b16_d16_hi v9, v1 offset:256
	ds_store_b16 v9, v2 offset:512
	ds_store_b16_d16_hi v9, v2 offset:768
	ds_store_b16 v9, v3 offset:1024
	;; [unrolled: 2-line block ×5, first 2 shown]
	s_waitcnt lgkmcnt(0)
	s_barrier
.LBB979_30:
	v_mul_u32_u24_e32 v1, 11, v0
	s_waitcnt vmcnt(0)
	buffer_gl0_inv
	s_lshl_b64 s[24:25], s[6:7], 2
	s_delay_alu instid0(SALU_CYCLE_1)
	s_add_u32 s0, s8, s24
	v_lshlrev_b32_e32 v2, 1, v1
	s_addc_u32 s8, s9, s25
	s_lshl_b64 s[4:5], s[4:5], 2
	ds_load_b128 v[12:15], v2
	ds_load_u16 v38, v2 offset:16
	ds_load_u16 v37, v2 offset:18
	;; [unrolled: 1-line block ×3, first 2 shown]
	s_add_u32 s0, s0, s4
	s_addc_u32 s4, s8, s5
	s_and_b32 vcc_lo, exec_lo, s15
	s_mov_b32 s5, -1
	s_waitcnt lgkmcnt(0)
	s_barrier
	buffer_gl0_inv
	s_cbranch_vccz .LBB979_32
; %bb.31:
	v_lshlrev_b32_e32 v7, 2, v0
	s_delay_alu instid0(VALU_DEP_1) | instskip(NEXT) | instid1(VALU_DEP_1)
	v_add_co_u32 v3, s5, s0, v7
	v_add_co_ci_u32_e64 v4, null, s4, 0, s5
	s_mov_b32 s5, 0
	s_delay_alu instid0(VALU_DEP_2) | instskip(NEXT) | instid1(VALU_DEP_2)
	v_add_co_u32 v5, vcc_lo, 0x1000, v3
	v_add_co_ci_u32_e32 v6, vcc_lo, 0, v4, vcc_lo
	s_clause 0xa
	flat_load_b32 v8, v[3:4]
	flat_load_b32 v10, v[3:4] offset:512
	flat_load_b32 v11, v[3:4] offset:1024
	flat_load_b32 v16, v[3:4] offset:1536
	flat_load_b32 v17, v[3:4] offset:2048
	flat_load_b32 v18, v[3:4] offset:2560
	flat_load_b32 v21, v[3:4] offset:3072
	flat_load_b32 v3, v[3:4] offset:3584
	flat_load_b32 v4, v[5:6]
	flat_load_b32 v22, v[5:6] offset:512
	flat_load_b32 v5, v[5:6] offset:1024
	s_waitcnt vmcnt(9) lgkmcnt(9)
	ds_store_2addr_stride64_b32 v7, v8, v10 offset1:2
	s_waitcnt vmcnt(7) lgkmcnt(8)
	ds_store_2addr_stride64_b32 v7, v11, v16 offset0:4 offset1:6
	s_waitcnt vmcnt(5) lgkmcnt(7)
	ds_store_2addr_stride64_b32 v7, v17, v18 offset0:8 offset1:10
	;; [unrolled: 2-line block ×4, first 2 shown]
	s_waitcnt vmcnt(0) lgkmcnt(5)
	ds_store_b32 v7, v5 offset:5120
	s_waitcnt lgkmcnt(0)
	s_barrier
.LBB979_32:
	s_and_not1_b32 vcc_lo, exec_lo, s5
	s_cbranch_vccnz .LBB979_56
; %bb.33:
	s_mov_b32 s5, exec_lo
                                        ; implicit-def: $vgpr3
	v_cmpx_gt_u32_e64 s21, v0
	s_cbranch_execz .LBB979_35
; %bb.34:
	v_lshlrev_b32_e32 v3, 2, v0
	s_delay_alu instid0(VALU_DEP_1) | instskip(NEXT) | instid1(VALU_DEP_1)
	v_add_co_u32 v3, s8, s0, v3
	v_add_co_ci_u32_e64 v4, null, s4, 0, s8
	flat_load_b32 v3, v[3:4]
.LBB979_35:
	s_or_b32 exec_lo, exec_lo, s5
	v_or_b32_e32 v4, 0x80, v0
	s_delay_alu instid0(VALU_DEP_1)
	v_cmp_gt_u32_e32 vcc_lo, s21, v4
                                        ; implicit-def: $vgpr4
	s_and_saveexec_b32 s5, vcc_lo
	s_cbranch_execz .LBB979_37
; %bb.36:
	v_lshlrev_b32_e32 v4, 2, v0
	s_delay_alu instid0(VALU_DEP_1) | instskip(NEXT) | instid1(VALU_DEP_1)
	v_add_co_u32 v4, s8, s0, v4
	v_add_co_ci_u32_e64 v5, null, s4, 0, s8
	flat_load_b32 v4, v[4:5] offset:512
.LBB979_37:
	s_or_b32 exec_lo, exec_lo, s5
	v_or_b32_e32 v5, 0x100, v0
	s_delay_alu instid0(VALU_DEP_1)
	v_cmp_gt_u32_e32 vcc_lo, s21, v5
                                        ; implicit-def: $vgpr5
	s_and_saveexec_b32 s5, vcc_lo
	s_cbranch_execz .LBB979_39
; %bb.38:
	v_lshlrev_b32_e32 v5, 2, v0
	s_delay_alu instid0(VALU_DEP_1) | instskip(NEXT) | instid1(VALU_DEP_1)
	v_add_co_u32 v5, s8, s0, v5
	v_add_co_ci_u32_e64 v6, null, s4, 0, s8
	flat_load_b32 v5, v[5:6] offset:1024
.LBB979_39:
	s_or_b32 exec_lo, exec_lo, s5
	v_or_b32_e32 v6, 0x180, v0
	s_delay_alu instid0(VALU_DEP_1)
	v_cmp_gt_u32_e32 vcc_lo, s21, v6
                                        ; implicit-def: $vgpr6
	s_and_saveexec_b32 s5, vcc_lo
	s_cbranch_execz .LBB979_41
; %bb.40:
	v_lshlrev_b32_e32 v6, 2, v0
	s_delay_alu instid0(VALU_DEP_1) | instskip(NEXT) | instid1(VALU_DEP_1)
	v_add_co_u32 v6, s8, s0, v6
	v_add_co_ci_u32_e64 v7, null, s4, 0, s8
	flat_load_b32 v6, v[6:7] offset:1536
.LBB979_41:
	s_or_b32 exec_lo, exec_lo, s5
	v_or_b32_e32 v7, 0x200, v0
	s_delay_alu instid0(VALU_DEP_1)
	v_cmp_gt_u32_e32 vcc_lo, s21, v7
                                        ; implicit-def: $vgpr7
	s_and_saveexec_b32 s5, vcc_lo
	s_cbranch_execz .LBB979_43
; %bb.42:
	v_lshlrev_b32_e32 v7, 2, v0
	s_delay_alu instid0(VALU_DEP_1) | instskip(NEXT) | instid1(VALU_DEP_1)
	v_add_co_u32 v7, s8, s0, v7
	v_add_co_ci_u32_e64 v8, null, s4, 0, s8
	flat_load_b32 v7, v[7:8] offset:2048
.LBB979_43:
	s_or_b32 exec_lo, exec_lo, s5
	v_or_b32_e32 v8, 0x280, v0
	s_delay_alu instid0(VALU_DEP_1)
	v_cmp_gt_u32_e32 vcc_lo, s21, v8
                                        ; implicit-def: $vgpr8
	s_and_saveexec_b32 s5, vcc_lo
	s_cbranch_execz .LBB979_45
; %bb.44:
	v_lshlrev_b32_e32 v8, 2, v0
	s_delay_alu instid0(VALU_DEP_1) | instskip(NEXT) | instid1(VALU_DEP_1)
	v_add_co_u32 v10, s8, s0, v8
	v_add_co_ci_u32_e64 v11, null, s4, 0, s8
	flat_load_b32 v8, v[10:11] offset:2560
.LBB979_45:
	s_or_b32 exec_lo, exec_lo, s5
	v_or_b32_e32 v10, 0x300, v0
	s_delay_alu instid0(VALU_DEP_1)
	v_cmp_gt_u32_e32 vcc_lo, s21, v10
                                        ; implicit-def: $vgpr10
	s_and_saveexec_b32 s5, vcc_lo
	s_cbranch_execz .LBB979_47
; %bb.46:
	v_lshlrev_b32_e32 v10, 2, v0
	s_delay_alu instid0(VALU_DEP_1) | instskip(NEXT) | instid1(VALU_DEP_1)
	v_add_co_u32 v10, s8, s0, v10
	v_add_co_ci_u32_e64 v11, null, s4, 0, s8
	flat_load_b32 v10, v[10:11] offset:3072
.LBB979_47:
	s_or_b32 exec_lo, exec_lo, s5
	v_or_b32_e32 v11, 0x380, v0
	s_delay_alu instid0(VALU_DEP_1)
	v_cmp_gt_u32_e32 vcc_lo, s21, v11
                                        ; implicit-def: $vgpr11
	s_and_saveexec_b32 s5, vcc_lo
	s_cbranch_execz .LBB979_49
; %bb.48:
	v_lshlrev_b32_e32 v11, 2, v0
	s_delay_alu instid0(VALU_DEP_1) | instskip(NEXT) | instid1(VALU_DEP_1)
	v_add_co_u32 v16, s8, s0, v11
	v_add_co_ci_u32_e64 v17, null, s4, 0, s8
	flat_load_b32 v11, v[16:17] offset:3584
.LBB979_49:
	s_or_b32 exec_lo, exec_lo, s5
	v_or_b32_e32 v17, 0x400, v0
	s_mov_b32 s5, exec_lo
                                        ; implicit-def: $vgpr16
	s_delay_alu instid0(VALU_DEP_1)
	v_cmpx_gt_u32_e64 s21, v17
	s_cbranch_execz .LBB979_51
; %bb.50:
	v_lshlrev_b32_e32 v16, 2, v17
	s_delay_alu instid0(VALU_DEP_1) | instskip(NEXT) | instid1(VALU_DEP_1)
	v_add_co_u32 v16, s8, s0, v16
	v_add_co_ci_u32_e64 v17, null, s4, 0, s8
	flat_load_b32 v16, v[16:17]
.LBB979_51:
	s_or_b32 exec_lo, exec_lo, s5
	v_or_b32_e32 v18, 0x480, v0
	s_mov_b32 s5, exec_lo
                                        ; implicit-def: $vgpr17
	s_delay_alu instid0(VALU_DEP_1)
	v_cmpx_gt_u32_e64 s21, v18
	s_cbranch_execz .LBB979_53
; %bb.52:
	v_lshlrev_b32_e32 v17, 2, v18
	s_delay_alu instid0(VALU_DEP_1) | instskip(NEXT) | instid1(VALU_DEP_1)
	v_add_co_u32 v17, s8, s0, v17
	v_add_co_ci_u32_e64 v18, null, s4, 0, s8
	flat_load_b32 v17, v[17:18]
.LBB979_53:
	s_or_b32 exec_lo, exec_lo, s5
	v_or_b32_e32 v21, 0x500, v0
	s_mov_b32 s5, exec_lo
                                        ; implicit-def: $vgpr18
	s_delay_alu instid0(VALU_DEP_1)
	v_cmpx_gt_u32_e64 s21, v21
	s_cbranch_execz .LBB979_55
; %bb.54:
	v_lshlrev_b32_e32 v18, 2, v21
	s_delay_alu instid0(VALU_DEP_1) | instskip(NEXT) | instid1(VALU_DEP_1)
	v_add_co_u32 v21, s0, s0, v18
	v_add_co_ci_u32_e64 v22, null, s4, 0, s0
	flat_load_b32 v18, v[21:22]
.LBB979_55:
	s_or_b32 exec_lo, exec_lo, s5
	v_mad_i32_i24 v2, 0xffffffee, v0, v2
	s_waitcnt vmcnt(0) lgkmcnt(0)
	ds_store_2addr_stride64_b32 v2, v3, v4 offset1:2
	ds_store_2addr_stride64_b32 v2, v5, v6 offset0:4 offset1:6
	ds_store_2addr_stride64_b32 v2, v7, v8 offset0:8 offset1:10
	;; [unrolled: 1-line block ×4, first 2 shown]
	ds_store_b32 v2, v18 offset:5120
	s_waitcnt lgkmcnt(0)
	s_barrier
.LBB979_56:
	v_lshlrev_b32_e32 v43, 2, v1
	buffer_gl0_inv
	s_cmp_lg_u32 s20, 0
	v_lshrrev_b32_e32 v42, 16, v12
	s_cselect_b32 s23, -1, 0
	ds_load_2addr_b32 v[29:30], v43 offset1:1
	ds_load_2addr_b32 v[27:28], v43 offset0:2 offset1:3
	ds_load_2addr_b32 v[25:26], v43 offset0:4 offset1:5
	;; [unrolled: 1-line block ×4, first 2 shown]
	ds_load_b32 v35, v43 offset:40
	s_cmp_lg_u64 s[6:7], 0
	v_lshrrev_b32_e32 v41, 16, v13
	s_cselect_b32 s0, -1, 0
	v_lshrrev_b32_e32 v40, 16, v14
	v_lshrrev_b32_e32 v39, 16, v15
	v_add_nc_u32_e32 v5, 1, v1
	v_add_nc_u32_e32 v6, 2, v1
	v_add_nc_u32_e32 v3, 3, v1
	v_add_nc_u32_e32 v8, 4, v1
	v_add_nc_u32_e32 v7, 5, v1
	v_add_nc_u32_e32 v4, 6, v1
	v_add_nc_u32_e32 v2, 7, v1
	v_add_nc_u32_e32 v33, 8, v1
	v_add_nc_u32_e32 v11, 9, v1
	v_add_nc_u32_e32 v10, 10, v1
	s_or_b32 s0, s0, s23
	s_mov_b32 s24, 0
	s_and_b32 vcc_lo, exec_lo, s0
	s_waitcnt lgkmcnt(0)
	s_barrier
	buffer_gl0_inv
	s_cbranch_vccz .LBB979_61
; %bb.57:
	v_add_co_u32 v16, s0, -2, s10
	s_delay_alu instid0(VALU_DEP_1)
	v_add_co_ci_u32_e64 v17, null, -1, s1, s0
	s_mov_b32 s1, -1
	s_and_b32 vcc_lo, exec_lo, s15
	flat_load_u16 v16, v[16:17]
	ds_store_b16 v9, v36
	s_cbranch_vccz .LBB979_63
; %bb.58:
	s_waitcnt vmcnt(0) lgkmcnt(1)
	v_mov_b32_e32 v17, v16
	s_waitcnt lgkmcnt(0)
	s_barrier
	buffer_gl0_inv
	s_and_saveexec_b32 s0, s3
	s_cbranch_execz .LBB979_60
; %bb.59:
	v_add_nc_u32_e32 v17, -2, v9
	ds_load_u16 v17, v17
.LBB979_60:
	s_or_b32 exec_lo, exec_lo, s0
	v_cmp_ne_u16_e32 vcc_lo, v15, v39
	s_waitcnt lgkmcnt(0)
	v_cmp_ne_u16_e64 s0, v17, v12
	v_cndmask_b32_e64 v18, 0, 1, vcc_lo
	v_cmp_ne_u16_e32 vcc_lo, v40, v15
	s_delay_alu instid0(VALU_DEP_2) | instskip(SKIP_2) | instid1(VALU_DEP_2)
	v_lshlrev_b16 v18, 8, v18
	v_cndmask_b32_e64 v31, 0, 1, vcc_lo
	v_cmp_ne_u16_e32 vcc_lo, v14, v40
	v_or_b32_e32 v18, v31, v18
	v_cndmask_b32_e64 v32, 0, 1, vcc_lo
	v_cmp_ne_u16_e32 vcc_lo, v41, v14
	s_delay_alu instid0(VALU_DEP_3) | instskip(NEXT) | instid1(VALU_DEP_3)
	v_lshlrev_b32_e32 v18, 16, v18
	v_lshlrev_b16 v32, 8, v32
	v_cndmask_b32_e64 v34, 0, 1, vcc_lo
	v_cmp_ne_u16_e32 vcc_lo, v13, v41
	s_delay_alu instid0(VALU_DEP_2) | instskip(SKIP_2) | instid1(VALU_DEP_3)
	v_or_b32_e32 v32, v34, v32
	v_cndmask_b32_e64 v44, 0, 1, vcc_lo
	v_cmp_ne_u16_e32 vcc_lo, v42, v13
	v_and_b32_e32 v32, 0xffff, v32
	s_delay_alu instid0(VALU_DEP_3) | instskip(SKIP_2) | instid1(VALU_DEP_4)
	v_lshlrev_b16 v44, 8, v44
	v_cndmask_b32_e64 v46, 0, 1, vcc_lo
	v_cmp_ne_u16_e32 vcc_lo, v12, v42
	v_or_b32_e32 v32, v32, v18
	s_delay_alu instid0(VALU_DEP_3) | instskip(SKIP_2) | instid1(VALU_DEP_3)
	v_or_b32_e32 v44, v46, v44
	v_cndmask_b32_e64 v47, 0, 1, vcc_lo
	v_cmp_ne_u16_e32 vcc_lo, v37, v36
	v_lshlrev_b32_e32 v31, 16, v44
	s_delay_alu instid0(VALU_DEP_3) | instskip(SKIP_2) | instid1(VALU_DEP_3)
	v_lshlrev_b16 v46, 8, v47
	v_cndmask_b32_e64 v45, 0, 1, vcc_lo
	v_cmp_ne_u16_e32 vcc_lo, v38, v37
	v_and_b32_e32 v46, 0xffff, v46
	v_cndmask_b32_e64 v34, 0, 1, vcc_lo
	v_cmp_ne_u16_e32 vcc_lo, v39, v38
	s_delay_alu instid0(VALU_DEP_3)
	v_or_b32_e32 v31, v46, v31
	v_cndmask_b32_e64 v44, 0, 1, vcc_lo
	s_branch .LBB979_67
.LBB979_61:
                                        ; implicit-def: $sgpr0
                                        ; implicit-def: $vgpr45
                                        ; implicit-def: $vgpr34
                                        ; implicit-def: $vgpr44
                                        ; implicit-def: $vgpr32
	s_branch .LBB979_68
.LBB979_62:
                                        ; implicit-def: $vgpr16_vgpr17_vgpr18
	s_and_saveexec_b32 s1, s24
	s_cbranch_execnz .LBB979_76
	s_branch .LBB979_77
.LBB979_63:
                                        ; implicit-def: $sgpr0
                                        ; implicit-def: $vgpr45
                                        ; implicit-def: $vgpr34
                                        ; implicit-def: $vgpr44
                                        ; implicit-def: $vgpr32
	s_and_b32 vcc_lo, exec_lo, s1
	s_cbranch_vccz .LBB979_67
; %bb.64:
	s_waitcnt vmcnt(0) lgkmcnt(0)
	s_barrier
	buffer_gl0_inv
	s_and_saveexec_b32 s0, s3
	s_cbranch_execz .LBB979_66
; %bb.65:
	v_add_nc_u32_e32 v9, -2, v9
	ds_load_u16 v16, v9
.LBB979_66:
	s_or_b32 exec_lo, exec_lo, s0
	v_cmp_gt_u32_e32 vcc_lo, s21, v10
	v_cmp_ne_u16_e64 s0, v37, v36
	v_cmp_gt_u32_e64 s1, s21, v11
	v_cmp_ne_u16_e64 s4, v38, v37
	v_cmp_gt_u32_e64 s5, s21, v5
	v_cmp_ne_u16_e64 s6, v12, v42
	s_and_b32 s0, vcc_lo, s0
	v_cmp_gt_u32_e32 vcc_lo, s21, v2
	v_cndmask_b32_e64 v45, 0, 1, s0
	v_cmp_ne_u16_e64 s0, v15, v39
	s_and_b32 s1, s1, s4
	v_cmp_ne_u16_e64 s4, v40, v15
	v_cndmask_b32_e64 v34, 0, 1, s1
	v_cmp_gt_u32_e64 s1, s21, v4
	s_and_b32 s0, vcc_lo, s0
	v_cmp_gt_u32_e32 vcc_lo, s21, v7
	v_cndmask_b32_e64 v9, 0, 1, s0
	v_cmp_ne_u16_e64 s0, v14, v40
	s_and_b32 s1, s1, s4
	v_cmp_ne_u16_e64 s4, v13, v41
	v_cndmask_b32_e64 v17, 0, 1, s1
	v_cmp_gt_u32_e64 s1, s21, v3
	;; [unrolled: 8-line block ×3, first 2 shown]
	s_and_b32 s0, vcc_lo, s0
	v_lshlrev_b16 v18, 8, v18
	v_cndmask_b32_e64 v32, 0, 1, s0
	v_lshlrev_b16 v31, 8, v31
	s_and_b32 s0, s1, s4
	v_lshlrev_b16 v9, 8, v9
	v_cndmask_b32_e64 v44, 0, 1, s0
	s_and_b32 s0, s5, s6
	v_or_b32_e32 v18, v32, v18
	v_cndmask_b32_e64 v46, 0, 1, s0
	v_or_b32_e32 v9, v17, v9
	v_or_b32_e32 v31, v44, v31
	v_cmp_gt_u32_e32 vcc_lo, s21, v33
	v_cmp_ne_u16_e64 s0, v39, v38
	v_lshlrev_b16 v44, 8, v46
	v_and_b32_e32 v18, 0xffff, v18
	v_lshlrev_b32_e32 v17, 16, v31
	v_lshlrev_b32_e32 v9, 16, v9
	s_and_b32 s0, vcc_lo, s0
	v_and_b32_e32 v31, 0xffff, v44
	v_cndmask_b32_e64 v44, 0, 1, s0
	v_cmp_gt_u32_e32 vcc_lo, s21, v1
	s_waitcnt lgkmcnt(0)
	v_cmp_ne_u16_e64 s0, v16, v12
	v_or_b32_e32 v32, v18, v9
	v_or_b32_e32 v31, v31, v17
	s_delay_alu instid0(VALU_DEP_3)
	s_and_b32 s0, vcc_lo, s0
.LBB979_67:
	s_mov_b32 s24, -1
	s_cbranch_execnz .LBB979_62
.LBB979_68:
	v_mad_i32_i24 v9, 0xffffffd6, v0, v43
	v_cmp_ne_u16_e64 s0, v37, v36
	v_cmp_ne_u16_e64 s9, v38, v37
	;; [unrolled: 1-line block ×10, first 2 shown]
	s_and_b32 vcc_lo, exec_lo, s15
	ds_store_b16 v9, v36
	s_cbranch_vccz .LBB979_72
; %bb.69:
	s_waitcnt vmcnt(0) lgkmcnt(2)
	v_cndmask_b32_e64 v16, 0, 1, s11
	v_cndmask_b32_e64 v34, 0, 1, s9
	;; [unrolled: 1-line block ×5, first 2 shown]
	v_lshlrev_b16 v16, 8, v16
	v_cndmask_b32_e64 v46, 0, 1, s4
	v_cndmask_b32_e64 v44, 0, 1, s10
	;; [unrolled: 1-line block ×4, first 2 shown]
	v_lshlrev_b16 v17, 8, v17
	v_lshlrev_b16 v47, 8, v34
	v_or_b32_e32 v16, v31, v16
	v_lshlrev_b16 v31, 8, v32
	v_lshlrev_b16 v32, 8, v46
	v_or_b32_e32 v17, v18, v17
	v_or_b32_e32 v18, v44, v47
	v_and_b32_e32 v16, 0xffff, v16
	v_or_b32_e32 v31, v45, v31
	v_or_b32_e32 v32, 1, v32
	v_lshlrev_b32_e32 v17, 16, v17
	v_and_b32_e32 v18, 0xffff, v18
	v_cndmask_b32_e64 v45, 0, 1, s0
	v_lshlrev_b32_e32 v31, 16, v31
	v_and_b32_e32 v46, 0xffff, v32
	v_or_b32_e32 v32, v16, v17
	s_waitcnt lgkmcnt(0)
	v_lshl_or_b32 v18, v45, 16, v18
	s_barrier
	v_or_b32_e32 v31, v46, v31
	buffer_gl0_inv
                                        ; implicit-def: $sgpr0
	s_and_saveexec_b32 s1, s3
	s_delay_alu instid0(SALU_CYCLE_1)
	s_xor_b32 s1, exec_lo, s1
	s_cbranch_execz .LBB979_71
; %bb.70:
	v_add_nc_u32_e32 v16, -2, v9
	s_or_b32 s24, s24, exec_lo
	ds_load_u16 v16, v16
	s_waitcnt lgkmcnt(0)
	v_cmp_ne_u16_e32 vcc_lo, v16, v12
                                        ; implicit-def: $vgpr16_vgpr17_vgpr18
	s_and_b32 s0, vcc_lo, exec_lo
.LBB979_71:
	s_or_b32 exec_lo, exec_lo, s1
	s_branch .LBB979_75
.LBB979_72:
                                        ; implicit-def: $sgpr0
                                        ; implicit-def: $vgpr45
                                        ; implicit-def: $vgpr34
                                        ; implicit-def: $vgpr44
                                        ; implicit-def: $vgpr32
                                        ; implicit-def: $vgpr16_vgpr17_vgpr18
	s_cbranch_execz .LBB979_75
; %bb.73:
	v_cmp_gt_u32_e32 vcc_lo, s21, v11
	v_cmp_ne_u16_e64 s0, v38, v37
	v_cmp_gt_u32_e64 s5, s21, v33
	v_cmp_ne_u16_e64 s6, v39, v38
	v_cmp_gt_u32_e64 s1, s21, v10
	v_cmp_ne_u16_e64 s4, v37, v36
	s_and_b32 s0, vcc_lo, s0
	v_cmp_gt_u32_e32 vcc_lo, s21, v2
	v_cndmask_b32_e64 v34, 0, 1, s0
	v_cmp_ne_u16_e64 s0, v15, v39
	s_and_b32 s5, s5, s6
	v_cmp_ne_u16_e64 s6, v40, v15
	v_cndmask_b32_e64 v44, 0, 1, s5
	v_cmp_gt_u32_e64 s5, s21, v4
	s_and_b32 s0, vcc_lo, s0
	v_cmp_gt_u32_e32 vcc_lo, s21, v7
	s_waitcnt vmcnt(0) lgkmcnt(2)
	v_cndmask_b32_e64 v16, 0, 1, s0
	v_cmp_ne_u16_e64 s0, v14, v40
	s_and_b32 s5, s5, s6
	v_cmp_ne_u16_e64 s6, v41, v14
	v_cndmask_b32_e64 v17, 0, 1, s5
	v_cmp_gt_u32_e64 s5, s21, v8
	s_and_b32 s0, vcc_lo, s0
	v_cmp_gt_u32_e32 vcc_lo, s21, v3
	v_cndmask_b32_e64 v18, 0, 1, s0
	v_cmp_ne_u16_e64 s0, v13, v41
	s_and_b32 s5, s5, s6
	v_cmp_ne_u16_e64 s6, v42, v13
	v_cndmask_b32_e64 v31, 0, 1, s5
	v_cmp_gt_u32_e64 s5, s21, v6
	s_and_b32 s0, vcc_lo, s0
	v_cmp_gt_u32_e32 vcc_lo, s21, v5
	v_cndmask_b32_e64 v32, 0, 1, s0
	v_cmp_ne_u16_e64 s0, v12, v42
	v_lshlrev_b16 v18, 8, v18
	v_lshlrev_b16 v16, 8, v16
	s_and_b32 s5, s5, s6
	v_lshlrev_b16 v47, 8, v34
	s_and_b32 s0, vcc_lo, s0
	v_cndmask_b32_e64 v45, 0, 1, s5
	v_cndmask_b32_e64 v46, 0, 1, s0
	v_or_b32_e32 v18, v31, v18
	v_or_b32_e32 v16, v17, v16
	v_lshlrev_b16 v17, 8, v32
	v_or_b32_e32 v32, v44, v47
	v_lshlrev_b16 v31, 8, v46
	s_and_b32 s0, s1, s4
	v_and_b32_e32 v18, 0xffff, v18
	v_or_b32_e32 v17, v45, v17
	v_lshlrev_b32_e32 v16, 16, v16
	v_or_b32_e32 v31, 1, v31
	v_and_b32_e32 v46, 0xffff, v32
	v_cndmask_b32_e64 v45, 0, 1, s0
	v_lshlrev_b32_e32 v17, 16, v17
	v_or_b32_e32 v32, v18, v16
	v_and_b32_e32 v31, 0xffff, v31
	s_waitcnt lgkmcnt(0)
	v_lshl_or_b32 v18, v45, 16, v46
	s_barrier
	buffer_gl0_inv
	v_or_b32_e32 v31, v31, v17
                                        ; implicit-def: $sgpr0
	s_and_saveexec_b32 s1, s3
	s_cbranch_execz .LBB979_204
; %bb.74:
	v_add_nc_u32_e32 v9, -2, v9
	v_cmp_gt_u32_e32 vcc_lo, s21, v1
	s_or_b32 s24, s24, exec_lo
                                        ; implicit-def: $vgpr16_vgpr17_vgpr18
	ds_load_u16 v9, v9
	s_waitcnt lgkmcnt(0)
	v_cmp_ne_u16_e64 s0, v9, v12
	s_delay_alu instid0(VALU_DEP_1) | instskip(NEXT) | instid1(SALU_CYCLE_1)
	s_and_b32 s0, vcc_lo, s0
	s_and_b32 s0, s0, exec_lo
	s_or_b32 exec_lo, exec_lo, s1
.LBB979_75:
	s_and_saveexec_b32 s1, s24
	s_cbranch_execz .LBB979_77
.LBB979_76:
	s_waitcnt vmcnt(0) lgkmcnt(1)
	v_lshrrev_b32_e32 v16, 24, v31
	v_lshrrev_b32_e32 v17, 16, v31
	;; [unrolled: 1-line block ×3, first 2 shown]
	v_cndmask_b32_e64 v9, 0, 1, s0
	v_lshlrev_b16 v31, 8, v34
	v_and_b32_e32 v34, 0xff, v44
	v_lshlrev_b16 v16, 8, v16
	v_and_b32_e32 v17, 0xff, v17
	v_lshlrev_b16 v18, 8, v18
	v_and_b32_e32 v44, 0xff, v45
	v_or_b32_e32 v31, v34, v31
	s_delay_alu instid0(VALU_DEP_4) | instskip(NEXT) | instid1(VALU_DEP_4)
	v_or_b32_e32 v16, v17, v16
	v_or_b32_e32 v9, v9, v18
	s_delay_alu instid0(VALU_DEP_4) | instskip(NEXT) | instid1(VALU_DEP_4)
	v_lshlrev_b32_e32 v17, 16, v44
	v_and_b32_e32 v18, 0xffff, v31
	s_delay_alu instid0(VALU_DEP_4) | instskip(NEXT) | instid1(VALU_DEP_4)
	v_lshlrev_b32_e32 v16, 16, v16
	v_and_b32_e32 v9, 0xffff, v9
	s_delay_alu instid0(VALU_DEP_3) | instskip(NEXT) | instid1(VALU_DEP_2)
	v_or_b32_e32 v18, v18, v17
	v_or_b32_e32 v31, v9, v16
.LBB979_77:
	s_or_b32 exec_lo, exec_lo, s1
	s_delay_alu instid0(SALU_CYCLE_1)
	s_and_not1_b32 vcc_lo, exec_lo, s22
	s_cbranch_vccnz .LBB979_79
; %bb.78:
	v_cmp_gt_u32_e32 vcc_lo, s21, v1
	v_cmp_gt_u32_e64 s0, s21, v5
	v_and_b32_e32 v5, 0xffffff00, v32
	v_cmp_gt_u32_e64 s3, s21, v6
	v_cmp_gt_u32_e64 s5, s21, v3
	v_cndmask_b32_e32 v1, 0, v31, vcc_lo
	v_cmp_gt_u32_e32 vcc_lo, s21, v33
	v_cmp_gt_u32_e64 s1, s21, v11
	v_cmp_gt_u32_e64 s4, s21, v10
	s_delay_alu instid0(VALU_DEP_4) | instskip(NEXT) | instid1(VALU_DEP_1)
	v_and_b32_e32 v1, 0xff, v1
	v_cndmask_b32_e64 v1, v1, v31, s0
	v_cmp_gt_u32_e64 s0, s21, v8
	s_delay_alu instid0(VALU_DEP_2) | instskip(NEXT) | instid1(VALU_DEP_2)
	v_and_b32_e32 v1, 0xffff, v1
	v_cndmask_b32_e64 v5, v5, v32, s0
	s_delay_alu instid0(VALU_DEP_2) | instskip(NEXT) | instid1(VALU_DEP_2)
	v_cndmask_b32_e64 v1, v1, v31, s3
	v_and_b32_e32 v5, 0xffff00ff, v5
	v_cmp_gt_u32_e64 s3, s21, v7
	s_delay_alu instid0(VALU_DEP_3) | instskip(NEXT) | instid1(VALU_DEP_2)
	v_and_b32_e32 v1, 0xffffff, v1
	v_cndmask_b32_e64 v5, v5, v32, s3
	s_delay_alu instid0(VALU_DEP_2) | instskip(NEXT) | instid1(VALU_DEP_2)
	v_cndmask_b32_e64 v1, v1, v31, s5
	v_and_b32_e32 v3, 0xff00ffff, v5
	s_delay_alu instid0(VALU_DEP_2) | instskip(SKIP_1) | instid1(VALU_DEP_2)
	v_cndmask_b32_e64 v1, v1, v31, s0
	v_cmp_gt_u32_e64 s0, s21, v4
	v_cndmask_b32_e64 v1, v1, v31, s3
	s_delay_alu instid0(VALU_DEP_2) | instskip(SKIP_1) | instid1(VALU_DEP_3)
	v_cndmask_b32_e64 v3, v3, v32, s0
	v_cmp_gt_u32_e64 s3, s21, v2
	v_cndmask_b32_e64 v1, v1, v31, s0
	s_delay_alu instid0(VALU_DEP_3) | instskip(SKIP_1) | instid1(VALU_DEP_1)
	v_and_b32_e32 v2, 0xffffff, v3
	v_and_b32_e32 v9, 0xff000000, v18
	v_cndmask_b32_e32 v9, v9, v18, vcc_lo
	s_delay_alu instid0(VALU_DEP_1) | instskip(NEXT) | instid1(VALU_DEP_1)
	v_and_b32_e32 v9, 0xff0000ff, v9
	v_cndmask_b32_e64 v8, v9, v18, s1
	s_or_b32 s1, s4, s1
	s_delay_alu instid0(SALU_CYCLE_1) | instskip(NEXT) | instid1(VALU_DEP_1)
	s_or_b32 s0, s1, vcc_lo
	v_and_b32_e32 v6, 0xff00ffff, v8
	s_or_b32 vcc_lo, s0, s3
	v_dual_cndmask_b32 v32, v2, v32 :: v_dual_cndmask_b32 v1, v1, v31
	s_delay_alu instid0(VALU_DEP_2) | instskip(NEXT) | instid1(VALU_DEP_2)
	v_cndmask_b32_e64 v6, v6, v18, s4
	v_perm_b32 v31, v1, v1, 0x3020104
	s_delay_alu instid0(VALU_DEP_2) | instskip(SKIP_1) | instid1(VALU_DEP_2)
	v_lshrrev_b32_e32 v5, 8, v6
	v_and_b32_e32 v4, 0xff, v6
	v_lshlrev_b16 v5, 8, v5
	s_delay_alu instid0(VALU_DEP_1) | instskip(NEXT) | instid1(VALU_DEP_1)
	v_or_b32_e32 v3, v4, v5
	v_and_b32_e32 v2, 0xffff, v3
	s_delay_alu instid0(VALU_DEP_1)
	v_and_or_b32 v18, 0xff0000, v6, v2
.LBB979_79:
	s_delay_alu instid0(VALU_DEP_1)
	v_and_b32_e32 v45, 0xff, v31
	v_bfe_u32 v46, v31, 8, 8
	v_alignbit_b32 v1, v32, v31, 24
	v_bfe_u32 v47, v31, 16, 8
	v_and_b32_e32 v48, 0xff, v32
	v_bfe_u32 v50, v32, 8, 8
	v_bfe_u32 v51, v32, 16, 8
	v_and_b32_e32 v49, 0xff, v1
	v_add3_u32 v1, v46, v45, v47
	v_lshrrev_b32_e32 v44, 24, v32
	v_mbcnt_lo_u32_b32 v54, -1, 0
	v_and_b32_e32 v52, 0xff, v18
	v_bfe_u32 v53, v18, 8, 8
	v_add3_u32 v1, v1, v49, v48
	v_bfe_u32 v3, v18, 16, 8
	v_and_b32_e32 v2, 15, v54
	v_or_b32_e32 v4, 31, v0
	v_and_b32_e32 v5, 16, v54
	v_add3_u32 v1, v1, v50, v51
	v_lshrrev_b32_e32 v55, 5, v0
	v_cmp_eq_u32_e64 s6, 0, v2
	v_cmp_lt_u32_e64 s5, 1, v2
	v_cmp_lt_u32_e64 s4, 3, v2
	v_add3_u32 v1, v1, v44, v52
	v_cmp_lt_u32_e64 s3, 7, v2
	v_cmp_eq_u32_e64 s1, 0, v5
	v_cmp_eq_u32_e64 s0, v4, v0
	s_and_b32 vcc_lo, exec_lo, s23
	v_add3_u32 v56, v1, v53, v3
	s_mov_b32 s7, -1
	s_waitcnt vmcnt(0) lgkmcnt(0)
	s_barrier
	buffer_gl0_inv
	s_cbranch_vccz .LBB979_105
; %bb.80:
	v_mov_b32_dpp v1, v56 row_shr:1 row_mask:0xf bank_mask:0xf
	s_delay_alu instid0(VALU_DEP_1) | instskip(NEXT) | instid1(VALU_DEP_1)
	v_cndmask_b32_e64 v1, v1, 0, s6
	v_add_nc_u32_e32 v1, v1, v56
	s_delay_alu instid0(VALU_DEP_1) | instskip(NEXT) | instid1(VALU_DEP_1)
	v_mov_b32_dpp v2, v1 row_shr:2 row_mask:0xf bank_mask:0xf
	v_cndmask_b32_e64 v2, 0, v2, s5
	s_delay_alu instid0(VALU_DEP_1) | instskip(NEXT) | instid1(VALU_DEP_1)
	v_add_nc_u32_e32 v1, v1, v2
	v_mov_b32_dpp v2, v1 row_shr:4 row_mask:0xf bank_mask:0xf
	s_delay_alu instid0(VALU_DEP_1) | instskip(NEXT) | instid1(VALU_DEP_1)
	v_cndmask_b32_e64 v2, 0, v2, s4
	v_add_nc_u32_e32 v1, v1, v2
	s_delay_alu instid0(VALU_DEP_1) | instskip(NEXT) | instid1(VALU_DEP_1)
	v_mov_b32_dpp v2, v1 row_shr:8 row_mask:0xf bank_mask:0xf
	v_cndmask_b32_e64 v2, 0, v2, s3
	s_delay_alu instid0(VALU_DEP_1) | instskip(SKIP_3) | instid1(VALU_DEP_1)
	v_add_nc_u32_e32 v1, v1, v2
	ds_swizzle_b32 v2, v1 offset:swizzle(BROADCAST,32,15)
	s_waitcnt lgkmcnt(0)
	v_cndmask_b32_e64 v2, v2, 0, s1
	v_add_nc_u32_e32 v1, v1, v2
	s_and_saveexec_b32 s7, s0
	s_cbranch_execz .LBB979_82
; %bb.81:
	v_lshlrev_b32_e32 v2, 2, v55
	ds_store_b32 v2, v1
.LBB979_82:
	s_or_b32 exec_lo, exec_lo, s7
	s_delay_alu instid0(SALU_CYCLE_1)
	s_mov_b32 s7, exec_lo
	s_waitcnt lgkmcnt(0)
	s_barrier
	buffer_gl0_inv
	v_cmpx_gt_u32_e32 4, v0
	s_cbranch_execz .LBB979_84
; %bb.83:
	v_and_b32_e32 v4, 3, v54
	s_delay_alu instid0(VALU_DEP_1) | instskip(SKIP_4) | instid1(VALU_DEP_1)
	v_cmp_ne_u32_e32 vcc_lo, 0, v4
	v_lshlrev_b32_e32 v2, 2, v0
	ds_load_b32 v3, v2
	s_waitcnt lgkmcnt(0)
	v_mov_b32_dpp v5, v3 row_shr:1 row_mask:0xf bank_mask:0xf
	v_cndmask_b32_e32 v5, 0, v5, vcc_lo
	v_cmp_lt_u32_e32 vcc_lo, 1, v4
	s_delay_alu instid0(VALU_DEP_2) | instskip(NEXT) | instid1(VALU_DEP_1)
	v_add_nc_u32_e32 v3, v5, v3
	v_mov_b32_dpp v5, v3 row_shr:2 row_mask:0xf bank_mask:0xf
	s_delay_alu instid0(VALU_DEP_1) | instskip(NEXT) | instid1(VALU_DEP_1)
	v_cndmask_b32_e32 v4, 0, v5, vcc_lo
	v_add_nc_u32_e32 v3, v3, v4
	ds_store_b32 v2, v3
.LBB979_84:
	s_or_b32 exec_lo, exec_lo, s7
	v_cmp_gt_u32_e32 vcc_lo, 32, v0
	s_mov_b32 s8, exec_lo
	s_waitcnt lgkmcnt(0)
	s_barrier
	buffer_gl0_inv
                                        ; implicit-def: $vgpr9
	v_cmpx_lt_u32_e32 31, v0
	s_cbranch_execz .LBB979_86
; %bb.85:
	v_lshl_add_u32 v2, v55, 2, -4
	ds_load_b32 v9, v2
	s_waitcnt lgkmcnt(0)
	v_add_nc_u32_e32 v1, v9, v1
.LBB979_86:
	s_or_b32 exec_lo, exec_lo, s8
	v_add_nc_u32_e32 v2, -1, v54
	s_delay_alu instid0(VALU_DEP_1) | instskip(NEXT) | instid1(VALU_DEP_1)
	v_cmp_gt_i32_e64 s7, 0, v2
	v_cndmask_b32_e64 v2, v2, v54, s7
	v_cmp_eq_u32_e64 s7, 0, v54
	s_delay_alu instid0(VALU_DEP_2)
	v_lshlrev_b32_e32 v2, 2, v2
	ds_bpermute_b32 v10, v2, v1
	s_and_saveexec_b32 s8, vcc_lo
	s_cbranch_execz .LBB979_104
; %bb.87:
	v_mov_b32_e32 v5, 0
	ds_load_b32 v1, v5 offset:12
	s_and_saveexec_b32 s9, s7
	s_cbranch_execz .LBB979_89
; %bb.88:
	s_add_i32 s10, s20, 32
	s_mov_b32 s11, 0
	v_mov_b32_e32 v2, 1
	s_lshl_b64 s[10:11], s[10:11], 3
	s_delay_alu instid0(SALU_CYCLE_1)
	s_add_u32 s10, s18, s10
	s_addc_u32 s11, s19, s11
	s_waitcnt lgkmcnt(0)
	global_store_b64 v5, v[1:2], s[10:11]
.LBB979_89:
	s_or_b32 exec_lo, exec_lo, s9
	v_xad_u32 v3, v54, -1, s20
	s_mov_b32 s10, 0
	s_mov_b32 s9, exec_lo
	s_delay_alu instid0(VALU_DEP_1) | instskip(NEXT) | instid1(VALU_DEP_1)
	v_add_nc_u32_e32 v4, 32, v3
	v_lshlrev_b64 v[4:5], 3, v[4:5]
	s_delay_alu instid0(VALU_DEP_1) | instskip(NEXT) | instid1(VALU_DEP_2)
	v_add_co_u32 v7, vcc_lo, s18, v4
	v_add_co_ci_u32_e32 v8, vcc_lo, s19, v5, vcc_lo
	global_load_b64 v[5:6], v[7:8], off glc
	s_waitcnt vmcnt(0)
	v_and_b32_e32 v2, 0xff, v6
	s_delay_alu instid0(VALU_DEP_1)
	v_cmpx_eq_u16_e32 0, v2
	s_cbranch_execz .LBB979_92
.LBB979_90:                             ; =>This Inner Loop Header: Depth=1
	global_load_b64 v[5:6], v[7:8], off glc
	s_waitcnt vmcnt(0)
	v_and_b32_e32 v2, 0xff, v6
	s_delay_alu instid0(VALU_DEP_1) | instskip(SKIP_1) | instid1(SALU_CYCLE_1)
	v_cmp_ne_u16_e32 vcc_lo, 0, v2
	s_or_b32 s10, vcc_lo, s10
	s_and_not1_b32 exec_lo, exec_lo, s10
	s_cbranch_execnz .LBB979_90
; %bb.91:
	s_or_b32 exec_lo, exec_lo, s10
.LBB979_92:
	s_delay_alu instid0(SALU_CYCLE_1)
	s_or_b32 exec_lo, exec_lo, s9
	v_cmp_ne_u32_e32 vcc_lo, 31, v54
	v_lshlrev_b32_e64 v16, v54, -1
	v_add_nc_u32_e32 v33, 2, v54
	v_add_nc_u32_e32 v57, 4, v54
	;; [unrolled: 1-line block ×3, first 2 shown]
	v_add_co_ci_u32_e32 v2, vcc_lo, 0, v54, vcc_lo
	v_add_nc_u32_e32 v61, 16, v54
	s_delay_alu instid0(VALU_DEP_2)
	v_lshlrev_b32_e32 v11, 2, v2
	v_and_b32_e32 v2, 0xff, v6
	ds_bpermute_b32 v4, v11, v5
	v_cmp_eq_u16_e32 vcc_lo, 2, v2
	v_and_or_b32 v2, vcc_lo, v16, 0x80000000
	v_cmp_gt_u32_e32 vcc_lo, 30, v54
	s_delay_alu instid0(VALU_DEP_2) | instskip(SKIP_1) | instid1(VALU_DEP_2)
	v_ctz_i32_b32_e32 v2, v2
	v_cndmask_b32_e64 v7, 0, 1, vcc_lo
	v_cmp_lt_u32_e32 vcc_lo, v54, v2
	s_waitcnt lgkmcnt(0)
	s_delay_alu instid0(VALU_DEP_2) | instskip(NEXT) | instid1(VALU_DEP_1)
	v_dual_cndmask_b32 v4, 0, v4 :: v_dual_lshlrev_b32 v7, 1, v7
	v_add_lshl_u32 v17, v7, v54, 2
	v_cmp_gt_u32_e32 vcc_lo, 28, v54
	s_delay_alu instid0(VALU_DEP_3) | instskip(SKIP_4) | instid1(VALU_DEP_1)
	v_add_nc_u32_e32 v4, v4, v5
	v_cndmask_b32_e64 v7, 0, 1, vcc_lo
	v_cmp_le_u32_e32 vcc_lo, v33, v2
	ds_bpermute_b32 v5, v17, v4
	v_lshlrev_b32_e32 v7, 2, v7
	v_add_lshl_u32 v34, v7, v54, 2
	s_waitcnt lgkmcnt(0)
	v_cndmask_b32_e32 v5, 0, v5, vcc_lo
	v_cmp_gt_u32_e32 vcc_lo, 24, v54
	s_delay_alu instid0(VALU_DEP_2) | instskip(SKIP_4) | instid1(VALU_DEP_1)
	v_add_nc_u32_e32 v4, v4, v5
	v_cndmask_b32_e64 v7, 0, 1, vcc_lo
	v_cmp_le_u32_e32 vcc_lo, v57, v2
	ds_bpermute_b32 v5, v34, v4
	v_lshlrev_b32_e32 v7, 3, v7
	v_add_lshl_u32 v58, v7, v54, 2
	s_waitcnt lgkmcnt(0)
	v_cndmask_b32_e32 v5, 0, v5, vcc_lo
	v_cmp_gt_u32_e32 vcc_lo, 16, v54
	s_delay_alu instid0(VALU_DEP_2) | instskip(SKIP_4) | instid1(VALU_DEP_1)
	v_add_nc_u32_e32 v4, v4, v5
	v_cndmask_b32_e64 v7, 0, 1, vcc_lo
	v_cmp_le_u32_e32 vcc_lo, v59, v2
	ds_bpermute_b32 v5, v58, v4
	v_lshlrev_b32_e32 v7, 4, v7
	v_add_lshl_u32 v60, v7, v54, 2
	s_waitcnt lgkmcnt(0)
	v_cndmask_b32_e32 v5, 0, v5, vcc_lo
	v_cmp_le_u32_e32 vcc_lo, v61, v2
	s_delay_alu instid0(VALU_DEP_2) | instskip(SKIP_3) | instid1(VALU_DEP_1)
	v_add_nc_u32_e32 v4, v4, v5
	ds_bpermute_b32 v5, v60, v4
	s_waitcnt lgkmcnt(0)
	v_cndmask_b32_e32 v2, 0, v5, vcc_lo
	v_dual_mov_b32 v4, 0 :: v_dual_add_nc_u32 v5, v4, v2
	s_branch .LBB979_94
.LBB979_93:                             ;   in Loop: Header=BB979_94 Depth=1
	s_or_b32 exec_lo, exec_lo, s9
	ds_bpermute_b32 v8, v11, v5
	v_and_b32_e32 v7, 0xff, v6
	v_subrev_nc_u32_e32 v3, 32, v3
	s_delay_alu instid0(VALU_DEP_2) | instskip(SKIP_1) | instid1(VALU_DEP_1)
	v_cmp_eq_u16_e32 vcc_lo, 2, v7
	v_and_or_b32 v7, vcc_lo, v16, 0x80000000
	v_ctz_i32_b32_e32 v7, v7
	s_delay_alu instid0(VALU_DEP_1) | instskip(SKIP_3) | instid1(VALU_DEP_2)
	v_cmp_lt_u32_e32 vcc_lo, v54, v7
	s_waitcnt lgkmcnt(0)
	v_cndmask_b32_e32 v8, 0, v8, vcc_lo
	v_cmp_le_u32_e32 vcc_lo, v33, v7
	v_add_nc_u32_e32 v5, v8, v5
	ds_bpermute_b32 v8, v17, v5
	s_waitcnt lgkmcnt(0)
	v_cndmask_b32_e32 v8, 0, v8, vcc_lo
	v_cmp_le_u32_e32 vcc_lo, v57, v7
	s_delay_alu instid0(VALU_DEP_2) | instskip(SKIP_4) | instid1(VALU_DEP_2)
	v_add_nc_u32_e32 v5, v5, v8
	ds_bpermute_b32 v8, v34, v5
	s_waitcnt lgkmcnt(0)
	v_cndmask_b32_e32 v8, 0, v8, vcc_lo
	v_cmp_le_u32_e32 vcc_lo, v59, v7
	v_add_nc_u32_e32 v5, v5, v8
	ds_bpermute_b32 v8, v58, v5
	s_waitcnt lgkmcnt(0)
	v_cndmask_b32_e32 v8, 0, v8, vcc_lo
	v_cmp_le_u32_e32 vcc_lo, v61, v7
	s_delay_alu instid0(VALU_DEP_2) | instskip(SKIP_3) | instid1(VALU_DEP_1)
	v_add_nc_u32_e32 v5, v5, v8
	ds_bpermute_b32 v8, v60, v5
	s_waitcnt lgkmcnt(0)
	v_cndmask_b32_e32 v7, 0, v8, vcc_lo
	v_add3_u32 v5, v7, v2, v5
.LBB979_94:                             ; =>This Loop Header: Depth=1
                                        ;     Child Loop BB979_97 Depth 2
	v_and_b32_e32 v2, 0xff, v6
	s_delay_alu instid0(VALU_DEP_1) | instskip(SKIP_2) | instid1(VALU_DEP_1)
	v_cmp_ne_u16_e32 vcc_lo, 2, v2
	v_cndmask_b32_e64 v2, 0, 1, vcc_lo
	;;#ASMSTART
	;;#ASMEND
	v_cmp_ne_u32_e32 vcc_lo, 0, v2
	v_mov_b32_e32 v2, v5
	s_cmp_lg_u32 vcc_lo, exec_lo
	s_cbranch_scc1 .LBB979_99
; %bb.95:                               ;   in Loop: Header=BB979_94 Depth=1
	v_lshlrev_b64 v[5:6], 3, v[3:4]
	s_mov_b32 s9, exec_lo
	s_delay_alu instid0(VALU_DEP_1) | instskip(NEXT) | instid1(VALU_DEP_2)
	v_add_co_u32 v7, vcc_lo, s18, v5
	v_add_co_ci_u32_e32 v8, vcc_lo, s19, v6, vcc_lo
	global_load_b64 v[5:6], v[7:8], off glc
	s_waitcnt vmcnt(0)
	v_and_b32_e32 v62, 0xff, v6
	s_delay_alu instid0(VALU_DEP_1)
	v_cmpx_eq_u16_e32 0, v62
	s_cbranch_execz .LBB979_93
; %bb.96:                               ;   in Loop: Header=BB979_94 Depth=1
	s_mov_b32 s10, 0
.LBB979_97:                             ;   Parent Loop BB979_94 Depth=1
                                        ; =>  This Inner Loop Header: Depth=2
	global_load_b64 v[5:6], v[7:8], off glc
	s_waitcnt vmcnt(0)
	v_and_b32_e32 v62, 0xff, v6
	s_delay_alu instid0(VALU_DEP_1) | instskip(SKIP_1) | instid1(SALU_CYCLE_1)
	v_cmp_ne_u16_e32 vcc_lo, 0, v62
	s_or_b32 s10, vcc_lo, s10
	s_and_not1_b32 exec_lo, exec_lo, s10
	s_cbranch_execnz .LBB979_97
; %bb.98:                               ;   in Loop: Header=BB979_94 Depth=1
	s_or_b32 exec_lo, exec_lo, s10
	s_branch .LBB979_93
.LBB979_99:                             ;   in Loop: Header=BB979_94 Depth=1
                                        ; implicit-def: $vgpr5
                                        ; implicit-def: $vgpr6
	s_cbranch_execz .LBB979_94
; %bb.100:
	s_and_saveexec_b32 s9, s7
	s_cbranch_execz .LBB979_102
; %bb.101:
	s_add_i32 s10, s20, 32
	s_mov_b32 s11, 0
	v_dual_mov_b32 v4, 2 :: v_dual_add_nc_u32 v3, v2, v1
	s_lshl_b64 s[10:11], s[10:11], 3
	v_mov_b32_e32 v5, 0
	s_add_u32 s10, s18, s10
	s_addc_u32 s11, s19, s11
	global_store_b64 v5, v[3:4], s[10:11]
	ds_store_b64 v5, v[1:2] offset:5632
.LBB979_102:
	s_or_b32 exec_lo, exec_lo, s9
	s_delay_alu instid0(SALU_CYCLE_1)
	s_and_b32 exec_lo, exec_lo, s2
	s_cbranch_execz .LBB979_104
; %bb.103:
	v_mov_b32_e32 v1, 0
	ds_store_b32 v1, v2 offset:12
.LBB979_104:
	s_or_b32 exec_lo, exec_lo, s8
	v_mov_b32_e32 v11, 0
	s_waitcnt lgkmcnt(0)
	s_waitcnt_vscnt null, 0x0
	s_barrier
	buffer_gl0_inv
	v_cndmask_b32_e64 v2, v10, v9, s7
	ds_load_b32 v1, v11 offset:12
	s_waitcnt lgkmcnt(0)
	s_barrier
	buffer_gl0_inv
	v_cndmask_b32_e64 v2, v2, 0, s2
	s_delay_alu instid0(VALU_DEP_1) | instskip(NEXT) | instid1(VALU_DEP_1)
	v_add_nc_u32_e32 v1, v1, v2
	v_add_nc_u32_e32 v2, v1, v45
	ds_load_b64 v[16:17], v11 offset:5632
	v_add_nc_u32_e32 v3, v2, v46
	s_delay_alu instid0(VALU_DEP_1) | instskip(NEXT) | instid1(VALU_DEP_1)
	v_add_nc_u32_e32 v4, v3, v47
	v_add_nc_u32_e32 v5, v4, v49
	s_delay_alu instid0(VALU_DEP_1) | instskip(NEXT) | instid1(VALU_DEP_1)
	v_add_nc_u32_e32 v6, v5, v48
	;; [unrolled: 3-line block ×4, first 2 shown]
	v_add_nc_u32_e32 v11, v10, v53
	v_lshrrev_b64 v[33:34], 24, v[31:32]
	s_branch .LBB979_115
.LBB979_105:
                                        ; implicit-def: $vgpr17
                                        ; implicit-def: $vgpr1_vgpr2_vgpr3_vgpr4_vgpr5_vgpr6_vgpr7_vgpr8_vgpr9_vgpr10_vgpr11
	v_lshrrev_b64 v[33:34], 24, v[31:32]
	s_and_b32 vcc_lo, exec_lo, s7
	s_cbranch_vccz .LBB979_115
; %bb.106:
	v_mov_b32_dpp v1, v56 row_shr:1 row_mask:0xf bank_mask:0xf
	s_delay_alu instid0(VALU_DEP_1) | instskip(NEXT) | instid1(VALU_DEP_1)
	v_cndmask_b32_e64 v1, v1, 0, s6
	v_add_nc_u32_e32 v1, v1, v56
	s_delay_alu instid0(VALU_DEP_1) | instskip(NEXT) | instid1(VALU_DEP_1)
	v_mov_b32_dpp v2, v1 row_shr:2 row_mask:0xf bank_mask:0xf
	v_cndmask_b32_e64 v2, 0, v2, s5
	s_delay_alu instid0(VALU_DEP_1) | instskip(NEXT) | instid1(VALU_DEP_1)
	v_add_nc_u32_e32 v1, v1, v2
	v_mov_b32_dpp v2, v1 row_shr:4 row_mask:0xf bank_mask:0xf
	s_delay_alu instid0(VALU_DEP_1) | instskip(NEXT) | instid1(VALU_DEP_1)
	v_cndmask_b32_e64 v2, 0, v2, s4
	v_add_nc_u32_e32 v1, v1, v2
	s_delay_alu instid0(VALU_DEP_1) | instskip(NEXT) | instid1(VALU_DEP_1)
	v_mov_b32_dpp v2, v1 row_shr:8 row_mask:0xf bank_mask:0xf
	v_cndmask_b32_e64 v2, 0, v2, s3
	s_delay_alu instid0(VALU_DEP_1) | instskip(SKIP_3) | instid1(VALU_DEP_1)
	v_add_nc_u32_e32 v1, v1, v2
	ds_swizzle_b32 v2, v1 offset:swizzle(BROADCAST,32,15)
	s_waitcnt lgkmcnt(0)
	v_cndmask_b32_e64 v2, v2, 0, s1
	v_add_nc_u32_e32 v1, v1, v2
	s_and_saveexec_b32 s1, s0
	s_cbranch_execz .LBB979_108
; %bb.107:
	v_lshlrev_b32_e32 v2, 2, v55
	ds_store_b32 v2, v1
.LBB979_108:
	s_or_b32 exec_lo, exec_lo, s1
	s_delay_alu instid0(SALU_CYCLE_1)
	s_mov_b32 s0, exec_lo
	s_waitcnt lgkmcnt(0)
	s_barrier
	buffer_gl0_inv
	v_cmpx_gt_u32_e32 4, v0
	s_cbranch_execz .LBB979_110
; %bb.109:
	v_mad_i32_i24 v2, 0xffffffd8, v0, v43
	ds_load_b32 v3, v2
	s_waitcnt lgkmcnt(0)
	v_mov_b32_dpp v5, v3 row_shr:1 row_mask:0xf bank_mask:0xf
	v_and_b32_e32 v4, 3, v54
	s_delay_alu instid0(VALU_DEP_1) | instskip(NEXT) | instid1(VALU_DEP_3)
	v_cmp_ne_u32_e32 vcc_lo, 0, v4
	v_cndmask_b32_e32 v5, 0, v5, vcc_lo
	v_cmp_lt_u32_e32 vcc_lo, 1, v4
	s_delay_alu instid0(VALU_DEP_2) | instskip(NEXT) | instid1(VALU_DEP_1)
	v_add_nc_u32_e32 v3, v5, v3
	v_mov_b32_dpp v5, v3 row_shr:2 row_mask:0xf bank_mask:0xf
	s_delay_alu instid0(VALU_DEP_1) | instskip(NEXT) | instid1(VALU_DEP_1)
	v_cndmask_b32_e32 v4, 0, v5, vcc_lo
	v_add_nc_u32_e32 v3, v3, v4
	ds_store_b32 v2, v3
.LBB979_110:
	s_or_b32 exec_lo, exec_lo, s0
	v_dual_mov_b32 v3, 0 :: v_dual_mov_b32 v2, 0
	s_mov_b32 s0, exec_lo
	s_waitcnt lgkmcnt(0)
	s_barrier
	buffer_gl0_inv
	v_cmpx_lt_u32_e32 31, v0
	s_cbranch_execz .LBB979_112
; %bb.111:
	v_lshl_add_u32 v2, v55, 2, -4
	ds_load_b32 v2, v2
.LBB979_112:
	s_or_b32 exec_lo, exec_lo, s0
	v_add_nc_u32_e32 v4, -1, v54
	ds_load_b32 v16, v3 offset:12
	s_waitcnt lgkmcnt(1)
	v_add_nc_u32_e32 v1, v2, v1
	v_cmp_gt_i32_e32 vcc_lo, 0, v4
	v_cndmask_b32_e32 v4, v4, v54, vcc_lo
	s_delay_alu instid0(VALU_DEP_1)
	v_lshlrev_b32_e32 v4, 2, v4
	ds_bpermute_b32 v1, v4, v1
	s_and_saveexec_b32 s0, s2
	s_cbranch_execz .LBB979_114
; %bb.113:
	v_mov_b32_e32 v3, 0
	v_mov_b32_e32 v17, 2
	s_waitcnt lgkmcnt(1)
	global_store_b64 v3, v[16:17], s[18:19] offset:256
.LBB979_114:
	s_or_b32 exec_lo, exec_lo, s0
	v_cmp_eq_u32_e32 vcc_lo, 0, v54
	s_waitcnt lgkmcnt(0)
	s_waitcnt_vscnt null, 0x0
	s_barrier
	buffer_gl0_inv
	v_mov_b32_e32 v17, 0
	v_cndmask_b32_e32 v1, v1, v2, vcc_lo
	s_delay_alu instid0(VALU_DEP_1) | instskip(NEXT) | instid1(VALU_DEP_1)
	v_cndmask_b32_e64 v1, v1, 0, s2
	v_add_nc_u32_e32 v2, v1, v45
	s_delay_alu instid0(VALU_DEP_1) | instskip(NEXT) | instid1(VALU_DEP_1)
	v_add_nc_u32_e32 v3, v2, v46
	v_add_nc_u32_e32 v4, v3, v47
	s_delay_alu instid0(VALU_DEP_1) | instskip(NEXT) | instid1(VALU_DEP_1)
	v_add_nc_u32_e32 v5, v4, v49
	;; [unrolled: 3-line block ×4, first 2 shown]
	v_add_nc_u32_e32 v10, v9, v52
	s_delay_alu instid0(VALU_DEP_1)
	v_add_nc_u32_e32 v11, v10, v53
.LBB979_115:
	v_lshrrev_b32_e32 v47, 16, v31
	v_lshrrev_b32_e32 v48, 8, v31
	v_and_b32_e32 v31, 1, v31
	s_waitcnt lgkmcnt(0)
	v_cmp_gt_u32_e64 s0, 0x81, v16
	v_lshrrev_b32_e32 v34, 16, v18
	v_lshrrev_b32_e32 v46, 8, v32
	v_lshrrev_b32_e32 v45, 16, v32
	v_lshrrev_b32_e32 v43, 8, v18
	v_cmp_eq_u32_e64 s1, 1, v31
	s_and_b32 vcc_lo, exec_lo, s0
	s_cbranch_vccnz .LBB979_139
; %bb.116:
	s_delay_alu instid0(VALU_DEP_1)
	s_and_saveexec_b32 s3, s1
	s_cbranch_execz .LBB979_118
; %bb.117:
	v_sub_nc_u32_e32 v49, v1, v17
	s_delay_alu instid0(VALU_DEP_1)
	v_lshlrev_b32_e32 v49, 1, v49
	ds_store_b16 v49, v12
.LBB979_118:
	s_or_b32 exec_lo, exec_lo, s3
	v_and_b32_e32 v12, 1, v48
	s_mov_b32 s1, exec_lo
	s_delay_alu instid0(VALU_DEP_1)
	v_cmpx_eq_u32_e32 1, v12
	s_cbranch_execz .LBB979_120
; %bb.119:
	v_sub_nc_u32_e32 v12, v2, v17
	s_delay_alu instid0(VALU_DEP_1)
	v_lshlrev_b32_e32 v12, 1, v12
	ds_store_b16 v12, v42
.LBB979_120:
	s_or_b32 exec_lo, exec_lo, s1
	v_and_b32_e32 v12, 1, v47
	s_mov_b32 s1, exec_lo
	s_delay_alu instid0(VALU_DEP_1)
	v_cmpx_eq_u32_e32 1, v12
	;; [unrolled: 12-line block ×10, first 2 shown]
	s_cbranch_execz .LBB979_138
; %bb.137:
	v_sub_nc_u32_e32 v12, v11, v17
	s_delay_alu instid0(VALU_DEP_1)
	v_lshlrev_b32_e32 v12, 1, v12
	ds_store_b16 v12, v36
.LBB979_138:
	s_or_b32 exec_lo, exec_lo, s1
	s_waitcnt lgkmcnt(0)
	s_barrier
	buffer_gl0_inv
.LBB979_139:
	s_and_b32 vcc_lo, exec_lo, s0
	s_mov_b32 s0, -1
	s_barrier
	buffer_gl0_inv
	s_cbranch_vccnz .LBB979_143
; %bb.140:
	s_and_b32 vcc_lo, exec_lo, s0
	s_cbranch_vccnz .LBB979_177
.LBB979_141:
	s_and_b32 s0, s2, s14
	s_delay_alu instid0(SALU_CYCLE_1)
	s_and_saveexec_b32 s1, s0
	s_cbranch_execnz .LBB979_203
.LBB979_142:
	s_nop 0
	s_sendmsg sendmsg(MSG_DEALLOC_VGPRS)
	s_endpgm
.LBB979_143:
	v_lshlrev_b64 v[12:13], 2, v[19:20]
	v_add_nc_u32_e32 v14, v17, v16
	s_delay_alu instid0(VALU_DEP_1) | instskip(NEXT) | instid1(VALU_DEP_3)
	v_cmp_lt_u32_e32 vcc_lo, v1, v14
	v_add_co_u32 v12, s0, s16, v12
	s_delay_alu instid0(VALU_DEP_1) | instskip(SKIP_1) | instid1(SALU_CYCLE_1)
	v_add_co_ci_u32_e64 v13, s0, s17, v13, s0
	s_or_b32 s1, s15, vcc_lo
	s_and_saveexec_b32 s0, s1
	s_cbranch_execz .LBB979_146
; %bb.144:
	v_cmp_eq_u32_e32 vcc_lo, 1, v31
	s_and_b32 exec_lo, exec_lo, vcc_lo
	s_cbranch_execz .LBB979_146
; %bb.145:
	v_dual_mov_b32 v37, 0 :: v_dual_mov_b32 v36, v1
	s_delay_alu instid0(VALU_DEP_1) | instskip(NEXT) | instid1(VALU_DEP_1)
	v_lshlrev_b64 v[36:37], 2, v[36:37]
	v_add_co_u32 v36, vcc_lo, v12, v36
	s_delay_alu instid0(VALU_DEP_2)
	v_add_co_ci_u32_e32 v37, vcc_lo, v13, v37, vcc_lo
	global_store_b32 v[36:37], v29, off
.LBB979_146:
	s_or_b32 exec_lo, exec_lo, s0
	v_cmp_lt_u32_e32 vcc_lo, v2, v14
	s_or_b32 s1, s15, vcc_lo
	s_delay_alu instid0(SALU_CYCLE_1)
	s_and_saveexec_b32 s0, s1
	s_cbranch_execz .LBB979_149
; %bb.147:
	v_and_b32_e32 v15, 1, v48
	s_delay_alu instid0(VALU_DEP_1)
	v_cmp_eq_u32_e32 vcc_lo, 1, v15
	s_and_b32 exec_lo, exec_lo, vcc_lo
	s_cbranch_execz .LBB979_149
; %bb.148:
	v_dual_mov_b32 v37, 0 :: v_dual_mov_b32 v36, v2
	s_delay_alu instid0(VALU_DEP_1) | instskip(NEXT) | instid1(VALU_DEP_1)
	v_lshlrev_b64 v[36:37], 2, v[36:37]
	v_add_co_u32 v36, vcc_lo, v12, v36
	s_delay_alu instid0(VALU_DEP_2)
	v_add_co_ci_u32_e32 v37, vcc_lo, v13, v37, vcc_lo
	global_store_b32 v[36:37], v30, off
.LBB979_149:
	s_or_b32 exec_lo, exec_lo, s0
	v_cmp_lt_u32_e32 vcc_lo, v3, v14
	s_or_b32 s1, s15, vcc_lo
	s_delay_alu instid0(SALU_CYCLE_1)
	s_and_saveexec_b32 s0, s1
	s_cbranch_execz .LBB979_152
; %bb.150:
	v_and_b32_e32 v15, 1, v47
	s_delay_alu instid0(VALU_DEP_1)
	v_cmp_eq_u32_e32 vcc_lo, 1, v15
	s_and_b32 exec_lo, exec_lo, vcc_lo
	s_cbranch_execz .LBB979_152
; %bb.151:
	v_dual_mov_b32 v37, 0 :: v_dual_mov_b32 v36, v3
	s_delay_alu instid0(VALU_DEP_1) | instskip(NEXT) | instid1(VALU_DEP_1)
	v_lshlrev_b64 v[36:37], 2, v[36:37]
	v_add_co_u32 v36, vcc_lo, v12, v36
	s_delay_alu instid0(VALU_DEP_2)
	v_add_co_ci_u32_e32 v37, vcc_lo, v13, v37, vcc_lo
	global_store_b32 v[36:37], v27, off
.LBB979_152:
	;; [unrolled: 21-line block ×10, first 2 shown]
	s_or_b32 exec_lo, exec_lo, s0
	s_branch .LBB979_141
.LBB979_177:
	s_mov_b32 s0, exec_lo
	v_cmpx_eq_u32_e32 1, v31
	s_cbranch_execz .LBB979_179
; %bb.178:
	v_sub_nc_u32_e32 v1, v1, v17
	s_delay_alu instid0(VALU_DEP_1)
	v_lshlrev_b32_e32 v1, 2, v1
	ds_store_b32 v1, v29
.LBB979_179:
	s_or_b32 exec_lo, exec_lo, s0
	v_and_b32_e32 v1, 1, v48
	s_mov_b32 s0, exec_lo
	s_delay_alu instid0(VALU_DEP_1)
	v_cmpx_eq_u32_e32 1, v1
	s_cbranch_execz .LBB979_181
; %bb.180:
	v_sub_nc_u32_e32 v1, v2, v17
	s_delay_alu instid0(VALU_DEP_1)
	v_lshlrev_b32_e32 v1, 2, v1
	ds_store_b32 v1, v30
.LBB979_181:
	s_or_b32 exec_lo, exec_lo, s0
	v_and_b32_e32 v1, 1, v47
	s_mov_b32 s0, exec_lo
	s_delay_alu instid0(VALU_DEP_1)
	;; [unrolled: 12-line block ×10, first 2 shown]
	v_cmpx_eq_u32_e32 1, v1
	s_cbranch_execz .LBB979_199
; %bb.198:
	v_sub_nc_u32_e32 v1, v11, v17
	s_delay_alu instid0(VALU_DEP_1)
	v_lshlrev_b32_e32 v1, 2, v1
	ds_store_b32 v1, v35
.LBB979_199:
	s_or_b32 exec_lo, exec_lo, s0
	s_delay_alu instid0(SALU_CYCLE_1)
	s_mov_b32 s1, exec_lo
	s_waitcnt lgkmcnt(0)
	s_waitcnt_vscnt null, 0x0
	s_barrier
	buffer_gl0_inv
	v_cmpx_lt_u32_e64 v0, v16
	s_cbranch_execz .LBB979_202
; %bb.200:
	v_dual_mov_b32 v1, 0 :: v_dual_mov_b32 v2, v17
	v_lshlrev_b64 v[4:5], 2, v[19:20]
	s_mov_b32 s3, 0
	s_delay_alu instid0(VALU_DEP_2) | instskip(NEXT) | instid1(VALU_DEP_2)
	v_mov_b32_e32 v3, v1
	v_add_co_u32 v4, vcc_lo, s16, v4
	s_delay_alu instid0(VALU_DEP_2) | instskip(NEXT) | instid1(VALU_DEP_4)
	v_lshlrev_b64 v[2:3], 2, v[2:3]
	v_add_co_ci_u32_e32 v5, vcc_lo, s17, v5, vcc_lo
	s_delay_alu instid0(VALU_DEP_2) | instskip(SKIP_1) | instid1(VALU_DEP_3)
	v_add_co_u32 v2, vcc_lo, v4, v2
	v_lshlrev_b32_e32 v4, 2, v0
	v_add_co_ci_u32_e32 v3, vcc_lo, v5, v3, vcc_lo
	.p2align	6
.LBB979_201:                            ; =>This Inner Loop Header: Depth=1
	ds_load_b32 v7, v4
	v_lshlrev_b64 v[5:6], 2, v[0:1]
	v_add_nc_u32_e32 v0, 0x80, v0
	v_add_nc_u32_e32 v4, 0x200, v4
	s_delay_alu instid0(VALU_DEP_2) | instskip(NEXT) | instid1(VALU_DEP_4)
	v_cmp_ge_u32_e32 vcc_lo, v0, v16
	v_add_co_u32 v5, s0, v2, v5
	s_delay_alu instid0(VALU_DEP_1)
	v_add_co_ci_u32_e64 v6, s0, v3, v6, s0
	s_or_b32 s3, vcc_lo, s3
	s_waitcnt lgkmcnt(0)
	global_store_b32 v[5:6], v7, off
	s_and_not1_b32 exec_lo, exec_lo, s3
	s_cbranch_execnz .LBB979_201
.LBB979_202:
	s_or_b32 exec_lo, exec_lo, s1
	s_and_b32 s0, s2, s14
	s_delay_alu instid0(SALU_CYCLE_1)
	s_and_saveexec_b32 s1, s0
	s_cbranch_execz .LBB979_142
.LBB979_203:
	v_add_co_u32 v0, vcc_lo, v19, v16
	v_add_co_ci_u32_e32 v1, vcc_lo, 0, v20, vcc_lo
	v_mov_b32_e32 v2, 0
	s_delay_alu instid0(VALU_DEP_3) | instskip(NEXT) | instid1(VALU_DEP_3)
	v_add_co_u32 v0, vcc_lo, v0, v17
	v_add_co_ci_u32_e32 v1, vcc_lo, 0, v1, vcc_lo
	global_store_b64 v2, v[0:1], s[12:13]
	s_nop 0
	s_sendmsg sendmsg(MSG_DEALLOC_VGPRS)
	s_endpgm
.LBB979_204:
	s_or_b32 exec_lo, exec_lo, s1
	s_and_saveexec_b32 s1, s24
	s_cbranch_execnz .LBB979_76
	s_branch .LBB979_77
	.section	.rodata,"a",@progbits
	.p2align	6, 0x0
	.amdhsa_kernel _ZN7rocprim17ROCPRIM_400000_NS6detail17trampoline_kernelINS0_14default_configENS1_25partition_config_selectorILNS1_17partition_subalgoE9EtjbEEZZNS1_14partition_implILS5_9ELb0ES3_jN6thrust23THRUST_200600_302600_NS6detail15normal_iteratorINS9_10device_ptrItEEEENSB_INSC_IjEEEEPNS0_10empty_typeENS0_5tupleIJNS9_16discard_iteratorINS9_11use_defaultEEESH_EEENSJ_IJSG_SI_EEENS0_18inequality_wrapperINS9_8equal_toItEEEEPmJSH_EEE10hipError_tPvRmT3_T4_T5_T6_T7_T9_mT8_P12ihipStream_tbDpT10_ENKUlT_T0_E_clISt17integral_constantIbLb0EES1C_IbLb1EEEEDaS18_S19_EUlS18_E_NS1_11comp_targetILNS1_3genE9ELNS1_11target_archE1100ELNS1_3gpuE3ELNS1_3repE0EEENS1_30default_config_static_selectorELNS0_4arch9wavefront6targetE0EEEvT1_
		.amdhsa_group_segment_fixed_size 5640
		.amdhsa_private_segment_fixed_size 0
		.amdhsa_kernarg_size 136
		.amdhsa_user_sgpr_count 15
		.amdhsa_user_sgpr_dispatch_ptr 0
		.amdhsa_user_sgpr_queue_ptr 0
		.amdhsa_user_sgpr_kernarg_segment_ptr 1
		.amdhsa_user_sgpr_dispatch_id 0
		.amdhsa_user_sgpr_private_segment_size 0
		.amdhsa_wavefront_size32 1
		.amdhsa_uses_dynamic_stack 0
		.amdhsa_enable_private_segment 0
		.amdhsa_system_sgpr_workgroup_id_x 1
		.amdhsa_system_sgpr_workgroup_id_y 0
		.amdhsa_system_sgpr_workgroup_id_z 0
		.amdhsa_system_sgpr_workgroup_info 0
		.amdhsa_system_vgpr_workitem_id 0
		.amdhsa_next_free_vgpr 63
		.amdhsa_next_free_sgpr 26
		.amdhsa_reserve_vcc 1
		.amdhsa_float_round_mode_32 0
		.amdhsa_float_round_mode_16_64 0
		.amdhsa_float_denorm_mode_32 3
		.amdhsa_float_denorm_mode_16_64 3
		.amdhsa_dx10_clamp 1
		.amdhsa_ieee_mode 1
		.amdhsa_fp16_overflow 0
		.amdhsa_workgroup_processor_mode 1
		.amdhsa_memory_ordered 1
		.amdhsa_forward_progress 0
		.amdhsa_shared_vgpr_count 0
		.amdhsa_exception_fp_ieee_invalid_op 0
		.amdhsa_exception_fp_denorm_src 0
		.amdhsa_exception_fp_ieee_div_zero 0
		.amdhsa_exception_fp_ieee_overflow 0
		.amdhsa_exception_fp_ieee_underflow 0
		.amdhsa_exception_fp_ieee_inexact 0
		.amdhsa_exception_int_div_zero 0
	.end_amdhsa_kernel
	.section	.text._ZN7rocprim17ROCPRIM_400000_NS6detail17trampoline_kernelINS0_14default_configENS1_25partition_config_selectorILNS1_17partition_subalgoE9EtjbEEZZNS1_14partition_implILS5_9ELb0ES3_jN6thrust23THRUST_200600_302600_NS6detail15normal_iteratorINS9_10device_ptrItEEEENSB_INSC_IjEEEEPNS0_10empty_typeENS0_5tupleIJNS9_16discard_iteratorINS9_11use_defaultEEESH_EEENSJ_IJSG_SI_EEENS0_18inequality_wrapperINS9_8equal_toItEEEEPmJSH_EEE10hipError_tPvRmT3_T4_T5_T6_T7_T9_mT8_P12ihipStream_tbDpT10_ENKUlT_T0_E_clISt17integral_constantIbLb0EES1C_IbLb1EEEEDaS18_S19_EUlS18_E_NS1_11comp_targetILNS1_3genE9ELNS1_11target_archE1100ELNS1_3gpuE3ELNS1_3repE0EEENS1_30default_config_static_selectorELNS0_4arch9wavefront6targetE0EEEvT1_,"axG",@progbits,_ZN7rocprim17ROCPRIM_400000_NS6detail17trampoline_kernelINS0_14default_configENS1_25partition_config_selectorILNS1_17partition_subalgoE9EtjbEEZZNS1_14partition_implILS5_9ELb0ES3_jN6thrust23THRUST_200600_302600_NS6detail15normal_iteratorINS9_10device_ptrItEEEENSB_INSC_IjEEEEPNS0_10empty_typeENS0_5tupleIJNS9_16discard_iteratorINS9_11use_defaultEEESH_EEENSJ_IJSG_SI_EEENS0_18inequality_wrapperINS9_8equal_toItEEEEPmJSH_EEE10hipError_tPvRmT3_T4_T5_T6_T7_T9_mT8_P12ihipStream_tbDpT10_ENKUlT_T0_E_clISt17integral_constantIbLb0EES1C_IbLb1EEEEDaS18_S19_EUlS18_E_NS1_11comp_targetILNS1_3genE9ELNS1_11target_archE1100ELNS1_3gpuE3ELNS1_3repE0EEENS1_30default_config_static_selectorELNS0_4arch9wavefront6targetE0EEEvT1_,comdat
.Lfunc_end979:
	.size	_ZN7rocprim17ROCPRIM_400000_NS6detail17trampoline_kernelINS0_14default_configENS1_25partition_config_selectorILNS1_17partition_subalgoE9EtjbEEZZNS1_14partition_implILS5_9ELb0ES3_jN6thrust23THRUST_200600_302600_NS6detail15normal_iteratorINS9_10device_ptrItEEEENSB_INSC_IjEEEEPNS0_10empty_typeENS0_5tupleIJNS9_16discard_iteratorINS9_11use_defaultEEESH_EEENSJ_IJSG_SI_EEENS0_18inequality_wrapperINS9_8equal_toItEEEEPmJSH_EEE10hipError_tPvRmT3_T4_T5_T6_T7_T9_mT8_P12ihipStream_tbDpT10_ENKUlT_T0_E_clISt17integral_constantIbLb0EES1C_IbLb1EEEEDaS18_S19_EUlS18_E_NS1_11comp_targetILNS1_3genE9ELNS1_11target_archE1100ELNS1_3gpuE3ELNS1_3repE0EEENS1_30default_config_static_selectorELNS0_4arch9wavefront6targetE0EEEvT1_, .Lfunc_end979-_ZN7rocprim17ROCPRIM_400000_NS6detail17trampoline_kernelINS0_14default_configENS1_25partition_config_selectorILNS1_17partition_subalgoE9EtjbEEZZNS1_14partition_implILS5_9ELb0ES3_jN6thrust23THRUST_200600_302600_NS6detail15normal_iteratorINS9_10device_ptrItEEEENSB_INSC_IjEEEEPNS0_10empty_typeENS0_5tupleIJNS9_16discard_iteratorINS9_11use_defaultEEESH_EEENSJ_IJSG_SI_EEENS0_18inequality_wrapperINS9_8equal_toItEEEEPmJSH_EEE10hipError_tPvRmT3_T4_T5_T6_T7_T9_mT8_P12ihipStream_tbDpT10_ENKUlT_T0_E_clISt17integral_constantIbLb0EES1C_IbLb1EEEEDaS18_S19_EUlS18_E_NS1_11comp_targetILNS1_3genE9ELNS1_11target_archE1100ELNS1_3gpuE3ELNS1_3repE0EEENS1_30default_config_static_selectorELNS0_4arch9wavefront6targetE0EEEvT1_
                                        ; -- End function
	.section	.AMDGPU.csdata,"",@progbits
; Kernel info:
; codeLenInByte = 9356
; NumSgprs: 28
; NumVgprs: 63
; ScratchSize: 0
; MemoryBound: 0
; FloatMode: 240
; IeeeMode: 1
; LDSByteSize: 5640 bytes/workgroup (compile time only)
; SGPRBlocks: 3
; VGPRBlocks: 7
; NumSGPRsForWavesPerEU: 28
; NumVGPRsForWavesPerEU: 63
; Occupancy: 16
; WaveLimiterHint : 1
; COMPUTE_PGM_RSRC2:SCRATCH_EN: 0
; COMPUTE_PGM_RSRC2:USER_SGPR: 15
; COMPUTE_PGM_RSRC2:TRAP_HANDLER: 0
; COMPUTE_PGM_RSRC2:TGID_X_EN: 1
; COMPUTE_PGM_RSRC2:TGID_Y_EN: 0
; COMPUTE_PGM_RSRC2:TGID_Z_EN: 0
; COMPUTE_PGM_RSRC2:TIDIG_COMP_CNT: 0
	.section	.text._ZN7rocprim17ROCPRIM_400000_NS6detail17trampoline_kernelINS0_14default_configENS1_25partition_config_selectorILNS1_17partition_subalgoE9EtjbEEZZNS1_14partition_implILS5_9ELb0ES3_jN6thrust23THRUST_200600_302600_NS6detail15normal_iteratorINS9_10device_ptrItEEEENSB_INSC_IjEEEEPNS0_10empty_typeENS0_5tupleIJNS9_16discard_iteratorINS9_11use_defaultEEESH_EEENSJ_IJSG_SI_EEENS0_18inequality_wrapperINS9_8equal_toItEEEEPmJSH_EEE10hipError_tPvRmT3_T4_T5_T6_T7_T9_mT8_P12ihipStream_tbDpT10_ENKUlT_T0_E_clISt17integral_constantIbLb0EES1C_IbLb1EEEEDaS18_S19_EUlS18_E_NS1_11comp_targetILNS1_3genE8ELNS1_11target_archE1030ELNS1_3gpuE2ELNS1_3repE0EEENS1_30default_config_static_selectorELNS0_4arch9wavefront6targetE0EEEvT1_,"axG",@progbits,_ZN7rocprim17ROCPRIM_400000_NS6detail17trampoline_kernelINS0_14default_configENS1_25partition_config_selectorILNS1_17partition_subalgoE9EtjbEEZZNS1_14partition_implILS5_9ELb0ES3_jN6thrust23THRUST_200600_302600_NS6detail15normal_iteratorINS9_10device_ptrItEEEENSB_INSC_IjEEEEPNS0_10empty_typeENS0_5tupleIJNS9_16discard_iteratorINS9_11use_defaultEEESH_EEENSJ_IJSG_SI_EEENS0_18inequality_wrapperINS9_8equal_toItEEEEPmJSH_EEE10hipError_tPvRmT3_T4_T5_T6_T7_T9_mT8_P12ihipStream_tbDpT10_ENKUlT_T0_E_clISt17integral_constantIbLb0EES1C_IbLb1EEEEDaS18_S19_EUlS18_E_NS1_11comp_targetILNS1_3genE8ELNS1_11target_archE1030ELNS1_3gpuE2ELNS1_3repE0EEENS1_30default_config_static_selectorELNS0_4arch9wavefront6targetE0EEEvT1_,comdat
	.protected	_ZN7rocprim17ROCPRIM_400000_NS6detail17trampoline_kernelINS0_14default_configENS1_25partition_config_selectorILNS1_17partition_subalgoE9EtjbEEZZNS1_14partition_implILS5_9ELb0ES3_jN6thrust23THRUST_200600_302600_NS6detail15normal_iteratorINS9_10device_ptrItEEEENSB_INSC_IjEEEEPNS0_10empty_typeENS0_5tupleIJNS9_16discard_iteratorINS9_11use_defaultEEESH_EEENSJ_IJSG_SI_EEENS0_18inequality_wrapperINS9_8equal_toItEEEEPmJSH_EEE10hipError_tPvRmT3_T4_T5_T6_T7_T9_mT8_P12ihipStream_tbDpT10_ENKUlT_T0_E_clISt17integral_constantIbLb0EES1C_IbLb1EEEEDaS18_S19_EUlS18_E_NS1_11comp_targetILNS1_3genE8ELNS1_11target_archE1030ELNS1_3gpuE2ELNS1_3repE0EEENS1_30default_config_static_selectorELNS0_4arch9wavefront6targetE0EEEvT1_ ; -- Begin function _ZN7rocprim17ROCPRIM_400000_NS6detail17trampoline_kernelINS0_14default_configENS1_25partition_config_selectorILNS1_17partition_subalgoE9EtjbEEZZNS1_14partition_implILS5_9ELb0ES3_jN6thrust23THRUST_200600_302600_NS6detail15normal_iteratorINS9_10device_ptrItEEEENSB_INSC_IjEEEEPNS0_10empty_typeENS0_5tupleIJNS9_16discard_iteratorINS9_11use_defaultEEESH_EEENSJ_IJSG_SI_EEENS0_18inequality_wrapperINS9_8equal_toItEEEEPmJSH_EEE10hipError_tPvRmT3_T4_T5_T6_T7_T9_mT8_P12ihipStream_tbDpT10_ENKUlT_T0_E_clISt17integral_constantIbLb0EES1C_IbLb1EEEEDaS18_S19_EUlS18_E_NS1_11comp_targetILNS1_3genE8ELNS1_11target_archE1030ELNS1_3gpuE2ELNS1_3repE0EEENS1_30default_config_static_selectorELNS0_4arch9wavefront6targetE0EEEvT1_
	.globl	_ZN7rocprim17ROCPRIM_400000_NS6detail17trampoline_kernelINS0_14default_configENS1_25partition_config_selectorILNS1_17partition_subalgoE9EtjbEEZZNS1_14partition_implILS5_9ELb0ES3_jN6thrust23THRUST_200600_302600_NS6detail15normal_iteratorINS9_10device_ptrItEEEENSB_INSC_IjEEEEPNS0_10empty_typeENS0_5tupleIJNS9_16discard_iteratorINS9_11use_defaultEEESH_EEENSJ_IJSG_SI_EEENS0_18inequality_wrapperINS9_8equal_toItEEEEPmJSH_EEE10hipError_tPvRmT3_T4_T5_T6_T7_T9_mT8_P12ihipStream_tbDpT10_ENKUlT_T0_E_clISt17integral_constantIbLb0EES1C_IbLb1EEEEDaS18_S19_EUlS18_E_NS1_11comp_targetILNS1_3genE8ELNS1_11target_archE1030ELNS1_3gpuE2ELNS1_3repE0EEENS1_30default_config_static_selectorELNS0_4arch9wavefront6targetE0EEEvT1_
	.p2align	8
	.type	_ZN7rocprim17ROCPRIM_400000_NS6detail17trampoline_kernelINS0_14default_configENS1_25partition_config_selectorILNS1_17partition_subalgoE9EtjbEEZZNS1_14partition_implILS5_9ELb0ES3_jN6thrust23THRUST_200600_302600_NS6detail15normal_iteratorINS9_10device_ptrItEEEENSB_INSC_IjEEEEPNS0_10empty_typeENS0_5tupleIJNS9_16discard_iteratorINS9_11use_defaultEEESH_EEENSJ_IJSG_SI_EEENS0_18inequality_wrapperINS9_8equal_toItEEEEPmJSH_EEE10hipError_tPvRmT3_T4_T5_T6_T7_T9_mT8_P12ihipStream_tbDpT10_ENKUlT_T0_E_clISt17integral_constantIbLb0EES1C_IbLb1EEEEDaS18_S19_EUlS18_E_NS1_11comp_targetILNS1_3genE8ELNS1_11target_archE1030ELNS1_3gpuE2ELNS1_3repE0EEENS1_30default_config_static_selectorELNS0_4arch9wavefront6targetE0EEEvT1_,@function
_ZN7rocprim17ROCPRIM_400000_NS6detail17trampoline_kernelINS0_14default_configENS1_25partition_config_selectorILNS1_17partition_subalgoE9EtjbEEZZNS1_14partition_implILS5_9ELb0ES3_jN6thrust23THRUST_200600_302600_NS6detail15normal_iteratorINS9_10device_ptrItEEEENSB_INSC_IjEEEEPNS0_10empty_typeENS0_5tupleIJNS9_16discard_iteratorINS9_11use_defaultEEESH_EEENSJ_IJSG_SI_EEENS0_18inequality_wrapperINS9_8equal_toItEEEEPmJSH_EEE10hipError_tPvRmT3_T4_T5_T6_T7_T9_mT8_P12ihipStream_tbDpT10_ENKUlT_T0_E_clISt17integral_constantIbLb0EES1C_IbLb1EEEEDaS18_S19_EUlS18_E_NS1_11comp_targetILNS1_3genE8ELNS1_11target_archE1030ELNS1_3gpuE2ELNS1_3repE0EEENS1_30default_config_static_selectorELNS0_4arch9wavefront6targetE0EEEvT1_: ; @_ZN7rocprim17ROCPRIM_400000_NS6detail17trampoline_kernelINS0_14default_configENS1_25partition_config_selectorILNS1_17partition_subalgoE9EtjbEEZZNS1_14partition_implILS5_9ELb0ES3_jN6thrust23THRUST_200600_302600_NS6detail15normal_iteratorINS9_10device_ptrItEEEENSB_INSC_IjEEEEPNS0_10empty_typeENS0_5tupleIJNS9_16discard_iteratorINS9_11use_defaultEEESH_EEENSJ_IJSG_SI_EEENS0_18inequality_wrapperINS9_8equal_toItEEEEPmJSH_EEE10hipError_tPvRmT3_T4_T5_T6_T7_T9_mT8_P12ihipStream_tbDpT10_ENKUlT_T0_E_clISt17integral_constantIbLb0EES1C_IbLb1EEEEDaS18_S19_EUlS18_E_NS1_11comp_targetILNS1_3genE8ELNS1_11target_archE1030ELNS1_3gpuE2ELNS1_3repE0EEENS1_30default_config_static_selectorELNS0_4arch9wavefront6targetE0EEEvT1_
; %bb.0:
	.section	.rodata,"a",@progbits
	.p2align	6, 0x0
	.amdhsa_kernel _ZN7rocprim17ROCPRIM_400000_NS6detail17trampoline_kernelINS0_14default_configENS1_25partition_config_selectorILNS1_17partition_subalgoE9EtjbEEZZNS1_14partition_implILS5_9ELb0ES3_jN6thrust23THRUST_200600_302600_NS6detail15normal_iteratorINS9_10device_ptrItEEEENSB_INSC_IjEEEEPNS0_10empty_typeENS0_5tupleIJNS9_16discard_iteratorINS9_11use_defaultEEESH_EEENSJ_IJSG_SI_EEENS0_18inequality_wrapperINS9_8equal_toItEEEEPmJSH_EEE10hipError_tPvRmT3_T4_T5_T6_T7_T9_mT8_P12ihipStream_tbDpT10_ENKUlT_T0_E_clISt17integral_constantIbLb0EES1C_IbLb1EEEEDaS18_S19_EUlS18_E_NS1_11comp_targetILNS1_3genE8ELNS1_11target_archE1030ELNS1_3gpuE2ELNS1_3repE0EEENS1_30default_config_static_selectorELNS0_4arch9wavefront6targetE0EEEvT1_
		.amdhsa_group_segment_fixed_size 0
		.amdhsa_private_segment_fixed_size 0
		.amdhsa_kernarg_size 136
		.amdhsa_user_sgpr_count 15
		.amdhsa_user_sgpr_dispatch_ptr 0
		.amdhsa_user_sgpr_queue_ptr 0
		.amdhsa_user_sgpr_kernarg_segment_ptr 1
		.amdhsa_user_sgpr_dispatch_id 0
		.amdhsa_user_sgpr_private_segment_size 0
		.amdhsa_wavefront_size32 1
		.amdhsa_uses_dynamic_stack 0
		.amdhsa_enable_private_segment 0
		.amdhsa_system_sgpr_workgroup_id_x 1
		.amdhsa_system_sgpr_workgroup_id_y 0
		.amdhsa_system_sgpr_workgroup_id_z 0
		.amdhsa_system_sgpr_workgroup_info 0
		.amdhsa_system_vgpr_workitem_id 0
		.amdhsa_next_free_vgpr 1
		.amdhsa_next_free_sgpr 1
		.amdhsa_reserve_vcc 0
		.amdhsa_float_round_mode_32 0
		.amdhsa_float_round_mode_16_64 0
		.amdhsa_float_denorm_mode_32 3
		.amdhsa_float_denorm_mode_16_64 3
		.amdhsa_dx10_clamp 1
		.amdhsa_ieee_mode 1
		.amdhsa_fp16_overflow 0
		.amdhsa_workgroup_processor_mode 1
		.amdhsa_memory_ordered 1
		.amdhsa_forward_progress 0
		.amdhsa_shared_vgpr_count 0
		.amdhsa_exception_fp_ieee_invalid_op 0
		.amdhsa_exception_fp_denorm_src 0
		.amdhsa_exception_fp_ieee_div_zero 0
		.amdhsa_exception_fp_ieee_overflow 0
		.amdhsa_exception_fp_ieee_underflow 0
		.amdhsa_exception_fp_ieee_inexact 0
		.amdhsa_exception_int_div_zero 0
	.end_amdhsa_kernel
	.section	.text._ZN7rocprim17ROCPRIM_400000_NS6detail17trampoline_kernelINS0_14default_configENS1_25partition_config_selectorILNS1_17partition_subalgoE9EtjbEEZZNS1_14partition_implILS5_9ELb0ES3_jN6thrust23THRUST_200600_302600_NS6detail15normal_iteratorINS9_10device_ptrItEEEENSB_INSC_IjEEEEPNS0_10empty_typeENS0_5tupleIJNS9_16discard_iteratorINS9_11use_defaultEEESH_EEENSJ_IJSG_SI_EEENS0_18inequality_wrapperINS9_8equal_toItEEEEPmJSH_EEE10hipError_tPvRmT3_T4_T5_T6_T7_T9_mT8_P12ihipStream_tbDpT10_ENKUlT_T0_E_clISt17integral_constantIbLb0EES1C_IbLb1EEEEDaS18_S19_EUlS18_E_NS1_11comp_targetILNS1_3genE8ELNS1_11target_archE1030ELNS1_3gpuE2ELNS1_3repE0EEENS1_30default_config_static_selectorELNS0_4arch9wavefront6targetE0EEEvT1_,"axG",@progbits,_ZN7rocprim17ROCPRIM_400000_NS6detail17trampoline_kernelINS0_14default_configENS1_25partition_config_selectorILNS1_17partition_subalgoE9EtjbEEZZNS1_14partition_implILS5_9ELb0ES3_jN6thrust23THRUST_200600_302600_NS6detail15normal_iteratorINS9_10device_ptrItEEEENSB_INSC_IjEEEEPNS0_10empty_typeENS0_5tupleIJNS9_16discard_iteratorINS9_11use_defaultEEESH_EEENSJ_IJSG_SI_EEENS0_18inequality_wrapperINS9_8equal_toItEEEEPmJSH_EEE10hipError_tPvRmT3_T4_T5_T6_T7_T9_mT8_P12ihipStream_tbDpT10_ENKUlT_T0_E_clISt17integral_constantIbLb0EES1C_IbLb1EEEEDaS18_S19_EUlS18_E_NS1_11comp_targetILNS1_3genE8ELNS1_11target_archE1030ELNS1_3gpuE2ELNS1_3repE0EEENS1_30default_config_static_selectorELNS0_4arch9wavefront6targetE0EEEvT1_,comdat
.Lfunc_end980:
	.size	_ZN7rocprim17ROCPRIM_400000_NS6detail17trampoline_kernelINS0_14default_configENS1_25partition_config_selectorILNS1_17partition_subalgoE9EtjbEEZZNS1_14partition_implILS5_9ELb0ES3_jN6thrust23THRUST_200600_302600_NS6detail15normal_iteratorINS9_10device_ptrItEEEENSB_INSC_IjEEEEPNS0_10empty_typeENS0_5tupleIJNS9_16discard_iteratorINS9_11use_defaultEEESH_EEENSJ_IJSG_SI_EEENS0_18inequality_wrapperINS9_8equal_toItEEEEPmJSH_EEE10hipError_tPvRmT3_T4_T5_T6_T7_T9_mT8_P12ihipStream_tbDpT10_ENKUlT_T0_E_clISt17integral_constantIbLb0EES1C_IbLb1EEEEDaS18_S19_EUlS18_E_NS1_11comp_targetILNS1_3genE8ELNS1_11target_archE1030ELNS1_3gpuE2ELNS1_3repE0EEENS1_30default_config_static_selectorELNS0_4arch9wavefront6targetE0EEEvT1_, .Lfunc_end980-_ZN7rocprim17ROCPRIM_400000_NS6detail17trampoline_kernelINS0_14default_configENS1_25partition_config_selectorILNS1_17partition_subalgoE9EtjbEEZZNS1_14partition_implILS5_9ELb0ES3_jN6thrust23THRUST_200600_302600_NS6detail15normal_iteratorINS9_10device_ptrItEEEENSB_INSC_IjEEEEPNS0_10empty_typeENS0_5tupleIJNS9_16discard_iteratorINS9_11use_defaultEEESH_EEENSJ_IJSG_SI_EEENS0_18inequality_wrapperINS9_8equal_toItEEEEPmJSH_EEE10hipError_tPvRmT3_T4_T5_T6_T7_T9_mT8_P12ihipStream_tbDpT10_ENKUlT_T0_E_clISt17integral_constantIbLb0EES1C_IbLb1EEEEDaS18_S19_EUlS18_E_NS1_11comp_targetILNS1_3genE8ELNS1_11target_archE1030ELNS1_3gpuE2ELNS1_3repE0EEENS1_30default_config_static_selectorELNS0_4arch9wavefront6targetE0EEEvT1_
                                        ; -- End function
	.section	.AMDGPU.csdata,"",@progbits
; Kernel info:
; codeLenInByte = 0
; NumSgprs: 0
; NumVgprs: 0
; ScratchSize: 0
; MemoryBound: 0
; FloatMode: 240
; IeeeMode: 1
; LDSByteSize: 0 bytes/workgroup (compile time only)
; SGPRBlocks: 0
; VGPRBlocks: 0
; NumSGPRsForWavesPerEU: 1
; NumVGPRsForWavesPerEU: 1
; Occupancy: 16
; WaveLimiterHint : 0
; COMPUTE_PGM_RSRC2:SCRATCH_EN: 0
; COMPUTE_PGM_RSRC2:USER_SGPR: 15
; COMPUTE_PGM_RSRC2:TRAP_HANDLER: 0
; COMPUTE_PGM_RSRC2:TGID_X_EN: 1
; COMPUTE_PGM_RSRC2:TGID_Y_EN: 0
; COMPUTE_PGM_RSRC2:TGID_Z_EN: 0
; COMPUTE_PGM_RSRC2:TIDIG_COMP_CNT: 0
	.section	.text._ZN7rocprim17ROCPRIM_400000_NS6detail17trampoline_kernelINS0_14default_configENS1_25partition_config_selectorILNS1_17partition_subalgoE9ExjbEEZZNS1_14partition_implILS5_9ELb0ES3_jN6thrust23THRUST_200600_302600_NS6detail15normal_iteratorINS9_10device_ptrIxEEEENSB_INSC_IjEEEEPNS0_10empty_typeENS0_5tupleIJNS9_16discard_iteratorINS9_11use_defaultEEESH_EEENSJ_IJSM_SI_EEENS0_18inequality_wrapperINS9_8equal_toIxEEEEPmJSH_EEE10hipError_tPvRmT3_T4_T5_T6_T7_T9_mT8_P12ihipStream_tbDpT10_ENKUlT_T0_E_clISt17integral_constantIbLb0EES1D_EEDaS18_S19_EUlS18_E_NS1_11comp_targetILNS1_3genE0ELNS1_11target_archE4294967295ELNS1_3gpuE0ELNS1_3repE0EEENS1_30default_config_static_selectorELNS0_4arch9wavefront6targetE0EEEvT1_,"axG",@progbits,_ZN7rocprim17ROCPRIM_400000_NS6detail17trampoline_kernelINS0_14default_configENS1_25partition_config_selectorILNS1_17partition_subalgoE9ExjbEEZZNS1_14partition_implILS5_9ELb0ES3_jN6thrust23THRUST_200600_302600_NS6detail15normal_iteratorINS9_10device_ptrIxEEEENSB_INSC_IjEEEEPNS0_10empty_typeENS0_5tupleIJNS9_16discard_iteratorINS9_11use_defaultEEESH_EEENSJ_IJSM_SI_EEENS0_18inequality_wrapperINS9_8equal_toIxEEEEPmJSH_EEE10hipError_tPvRmT3_T4_T5_T6_T7_T9_mT8_P12ihipStream_tbDpT10_ENKUlT_T0_E_clISt17integral_constantIbLb0EES1D_EEDaS18_S19_EUlS18_E_NS1_11comp_targetILNS1_3genE0ELNS1_11target_archE4294967295ELNS1_3gpuE0ELNS1_3repE0EEENS1_30default_config_static_selectorELNS0_4arch9wavefront6targetE0EEEvT1_,comdat
	.protected	_ZN7rocprim17ROCPRIM_400000_NS6detail17trampoline_kernelINS0_14default_configENS1_25partition_config_selectorILNS1_17partition_subalgoE9ExjbEEZZNS1_14partition_implILS5_9ELb0ES3_jN6thrust23THRUST_200600_302600_NS6detail15normal_iteratorINS9_10device_ptrIxEEEENSB_INSC_IjEEEEPNS0_10empty_typeENS0_5tupleIJNS9_16discard_iteratorINS9_11use_defaultEEESH_EEENSJ_IJSM_SI_EEENS0_18inequality_wrapperINS9_8equal_toIxEEEEPmJSH_EEE10hipError_tPvRmT3_T4_T5_T6_T7_T9_mT8_P12ihipStream_tbDpT10_ENKUlT_T0_E_clISt17integral_constantIbLb0EES1D_EEDaS18_S19_EUlS18_E_NS1_11comp_targetILNS1_3genE0ELNS1_11target_archE4294967295ELNS1_3gpuE0ELNS1_3repE0EEENS1_30default_config_static_selectorELNS0_4arch9wavefront6targetE0EEEvT1_ ; -- Begin function _ZN7rocprim17ROCPRIM_400000_NS6detail17trampoline_kernelINS0_14default_configENS1_25partition_config_selectorILNS1_17partition_subalgoE9ExjbEEZZNS1_14partition_implILS5_9ELb0ES3_jN6thrust23THRUST_200600_302600_NS6detail15normal_iteratorINS9_10device_ptrIxEEEENSB_INSC_IjEEEEPNS0_10empty_typeENS0_5tupleIJNS9_16discard_iteratorINS9_11use_defaultEEESH_EEENSJ_IJSM_SI_EEENS0_18inequality_wrapperINS9_8equal_toIxEEEEPmJSH_EEE10hipError_tPvRmT3_T4_T5_T6_T7_T9_mT8_P12ihipStream_tbDpT10_ENKUlT_T0_E_clISt17integral_constantIbLb0EES1D_EEDaS18_S19_EUlS18_E_NS1_11comp_targetILNS1_3genE0ELNS1_11target_archE4294967295ELNS1_3gpuE0ELNS1_3repE0EEENS1_30default_config_static_selectorELNS0_4arch9wavefront6targetE0EEEvT1_
	.globl	_ZN7rocprim17ROCPRIM_400000_NS6detail17trampoline_kernelINS0_14default_configENS1_25partition_config_selectorILNS1_17partition_subalgoE9ExjbEEZZNS1_14partition_implILS5_9ELb0ES3_jN6thrust23THRUST_200600_302600_NS6detail15normal_iteratorINS9_10device_ptrIxEEEENSB_INSC_IjEEEEPNS0_10empty_typeENS0_5tupleIJNS9_16discard_iteratorINS9_11use_defaultEEESH_EEENSJ_IJSM_SI_EEENS0_18inequality_wrapperINS9_8equal_toIxEEEEPmJSH_EEE10hipError_tPvRmT3_T4_T5_T6_T7_T9_mT8_P12ihipStream_tbDpT10_ENKUlT_T0_E_clISt17integral_constantIbLb0EES1D_EEDaS18_S19_EUlS18_E_NS1_11comp_targetILNS1_3genE0ELNS1_11target_archE4294967295ELNS1_3gpuE0ELNS1_3repE0EEENS1_30default_config_static_selectorELNS0_4arch9wavefront6targetE0EEEvT1_
	.p2align	8
	.type	_ZN7rocprim17ROCPRIM_400000_NS6detail17trampoline_kernelINS0_14default_configENS1_25partition_config_selectorILNS1_17partition_subalgoE9ExjbEEZZNS1_14partition_implILS5_9ELb0ES3_jN6thrust23THRUST_200600_302600_NS6detail15normal_iteratorINS9_10device_ptrIxEEEENSB_INSC_IjEEEEPNS0_10empty_typeENS0_5tupleIJNS9_16discard_iteratorINS9_11use_defaultEEESH_EEENSJ_IJSM_SI_EEENS0_18inequality_wrapperINS9_8equal_toIxEEEEPmJSH_EEE10hipError_tPvRmT3_T4_T5_T6_T7_T9_mT8_P12ihipStream_tbDpT10_ENKUlT_T0_E_clISt17integral_constantIbLb0EES1D_EEDaS18_S19_EUlS18_E_NS1_11comp_targetILNS1_3genE0ELNS1_11target_archE4294967295ELNS1_3gpuE0ELNS1_3repE0EEENS1_30default_config_static_selectorELNS0_4arch9wavefront6targetE0EEEvT1_,@function
_ZN7rocprim17ROCPRIM_400000_NS6detail17trampoline_kernelINS0_14default_configENS1_25partition_config_selectorILNS1_17partition_subalgoE9ExjbEEZZNS1_14partition_implILS5_9ELb0ES3_jN6thrust23THRUST_200600_302600_NS6detail15normal_iteratorINS9_10device_ptrIxEEEENSB_INSC_IjEEEEPNS0_10empty_typeENS0_5tupleIJNS9_16discard_iteratorINS9_11use_defaultEEESH_EEENSJ_IJSM_SI_EEENS0_18inequality_wrapperINS9_8equal_toIxEEEEPmJSH_EEE10hipError_tPvRmT3_T4_T5_T6_T7_T9_mT8_P12ihipStream_tbDpT10_ENKUlT_T0_E_clISt17integral_constantIbLb0EES1D_EEDaS18_S19_EUlS18_E_NS1_11comp_targetILNS1_3genE0ELNS1_11target_archE4294967295ELNS1_3gpuE0ELNS1_3repE0EEENS1_30default_config_static_selectorELNS0_4arch9wavefront6targetE0EEEvT1_: ; @_ZN7rocprim17ROCPRIM_400000_NS6detail17trampoline_kernelINS0_14default_configENS1_25partition_config_selectorILNS1_17partition_subalgoE9ExjbEEZZNS1_14partition_implILS5_9ELb0ES3_jN6thrust23THRUST_200600_302600_NS6detail15normal_iteratorINS9_10device_ptrIxEEEENSB_INSC_IjEEEEPNS0_10empty_typeENS0_5tupleIJNS9_16discard_iteratorINS9_11use_defaultEEESH_EEENSJ_IJSM_SI_EEENS0_18inequality_wrapperINS9_8equal_toIxEEEEPmJSH_EEE10hipError_tPvRmT3_T4_T5_T6_T7_T9_mT8_P12ihipStream_tbDpT10_ENKUlT_T0_E_clISt17integral_constantIbLb0EES1D_EEDaS18_S19_EUlS18_E_NS1_11comp_targetILNS1_3genE0ELNS1_11target_archE4294967295ELNS1_3gpuE0ELNS1_3repE0EEENS1_30default_config_static_selectorELNS0_4arch9wavefront6targetE0EEEvT1_
; %bb.0:
	.section	.rodata,"a",@progbits
	.p2align	6, 0x0
	.amdhsa_kernel _ZN7rocprim17ROCPRIM_400000_NS6detail17trampoline_kernelINS0_14default_configENS1_25partition_config_selectorILNS1_17partition_subalgoE9ExjbEEZZNS1_14partition_implILS5_9ELb0ES3_jN6thrust23THRUST_200600_302600_NS6detail15normal_iteratorINS9_10device_ptrIxEEEENSB_INSC_IjEEEEPNS0_10empty_typeENS0_5tupleIJNS9_16discard_iteratorINS9_11use_defaultEEESH_EEENSJ_IJSM_SI_EEENS0_18inequality_wrapperINS9_8equal_toIxEEEEPmJSH_EEE10hipError_tPvRmT3_T4_T5_T6_T7_T9_mT8_P12ihipStream_tbDpT10_ENKUlT_T0_E_clISt17integral_constantIbLb0EES1D_EEDaS18_S19_EUlS18_E_NS1_11comp_targetILNS1_3genE0ELNS1_11target_archE4294967295ELNS1_3gpuE0ELNS1_3repE0EEENS1_30default_config_static_selectorELNS0_4arch9wavefront6targetE0EEEvT1_
		.amdhsa_group_segment_fixed_size 0
		.amdhsa_private_segment_fixed_size 0
		.amdhsa_kernarg_size 128
		.amdhsa_user_sgpr_count 15
		.amdhsa_user_sgpr_dispatch_ptr 0
		.amdhsa_user_sgpr_queue_ptr 0
		.amdhsa_user_sgpr_kernarg_segment_ptr 1
		.amdhsa_user_sgpr_dispatch_id 0
		.amdhsa_user_sgpr_private_segment_size 0
		.amdhsa_wavefront_size32 1
		.amdhsa_uses_dynamic_stack 0
		.amdhsa_enable_private_segment 0
		.amdhsa_system_sgpr_workgroup_id_x 1
		.amdhsa_system_sgpr_workgroup_id_y 0
		.amdhsa_system_sgpr_workgroup_id_z 0
		.amdhsa_system_sgpr_workgroup_info 0
		.amdhsa_system_vgpr_workitem_id 0
		.amdhsa_next_free_vgpr 1
		.amdhsa_next_free_sgpr 1
		.amdhsa_reserve_vcc 0
		.amdhsa_float_round_mode_32 0
		.amdhsa_float_round_mode_16_64 0
		.amdhsa_float_denorm_mode_32 3
		.amdhsa_float_denorm_mode_16_64 3
		.amdhsa_dx10_clamp 1
		.amdhsa_ieee_mode 1
		.amdhsa_fp16_overflow 0
		.amdhsa_workgroup_processor_mode 1
		.amdhsa_memory_ordered 1
		.amdhsa_forward_progress 0
		.amdhsa_shared_vgpr_count 0
		.amdhsa_exception_fp_ieee_invalid_op 0
		.amdhsa_exception_fp_denorm_src 0
		.amdhsa_exception_fp_ieee_div_zero 0
		.amdhsa_exception_fp_ieee_overflow 0
		.amdhsa_exception_fp_ieee_underflow 0
		.amdhsa_exception_fp_ieee_inexact 0
		.amdhsa_exception_int_div_zero 0
	.end_amdhsa_kernel
	.section	.text._ZN7rocprim17ROCPRIM_400000_NS6detail17trampoline_kernelINS0_14default_configENS1_25partition_config_selectorILNS1_17partition_subalgoE9ExjbEEZZNS1_14partition_implILS5_9ELb0ES3_jN6thrust23THRUST_200600_302600_NS6detail15normal_iteratorINS9_10device_ptrIxEEEENSB_INSC_IjEEEEPNS0_10empty_typeENS0_5tupleIJNS9_16discard_iteratorINS9_11use_defaultEEESH_EEENSJ_IJSM_SI_EEENS0_18inequality_wrapperINS9_8equal_toIxEEEEPmJSH_EEE10hipError_tPvRmT3_T4_T5_T6_T7_T9_mT8_P12ihipStream_tbDpT10_ENKUlT_T0_E_clISt17integral_constantIbLb0EES1D_EEDaS18_S19_EUlS18_E_NS1_11comp_targetILNS1_3genE0ELNS1_11target_archE4294967295ELNS1_3gpuE0ELNS1_3repE0EEENS1_30default_config_static_selectorELNS0_4arch9wavefront6targetE0EEEvT1_,"axG",@progbits,_ZN7rocprim17ROCPRIM_400000_NS6detail17trampoline_kernelINS0_14default_configENS1_25partition_config_selectorILNS1_17partition_subalgoE9ExjbEEZZNS1_14partition_implILS5_9ELb0ES3_jN6thrust23THRUST_200600_302600_NS6detail15normal_iteratorINS9_10device_ptrIxEEEENSB_INSC_IjEEEEPNS0_10empty_typeENS0_5tupleIJNS9_16discard_iteratorINS9_11use_defaultEEESH_EEENSJ_IJSM_SI_EEENS0_18inequality_wrapperINS9_8equal_toIxEEEEPmJSH_EEE10hipError_tPvRmT3_T4_T5_T6_T7_T9_mT8_P12ihipStream_tbDpT10_ENKUlT_T0_E_clISt17integral_constantIbLb0EES1D_EEDaS18_S19_EUlS18_E_NS1_11comp_targetILNS1_3genE0ELNS1_11target_archE4294967295ELNS1_3gpuE0ELNS1_3repE0EEENS1_30default_config_static_selectorELNS0_4arch9wavefront6targetE0EEEvT1_,comdat
.Lfunc_end981:
	.size	_ZN7rocprim17ROCPRIM_400000_NS6detail17trampoline_kernelINS0_14default_configENS1_25partition_config_selectorILNS1_17partition_subalgoE9ExjbEEZZNS1_14partition_implILS5_9ELb0ES3_jN6thrust23THRUST_200600_302600_NS6detail15normal_iteratorINS9_10device_ptrIxEEEENSB_INSC_IjEEEEPNS0_10empty_typeENS0_5tupleIJNS9_16discard_iteratorINS9_11use_defaultEEESH_EEENSJ_IJSM_SI_EEENS0_18inequality_wrapperINS9_8equal_toIxEEEEPmJSH_EEE10hipError_tPvRmT3_T4_T5_T6_T7_T9_mT8_P12ihipStream_tbDpT10_ENKUlT_T0_E_clISt17integral_constantIbLb0EES1D_EEDaS18_S19_EUlS18_E_NS1_11comp_targetILNS1_3genE0ELNS1_11target_archE4294967295ELNS1_3gpuE0ELNS1_3repE0EEENS1_30default_config_static_selectorELNS0_4arch9wavefront6targetE0EEEvT1_, .Lfunc_end981-_ZN7rocprim17ROCPRIM_400000_NS6detail17trampoline_kernelINS0_14default_configENS1_25partition_config_selectorILNS1_17partition_subalgoE9ExjbEEZZNS1_14partition_implILS5_9ELb0ES3_jN6thrust23THRUST_200600_302600_NS6detail15normal_iteratorINS9_10device_ptrIxEEEENSB_INSC_IjEEEEPNS0_10empty_typeENS0_5tupleIJNS9_16discard_iteratorINS9_11use_defaultEEESH_EEENSJ_IJSM_SI_EEENS0_18inequality_wrapperINS9_8equal_toIxEEEEPmJSH_EEE10hipError_tPvRmT3_T4_T5_T6_T7_T9_mT8_P12ihipStream_tbDpT10_ENKUlT_T0_E_clISt17integral_constantIbLb0EES1D_EEDaS18_S19_EUlS18_E_NS1_11comp_targetILNS1_3genE0ELNS1_11target_archE4294967295ELNS1_3gpuE0ELNS1_3repE0EEENS1_30default_config_static_selectorELNS0_4arch9wavefront6targetE0EEEvT1_
                                        ; -- End function
	.section	.AMDGPU.csdata,"",@progbits
; Kernel info:
; codeLenInByte = 0
; NumSgprs: 0
; NumVgprs: 0
; ScratchSize: 0
; MemoryBound: 0
; FloatMode: 240
; IeeeMode: 1
; LDSByteSize: 0 bytes/workgroup (compile time only)
; SGPRBlocks: 0
; VGPRBlocks: 0
; NumSGPRsForWavesPerEU: 1
; NumVGPRsForWavesPerEU: 1
; Occupancy: 16
; WaveLimiterHint : 0
; COMPUTE_PGM_RSRC2:SCRATCH_EN: 0
; COMPUTE_PGM_RSRC2:USER_SGPR: 15
; COMPUTE_PGM_RSRC2:TRAP_HANDLER: 0
; COMPUTE_PGM_RSRC2:TGID_X_EN: 1
; COMPUTE_PGM_RSRC2:TGID_Y_EN: 0
; COMPUTE_PGM_RSRC2:TGID_Z_EN: 0
; COMPUTE_PGM_RSRC2:TIDIG_COMP_CNT: 0
	.section	.text._ZN7rocprim17ROCPRIM_400000_NS6detail17trampoline_kernelINS0_14default_configENS1_25partition_config_selectorILNS1_17partition_subalgoE9ExjbEEZZNS1_14partition_implILS5_9ELb0ES3_jN6thrust23THRUST_200600_302600_NS6detail15normal_iteratorINS9_10device_ptrIxEEEENSB_INSC_IjEEEEPNS0_10empty_typeENS0_5tupleIJNS9_16discard_iteratorINS9_11use_defaultEEESH_EEENSJ_IJSM_SI_EEENS0_18inequality_wrapperINS9_8equal_toIxEEEEPmJSH_EEE10hipError_tPvRmT3_T4_T5_T6_T7_T9_mT8_P12ihipStream_tbDpT10_ENKUlT_T0_E_clISt17integral_constantIbLb0EES1D_EEDaS18_S19_EUlS18_E_NS1_11comp_targetILNS1_3genE5ELNS1_11target_archE942ELNS1_3gpuE9ELNS1_3repE0EEENS1_30default_config_static_selectorELNS0_4arch9wavefront6targetE0EEEvT1_,"axG",@progbits,_ZN7rocprim17ROCPRIM_400000_NS6detail17trampoline_kernelINS0_14default_configENS1_25partition_config_selectorILNS1_17partition_subalgoE9ExjbEEZZNS1_14partition_implILS5_9ELb0ES3_jN6thrust23THRUST_200600_302600_NS6detail15normal_iteratorINS9_10device_ptrIxEEEENSB_INSC_IjEEEEPNS0_10empty_typeENS0_5tupleIJNS9_16discard_iteratorINS9_11use_defaultEEESH_EEENSJ_IJSM_SI_EEENS0_18inequality_wrapperINS9_8equal_toIxEEEEPmJSH_EEE10hipError_tPvRmT3_T4_T5_T6_T7_T9_mT8_P12ihipStream_tbDpT10_ENKUlT_T0_E_clISt17integral_constantIbLb0EES1D_EEDaS18_S19_EUlS18_E_NS1_11comp_targetILNS1_3genE5ELNS1_11target_archE942ELNS1_3gpuE9ELNS1_3repE0EEENS1_30default_config_static_selectorELNS0_4arch9wavefront6targetE0EEEvT1_,comdat
	.protected	_ZN7rocprim17ROCPRIM_400000_NS6detail17trampoline_kernelINS0_14default_configENS1_25partition_config_selectorILNS1_17partition_subalgoE9ExjbEEZZNS1_14partition_implILS5_9ELb0ES3_jN6thrust23THRUST_200600_302600_NS6detail15normal_iteratorINS9_10device_ptrIxEEEENSB_INSC_IjEEEEPNS0_10empty_typeENS0_5tupleIJNS9_16discard_iteratorINS9_11use_defaultEEESH_EEENSJ_IJSM_SI_EEENS0_18inequality_wrapperINS9_8equal_toIxEEEEPmJSH_EEE10hipError_tPvRmT3_T4_T5_T6_T7_T9_mT8_P12ihipStream_tbDpT10_ENKUlT_T0_E_clISt17integral_constantIbLb0EES1D_EEDaS18_S19_EUlS18_E_NS1_11comp_targetILNS1_3genE5ELNS1_11target_archE942ELNS1_3gpuE9ELNS1_3repE0EEENS1_30default_config_static_selectorELNS0_4arch9wavefront6targetE0EEEvT1_ ; -- Begin function _ZN7rocprim17ROCPRIM_400000_NS6detail17trampoline_kernelINS0_14default_configENS1_25partition_config_selectorILNS1_17partition_subalgoE9ExjbEEZZNS1_14partition_implILS5_9ELb0ES3_jN6thrust23THRUST_200600_302600_NS6detail15normal_iteratorINS9_10device_ptrIxEEEENSB_INSC_IjEEEEPNS0_10empty_typeENS0_5tupleIJNS9_16discard_iteratorINS9_11use_defaultEEESH_EEENSJ_IJSM_SI_EEENS0_18inequality_wrapperINS9_8equal_toIxEEEEPmJSH_EEE10hipError_tPvRmT3_T4_T5_T6_T7_T9_mT8_P12ihipStream_tbDpT10_ENKUlT_T0_E_clISt17integral_constantIbLb0EES1D_EEDaS18_S19_EUlS18_E_NS1_11comp_targetILNS1_3genE5ELNS1_11target_archE942ELNS1_3gpuE9ELNS1_3repE0EEENS1_30default_config_static_selectorELNS0_4arch9wavefront6targetE0EEEvT1_
	.globl	_ZN7rocprim17ROCPRIM_400000_NS6detail17trampoline_kernelINS0_14default_configENS1_25partition_config_selectorILNS1_17partition_subalgoE9ExjbEEZZNS1_14partition_implILS5_9ELb0ES3_jN6thrust23THRUST_200600_302600_NS6detail15normal_iteratorINS9_10device_ptrIxEEEENSB_INSC_IjEEEEPNS0_10empty_typeENS0_5tupleIJNS9_16discard_iteratorINS9_11use_defaultEEESH_EEENSJ_IJSM_SI_EEENS0_18inequality_wrapperINS9_8equal_toIxEEEEPmJSH_EEE10hipError_tPvRmT3_T4_T5_T6_T7_T9_mT8_P12ihipStream_tbDpT10_ENKUlT_T0_E_clISt17integral_constantIbLb0EES1D_EEDaS18_S19_EUlS18_E_NS1_11comp_targetILNS1_3genE5ELNS1_11target_archE942ELNS1_3gpuE9ELNS1_3repE0EEENS1_30default_config_static_selectorELNS0_4arch9wavefront6targetE0EEEvT1_
	.p2align	8
	.type	_ZN7rocprim17ROCPRIM_400000_NS6detail17trampoline_kernelINS0_14default_configENS1_25partition_config_selectorILNS1_17partition_subalgoE9ExjbEEZZNS1_14partition_implILS5_9ELb0ES3_jN6thrust23THRUST_200600_302600_NS6detail15normal_iteratorINS9_10device_ptrIxEEEENSB_INSC_IjEEEEPNS0_10empty_typeENS0_5tupleIJNS9_16discard_iteratorINS9_11use_defaultEEESH_EEENSJ_IJSM_SI_EEENS0_18inequality_wrapperINS9_8equal_toIxEEEEPmJSH_EEE10hipError_tPvRmT3_T4_T5_T6_T7_T9_mT8_P12ihipStream_tbDpT10_ENKUlT_T0_E_clISt17integral_constantIbLb0EES1D_EEDaS18_S19_EUlS18_E_NS1_11comp_targetILNS1_3genE5ELNS1_11target_archE942ELNS1_3gpuE9ELNS1_3repE0EEENS1_30default_config_static_selectorELNS0_4arch9wavefront6targetE0EEEvT1_,@function
_ZN7rocprim17ROCPRIM_400000_NS6detail17trampoline_kernelINS0_14default_configENS1_25partition_config_selectorILNS1_17partition_subalgoE9ExjbEEZZNS1_14partition_implILS5_9ELb0ES3_jN6thrust23THRUST_200600_302600_NS6detail15normal_iteratorINS9_10device_ptrIxEEEENSB_INSC_IjEEEEPNS0_10empty_typeENS0_5tupleIJNS9_16discard_iteratorINS9_11use_defaultEEESH_EEENSJ_IJSM_SI_EEENS0_18inequality_wrapperINS9_8equal_toIxEEEEPmJSH_EEE10hipError_tPvRmT3_T4_T5_T6_T7_T9_mT8_P12ihipStream_tbDpT10_ENKUlT_T0_E_clISt17integral_constantIbLb0EES1D_EEDaS18_S19_EUlS18_E_NS1_11comp_targetILNS1_3genE5ELNS1_11target_archE942ELNS1_3gpuE9ELNS1_3repE0EEENS1_30default_config_static_selectorELNS0_4arch9wavefront6targetE0EEEvT1_: ; @_ZN7rocprim17ROCPRIM_400000_NS6detail17trampoline_kernelINS0_14default_configENS1_25partition_config_selectorILNS1_17partition_subalgoE9ExjbEEZZNS1_14partition_implILS5_9ELb0ES3_jN6thrust23THRUST_200600_302600_NS6detail15normal_iteratorINS9_10device_ptrIxEEEENSB_INSC_IjEEEEPNS0_10empty_typeENS0_5tupleIJNS9_16discard_iteratorINS9_11use_defaultEEESH_EEENSJ_IJSM_SI_EEENS0_18inequality_wrapperINS9_8equal_toIxEEEEPmJSH_EEE10hipError_tPvRmT3_T4_T5_T6_T7_T9_mT8_P12ihipStream_tbDpT10_ENKUlT_T0_E_clISt17integral_constantIbLb0EES1D_EEDaS18_S19_EUlS18_E_NS1_11comp_targetILNS1_3genE5ELNS1_11target_archE942ELNS1_3gpuE9ELNS1_3repE0EEENS1_30default_config_static_selectorELNS0_4arch9wavefront6targetE0EEEvT1_
; %bb.0:
	.section	.rodata,"a",@progbits
	.p2align	6, 0x0
	.amdhsa_kernel _ZN7rocprim17ROCPRIM_400000_NS6detail17trampoline_kernelINS0_14default_configENS1_25partition_config_selectorILNS1_17partition_subalgoE9ExjbEEZZNS1_14partition_implILS5_9ELb0ES3_jN6thrust23THRUST_200600_302600_NS6detail15normal_iteratorINS9_10device_ptrIxEEEENSB_INSC_IjEEEEPNS0_10empty_typeENS0_5tupleIJNS9_16discard_iteratorINS9_11use_defaultEEESH_EEENSJ_IJSM_SI_EEENS0_18inequality_wrapperINS9_8equal_toIxEEEEPmJSH_EEE10hipError_tPvRmT3_T4_T5_T6_T7_T9_mT8_P12ihipStream_tbDpT10_ENKUlT_T0_E_clISt17integral_constantIbLb0EES1D_EEDaS18_S19_EUlS18_E_NS1_11comp_targetILNS1_3genE5ELNS1_11target_archE942ELNS1_3gpuE9ELNS1_3repE0EEENS1_30default_config_static_selectorELNS0_4arch9wavefront6targetE0EEEvT1_
		.amdhsa_group_segment_fixed_size 0
		.amdhsa_private_segment_fixed_size 0
		.amdhsa_kernarg_size 128
		.amdhsa_user_sgpr_count 15
		.amdhsa_user_sgpr_dispatch_ptr 0
		.amdhsa_user_sgpr_queue_ptr 0
		.amdhsa_user_sgpr_kernarg_segment_ptr 1
		.amdhsa_user_sgpr_dispatch_id 0
		.amdhsa_user_sgpr_private_segment_size 0
		.amdhsa_wavefront_size32 1
		.amdhsa_uses_dynamic_stack 0
		.amdhsa_enable_private_segment 0
		.amdhsa_system_sgpr_workgroup_id_x 1
		.amdhsa_system_sgpr_workgroup_id_y 0
		.amdhsa_system_sgpr_workgroup_id_z 0
		.amdhsa_system_sgpr_workgroup_info 0
		.amdhsa_system_vgpr_workitem_id 0
		.amdhsa_next_free_vgpr 1
		.amdhsa_next_free_sgpr 1
		.amdhsa_reserve_vcc 0
		.amdhsa_float_round_mode_32 0
		.amdhsa_float_round_mode_16_64 0
		.amdhsa_float_denorm_mode_32 3
		.amdhsa_float_denorm_mode_16_64 3
		.amdhsa_dx10_clamp 1
		.amdhsa_ieee_mode 1
		.amdhsa_fp16_overflow 0
		.amdhsa_workgroup_processor_mode 1
		.amdhsa_memory_ordered 1
		.amdhsa_forward_progress 0
		.amdhsa_shared_vgpr_count 0
		.amdhsa_exception_fp_ieee_invalid_op 0
		.amdhsa_exception_fp_denorm_src 0
		.amdhsa_exception_fp_ieee_div_zero 0
		.amdhsa_exception_fp_ieee_overflow 0
		.amdhsa_exception_fp_ieee_underflow 0
		.amdhsa_exception_fp_ieee_inexact 0
		.amdhsa_exception_int_div_zero 0
	.end_amdhsa_kernel
	.section	.text._ZN7rocprim17ROCPRIM_400000_NS6detail17trampoline_kernelINS0_14default_configENS1_25partition_config_selectorILNS1_17partition_subalgoE9ExjbEEZZNS1_14partition_implILS5_9ELb0ES3_jN6thrust23THRUST_200600_302600_NS6detail15normal_iteratorINS9_10device_ptrIxEEEENSB_INSC_IjEEEEPNS0_10empty_typeENS0_5tupleIJNS9_16discard_iteratorINS9_11use_defaultEEESH_EEENSJ_IJSM_SI_EEENS0_18inequality_wrapperINS9_8equal_toIxEEEEPmJSH_EEE10hipError_tPvRmT3_T4_T5_T6_T7_T9_mT8_P12ihipStream_tbDpT10_ENKUlT_T0_E_clISt17integral_constantIbLb0EES1D_EEDaS18_S19_EUlS18_E_NS1_11comp_targetILNS1_3genE5ELNS1_11target_archE942ELNS1_3gpuE9ELNS1_3repE0EEENS1_30default_config_static_selectorELNS0_4arch9wavefront6targetE0EEEvT1_,"axG",@progbits,_ZN7rocprim17ROCPRIM_400000_NS6detail17trampoline_kernelINS0_14default_configENS1_25partition_config_selectorILNS1_17partition_subalgoE9ExjbEEZZNS1_14partition_implILS5_9ELb0ES3_jN6thrust23THRUST_200600_302600_NS6detail15normal_iteratorINS9_10device_ptrIxEEEENSB_INSC_IjEEEEPNS0_10empty_typeENS0_5tupleIJNS9_16discard_iteratorINS9_11use_defaultEEESH_EEENSJ_IJSM_SI_EEENS0_18inequality_wrapperINS9_8equal_toIxEEEEPmJSH_EEE10hipError_tPvRmT3_T4_T5_T6_T7_T9_mT8_P12ihipStream_tbDpT10_ENKUlT_T0_E_clISt17integral_constantIbLb0EES1D_EEDaS18_S19_EUlS18_E_NS1_11comp_targetILNS1_3genE5ELNS1_11target_archE942ELNS1_3gpuE9ELNS1_3repE0EEENS1_30default_config_static_selectorELNS0_4arch9wavefront6targetE0EEEvT1_,comdat
.Lfunc_end982:
	.size	_ZN7rocprim17ROCPRIM_400000_NS6detail17trampoline_kernelINS0_14default_configENS1_25partition_config_selectorILNS1_17partition_subalgoE9ExjbEEZZNS1_14partition_implILS5_9ELb0ES3_jN6thrust23THRUST_200600_302600_NS6detail15normal_iteratorINS9_10device_ptrIxEEEENSB_INSC_IjEEEEPNS0_10empty_typeENS0_5tupleIJNS9_16discard_iteratorINS9_11use_defaultEEESH_EEENSJ_IJSM_SI_EEENS0_18inequality_wrapperINS9_8equal_toIxEEEEPmJSH_EEE10hipError_tPvRmT3_T4_T5_T6_T7_T9_mT8_P12ihipStream_tbDpT10_ENKUlT_T0_E_clISt17integral_constantIbLb0EES1D_EEDaS18_S19_EUlS18_E_NS1_11comp_targetILNS1_3genE5ELNS1_11target_archE942ELNS1_3gpuE9ELNS1_3repE0EEENS1_30default_config_static_selectorELNS0_4arch9wavefront6targetE0EEEvT1_, .Lfunc_end982-_ZN7rocprim17ROCPRIM_400000_NS6detail17trampoline_kernelINS0_14default_configENS1_25partition_config_selectorILNS1_17partition_subalgoE9ExjbEEZZNS1_14partition_implILS5_9ELb0ES3_jN6thrust23THRUST_200600_302600_NS6detail15normal_iteratorINS9_10device_ptrIxEEEENSB_INSC_IjEEEEPNS0_10empty_typeENS0_5tupleIJNS9_16discard_iteratorINS9_11use_defaultEEESH_EEENSJ_IJSM_SI_EEENS0_18inequality_wrapperINS9_8equal_toIxEEEEPmJSH_EEE10hipError_tPvRmT3_T4_T5_T6_T7_T9_mT8_P12ihipStream_tbDpT10_ENKUlT_T0_E_clISt17integral_constantIbLb0EES1D_EEDaS18_S19_EUlS18_E_NS1_11comp_targetILNS1_3genE5ELNS1_11target_archE942ELNS1_3gpuE9ELNS1_3repE0EEENS1_30default_config_static_selectorELNS0_4arch9wavefront6targetE0EEEvT1_
                                        ; -- End function
	.section	.AMDGPU.csdata,"",@progbits
; Kernel info:
; codeLenInByte = 0
; NumSgprs: 0
; NumVgprs: 0
; ScratchSize: 0
; MemoryBound: 0
; FloatMode: 240
; IeeeMode: 1
; LDSByteSize: 0 bytes/workgroup (compile time only)
; SGPRBlocks: 0
; VGPRBlocks: 0
; NumSGPRsForWavesPerEU: 1
; NumVGPRsForWavesPerEU: 1
; Occupancy: 16
; WaveLimiterHint : 0
; COMPUTE_PGM_RSRC2:SCRATCH_EN: 0
; COMPUTE_PGM_RSRC2:USER_SGPR: 15
; COMPUTE_PGM_RSRC2:TRAP_HANDLER: 0
; COMPUTE_PGM_RSRC2:TGID_X_EN: 1
; COMPUTE_PGM_RSRC2:TGID_Y_EN: 0
; COMPUTE_PGM_RSRC2:TGID_Z_EN: 0
; COMPUTE_PGM_RSRC2:TIDIG_COMP_CNT: 0
	.section	.text._ZN7rocprim17ROCPRIM_400000_NS6detail17trampoline_kernelINS0_14default_configENS1_25partition_config_selectorILNS1_17partition_subalgoE9ExjbEEZZNS1_14partition_implILS5_9ELb0ES3_jN6thrust23THRUST_200600_302600_NS6detail15normal_iteratorINS9_10device_ptrIxEEEENSB_INSC_IjEEEEPNS0_10empty_typeENS0_5tupleIJNS9_16discard_iteratorINS9_11use_defaultEEESH_EEENSJ_IJSM_SI_EEENS0_18inequality_wrapperINS9_8equal_toIxEEEEPmJSH_EEE10hipError_tPvRmT3_T4_T5_T6_T7_T9_mT8_P12ihipStream_tbDpT10_ENKUlT_T0_E_clISt17integral_constantIbLb0EES1D_EEDaS18_S19_EUlS18_E_NS1_11comp_targetILNS1_3genE4ELNS1_11target_archE910ELNS1_3gpuE8ELNS1_3repE0EEENS1_30default_config_static_selectorELNS0_4arch9wavefront6targetE0EEEvT1_,"axG",@progbits,_ZN7rocprim17ROCPRIM_400000_NS6detail17trampoline_kernelINS0_14default_configENS1_25partition_config_selectorILNS1_17partition_subalgoE9ExjbEEZZNS1_14partition_implILS5_9ELb0ES3_jN6thrust23THRUST_200600_302600_NS6detail15normal_iteratorINS9_10device_ptrIxEEEENSB_INSC_IjEEEEPNS0_10empty_typeENS0_5tupleIJNS9_16discard_iteratorINS9_11use_defaultEEESH_EEENSJ_IJSM_SI_EEENS0_18inequality_wrapperINS9_8equal_toIxEEEEPmJSH_EEE10hipError_tPvRmT3_T4_T5_T6_T7_T9_mT8_P12ihipStream_tbDpT10_ENKUlT_T0_E_clISt17integral_constantIbLb0EES1D_EEDaS18_S19_EUlS18_E_NS1_11comp_targetILNS1_3genE4ELNS1_11target_archE910ELNS1_3gpuE8ELNS1_3repE0EEENS1_30default_config_static_selectorELNS0_4arch9wavefront6targetE0EEEvT1_,comdat
	.protected	_ZN7rocprim17ROCPRIM_400000_NS6detail17trampoline_kernelINS0_14default_configENS1_25partition_config_selectorILNS1_17partition_subalgoE9ExjbEEZZNS1_14partition_implILS5_9ELb0ES3_jN6thrust23THRUST_200600_302600_NS6detail15normal_iteratorINS9_10device_ptrIxEEEENSB_INSC_IjEEEEPNS0_10empty_typeENS0_5tupleIJNS9_16discard_iteratorINS9_11use_defaultEEESH_EEENSJ_IJSM_SI_EEENS0_18inequality_wrapperINS9_8equal_toIxEEEEPmJSH_EEE10hipError_tPvRmT3_T4_T5_T6_T7_T9_mT8_P12ihipStream_tbDpT10_ENKUlT_T0_E_clISt17integral_constantIbLb0EES1D_EEDaS18_S19_EUlS18_E_NS1_11comp_targetILNS1_3genE4ELNS1_11target_archE910ELNS1_3gpuE8ELNS1_3repE0EEENS1_30default_config_static_selectorELNS0_4arch9wavefront6targetE0EEEvT1_ ; -- Begin function _ZN7rocprim17ROCPRIM_400000_NS6detail17trampoline_kernelINS0_14default_configENS1_25partition_config_selectorILNS1_17partition_subalgoE9ExjbEEZZNS1_14partition_implILS5_9ELb0ES3_jN6thrust23THRUST_200600_302600_NS6detail15normal_iteratorINS9_10device_ptrIxEEEENSB_INSC_IjEEEEPNS0_10empty_typeENS0_5tupleIJNS9_16discard_iteratorINS9_11use_defaultEEESH_EEENSJ_IJSM_SI_EEENS0_18inequality_wrapperINS9_8equal_toIxEEEEPmJSH_EEE10hipError_tPvRmT3_T4_T5_T6_T7_T9_mT8_P12ihipStream_tbDpT10_ENKUlT_T0_E_clISt17integral_constantIbLb0EES1D_EEDaS18_S19_EUlS18_E_NS1_11comp_targetILNS1_3genE4ELNS1_11target_archE910ELNS1_3gpuE8ELNS1_3repE0EEENS1_30default_config_static_selectorELNS0_4arch9wavefront6targetE0EEEvT1_
	.globl	_ZN7rocprim17ROCPRIM_400000_NS6detail17trampoline_kernelINS0_14default_configENS1_25partition_config_selectorILNS1_17partition_subalgoE9ExjbEEZZNS1_14partition_implILS5_9ELb0ES3_jN6thrust23THRUST_200600_302600_NS6detail15normal_iteratorINS9_10device_ptrIxEEEENSB_INSC_IjEEEEPNS0_10empty_typeENS0_5tupleIJNS9_16discard_iteratorINS9_11use_defaultEEESH_EEENSJ_IJSM_SI_EEENS0_18inequality_wrapperINS9_8equal_toIxEEEEPmJSH_EEE10hipError_tPvRmT3_T4_T5_T6_T7_T9_mT8_P12ihipStream_tbDpT10_ENKUlT_T0_E_clISt17integral_constantIbLb0EES1D_EEDaS18_S19_EUlS18_E_NS1_11comp_targetILNS1_3genE4ELNS1_11target_archE910ELNS1_3gpuE8ELNS1_3repE0EEENS1_30default_config_static_selectorELNS0_4arch9wavefront6targetE0EEEvT1_
	.p2align	8
	.type	_ZN7rocprim17ROCPRIM_400000_NS6detail17trampoline_kernelINS0_14default_configENS1_25partition_config_selectorILNS1_17partition_subalgoE9ExjbEEZZNS1_14partition_implILS5_9ELb0ES3_jN6thrust23THRUST_200600_302600_NS6detail15normal_iteratorINS9_10device_ptrIxEEEENSB_INSC_IjEEEEPNS0_10empty_typeENS0_5tupleIJNS9_16discard_iteratorINS9_11use_defaultEEESH_EEENSJ_IJSM_SI_EEENS0_18inequality_wrapperINS9_8equal_toIxEEEEPmJSH_EEE10hipError_tPvRmT3_T4_T5_T6_T7_T9_mT8_P12ihipStream_tbDpT10_ENKUlT_T0_E_clISt17integral_constantIbLb0EES1D_EEDaS18_S19_EUlS18_E_NS1_11comp_targetILNS1_3genE4ELNS1_11target_archE910ELNS1_3gpuE8ELNS1_3repE0EEENS1_30default_config_static_selectorELNS0_4arch9wavefront6targetE0EEEvT1_,@function
_ZN7rocprim17ROCPRIM_400000_NS6detail17trampoline_kernelINS0_14default_configENS1_25partition_config_selectorILNS1_17partition_subalgoE9ExjbEEZZNS1_14partition_implILS5_9ELb0ES3_jN6thrust23THRUST_200600_302600_NS6detail15normal_iteratorINS9_10device_ptrIxEEEENSB_INSC_IjEEEEPNS0_10empty_typeENS0_5tupleIJNS9_16discard_iteratorINS9_11use_defaultEEESH_EEENSJ_IJSM_SI_EEENS0_18inequality_wrapperINS9_8equal_toIxEEEEPmJSH_EEE10hipError_tPvRmT3_T4_T5_T6_T7_T9_mT8_P12ihipStream_tbDpT10_ENKUlT_T0_E_clISt17integral_constantIbLb0EES1D_EEDaS18_S19_EUlS18_E_NS1_11comp_targetILNS1_3genE4ELNS1_11target_archE910ELNS1_3gpuE8ELNS1_3repE0EEENS1_30default_config_static_selectorELNS0_4arch9wavefront6targetE0EEEvT1_: ; @_ZN7rocprim17ROCPRIM_400000_NS6detail17trampoline_kernelINS0_14default_configENS1_25partition_config_selectorILNS1_17partition_subalgoE9ExjbEEZZNS1_14partition_implILS5_9ELb0ES3_jN6thrust23THRUST_200600_302600_NS6detail15normal_iteratorINS9_10device_ptrIxEEEENSB_INSC_IjEEEEPNS0_10empty_typeENS0_5tupleIJNS9_16discard_iteratorINS9_11use_defaultEEESH_EEENSJ_IJSM_SI_EEENS0_18inequality_wrapperINS9_8equal_toIxEEEEPmJSH_EEE10hipError_tPvRmT3_T4_T5_T6_T7_T9_mT8_P12ihipStream_tbDpT10_ENKUlT_T0_E_clISt17integral_constantIbLb0EES1D_EEDaS18_S19_EUlS18_E_NS1_11comp_targetILNS1_3genE4ELNS1_11target_archE910ELNS1_3gpuE8ELNS1_3repE0EEENS1_30default_config_static_selectorELNS0_4arch9wavefront6targetE0EEEvT1_
; %bb.0:
	.section	.rodata,"a",@progbits
	.p2align	6, 0x0
	.amdhsa_kernel _ZN7rocprim17ROCPRIM_400000_NS6detail17trampoline_kernelINS0_14default_configENS1_25partition_config_selectorILNS1_17partition_subalgoE9ExjbEEZZNS1_14partition_implILS5_9ELb0ES3_jN6thrust23THRUST_200600_302600_NS6detail15normal_iteratorINS9_10device_ptrIxEEEENSB_INSC_IjEEEEPNS0_10empty_typeENS0_5tupleIJNS9_16discard_iteratorINS9_11use_defaultEEESH_EEENSJ_IJSM_SI_EEENS0_18inequality_wrapperINS9_8equal_toIxEEEEPmJSH_EEE10hipError_tPvRmT3_T4_T5_T6_T7_T9_mT8_P12ihipStream_tbDpT10_ENKUlT_T0_E_clISt17integral_constantIbLb0EES1D_EEDaS18_S19_EUlS18_E_NS1_11comp_targetILNS1_3genE4ELNS1_11target_archE910ELNS1_3gpuE8ELNS1_3repE0EEENS1_30default_config_static_selectorELNS0_4arch9wavefront6targetE0EEEvT1_
		.amdhsa_group_segment_fixed_size 0
		.amdhsa_private_segment_fixed_size 0
		.amdhsa_kernarg_size 128
		.amdhsa_user_sgpr_count 15
		.amdhsa_user_sgpr_dispatch_ptr 0
		.amdhsa_user_sgpr_queue_ptr 0
		.amdhsa_user_sgpr_kernarg_segment_ptr 1
		.amdhsa_user_sgpr_dispatch_id 0
		.amdhsa_user_sgpr_private_segment_size 0
		.amdhsa_wavefront_size32 1
		.amdhsa_uses_dynamic_stack 0
		.amdhsa_enable_private_segment 0
		.amdhsa_system_sgpr_workgroup_id_x 1
		.amdhsa_system_sgpr_workgroup_id_y 0
		.amdhsa_system_sgpr_workgroup_id_z 0
		.amdhsa_system_sgpr_workgroup_info 0
		.amdhsa_system_vgpr_workitem_id 0
		.amdhsa_next_free_vgpr 1
		.amdhsa_next_free_sgpr 1
		.amdhsa_reserve_vcc 0
		.amdhsa_float_round_mode_32 0
		.amdhsa_float_round_mode_16_64 0
		.amdhsa_float_denorm_mode_32 3
		.amdhsa_float_denorm_mode_16_64 3
		.amdhsa_dx10_clamp 1
		.amdhsa_ieee_mode 1
		.amdhsa_fp16_overflow 0
		.amdhsa_workgroup_processor_mode 1
		.amdhsa_memory_ordered 1
		.amdhsa_forward_progress 0
		.amdhsa_shared_vgpr_count 0
		.amdhsa_exception_fp_ieee_invalid_op 0
		.amdhsa_exception_fp_denorm_src 0
		.amdhsa_exception_fp_ieee_div_zero 0
		.amdhsa_exception_fp_ieee_overflow 0
		.amdhsa_exception_fp_ieee_underflow 0
		.amdhsa_exception_fp_ieee_inexact 0
		.amdhsa_exception_int_div_zero 0
	.end_amdhsa_kernel
	.section	.text._ZN7rocprim17ROCPRIM_400000_NS6detail17trampoline_kernelINS0_14default_configENS1_25partition_config_selectorILNS1_17partition_subalgoE9ExjbEEZZNS1_14partition_implILS5_9ELb0ES3_jN6thrust23THRUST_200600_302600_NS6detail15normal_iteratorINS9_10device_ptrIxEEEENSB_INSC_IjEEEEPNS0_10empty_typeENS0_5tupleIJNS9_16discard_iteratorINS9_11use_defaultEEESH_EEENSJ_IJSM_SI_EEENS0_18inequality_wrapperINS9_8equal_toIxEEEEPmJSH_EEE10hipError_tPvRmT3_T4_T5_T6_T7_T9_mT8_P12ihipStream_tbDpT10_ENKUlT_T0_E_clISt17integral_constantIbLb0EES1D_EEDaS18_S19_EUlS18_E_NS1_11comp_targetILNS1_3genE4ELNS1_11target_archE910ELNS1_3gpuE8ELNS1_3repE0EEENS1_30default_config_static_selectorELNS0_4arch9wavefront6targetE0EEEvT1_,"axG",@progbits,_ZN7rocprim17ROCPRIM_400000_NS6detail17trampoline_kernelINS0_14default_configENS1_25partition_config_selectorILNS1_17partition_subalgoE9ExjbEEZZNS1_14partition_implILS5_9ELb0ES3_jN6thrust23THRUST_200600_302600_NS6detail15normal_iteratorINS9_10device_ptrIxEEEENSB_INSC_IjEEEEPNS0_10empty_typeENS0_5tupleIJNS9_16discard_iteratorINS9_11use_defaultEEESH_EEENSJ_IJSM_SI_EEENS0_18inequality_wrapperINS9_8equal_toIxEEEEPmJSH_EEE10hipError_tPvRmT3_T4_T5_T6_T7_T9_mT8_P12ihipStream_tbDpT10_ENKUlT_T0_E_clISt17integral_constantIbLb0EES1D_EEDaS18_S19_EUlS18_E_NS1_11comp_targetILNS1_3genE4ELNS1_11target_archE910ELNS1_3gpuE8ELNS1_3repE0EEENS1_30default_config_static_selectorELNS0_4arch9wavefront6targetE0EEEvT1_,comdat
.Lfunc_end983:
	.size	_ZN7rocprim17ROCPRIM_400000_NS6detail17trampoline_kernelINS0_14default_configENS1_25partition_config_selectorILNS1_17partition_subalgoE9ExjbEEZZNS1_14partition_implILS5_9ELb0ES3_jN6thrust23THRUST_200600_302600_NS6detail15normal_iteratorINS9_10device_ptrIxEEEENSB_INSC_IjEEEEPNS0_10empty_typeENS0_5tupleIJNS9_16discard_iteratorINS9_11use_defaultEEESH_EEENSJ_IJSM_SI_EEENS0_18inequality_wrapperINS9_8equal_toIxEEEEPmJSH_EEE10hipError_tPvRmT3_T4_T5_T6_T7_T9_mT8_P12ihipStream_tbDpT10_ENKUlT_T0_E_clISt17integral_constantIbLb0EES1D_EEDaS18_S19_EUlS18_E_NS1_11comp_targetILNS1_3genE4ELNS1_11target_archE910ELNS1_3gpuE8ELNS1_3repE0EEENS1_30default_config_static_selectorELNS0_4arch9wavefront6targetE0EEEvT1_, .Lfunc_end983-_ZN7rocprim17ROCPRIM_400000_NS6detail17trampoline_kernelINS0_14default_configENS1_25partition_config_selectorILNS1_17partition_subalgoE9ExjbEEZZNS1_14partition_implILS5_9ELb0ES3_jN6thrust23THRUST_200600_302600_NS6detail15normal_iteratorINS9_10device_ptrIxEEEENSB_INSC_IjEEEEPNS0_10empty_typeENS0_5tupleIJNS9_16discard_iteratorINS9_11use_defaultEEESH_EEENSJ_IJSM_SI_EEENS0_18inequality_wrapperINS9_8equal_toIxEEEEPmJSH_EEE10hipError_tPvRmT3_T4_T5_T6_T7_T9_mT8_P12ihipStream_tbDpT10_ENKUlT_T0_E_clISt17integral_constantIbLb0EES1D_EEDaS18_S19_EUlS18_E_NS1_11comp_targetILNS1_3genE4ELNS1_11target_archE910ELNS1_3gpuE8ELNS1_3repE0EEENS1_30default_config_static_selectorELNS0_4arch9wavefront6targetE0EEEvT1_
                                        ; -- End function
	.section	.AMDGPU.csdata,"",@progbits
; Kernel info:
; codeLenInByte = 0
; NumSgprs: 0
; NumVgprs: 0
; ScratchSize: 0
; MemoryBound: 0
; FloatMode: 240
; IeeeMode: 1
; LDSByteSize: 0 bytes/workgroup (compile time only)
; SGPRBlocks: 0
; VGPRBlocks: 0
; NumSGPRsForWavesPerEU: 1
; NumVGPRsForWavesPerEU: 1
; Occupancy: 15
; WaveLimiterHint : 0
; COMPUTE_PGM_RSRC2:SCRATCH_EN: 0
; COMPUTE_PGM_RSRC2:USER_SGPR: 15
; COMPUTE_PGM_RSRC2:TRAP_HANDLER: 0
; COMPUTE_PGM_RSRC2:TGID_X_EN: 1
; COMPUTE_PGM_RSRC2:TGID_Y_EN: 0
; COMPUTE_PGM_RSRC2:TGID_Z_EN: 0
; COMPUTE_PGM_RSRC2:TIDIG_COMP_CNT: 0
	.section	.text._ZN7rocprim17ROCPRIM_400000_NS6detail17trampoline_kernelINS0_14default_configENS1_25partition_config_selectorILNS1_17partition_subalgoE9ExjbEEZZNS1_14partition_implILS5_9ELb0ES3_jN6thrust23THRUST_200600_302600_NS6detail15normal_iteratorINS9_10device_ptrIxEEEENSB_INSC_IjEEEEPNS0_10empty_typeENS0_5tupleIJNS9_16discard_iteratorINS9_11use_defaultEEESH_EEENSJ_IJSM_SI_EEENS0_18inequality_wrapperINS9_8equal_toIxEEEEPmJSH_EEE10hipError_tPvRmT3_T4_T5_T6_T7_T9_mT8_P12ihipStream_tbDpT10_ENKUlT_T0_E_clISt17integral_constantIbLb0EES1D_EEDaS18_S19_EUlS18_E_NS1_11comp_targetILNS1_3genE3ELNS1_11target_archE908ELNS1_3gpuE7ELNS1_3repE0EEENS1_30default_config_static_selectorELNS0_4arch9wavefront6targetE0EEEvT1_,"axG",@progbits,_ZN7rocprim17ROCPRIM_400000_NS6detail17trampoline_kernelINS0_14default_configENS1_25partition_config_selectorILNS1_17partition_subalgoE9ExjbEEZZNS1_14partition_implILS5_9ELb0ES3_jN6thrust23THRUST_200600_302600_NS6detail15normal_iteratorINS9_10device_ptrIxEEEENSB_INSC_IjEEEEPNS0_10empty_typeENS0_5tupleIJNS9_16discard_iteratorINS9_11use_defaultEEESH_EEENSJ_IJSM_SI_EEENS0_18inequality_wrapperINS9_8equal_toIxEEEEPmJSH_EEE10hipError_tPvRmT3_T4_T5_T6_T7_T9_mT8_P12ihipStream_tbDpT10_ENKUlT_T0_E_clISt17integral_constantIbLb0EES1D_EEDaS18_S19_EUlS18_E_NS1_11comp_targetILNS1_3genE3ELNS1_11target_archE908ELNS1_3gpuE7ELNS1_3repE0EEENS1_30default_config_static_selectorELNS0_4arch9wavefront6targetE0EEEvT1_,comdat
	.protected	_ZN7rocprim17ROCPRIM_400000_NS6detail17trampoline_kernelINS0_14default_configENS1_25partition_config_selectorILNS1_17partition_subalgoE9ExjbEEZZNS1_14partition_implILS5_9ELb0ES3_jN6thrust23THRUST_200600_302600_NS6detail15normal_iteratorINS9_10device_ptrIxEEEENSB_INSC_IjEEEEPNS0_10empty_typeENS0_5tupleIJNS9_16discard_iteratorINS9_11use_defaultEEESH_EEENSJ_IJSM_SI_EEENS0_18inequality_wrapperINS9_8equal_toIxEEEEPmJSH_EEE10hipError_tPvRmT3_T4_T5_T6_T7_T9_mT8_P12ihipStream_tbDpT10_ENKUlT_T0_E_clISt17integral_constantIbLb0EES1D_EEDaS18_S19_EUlS18_E_NS1_11comp_targetILNS1_3genE3ELNS1_11target_archE908ELNS1_3gpuE7ELNS1_3repE0EEENS1_30default_config_static_selectorELNS0_4arch9wavefront6targetE0EEEvT1_ ; -- Begin function _ZN7rocprim17ROCPRIM_400000_NS6detail17trampoline_kernelINS0_14default_configENS1_25partition_config_selectorILNS1_17partition_subalgoE9ExjbEEZZNS1_14partition_implILS5_9ELb0ES3_jN6thrust23THRUST_200600_302600_NS6detail15normal_iteratorINS9_10device_ptrIxEEEENSB_INSC_IjEEEEPNS0_10empty_typeENS0_5tupleIJNS9_16discard_iteratorINS9_11use_defaultEEESH_EEENSJ_IJSM_SI_EEENS0_18inequality_wrapperINS9_8equal_toIxEEEEPmJSH_EEE10hipError_tPvRmT3_T4_T5_T6_T7_T9_mT8_P12ihipStream_tbDpT10_ENKUlT_T0_E_clISt17integral_constantIbLb0EES1D_EEDaS18_S19_EUlS18_E_NS1_11comp_targetILNS1_3genE3ELNS1_11target_archE908ELNS1_3gpuE7ELNS1_3repE0EEENS1_30default_config_static_selectorELNS0_4arch9wavefront6targetE0EEEvT1_
	.globl	_ZN7rocprim17ROCPRIM_400000_NS6detail17trampoline_kernelINS0_14default_configENS1_25partition_config_selectorILNS1_17partition_subalgoE9ExjbEEZZNS1_14partition_implILS5_9ELb0ES3_jN6thrust23THRUST_200600_302600_NS6detail15normal_iteratorINS9_10device_ptrIxEEEENSB_INSC_IjEEEEPNS0_10empty_typeENS0_5tupleIJNS9_16discard_iteratorINS9_11use_defaultEEESH_EEENSJ_IJSM_SI_EEENS0_18inequality_wrapperINS9_8equal_toIxEEEEPmJSH_EEE10hipError_tPvRmT3_T4_T5_T6_T7_T9_mT8_P12ihipStream_tbDpT10_ENKUlT_T0_E_clISt17integral_constantIbLb0EES1D_EEDaS18_S19_EUlS18_E_NS1_11comp_targetILNS1_3genE3ELNS1_11target_archE908ELNS1_3gpuE7ELNS1_3repE0EEENS1_30default_config_static_selectorELNS0_4arch9wavefront6targetE0EEEvT1_
	.p2align	8
	.type	_ZN7rocprim17ROCPRIM_400000_NS6detail17trampoline_kernelINS0_14default_configENS1_25partition_config_selectorILNS1_17partition_subalgoE9ExjbEEZZNS1_14partition_implILS5_9ELb0ES3_jN6thrust23THRUST_200600_302600_NS6detail15normal_iteratorINS9_10device_ptrIxEEEENSB_INSC_IjEEEEPNS0_10empty_typeENS0_5tupleIJNS9_16discard_iteratorINS9_11use_defaultEEESH_EEENSJ_IJSM_SI_EEENS0_18inequality_wrapperINS9_8equal_toIxEEEEPmJSH_EEE10hipError_tPvRmT3_T4_T5_T6_T7_T9_mT8_P12ihipStream_tbDpT10_ENKUlT_T0_E_clISt17integral_constantIbLb0EES1D_EEDaS18_S19_EUlS18_E_NS1_11comp_targetILNS1_3genE3ELNS1_11target_archE908ELNS1_3gpuE7ELNS1_3repE0EEENS1_30default_config_static_selectorELNS0_4arch9wavefront6targetE0EEEvT1_,@function
_ZN7rocprim17ROCPRIM_400000_NS6detail17trampoline_kernelINS0_14default_configENS1_25partition_config_selectorILNS1_17partition_subalgoE9ExjbEEZZNS1_14partition_implILS5_9ELb0ES3_jN6thrust23THRUST_200600_302600_NS6detail15normal_iteratorINS9_10device_ptrIxEEEENSB_INSC_IjEEEEPNS0_10empty_typeENS0_5tupleIJNS9_16discard_iteratorINS9_11use_defaultEEESH_EEENSJ_IJSM_SI_EEENS0_18inequality_wrapperINS9_8equal_toIxEEEEPmJSH_EEE10hipError_tPvRmT3_T4_T5_T6_T7_T9_mT8_P12ihipStream_tbDpT10_ENKUlT_T0_E_clISt17integral_constantIbLb0EES1D_EEDaS18_S19_EUlS18_E_NS1_11comp_targetILNS1_3genE3ELNS1_11target_archE908ELNS1_3gpuE7ELNS1_3repE0EEENS1_30default_config_static_selectorELNS0_4arch9wavefront6targetE0EEEvT1_: ; @_ZN7rocprim17ROCPRIM_400000_NS6detail17trampoline_kernelINS0_14default_configENS1_25partition_config_selectorILNS1_17partition_subalgoE9ExjbEEZZNS1_14partition_implILS5_9ELb0ES3_jN6thrust23THRUST_200600_302600_NS6detail15normal_iteratorINS9_10device_ptrIxEEEENSB_INSC_IjEEEEPNS0_10empty_typeENS0_5tupleIJNS9_16discard_iteratorINS9_11use_defaultEEESH_EEENSJ_IJSM_SI_EEENS0_18inequality_wrapperINS9_8equal_toIxEEEEPmJSH_EEE10hipError_tPvRmT3_T4_T5_T6_T7_T9_mT8_P12ihipStream_tbDpT10_ENKUlT_T0_E_clISt17integral_constantIbLb0EES1D_EEDaS18_S19_EUlS18_E_NS1_11comp_targetILNS1_3genE3ELNS1_11target_archE908ELNS1_3gpuE7ELNS1_3repE0EEENS1_30default_config_static_selectorELNS0_4arch9wavefront6targetE0EEEvT1_
; %bb.0:
	.section	.rodata,"a",@progbits
	.p2align	6, 0x0
	.amdhsa_kernel _ZN7rocprim17ROCPRIM_400000_NS6detail17trampoline_kernelINS0_14default_configENS1_25partition_config_selectorILNS1_17partition_subalgoE9ExjbEEZZNS1_14partition_implILS5_9ELb0ES3_jN6thrust23THRUST_200600_302600_NS6detail15normal_iteratorINS9_10device_ptrIxEEEENSB_INSC_IjEEEEPNS0_10empty_typeENS0_5tupleIJNS9_16discard_iteratorINS9_11use_defaultEEESH_EEENSJ_IJSM_SI_EEENS0_18inequality_wrapperINS9_8equal_toIxEEEEPmJSH_EEE10hipError_tPvRmT3_T4_T5_T6_T7_T9_mT8_P12ihipStream_tbDpT10_ENKUlT_T0_E_clISt17integral_constantIbLb0EES1D_EEDaS18_S19_EUlS18_E_NS1_11comp_targetILNS1_3genE3ELNS1_11target_archE908ELNS1_3gpuE7ELNS1_3repE0EEENS1_30default_config_static_selectorELNS0_4arch9wavefront6targetE0EEEvT1_
		.amdhsa_group_segment_fixed_size 0
		.amdhsa_private_segment_fixed_size 0
		.amdhsa_kernarg_size 128
		.amdhsa_user_sgpr_count 15
		.amdhsa_user_sgpr_dispatch_ptr 0
		.amdhsa_user_sgpr_queue_ptr 0
		.amdhsa_user_sgpr_kernarg_segment_ptr 1
		.amdhsa_user_sgpr_dispatch_id 0
		.amdhsa_user_sgpr_private_segment_size 0
		.amdhsa_wavefront_size32 1
		.amdhsa_uses_dynamic_stack 0
		.amdhsa_enable_private_segment 0
		.amdhsa_system_sgpr_workgroup_id_x 1
		.amdhsa_system_sgpr_workgroup_id_y 0
		.amdhsa_system_sgpr_workgroup_id_z 0
		.amdhsa_system_sgpr_workgroup_info 0
		.amdhsa_system_vgpr_workitem_id 0
		.amdhsa_next_free_vgpr 1
		.amdhsa_next_free_sgpr 1
		.amdhsa_reserve_vcc 0
		.amdhsa_float_round_mode_32 0
		.amdhsa_float_round_mode_16_64 0
		.amdhsa_float_denorm_mode_32 3
		.amdhsa_float_denorm_mode_16_64 3
		.amdhsa_dx10_clamp 1
		.amdhsa_ieee_mode 1
		.amdhsa_fp16_overflow 0
		.amdhsa_workgroup_processor_mode 1
		.amdhsa_memory_ordered 1
		.amdhsa_forward_progress 0
		.amdhsa_shared_vgpr_count 0
		.amdhsa_exception_fp_ieee_invalid_op 0
		.amdhsa_exception_fp_denorm_src 0
		.amdhsa_exception_fp_ieee_div_zero 0
		.amdhsa_exception_fp_ieee_overflow 0
		.amdhsa_exception_fp_ieee_underflow 0
		.amdhsa_exception_fp_ieee_inexact 0
		.amdhsa_exception_int_div_zero 0
	.end_amdhsa_kernel
	.section	.text._ZN7rocprim17ROCPRIM_400000_NS6detail17trampoline_kernelINS0_14default_configENS1_25partition_config_selectorILNS1_17partition_subalgoE9ExjbEEZZNS1_14partition_implILS5_9ELb0ES3_jN6thrust23THRUST_200600_302600_NS6detail15normal_iteratorINS9_10device_ptrIxEEEENSB_INSC_IjEEEEPNS0_10empty_typeENS0_5tupleIJNS9_16discard_iteratorINS9_11use_defaultEEESH_EEENSJ_IJSM_SI_EEENS0_18inequality_wrapperINS9_8equal_toIxEEEEPmJSH_EEE10hipError_tPvRmT3_T4_T5_T6_T7_T9_mT8_P12ihipStream_tbDpT10_ENKUlT_T0_E_clISt17integral_constantIbLb0EES1D_EEDaS18_S19_EUlS18_E_NS1_11comp_targetILNS1_3genE3ELNS1_11target_archE908ELNS1_3gpuE7ELNS1_3repE0EEENS1_30default_config_static_selectorELNS0_4arch9wavefront6targetE0EEEvT1_,"axG",@progbits,_ZN7rocprim17ROCPRIM_400000_NS6detail17trampoline_kernelINS0_14default_configENS1_25partition_config_selectorILNS1_17partition_subalgoE9ExjbEEZZNS1_14partition_implILS5_9ELb0ES3_jN6thrust23THRUST_200600_302600_NS6detail15normal_iteratorINS9_10device_ptrIxEEEENSB_INSC_IjEEEEPNS0_10empty_typeENS0_5tupleIJNS9_16discard_iteratorINS9_11use_defaultEEESH_EEENSJ_IJSM_SI_EEENS0_18inequality_wrapperINS9_8equal_toIxEEEEPmJSH_EEE10hipError_tPvRmT3_T4_T5_T6_T7_T9_mT8_P12ihipStream_tbDpT10_ENKUlT_T0_E_clISt17integral_constantIbLb0EES1D_EEDaS18_S19_EUlS18_E_NS1_11comp_targetILNS1_3genE3ELNS1_11target_archE908ELNS1_3gpuE7ELNS1_3repE0EEENS1_30default_config_static_selectorELNS0_4arch9wavefront6targetE0EEEvT1_,comdat
.Lfunc_end984:
	.size	_ZN7rocprim17ROCPRIM_400000_NS6detail17trampoline_kernelINS0_14default_configENS1_25partition_config_selectorILNS1_17partition_subalgoE9ExjbEEZZNS1_14partition_implILS5_9ELb0ES3_jN6thrust23THRUST_200600_302600_NS6detail15normal_iteratorINS9_10device_ptrIxEEEENSB_INSC_IjEEEEPNS0_10empty_typeENS0_5tupleIJNS9_16discard_iteratorINS9_11use_defaultEEESH_EEENSJ_IJSM_SI_EEENS0_18inequality_wrapperINS9_8equal_toIxEEEEPmJSH_EEE10hipError_tPvRmT3_T4_T5_T6_T7_T9_mT8_P12ihipStream_tbDpT10_ENKUlT_T0_E_clISt17integral_constantIbLb0EES1D_EEDaS18_S19_EUlS18_E_NS1_11comp_targetILNS1_3genE3ELNS1_11target_archE908ELNS1_3gpuE7ELNS1_3repE0EEENS1_30default_config_static_selectorELNS0_4arch9wavefront6targetE0EEEvT1_, .Lfunc_end984-_ZN7rocprim17ROCPRIM_400000_NS6detail17trampoline_kernelINS0_14default_configENS1_25partition_config_selectorILNS1_17partition_subalgoE9ExjbEEZZNS1_14partition_implILS5_9ELb0ES3_jN6thrust23THRUST_200600_302600_NS6detail15normal_iteratorINS9_10device_ptrIxEEEENSB_INSC_IjEEEEPNS0_10empty_typeENS0_5tupleIJNS9_16discard_iteratorINS9_11use_defaultEEESH_EEENSJ_IJSM_SI_EEENS0_18inequality_wrapperINS9_8equal_toIxEEEEPmJSH_EEE10hipError_tPvRmT3_T4_T5_T6_T7_T9_mT8_P12ihipStream_tbDpT10_ENKUlT_T0_E_clISt17integral_constantIbLb0EES1D_EEDaS18_S19_EUlS18_E_NS1_11comp_targetILNS1_3genE3ELNS1_11target_archE908ELNS1_3gpuE7ELNS1_3repE0EEENS1_30default_config_static_selectorELNS0_4arch9wavefront6targetE0EEEvT1_
                                        ; -- End function
	.section	.AMDGPU.csdata,"",@progbits
; Kernel info:
; codeLenInByte = 0
; NumSgprs: 0
; NumVgprs: 0
; ScratchSize: 0
; MemoryBound: 0
; FloatMode: 240
; IeeeMode: 1
; LDSByteSize: 0 bytes/workgroup (compile time only)
; SGPRBlocks: 0
; VGPRBlocks: 0
; NumSGPRsForWavesPerEU: 1
; NumVGPRsForWavesPerEU: 1
; Occupancy: 16
; WaveLimiterHint : 0
; COMPUTE_PGM_RSRC2:SCRATCH_EN: 0
; COMPUTE_PGM_RSRC2:USER_SGPR: 15
; COMPUTE_PGM_RSRC2:TRAP_HANDLER: 0
; COMPUTE_PGM_RSRC2:TGID_X_EN: 1
; COMPUTE_PGM_RSRC2:TGID_Y_EN: 0
; COMPUTE_PGM_RSRC2:TGID_Z_EN: 0
; COMPUTE_PGM_RSRC2:TIDIG_COMP_CNT: 0
	.section	.text._ZN7rocprim17ROCPRIM_400000_NS6detail17trampoline_kernelINS0_14default_configENS1_25partition_config_selectorILNS1_17partition_subalgoE9ExjbEEZZNS1_14partition_implILS5_9ELb0ES3_jN6thrust23THRUST_200600_302600_NS6detail15normal_iteratorINS9_10device_ptrIxEEEENSB_INSC_IjEEEEPNS0_10empty_typeENS0_5tupleIJNS9_16discard_iteratorINS9_11use_defaultEEESH_EEENSJ_IJSM_SI_EEENS0_18inequality_wrapperINS9_8equal_toIxEEEEPmJSH_EEE10hipError_tPvRmT3_T4_T5_T6_T7_T9_mT8_P12ihipStream_tbDpT10_ENKUlT_T0_E_clISt17integral_constantIbLb0EES1D_EEDaS18_S19_EUlS18_E_NS1_11comp_targetILNS1_3genE2ELNS1_11target_archE906ELNS1_3gpuE6ELNS1_3repE0EEENS1_30default_config_static_selectorELNS0_4arch9wavefront6targetE0EEEvT1_,"axG",@progbits,_ZN7rocprim17ROCPRIM_400000_NS6detail17trampoline_kernelINS0_14default_configENS1_25partition_config_selectorILNS1_17partition_subalgoE9ExjbEEZZNS1_14partition_implILS5_9ELb0ES3_jN6thrust23THRUST_200600_302600_NS6detail15normal_iteratorINS9_10device_ptrIxEEEENSB_INSC_IjEEEEPNS0_10empty_typeENS0_5tupleIJNS9_16discard_iteratorINS9_11use_defaultEEESH_EEENSJ_IJSM_SI_EEENS0_18inequality_wrapperINS9_8equal_toIxEEEEPmJSH_EEE10hipError_tPvRmT3_T4_T5_T6_T7_T9_mT8_P12ihipStream_tbDpT10_ENKUlT_T0_E_clISt17integral_constantIbLb0EES1D_EEDaS18_S19_EUlS18_E_NS1_11comp_targetILNS1_3genE2ELNS1_11target_archE906ELNS1_3gpuE6ELNS1_3repE0EEENS1_30default_config_static_selectorELNS0_4arch9wavefront6targetE0EEEvT1_,comdat
	.protected	_ZN7rocprim17ROCPRIM_400000_NS6detail17trampoline_kernelINS0_14default_configENS1_25partition_config_selectorILNS1_17partition_subalgoE9ExjbEEZZNS1_14partition_implILS5_9ELb0ES3_jN6thrust23THRUST_200600_302600_NS6detail15normal_iteratorINS9_10device_ptrIxEEEENSB_INSC_IjEEEEPNS0_10empty_typeENS0_5tupleIJNS9_16discard_iteratorINS9_11use_defaultEEESH_EEENSJ_IJSM_SI_EEENS0_18inequality_wrapperINS9_8equal_toIxEEEEPmJSH_EEE10hipError_tPvRmT3_T4_T5_T6_T7_T9_mT8_P12ihipStream_tbDpT10_ENKUlT_T0_E_clISt17integral_constantIbLb0EES1D_EEDaS18_S19_EUlS18_E_NS1_11comp_targetILNS1_3genE2ELNS1_11target_archE906ELNS1_3gpuE6ELNS1_3repE0EEENS1_30default_config_static_selectorELNS0_4arch9wavefront6targetE0EEEvT1_ ; -- Begin function _ZN7rocprim17ROCPRIM_400000_NS6detail17trampoline_kernelINS0_14default_configENS1_25partition_config_selectorILNS1_17partition_subalgoE9ExjbEEZZNS1_14partition_implILS5_9ELb0ES3_jN6thrust23THRUST_200600_302600_NS6detail15normal_iteratorINS9_10device_ptrIxEEEENSB_INSC_IjEEEEPNS0_10empty_typeENS0_5tupleIJNS9_16discard_iteratorINS9_11use_defaultEEESH_EEENSJ_IJSM_SI_EEENS0_18inequality_wrapperINS9_8equal_toIxEEEEPmJSH_EEE10hipError_tPvRmT3_T4_T5_T6_T7_T9_mT8_P12ihipStream_tbDpT10_ENKUlT_T0_E_clISt17integral_constantIbLb0EES1D_EEDaS18_S19_EUlS18_E_NS1_11comp_targetILNS1_3genE2ELNS1_11target_archE906ELNS1_3gpuE6ELNS1_3repE0EEENS1_30default_config_static_selectorELNS0_4arch9wavefront6targetE0EEEvT1_
	.globl	_ZN7rocprim17ROCPRIM_400000_NS6detail17trampoline_kernelINS0_14default_configENS1_25partition_config_selectorILNS1_17partition_subalgoE9ExjbEEZZNS1_14partition_implILS5_9ELb0ES3_jN6thrust23THRUST_200600_302600_NS6detail15normal_iteratorINS9_10device_ptrIxEEEENSB_INSC_IjEEEEPNS0_10empty_typeENS0_5tupleIJNS9_16discard_iteratorINS9_11use_defaultEEESH_EEENSJ_IJSM_SI_EEENS0_18inequality_wrapperINS9_8equal_toIxEEEEPmJSH_EEE10hipError_tPvRmT3_T4_T5_T6_T7_T9_mT8_P12ihipStream_tbDpT10_ENKUlT_T0_E_clISt17integral_constantIbLb0EES1D_EEDaS18_S19_EUlS18_E_NS1_11comp_targetILNS1_3genE2ELNS1_11target_archE906ELNS1_3gpuE6ELNS1_3repE0EEENS1_30default_config_static_selectorELNS0_4arch9wavefront6targetE0EEEvT1_
	.p2align	8
	.type	_ZN7rocprim17ROCPRIM_400000_NS6detail17trampoline_kernelINS0_14default_configENS1_25partition_config_selectorILNS1_17partition_subalgoE9ExjbEEZZNS1_14partition_implILS5_9ELb0ES3_jN6thrust23THRUST_200600_302600_NS6detail15normal_iteratorINS9_10device_ptrIxEEEENSB_INSC_IjEEEEPNS0_10empty_typeENS0_5tupleIJNS9_16discard_iteratorINS9_11use_defaultEEESH_EEENSJ_IJSM_SI_EEENS0_18inequality_wrapperINS9_8equal_toIxEEEEPmJSH_EEE10hipError_tPvRmT3_T4_T5_T6_T7_T9_mT8_P12ihipStream_tbDpT10_ENKUlT_T0_E_clISt17integral_constantIbLb0EES1D_EEDaS18_S19_EUlS18_E_NS1_11comp_targetILNS1_3genE2ELNS1_11target_archE906ELNS1_3gpuE6ELNS1_3repE0EEENS1_30default_config_static_selectorELNS0_4arch9wavefront6targetE0EEEvT1_,@function
_ZN7rocprim17ROCPRIM_400000_NS6detail17trampoline_kernelINS0_14default_configENS1_25partition_config_selectorILNS1_17partition_subalgoE9ExjbEEZZNS1_14partition_implILS5_9ELb0ES3_jN6thrust23THRUST_200600_302600_NS6detail15normal_iteratorINS9_10device_ptrIxEEEENSB_INSC_IjEEEEPNS0_10empty_typeENS0_5tupleIJNS9_16discard_iteratorINS9_11use_defaultEEESH_EEENSJ_IJSM_SI_EEENS0_18inequality_wrapperINS9_8equal_toIxEEEEPmJSH_EEE10hipError_tPvRmT3_T4_T5_T6_T7_T9_mT8_P12ihipStream_tbDpT10_ENKUlT_T0_E_clISt17integral_constantIbLb0EES1D_EEDaS18_S19_EUlS18_E_NS1_11comp_targetILNS1_3genE2ELNS1_11target_archE906ELNS1_3gpuE6ELNS1_3repE0EEENS1_30default_config_static_selectorELNS0_4arch9wavefront6targetE0EEEvT1_: ; @_ZN7rocprim17ROCPRIM_400000_NS6detail17trampoline_kernelINS0_14default_configENS1_25partition_config_selectorILNS1_17partition_subalgoE9ExjbEEZZNS1_14partition_implILS5_9ELb0ES3_jN6thrust23THRUST_200600_302600_NS6detail15normal_iteratorINS9_10device_ptrIxEEEENSB_INSC_IjEEEEPNS0_10empty_typeENS0_5tupleIJNS9_16discard_iteratorINS9_11use_defaultEEESH_EEENSJ_IJSM_SI_EEENS0_18inequality_wrapperINS9_8equal_toIxEEEEPmJSH_EEE10hipError_tPvRmT3_T4_T5_T6_T7_T9_mT8_P12ihipStream_tbDpT10_ENKUlT_T0_E_clISt17integral_constantIbLb0EES1D_EEDaS18_S19_EUlS18_E_NS1_11comp_targetILNS1_3genE2ELNS1_11target_archE906ELNS1_3gpuE6ELNS1_3repE0EEENS1_30default_config_static_selectorELNS0_4arch9wavefront6targetE0EEEvT1_
; %bb.0:
	.section	.rodata,"a",@progbits
	.p2align	6, 0x0
	.amdhsa_kernel _ZN7rocprim17ROCPRIM_400000_NS6detail17trampoline_kernelINS0_14default_configENS1_25partition_config_selectorILNS1_17partition_subalgoE9ExjbEEZZNS1_14partition_implILS5_9ELb0ES3_jN6thrust23THRUST_200600_302600_NS6detail15normal_iteratorINS9_10device_ptrIxEEEENSB_INSC_IjEEEEPNS0_10empty_typeENS0_5tupleIJNS9_16discard_iteratorINS9_11use_defaultEEESH_EEENSJ_IJSM_SI_EEENS0_18inequality_wrapperINS9_8equal_toIxEEEEPmJSH_EEE10hipError_tPvRmT3_T4_T5_T6_T7_T9_mT8_P12ihipStream_tbDpT10_ENKUlT_T0_E_clISt17integral_constantIbLb0EES1D_EEDaS18_S19_EUlS18_E_NS1_11comp_targetILNS1_3genE2ELNS1_11target_archE906ELNS1_3gpuE6ELNS1_3repE0EEENS1_30default_config_static_selectorELNS0_4arch9wavefront6targetE0EEEvT1_
		.amdhsa_group_segment_fixed_size 0
		.amdhsa_private_segment_fixed_size 0
		.amdhsa_kernarg_size 128
		.amdhsa_user_sgpr_count 15
		.amdhsa_user_sgpr_dispatch_ptr 0
		.amdhsa_user_sgpr_queue_ptr 0
		.amdhsa_user_sgpr_kernarg_segment_ptr 1
		.amdhsa_user_sgpr_dispatch_id 0
		.amdhsa_user_sgpr_private_segment_size 0
		.amdhsa_wavefront_size32 1
		.amdhsa_uses_dynamic_stack 0
		.amdhsa_enable_private_segment 0
		.amdhsa_system_sgpr_workgroup_id_x 1
		.amdhsa_system_sgpr_workgroup_id_y 0
		.amdhsa_system_sgpr_workgroup_id_z 0
		.amdhsa_system_sgpr_workgroup_info 0
		.amdhsa_system_vgpr_workitem_id 0
		.amdhsa_next_free_vgpr 1
		.amdhsa_next_free_sgpr 1
		.amdhsa_reserve_vcc 0
		.amdhsa_float_round_mode_32 0
		.amdhsa_float_round_mode_16_64 0
		.amdhsa_float_denorm_mode_32 3
		.amdhsa_float_denorm_mode_16_64 3
		.amdhsa_dx10_clamp 1
		.amdhsa_ieee_mode 1
		.amdhsa_fp16_overflow 0
		.amdhsa_workgroup_processor_mode 1
		.amdhsa_memory_ordered 1
		.amdhsa_forward_progress 0
		.amdhsa_shared_vgpr_count 0
		.amdhsa_exception_fp_ieee_invalid_op 0
		.amdhsa_exception_fp_denorm_src 0
		.amdhsa_exception_fp_ieee_div_zero 0
		.amdhsa_exception_fp_ieee_overflow 0
		.amdhsa_exception_fp_ieee_underflow 0
		.amdhsa_exception_fp_ieee_inexact 0
		.amdhsa_exception_int_div_zero 0
	.end_amdhsa_kernel
	.section	.text._ZN7rocprim17ROCPRIM_400000_NS6detail17trampoline_kernelINS0_14default_configENS1_25partition_config_selectorILNS1_17partition_subalgoE9ExjbEEZZNS1_14partition_implILS5_9ELb0ES3_jN6thrust23THRUST_200600_302600_NS6detail15normal_iteratorINS9_10device_ptrIxEEEENSB_INSC_IjEEEEPNS0_10empty_typeENS0_5tupleIJNS9_16discard_iteratorINS9_11use_defaultEEESH_EEENSJ_IJSM_SI_EEENS0_18inequality_wrapperINS9_8equal_toIxEEEEPmJSH_EEE10hipError_tPvRmT3_T4_T5_T6_T7_T9_mT8_P12ihipStream_tbDpT10_ENKUlT_T0_E_clISt17integral_constantIbLb0EES1D_EEDaS18_S19_EUlS18_E_NS1_11comp_targetILNS1_3genE2ELNS1_11target_archE906ELNS1_3gpuE6ELNS1_3repE0EEENS1_30default_config_static_selectorELNS0_4arch9wavefront6targetE0EEEvT1_,"axG",@progbits,_ZN7rocprim17ROCPRIM_400000_NS6detail17trampoline_kernelINS0_14default_configENS1_25partition_config_selectorILNS1_17partition_subalgoE9ExjbEEZZNS1_14partition_implILS5_9ELb0ES3_jN6thrust23THRUST_200600_302600_NS6detail15normal_iteratorINS9_10device_ptrIxEEEENSB_INSC_IjEEEEPNS0_10empty_typeENS0_5tupleIJNS9_16discard_iteratorINS9_11use_defaultEEESH_EEENSJ_IJSM_SI_EEENS0_18inequality_wrapperINS9_8equal_toIxEEEEPmJSH_EEE10hipError_tPvRmT3_T4_T5_T6_T7_T9_mT8_P12ihipStream_tbDpT10_ENKUlT_T0_E_clISt17integral_constantIbLb0EES1D_EEDaS18_S19_EUlS18_E_NS1_11comp_targetILNS1_3genE2ELNS1_11target_archE906ELNS1_3gpuE6ELNS1_3repE0EEENS1_30default_config_static_selectorELNS0_4arch9wavefront6targetE0EEEvT1_,comdat
.Lfunc_end985:
	.size	_ZN7rocprim17ROCPRIM_400000_NS6detail17trampoline_kernelINS0_14default_configENS1_25partition_config_selectorILNS1_17partition_subalgoE9ExjbEEZZNS1_14partition_implILS5_9ELb0ES3_jN6thrust23THRUST_200600_302600_NS6detail15normal_iteratorINS9_10device_ptrIxEEEENSB_INSC_IjEEEEPNS0_10empty_typeENS0_5tupleIJNS9_16discard_iteratorINS9_11use_defaultEEESH_EEENSJ_IJSM_SI_EEENS0_18inequality_wrapperINS9_8equal_toIxEEEEPmJSH_EEE10hipError_tPvRmT3_T4_T5_T6_T7_T9_mT8_P12ihipStream_tbDpT10_ENKUlT_T0_E_clISt17integral_constantIbLb0EES1D_EEDaS18_S19_EUlS18_E_NS1_11comp_targetILNS1_3genE2ELNS1_11target_archE906ELNS1_3gpuE6ELNS1_3repE0EEENS1_30default_config_static_selectorELNS0_4arch9wavefront6targetE0EEEvT1_, .Lfunc_end985-_ZN7rocprim17ROCPRIM_400000_NS6detail17trampoline_kernelINS0_14default_configENS1_25partition_config_selectorILNS1_17partition_subalgoE9ExjbEEZZNS1_14partition_implILS5_9ELb0ES3_jN6thrust23THRUST_200600_302600_NS6detail15normal_iteratorINS9_10device_ptrIxEEEENSB_INSC_IjEEEEPNS0_10empty_typeENS0_5tupleIJNS9_16discard_iteratorINS9_11use_defaultEEESH_EEENSJ_IJSM_SI_EEENS0_18inequality_wrapperINS9_8equal_toIxEEEEPmJSH_EEE10hipError_tPvRmT3_T4_T5_T6_T7_T9_mT8_P12ihipStream_tbDpT10_ENKUlT_T0_E_clISt17integral_constantIbLb0EES1D_EEDaS18_S19_EUlS18_E_NS1_11comp_targetILNS1_3genE2ELNS1_11target_archE906ELNS1_3gpuE6ELNS1_3repE0EEENS1_30default_config_static_selectorELNS0_4arch9wavefront6targetE0EEEvT1_
                                        ; -- End function
	.section	.AMDGPU.csdata,"",@progbits
; Kernel info:
; codeLenInByte = 0
; NumSgprs: 0
; NumVgprs: 0
; ScratchSize: 0
; MemoryBound: 0
; FloatMode: 240
; IeeeMode: 1
; LDSByteSize: 0 bytes/workgroup (compile time only)
; SGPRBlocks: 0
; VGPRBlocks: 0
; NumSGPRsForWavesPerEU: 1
; NumVGPRsForWavesPerEU: 1
; Occupancy: 16
; WaveLimiterHint : 0
; COMPUTE_PGM_RSRC2:SCRATCH_EN: 0
; COMPUTE_PGM_RSRC2:USER_SGPR: 15
; COMPUTE_PGM_RSRC2:TRAP_HANDLER: 0
; COMPUTE_PGM_RSRC2:TGID_X_EN: 1
; COMPUTE_PGM_RSRC2:TGID_Y_EN: 0
; COMPUTE_PGM_RSRC2:TGID_Z_EN: 0
; COMPUTE_PGM_RSRC2:TIDIG_COMP_CNT: 0
	.section	.text._ZN7rocprim17ROCPRIM_400000_NS6detail17trampoline_kernelINS0_14default_configENS1_25partition_config_selectorILNS1_17partition_subalgoE9ExjbEEZZNS1_14partition_implILS5_9ELb0ES3_jN6thrust23THRUST_200600_302600_NS6detail15normal_iteratorINS9_10device_ptrIxEEEENSB_INSC_IjEEEEPNS0_10empty_typeENS0_5tupleIJNS9_16discard_iteratorINS9_11use_defaultEEESH_EEENSJ_IJSM_SI_EEENS0_18inequality_wrapperINS9_8equal_toIxEEEEPmJSH_EEE10hipError_tPvRmT3_T4_T5_T6_T7_T9_mT8_P12ihipStream_tbDpT10_ENKUlT_T0_E_clISt17integral_constantIbLb0EES1D_EEDaS18_S19_EUlS18_E_NS1_11comp_targetILNS1_3genE10ELNS1_11target_archE1200ELNS1_3gpuE4ELNS1_3repE0EEENS1_30default_config_static_selectorELNS0_4arch9wavefront6targetE0EEEvT1_,"axG",@progbits,_ZN7rocprim17ROCPRIM_400000_NS6detail17trampoline_kernelINS0_14default_configENS1_25partition_config_selectorILNS1_17partition_subalgoE9ExjbEEZZNS1_14partition_implILS5_9ELb0ES3_jN6thrust23THRUST_200600_302600_NS6detail15normal_iteratorINS9_10device_ptrIxEEEENSB_INSC_IjEEEEPNS0_10empty_typeENS0_5tupleIJNS9_16discard_iteratorINS9_11use_defaultEEESH_EEENSJ_IJSM_SI_EEENS0_18inequality_wrapperINS9_8equal_toIxEEEEPmJSH_EEE10hipError_tPvRmT3_T4_T5_T6_T7_T9_mT8_P12ihipStream_tbDpT10_ENKUlT_T0_E_clISt17integral_constantIbLb0EES1D_EEDaS18_S19_EUlS18_E_NS1_11comp_targetILNS1_3genE10ELNS1_11target_archE1200ELNS1_3gpuE4ELNS1_3repE0EEENS1_30default_config_static_selectorELNS0_4arch9wavefront6targetE0EEEvT1_,comdat
	.protected	_ZN7rocprim17ROCPRIM_400000_NS6detail17trampoline_kernelINS0_14default_configENS1_25partition_config_selectorILNS1_17partition_subalgoE9ExjbEEZZNS1_14partition_implILS5_9ELb0ES3_jN6thrust23THRUST_200600_302600_NS6detail15normal_iteratorINS9_10device_ptrIxEEEENSB_INSC_IjEEEEPNS0_10empty_typeENS0_5tupleIJNS9_16discard_iteratorINS9_11use_defaultEEESH_EEENSJ_IJSM_SI_EEENS0_18inequality_wrapperINS9_8equal_toIxEEEEPmJSH_EEE10hipError_tPvRmT3_T4_T5_T6_T7_T9_mT8_P12ihipStream_tbDpT10_ENKUlT_T0_E_clISt17integral_constantIbLb0EES1D_EEDaS18_S19_EUlS18_E_NS1_11comp_targetILNS1_3genE10ELNS1_11target_archE1200ELNS1_3gpuE4ELNS1_3repE0EEENS1_30default_config_static_selectorELNS0_4arch9wavefront6targetE0EEEvT1_ ; -- Begin function _ZN7rocprim17ROCPRIM_400000_NS6detail17trampoline_kernelINS0_14default_configENS1_25partition_config_selectorILNS1_17partition_subalgoE9ExjbEEZZNS1_14partition_implILS5_9ELb0ES3_jN6thrust23THRUST_200600_302600_NS6detail15normal_iteratorINS9_10device_ptrIxEEEENSB_INSC_IjEEEEPNS0_10empty_typeENS0_5tupleIJNS9_16discard_iteratorINS9_11use_defaultEEESH_EEENSJ_IJSM_SI_EEENS0_18inequality_wrapperINS9_8equal_toIxEEEEPmJSH_EEE10hipError_tPvRmT3_T4_T5_T6_T7_T9_mT8_P12ihipStream_tbDpT10_ENKUlT_T0_E_clISt17integral_constantIbLb0EES1D_EEDaS18_S19_EUlS18_E_NS1_11comp_targetILNS1_3genE10ELNS1_11target_archE1200ELNS1_3gpuE4ELNS1_3repE0EEENS1_30default_config_static_selectorELNS0_4arch9wavefront6targetE0EEEvT1_
	.globl	_ZN7rocprim17ROCPRIM_400000_NS6detail17trampoline_kernelINS0_14default_configENS1_25partition_config_selectorILNS1_17partition_subalgoE9ExjbEEZZNS1_14partition_implILS5_9ELb0ES3_jN6thrust23THRUST_200600_302600_NS6detail15normal_iteratorINS9_10device_ptrIxEEEENSB_INSC_IjEEEEPNS0_10empty_typeENS0_5tupleIJNS9_16discard_iteratorINS9_11use_defaultEEESH_EEENSJ_IJSM_SI_EEENS0_18inequality_wrapperINS9_8equal_toIxEEEEPmJSH_EEE10hipError_tPvRmT3_T4_T5_T6_T7_T9_mT8_P12ihipStream_tbDpT10_ENKUlT_T0_E_clISt17integral_constantIbLb0EES1D_EEDaS18_S19_EUlS18_E_NS1_11comp_targetILNS1_3genE10ELNS1_11target_archE1200ELNS1_3gpuE4ELNS1_3repE0EEENS1_30default_config_static_selectorELNS0_4arch9wavefront6targetE0EEEvT1_
	.p2align	8
	.type	_ZN7rocprim17ROCPRIM_400000_NS6detail17trampoline_kernelINS0_14default_configENS1_25partition_config_selectorILNS1_17partition_subalgoE9ExjbEEZZNS1_14partition_implILS5_9ELb0ES3_jN6thrust23THRUST_200600_302600_NS6detail15normal_iteratorINS9_10device_ptrIxEEEENSB_INSC_IjEEEEPNS0_10empty_typeENS0_5tupleIJNS9_16discard_iteratorINS9_11use_defaultEEESH_EEENSJ_IJSM_SI_EEENS0_18inequality_wrapperINS9_8equal_toIxEEEEPmJSH_EEE10hipError_tPvRmT3_T4_T5_T6_T7_T9_mT8_P12ihipStream_tbDpT10_ENKUlT_T0_E_clISt17integral_constantIbLb0EES1D_EEDaS18_S19_EUlS18_E_NS1_11comp_targetILNS1_3genE10ELNS1_11target_archE1200ELNS1_3gpuE4ELNS1_3repE0EEENS1_30default_config_static_selectorELNS0_4arch9wavefront6targetE0EEEvT1_,@function
_ZN7rocprim17ROCPRIM_400000_NS6detail17trampoline_kernelINS0_14default_configENS1_25partition_config_selectorILNS1_17partition_subalgoE9ExjbEEZZNS1_14partition_implILS5_9ELb0ES3_jN6thrust23THRUST_200600_302600_NS6detail15normal_iteratorINS9_10device_ptrIxEEEENSB_INSC_IjEEEEPNS0_10empty_typeENS0_5tupleIJNS9_16discard_iteratorINS9_11use_defaultEEESH_EEENSJ_IJSM_SI_EEENS0_18inequality_wrapperINS9_8equal_toIxEEEEPmJSH_EEE10hipError_tPvRmT3_T4_T5_T6_T7_T9_mT8_P12ihipStream_tbDpT10_ENKUlT_T0_E_clISt17integral_constantIbLb0EES1D_EEDaS18_S19_EUlS18_E_NS1_11comp_targetILNS1_3genE10ELNS1_11target_archE1200ELNS1_3gpuE4ELNS1_3repE0EEENS1_30default_config_static_selectorELNS0_4arch9wavefront6targetE0EEEvT1_: ; @_ZN7rocprim17ROCPRIM_400000_NS6detail17trampoline_kernelINS0_14default_configENS1_25partition_config_selectorILNS1_17partition_subalgoE9ExjbEEZZNS1_14partition_implILS5_9ELb0ES3_jN6thrust23THRUST_200600_302600_NS6detail15normal_iteratorINS9_10device_ptrIxEEEENSB_INSC_IjEEEEPNS0_10empty_typeENS0_5tupleIJNS9_16discard_iteratorINS9_11use_defaultEEESH_EEENSJ_IJSM_SI_EEENS0_18inequality_wrapperINS9_8equal_toIxEEEEPmJSH_EEE10hipError_tPvRmT3_T4_T5_T6_T7_T9_mT8_P12ihipStream_tbDpT10_ENKUlT_T0_E_clISt17integral_constantIbLb0EES1D_EEDaS18_S19_EUlS18_E_NS1_11comp_targetILNS1_3genE10ELNS1_11target_archE1200ELNS1_3gpuE4ELNS1_3repE0EEENS1_30default_config_static_selectorELNS0_4arch9wavefront6targetE0EEEvT1_
; %bb.0:
	.section	.rodata,"a",@progbits
	.p2align	6, 0x0
	.amdhsa_kernel _ZN7rocprim17ROCPRIM_400000_NS6detail17trampoline_kernelINS0_14default_configENS1_25partition_config_selectorILNS1_17partition_subalgoE9ExjbEEZZNS1_14partition_implILS5_9ELb0ES3_jN6thrust23THRUST_200600_302600_NS6detail15normal_iteratorINS9_10device_ptrIxEEEENSB_INSC_IjEEEEPNS0_10empty_typeENS0_5tupleIJNS9_16discard_iteratorINS9_11use_defaultEEESH_EEENSJ_IJSM_SI_EEENS0_18inequality_wrapperINS9_8equal_toIxEEEEPmJSH_EEE10hipError_tPvRmT3_T4_T5_T6_T7_T9_mT8_P12ihipStream_tbDpT10_ENKUlT_T0_E_clISt17integral_constantIbLb0EES1D_EEDaS18_S19_EUlS18_E_NS1_11comp_targetILNS1_3genE10ELNS1_11target_archE1200ELNS1_3gpuE4ELNS1_3repE0EEENS1_30default_config_static_selectorELNS0_4arch9wavefront6targetE0EEEvT1_
		.amdhsa_group_segment_fixed_size 0
		.amdhsa_private_segment_fixed_size 0
		.amdhsa_kernarg_size 128
		.amdhsa_user_sgpr_count 15
		.amdhsa_user_sgpr_dispatch_ptr 0
		.amdhsa_user_sgpr_queue_ptr 0
		.amdhsa_user_sgpr_kernarg_segment_ptr 1
		.amdhsa_user_sgpr_dispatch_id 0
		.amdhsa_user_sgpr_private_segment_size 0
		.amdhsa_wavefront_size32 1
		.amdhsa_uses_dynamic_stack 0
		.amdhsa_enable_private_segment 0
		.amdhsa_system_sgpr_workgroup_id_x 1
		.amdhsa_system_sgpr_workgroup_id_y 0
		.amdhsa_system_sgpr_workgroup_id_z 0
		.amdhsa_system_sgpr_workgroup_info 0
		.amdhsa_system_vgpr_workitem_id 0
		.amdhsa_next_free_vgpr 1
		.amdhsa_next_free_sgpr 1
		.amdhsa_reserve_vcc 0
		.amdhsa_float_round_mode_32 0
		.amdhsa_float_round_mode_16_64 0
		.amdhsa_float_denorm_mode_32 3
		.amdhsa_float_denorm_mode_16_64 3
		.amdhsa_dx10_clamp 1
		.amdhsa_ieee_mode 1
		.amdhsa_fp16_overflow 0
		.amdhsa_workgroup_processor_mode 1
		.amdhsa_memory_ordered 1
		.amdhsa_forward_progress 0
		.amdhsa_shared_vgpr_count 0
		.amdhsa_exception_fp_ieee_invalid_op 0
		.amdhsa_exception_fp_denorm_src 0
		.amdhsa_exception_fp_ieee_div_zero 0
		.amdhsa_exception_fp_ieee_overflow 0
		.amdhsa_exception_fp_ieee_underflow 0
		.amdhsa_exception_fp_ieee_inexact 0
		.amdhsa_exception_int_div_zero 0
	.end_amdhsa_kernel
	.section	.text._ZN7rocprim17ROCPRIM_400000_NS6detail17trampoline_kernelINS0_14default_configENS1_25partition_config_selectorILNS1_17partition_subalgoE9ExjbEEZZNS1_14partition_implILS5_9ELb0ES3_jN6thrust23THRUST_200600_302600_NS6detail15normal_iteratorINS9_10device_ptrIxEEEENSB_INSC_IjEEEEPNS0_10empty_typeENS0_5tupleIJNS9_16discard_iteratorINS9_11use_defaultEEESH_EEENSJ_IJSM_SI_EEENS0_18inequality_wrapperINS9_8equal_toIxEEEEPmJSH_EEE10hipError_tPvRmT3_T4_T5_T6_T7_T9_mT8_P12ihipStream_tbDpT10_ENKUlT_T0_E_clISt17integral_constantIbLb0EES1D_EEDaS18_S19_EUlS18_E_NS1_11comp_targetILNS1_3genE10ELNS1_11target_archE1200ELNS1_3gpuE4ELNS1_3repE0EEENS1_30default_config_static_selectorELNS0_4arch9wavefront6targetE0EEEvT1_,"axG",@progbits,_ZN7rocprim17ROCPRIM_400000_NS6detail17trampoline_kernelINS0_14default_configENS1_25partition_config_selectorILNS1_17partition_subalgoE9ExjbEEZZNS1_14partition_implILS5_9ELb0ES3_jN6thrust23THRUST_200600_302600_NS6detail15normal_iteratorINS9_10device_ptrIxEEEENSB_INSC_IjEEEEPNS0_10empty_typeENS0_5tupleIJNS9_16discard_iteratorINS9_11use_defaultEEESH_EEENSJ_IJSM_SI_EEENS0_18inequality_wrapperINS9_8equal_toIxEEEEPmJSH_EEE10hipError_tPvRmT3_T4_T5_T6_T7_T9_mT8_P12ihipStream_tbDpT10_ENKUlT_T0_E_clISt17integral_constantIbLb0EES1D_EEDaS18_S19_EUlS18_E_NS1_11comp_targetILNS1_3genE10ELNS1_11target_archE1200ELNS1_3gpuE4ELNS1_3repE0EEENS1_30default_config_static_selectorELNS0_4arch9wavefront6targetE0EEEvT1_,comdat
.Lfunc_end986:
	.size	_ZN7rocprim17ROCPRIM_400000_NS6detail17trampoline_kernelINS0_14default_configENS1_25partition_config_selectorILNS1_17partition_subalgoE9ExjbEEZZNS1_14partition_implILS5_9ELb0ES3_jN6thrust23THRUST_200600_302600_NS6detail15normal_iteratorINS9_10device_ptrIxEEEENSB_INSC_IjEEEEPNS0_10empty_typeENS0_5tupleIJNS9_16discard_iteratorINS9_11use_defaultEEESH_EEENSJ_IJSM_SI_EEENS0_18inequality_wrapperINS9_8equal_toIxEEEEPmJSH_EEE10hipError_tPvRmT3_T4_T5_T6_T7_T9_mT8_P12ihipStream_tbDpT10_ENKUlT_T0_E_clISt17integral_constantIbLb0EES1D_EEDaS18_S19_EUlS18_E_NS1_11comp_targetILNS1_3genE10ELNS1_11target_archE1200ELNS1_3gpuE4ELNS1_3repE0EEENS1_30default_config_static_selectorELNS0_4arch9wavefront6targetE0EEEvT1_, .Lfunc_end986-_ZN7rocprim17ROCPRIM_400000_NS6detail17trampoline_kernelINS0_14default_configENS1_25partition_config_selectorILNS1_17partition_subalgoE9ExjbEEZZNS1_14partition_implILS5_9ELb0ES3_jN6thrust23THRUST_200600_302600_NS6detail15normal_iteratorINS9_10device_ptrIxEEEENSB_INSC_IjEEEEPNS0_10empty_typeENS0_5tupleIJNS9_16discard_iteratorINS9_11use_defaultEEESH_EEENSJ_IJSM_SI_EEENS0_18inequality_wrapperINS9_8equal_toIxEEEEPmJSH_EEE10hipError_tPvRmT3_T4_T5_T6_T7_T9_mT8_P12ihipStream_tbDpT10_ENKUlT_T0_E_clISt17integral_constantIbLb0EES1D_EEDaS18_S19_EUlS18_E_NS1_11comp_targetILNS1_3genE10ELNS1_11target_archE1200ELNS1_3gpuE4ELNS1_3repE0EEENS1_30default_config_static_selectorELNS0_4arch9wavefront6targetE0EEEvT1_
                                        ; -- End function
	.section	.AMDGPU.csdata,"",@progbits
; Kernel info:
; codeLenInByte = 0
; NumSgprs: 0
; NumVgprs: 0
; ScratchSize: 0
; MemoryBound: 0
; FloatMode: 240
; IeeeMode: 1
; LDSByteSize: 0 bytes/workgroup (compile time only)
; SGPRBlocks: 0
; VGPRBlocks: 0
; NumSGPRsForWavesPerEU: 1
; NumVGPRsForWavesPerEU: 1
; Occupancy: 15
; WaveLimiterHint : 0
; COMPUTE_PGM_RSRC2:SCRATCH_EN: 0
; COMPUTE_PGM_RSRC2:USER_SGPR: 15
; COMPUTE_PGM_RSRC2:TRAP_HANDLER: 0
; COMPUTE_PGM_RSRC2:TGID_X_EN: 1
; COMPUTE_PGM_RSRC2:TGID_Y_EN: 0
; COMPUTE_PGM_RSRC2:TGID_Z_EN: 0
; COMPUTE_PGM_RSRC2:TIDIG_COMP_CNT: 0
	.section	.text._ZN7rocprim17ROCPRIM_400000_NS6detail17trampoline_kernelINS0_14default_configENS1_25partition_config_selectorILNS1_17partition_subalgoE9ExjbEEZZNS1_14partition_implILS5_9ELb0ES3_jN6thrust23THRUST_200600_302600_NS6detail15normal_iteratorINS9_10device_ptrIxEEEENSB_INSC_IjEEEEPNS0_10empty_typeENS0_5tupleIJNS9_16discard_iteratorINS9_11use_defaultEEESH_EEENSJ_IJSM_SI_EEENS0_18inequality_wrapperINS9_8equal_toIxEEEEPmJSH_EEE10hipError_tPvRmT3_T4_T5_T6_T7_T9_mT8_P12ihipStream_tbDpT10_ENKUlT_T0_E_clISt17integral_constantIbLb0EES1D_EEDaS18_S19_EUlS18_E_NS1_11comp_targetILNS1_3genE9ELNS1_11target_archE1100ELNS1_3gpuE3ELNS1_3repE0EEENS1_30default_config_static_selectorELNS0_4arch9wavefront6targetE0EEEvT1_,"axG",@progbits,_ZN7rocprim17ROCPRIM_400000_NS6detail17trampoline_kernelINS0_14default_configENS1_25partition_config_selectorILNS1_17partition_subalgoE9ExjbEEZZNS1_14partition_implILS5_9ELb0ES3_jN6thrust23THRUST_200600_302600_NS6detail15normal_iteratorINS9_10device_ptrIxEEEENSB_INSC_IjEEEEPNS0_10empty_typeENS0_5tupleIJNS9_16discard_iteratorINS9_11use_defaultEEESH_EEENSJ_IJSM_SI_EEENS0_18inequality_wrapperINS9_8equal_toIxEEEEPmJSH_EEE10hipError_tPvRmT3_T4_T5_T6_T7_T9_mT8_P12ihipStream_tbDpT10_ENKUlT_T0_E_clISt17integral_constantIbLb0EES1D_EEDaS18_S19_EUlS18_E_NS1_11comp_targetILNS1_3genE9ELNS1_11target_archE1100ELNS1_3gpuE3ELNS1_3repE0EEENS1_30default_config_static_selectorELNS0_4arch9wavefront6targetE0EEEvT1_,comdat
	.protected	_ZN7rocprim17ROCPRIM_400000_NS6detail17trampoline_kernelINS0_14default_configENS1_25partition_config_selectorILNS1_17partition_subalgoE9ExjbEEZZNS1_14partition_implILS5_9ELb0ES3_jN6thrust23THRUST_200600_302600_NS6detail15normal_iteratorINS9_10device_ptrIxEEEENSB_INSC_IjEEEEPNS0_10empty_typeENS0_5tupleIJNS9_16discard_iteratorINS9_11use_defaultEEESH_EEENSJ_IJSM_SI_EEENS0_18inequality_wrapperINS9_8equal_toIxEEEEPmJSH_EEE10hipError_tPvRmT3_T4_T5_T6_T7_T9_mT8_P12ihipStream_tbDpT10_ENKUlT_T0_E_clISt17integral_constantIbLb0EES1D_EEDaS18_S19_EUlS18_E_NS1_11comp_targetILNS1_3genE9ELNS1_11target_archE1100ELNS1_3gpuE3ELNS1_3repE0EEENS1_30default_config_static_selectorELNS0_4arch9wavefront6targetE0EEEvT1_ ; -- Begin function _ZN7rocprim17ROCPRIM_400000_NS6detail17trampoline_kernelINS0_14default_configENS1_25partition_config_selectorILNS1_17partition_subalgoE9ExjbEEZZNS1_14partition_implILS5_9ELb0ES3_jN6thrust23THRUST_200600_302600_NS6detail15normal_iteratorINS9_10device_ptrIxEEEENSB_INSC_IjEEEEPNS0_10empty_typeENS0_5tupleIJNS9_16discard_iteratorINS9_11use_defaultEEESH_EEENSJ_IJSM_SI_EEENS0_18inequality_wrapperINS9_8equal_toIxEEEEPmJSH_EEE10hipError_tPvRmT3_T4_T5_T6_T7_T9_mT8_P12ihipStream_tbDpT10_ENKUlT_T0_E_clISt17integral_constantIbLb0EES1D_EEDaS18_S19_EUlS18_E_NS1_11comp_targetILNS1_3genE9ELNS1_11target_archE1100ELNS1_3gpuE3ELNS1_3repE0EEENS1_30default_config_static_selectorELNS0_4arch9wavefront6targetE0EEEvT1_
	.globl	_ZN7rocprim17ROCPRIM_400000_NS6detail17trampoline_kernelINS0_14default_configENS1_25partition_config_selectorILNS1_17partition_subalgoE9ExjbEEZZNS1_14partition_implILS5_9ELb0ES3_jN6thrust23THRUST_200600_302600_NS6detail15normal_iteratorINS9_10device_ptrIxEEEENSB_INSC_IjEEEEPNS0_10empty_typeENS0_5tupleIJNS9_16discard_iteratorINS9_11use_defaultEEESH_EEENSJ_IJSM_SI_EEENS0_18inequality_wrapperINS9_8equal_toIxEEEEPmJSH_EEE10hipError_tPvRmT3_T4_T5_T6_T7_T9_mT8_P12ihipStream_tbDpT10_ENKUlT_T0_E_clISt17integral_constantIbLb0EES1D_EEDaS18_S19_EUlS18_E_NS1_11comp_targetILNS1_3genE9ELNS1_11target_archE1100ELNS1_3gpuE3ELNS1_3repE0EEENS1_30default_config_static_selectorELNS0_4arch9wavefront6targetE0EEEvT1_
	.p2align	8
	.type	_ZN7rocprim17ROCPRIM_400000_NS6detail17trampoline_kernelINS0_14default_configENS1_25partition_config_selectorILNS1_17partition_subalgoE9ExjbEEZZNS1_14partition_implILS5_9ELb0ES3_jN6thrust23THRUST_200600_302600_NS6detail15normal_iteratorINS9_10device_ptrIxEEEENSB_INSC_IjEEEEPNS0_10empty_typeENS0_5tupleIJNS9_16discard_iteratorINS9_11use_defaultEEESH_EEENSJ_IJSM_SI_EEENS0_18inequality_wrapperINS9_8equal_toIxEEEEPmJSH_EEE10hipError_tPvRmT3_T4_T5_T6_T7_T9_mT8_P12ihipStream_tbDpT10_ENKUlT_T0_E_clISt17integral_constantIbLb0EES1D_EEDaS18_S19_EUlS18_E_NS1_11comp_targetILNS1_3genE9ELNS1_11target_archE1100ELNS1_3gpuE3ELNS1_3repE0EEENS1_30default_config_static_selectorELNS0_4arch9wavefront6targetE0EEEvT1_,@function
_ZN7rocprim17ROCPRIM_400000_NS6detail17trampoline_kernelINS0_14default_configENS1_25partition_config_selectorILNS1_17partition_subalgoE9ExjbEEZZNS1_14partition_implILS5_9ELb0ES3_jN6thrust23THRUST_200600_302600_NS6detail15normal_iteratorINS9_10device_ptrIxEEEENSB_INSC_IjEEEEPNS0_10empty_typeENS0_5tupleIJNS9_16discard_iteratorINS9_11use_defaultEEESH_EEENSJ_IJSM_SI_EEENS0_18inequality_wrapperINS9_8equal_toIxEEEEPmJSH_EEE10hipError_tPvRmT3_T4_T5_T6_T7_T9_mT8_P12ihipStream_tbDpT10_ENKUlT_T0_E_clISt17integral_constantIbLb0EES1D_EEDaS18_S19_EUlS18_E_NS1_11comp_targetILNS1_3genE9ELNS1_11target_archE1100ELNS1_3gpuE3ELNS1_3repE0EEENS1_30default_config_static_selectorELNS0_4arch9wavefront6targetE0EEEvT1_: ; @_ZN7rocprim17ROCPRIM_400000_NS6detail17trampoline_kernelINS0_14default_configENS1_25partition_config_selectorILNS1_17partition_subalgoE9ExjbEEZZNS1_14partition_implILS5_9ELb0ES3_jN6thrust23THRUST_200600_302600_NS6detail15normal_iteratorINS9_10device_ptrIxEEEENSB_INSC_IjEEEEPNS0_10empty_typeENS0_5tupleIJNS9_16discard_iteratorINS9_11use_defaultEEESH_EEENSJ_IJSM_SI_EEENS0_18inequality_wrapperINS9_8equal_toIxEEEEPmJSH_EEE10hipError_tPvRmT3_T4_T5_T6_T7_T9_mT8_P12ihipStream_tbDpT10_ENKUlT_T0_E_clISt17integral_constantIbLb0EES1D_EEDaS18_S19_EUlS18_E_NS1_11comp_targetILNS1_3genE9ELNS1_11target_archE1100ELNS1_3gpuE3ELNS1_3repE0EEENS1_30default_config_static_selectorELNS0_4arch9wavefront6targetE0EEEvT1_
; %bb.0:
	s_clause 0x4
	s_load_b128 s[4:7], s[0:1], 0x8
	s_load_b32 s14, s[0:1], 0x78
	s_load_b128 s[16:19], s[0:1], 0x50
	s_load_b64 s[2:3], s[0:1], 0x60
	s_load_b64 s[12:13], s[0:1], 0x18
	s_mov_b32 s9, 0
	v_lshlrev_b32_e32 v29, 3, v0
	v_lshrrev_b32_e32 v24, 2, v0
	v_or_b32_e32 v21, 0x200, v0
	v_or_b32_e32 v20, 0x400, v0
	;; [unrolled: 1-line block ×7, first 2 shown]
	s_waitcnt lgkmcnt(0)
	s_lshl_b64 s[10:11], s[6:7], 3
	s_delay_alu instid0(SALU_CYCLE_1)
	s_add_u32 s21, s4, s10
	s_addc_u32 s22, s5, s11
	s_add_i32 s20, s14, -1
	s_load_b64 s[10:11], s[18:19], 0x0
	s_lshl_b32 s4, s20, 12
	s_lshl_b32 s5, s14, 12
	s_add_i32 s4, s6, s4
	s_lshl_b32 s8, s15, 12
	s_sub_i32 s18, s2, s4
	s_add_u32 s4, s6, s5
	s_addc_u32 s5, s7, 0
	s_cmp_eq_u32 s15, s20
	v_cmp_ge_u64_e64 s2, s[4:5], s[2:3]
	s_cselect_b32 s14, -1, 0
	s_mov_b32 s5, -1
	s_delay_alu instid0(VALU_DEP_1)
	s_and_b32 s19, s14, s2
	s_lshl_b64 s[2:3], s[8:9], 3
	s_xor_b32 s20, s19, -1
	s_add_u32 s4, s21, s2
	s_addc_u32 s3, s22, s3
	s_and_b32 vcc_lo, exec_lo, s20
	s_cbranch_vccz .LBB987_2
; %bb.1:
	v_add_co_u32 v1, s2, s4, v29
	s_delay_alu instid0(VALU_DEP_1) | instskip(SKIP_1) | instid1(VALU_DEP_3)
	v_add_co_ci_u32_e64 v2, null, s3, 0, s2
	v_lshrrev_b32_e32 v26, 2, v21
	v_add_co_u32 v3, vcc_lo, 0x1000, v1
	s_delay_alu instid0(VALU_DEP_3)
	v_add_co_ci_u32_e32 v4, vcc_lo, 0, v2, vcc_lo
	v_add_co_u32 v5, vcc_lo, 0x2000, v1
	v_add_co_ci_u32_e32 v6, vcc_lo, 0, v2, vcc_lo
	v_add_co_u32 v7, vcc_lo, 0x3000, v1
	;; [unrolled: 2-line block ×6, first 2 shown]
	v_add_co_ci_u32_e32 v16, vcc_lo, 0, v2, vcc_lo
	s_clause 0x7
	flat_load_b64 v[1:2], v[1:2]
	flat_load_b64 v[3:4], v[3:4]
	;; [unrolled: 1-line block ×8, first 2 shown]
	v_lshrrev_b32_e32 v27, 2, v20
	v_lshrrev_b32_e32 v28, 2, v23
	;; [unrolled: 1-line block ×3, first 2 shown]
	v_and_b32_e32 v25, 0x78, v24
	v_lshrrev_b32_e32 v31, 2, v18
	v_lshrrev_b32_e32 v32, 2, v17
	;; [unrolled: 1-line block ×3, first 2 shown]
	v_and_b32_e32 v26, 0xf8, v26
	v_and_b32_e32 v27, 0x178, v27
	;; [unrolled: 1-line block ×4, first 2 shown]
	v_add_nc_u32_e32 v25, v25, v29
	v_and_b32_e32 v31, 0x2f8, v31
	v_and_b32_e32 v32, 0x378, v32
	;; [unrolled: 1-line block ×3, first 2 shown]
	v_add_nc_u32_e32 v26, v26, v29
	v_add_nc_u32_e32 v27, v27, v29
	;; [unrolled: 1-line block ×4, first 2 shown]
	s_mov_b32 s5, s9
	v_add_nc_u32_e32 v31, v31, v29
	v_add_nc_u32_e32 v32, v32, v29
	;; [unrolled: 1-line block ×3, first 2 shown]
	s_waitcnt vmcnt(7) lgkmcnt(0)
	ds_store_b64 v25, v[1:2]
	s_waitcnt vmcnt(6)
	ds_store_b64 v26, v[3:4] offset:4096
	s_waitcnt vmcnt(5)
	ds_store_b64 v27, v[5:6] offset:8192
	;; [unrolled: 2-line block ×7, first 2 shown]
	s_waitcnt lgkmcnt(0)
	s_barrier
.LBB987_2:
	v_cmp_gt_u32_e64 s2, s18, v0
	s_and_not1_b32 vcc_lo, exec_lo, s5
	s_cbranch_vccnz .LBB987_20
; %bb.3:
                                        ; implicit-def: $vgpr1_vgpr2_vgpr3_vgpr4_vgpr5_vgpr6_vgpr7_vgpr8_vgpr9_vgpr10_vgpr11_vgpr12_vgpr13_vgpr14_vgpr15_vgpr16
	s_delay_alu instid0(VALU_DEP_1)
	s_and_saveexec_b32 s5, s2
	s_cbranch_execz .LBB987_11
; %bb.4:
	v_add_co_u32 v1, s2, s4, v29
	s_delay_alu instid0(VALU_DEP_1) | instskip(SKIP_2) | instid1(SALU_CYCLE_1)
	v_add_co_ci_u32_e64 v2, null, s3, 0, s2
	flat_load_b64 v[1:2], v[1:2]
	s_or_b32 exec_lo, exec_lo, s5
	s_mov_b32 s2, exec_lo
	v_cmpx_gt_u32_e64 s18, v21
	s_cbranch_execnz .LBB987_12
.LBB987_5:
	s_or_b32 exec_lo, exec_lo, s2
	s_delay_alu instid0(SALU_CYCLE_1)
	s_mov_b32 s2, exec_lo
	v_cmpx_gt_u32_e64 s18, v20
	s_cbranch_execz .LBB987_13
.LBB987_6:
	v_lshlrev_b32_e32 v5, 3, v20
	s_delay_alu instid0(VALU_DEP_1) | instskip(NEXT) | instid1(VALU_DEP_1)
	v_add_co_u32 v5, s5, s4, v5
	v_add_co_ci_u32_e64 v6, null, s3, 0, s5
	flat_load_b64 v[5:6], v[5:6]
	s_or_b32 exec_lo, exec_lo, s2
	s_delay_alu instid0(SALU_CYCLE_1)
	s_mov_b32 s2, exec_lo
	v_cmpx_gt_u32_e64 s18, v23
	s_cbranch_execnz .LBB987_14
.LBB987_7:
	s_or_b32 exec_lo, exec_lo, s2
	s_delay_alu instid0(SALU_CYCLE_1)
	s_mov_b32 s2, exec_lo
	v_cmpx_gt_u32_e64 s18, v22
	s_cbranch_execz .LBB987_15
.LBB987_8:
	v_lshlrev_b32_e32 v9, 3, v22
	s_delay_alu instid0(VALU_DEP_1) | instskip(NEXT) | instid1(VALU_DEP_1)
	v_add_co_u32 v9, s5, s4, v9
	v_add_co_ci_u32_e64 v10, null, s3, 0, s5
	flat_load_b64 v[9:10], v[9:10]
	s_or_b32 exec_lo, exec_lo, s2
	s_delay_alu instid0(SALU_CYCLE_1)
	s_mov_b32 s2, exec_lo
	v_cmpx_gt_u32_e64 s18, v18
	s_cbranch_execnz .LBB987_16
.LBB987_9:
	s_or_b32 exec_lo, exec_lo, s2
	s_delay_alu instid0(SALU_CYCLE_1)
	s_mov_b32 s2, exec_lo
	v_cmpx_gt_u32_e64 s18, v17
	s_cbranch_execz .LBB987_17
.LBB987_10:
	v_lshlrev_b32_e32 v13, 3, v17
	s_delay_alu instid0(VALU_DEP_1) | instskip(NEXT) | instid1(VALU_DEP_1)
	v_add_co_u32 v13, s5, s4, v13
	v_add_co_ci_u32_e64 v14, null, s3, 0, s5
	flat_load_b64 v[13:14], v[13:14]
	s_or_b32 exec_lo, exec_lo, s2
	s_delay_alu instid0(SALU_CYCLE_1)
	s_mov_b32 s2, exec_lo
	v_cmpx_gt_u32_e64 s18, v19
	s_cbranch_execnz .LBB987_18
	s_branch .LBB987_19
.LBB987_11:
	s_or_b32 exec_lo, exec_lo, s5
	s_delay_alu instid0(SALU_CYCLE_1)
	s_mov_b32 s2, exec_lo
	v_cmpx_gt_u32_e64 s18, v21
	s_cbranch_execz .LBB987_5
.LBB987_12:
	v_lshlrev_b32_e32 v3, 3, v21
	s_delay_alu instid0(VALU_DEP_1) | instskip(NEXT) | instid1(VALU_DEP_1)
	v_add_co_u32 v3, s5, s4, v3
	v_add_co_ci_u32_e64 v4, null, s3, 0, s5
	flat_load_b64 v[3:4], v[3:4]
	s_or_b32 exec_lo, exec_lo, s2
	s_delay_alu instid0(SALU_CYCLE_1)
	s_mov_b32 s2, exec_lo
	v_cmpx_gt_u32_e64 s18, v20
	s_cbranch_execnz .LBB987_6
.LBB987_13:
	s_or_b32 exec_lo, exec_lo, s2
	s_delay_alu instid0(SALU_CYCLE_1)
	s_mov_b32 s2, exec_lo
	v_cmpx_gt_u32_e64 s18, v23
	s_cbranch_execz .LBB987_7
.LBB987_14:
	v_lshlrev_b32_e32 v7, 3, v23
	s_delay_alu instid0(VALU_DEP_1) | instskip(NEXT) | instid1(VALU_DEP_1)
	v_add_co_u32 v7, s5, s4, v7
	v_add_co_ci_u32_e64 v8, null, s3, 0, s5
	flat_load_b64 v[7:8], v[7:8]
	s_or_b32 exec_lo, exec_lo, s2
	s_delay_alu instid0(SALU_CYCLE_1)
	s_mov_b32 s2, exec_lo
	v_cmpx_gt_u32_e64 s18, v22
	s_cbranch_execnz .LBB987_8
.LBB987_15:
	s_or_b32 exec_lo, exec_lo, s2
	s_delay_alu instid0(SALU_CYCLE_1)
	s_mov_b32 s2, exec_lo
	v_cmpx_gt_u32_e64 s18, v18
	s_cbranch_execz .LBB987_9
.LBB987_16:
	v_lshlrev_b32_e32 v11, 3, v18
	s_delay_alu instid0(VALU_DEP_1) | instskip(NEXT) | instid1(VALU_DEP_1)
	v_add_co_u32 v11, s5, s4, v11
	v_add_co_ci_u32_e64 v12, null, s3, 0, s5
	flat_load_b64 v[11:12], v[11:12]
	s_or_b32 exec_lo, exec_lo, s2
	s_delay_alu instid0(SALU_CYCLE_1)
	s_mov_b32 s2, exec_lo
	v_cmpx_gt_u32_e64 s18, v17
	s_cbranch_execnz .LBB987_10
.LBB987_17:
	s_or_b32 exec_lo, exec_lo, s2
	s_delay_alu instid0(SALU_CYCLE_1)
	s_mov_b32 s2, exec_lo
	v_cmpx_gt_u32_e64 s18, v19
	s_cbranch_execz .LBB987_19
.LBB987_18:
	v_lshlrev_b32_e32 v15, 3, v19
	s_delay_alu instid0(VALU_DEP_1) | instskip(NEXT) | instid1(VALU_DEP_1)
	v_add_co_u32 v15, s5, s4, v15
	v_add_co_ci_u32_e64 v16, null, s3, 0, s5
	flat_load_b64 v[15:16], v[15:16]
.LBB987_19:
	s_or_b32 exec_lo, exec_lo, s2
	v_lshrrev_b32_e32 v25, 2, v21
	v_lshrrev_b32_e32 v26, 2, v20
	;; [unrolled: 1-line block ×4, first 2 shown]
	v_and_b32_e32 v27, 0x78, v24
	v_lshrrev_b32_e32 v31, 2, v18
	v_lshrrev_b32_e32 v32, 2, v17
	;; [unrolled: 1-line block ×3, first 2 shown]
	v_and_b32_e32 v25, 0xf8, v25
	v_and_b32_e32 v26, 0x1f8, v26
	;; [unrolled: 1-line block ×4, first 2 shown]
	v_add_nc_u32_e32 v27, v27, v29
	v_and_b32_e32 v31, 0x3f8, v31
	v_and_b32_e32 v32, 0x3f8, v32
	v_and_b32_e32 v33, 0x3f8, v33
	v_add_nc_u32_e32 v25, v25, v29
	v_add_nc_u32_e32 v26, v26, v29
	;; [unrolled: 1-line block ×7, first 2 shown]
	s_waitcnt vmcnt(0) lgkmcnt(0)
	ds_store_b64 v27, v[1:2]
	ds_store_b64 v25, v[3:4] offset:4096
	ds_store_b64 v26, v[5:6] offset:8192
	;; [unrolled: 1-line block ×7, first 2 shown]
	s_waitcnt lgkmcnt(0)
	s_barrier
.LBB987_20:
	v_add_nc_u32_e32 v24, v24, v29
	s_waitcnt lgkmcnt(0)
	buffer_gl0_inv
	s_lshl_b64 s[22:23], s[6:7], 2
	v_lshrrev_b32_e32 v26, 3, v0
	s_add_u32 s2, s12, s22
	v_lshlrev_b32_e32 v25, 3, v24
	s_addc_u32 s5, s13, s23
	s_lshl_b64 s[8:9], s[8:9], 2
	ds_load_2addr_b64 v[13:16], v25 offset1:1
	ds_load_2addr_b64 v[9:12], v25 offset0:2 offset1:3
	ds_load_2addr_b64 v[5:8], v25 offset0:4 offset1:5
	ds_load_2addr_b64 v[1:4], v25 offset0:6 offset1:7
	s_add_u32 s2, s2, s8
	s_addc_u32 s5, s5, s9
	s_and_b32 vcc_lo, exec_lo, s20
	s_mov_b32 s8, -1
	s_waitcnt lgkmcnt(0)
	s_barrier
	buffer_gl0_inv
	s_cbranch_vccz .LBB987_22
; %bb.21:
	v_lshlrev_b32_e32 v36, 2, v0
	v_lshrrev_b32_e32 v38, 3, v21
	v_lshrrev_b32_e32 v39, 3, v20
	;; [unrolled: 1-line block ×4, first 2 shown]
	v_add_co_u32 v27, s8, s2, v36
	s_delay_alu instid0(VALU_DEP_1) | instskip(SKIP_1) | instid1(VALU_DEP_3)
	v_add_co_ci_u32_e64 v28, null, s5, 0, s8
	v_lshrrev_b32_e32 v42, 3, v18
	v_add_co_u32 v30, vcc_lo, 0x1000, v27
	s_delay_alu instid0(VALU_DEP_3)
	v_add_co_ci_u32_e32 v31, vcc_lo, 0, v28, vcc_lo
	v_add_co_u32 v32, vcc_lo, 0x2000, v27
	v_add_co_ci_u32_e32 v33, vcc_lo, 0, v28, vcc_lo
	v_add_co_u32 v34, vcc_lo, 0x3000, v27
	v_add_co_ci_u32_e32 v35, vcc_lo, 0, v28, vcc_lo
	s_clause 0x7
	flat_load_b32 v37, v[27:28]
	flat_load_b32 v27, v[27:28] offset:2048
	flat_load_b32 v28, v[30:31]
	flat_load_b32 v30, v[30:31] offset:2048
	;; [unrolled: 2-line block ×4, first 2 shown]
	v_and_b32_e32 v35, 60, v26
	v_lshrrev_b32_e32 v43, 3, v17
	v_lshrrev_b32_e32 v44, 3, v19
	v_and_b32_e32 v38, 0x7c, v38
	v_and_b32_e32 v39, 0xbc, v39
	v_and_b32_e32 v40, 0xfc, v40
	v_and_b32_e32 v41, 0x13c, v41
	v_add_nc_u32_e32 v35, v35, v36
	v_and_b32_e32 v42, 0x17c, v42
	v_and_b32_e32 v43, 0x1bc, v43
	;; [unrolled: 1-line block ×3, first 2 shown]
	v_add_nc_u32_e32 v38, v38, v36
	v_add_nc_u32_e32 v39, v39, v36
	v_add_nc_u32_e32 v40, v40, v36
	v_add_nc_u32_e32 v41, v41, v36
	s_mov_b32 s8, 0
	v_add_nc_u32_e32 v42, v42, v36
	v_add_nc_u32_e32 v43, v43, v36
	;; [unrolled: 1-line block ×3, first 2 shown]
	s_waitcnt vmcnt(7) lgkmcnt(7)
	ds_store_b32 v35, v37
	s_waitcnt vmcnt(6) lgkmcnt(7)
	ds_store_b32 v38, v27 offset:2048
	s_waitcnt vmcnt(5) lgkmcnt(7)
	ds_store_b32 v39, v28 offset:4096
	;; [unrolled: 2-line block ×7, first 2 shown]
	s_waitcnt lgkmcnt(0)
	s_barrier
.LBB987_22:
	s_and_not1_b32 vcc_lo, exec_lo, s8
	s_cbranch_vccnz .LBB987_40
; %bb.23:
	s_mov_b32 s8, exec_lo
                                        ; implicit-def: $vgpr27
	v_cmpx_gt_u32_e64 s18, v0
	s_cbranch_execz .LBB987_25
; %bb.24:
	v_lshlrev_b32_e32 v27, 2, v0
	s_delay_alu instid0(VALU_DEP_1) | instskip(NEXT) | instid1(VALU_DEP_1)
	v_add_co_u32 v27, s9, s2, v27
	v_add_co_ci_u32_e64 v28, null, s5, 0, s9
	flat_load_b32 v27, v[27:28]
.LBB987_25:
	s_or_b32 exec_lo, exec_lo, s8
	s_delay_alu instid0(SALU_CYCLE_1)
	s_mov_b32 s8, exec_lo
                                        ; implicit-def: $vgpr28
	v_cmpx_gt_u32_e64 s18, v21
	s_cbranch_execz .LBB987_27
; %bb.26:
	v_lshlrev_b32_e32 v28, 2, v0
	s_delay_alu instid0(VALU_DEP_1) | instskip(NEXT) | instid1(VALU_DEP_1)
	v_add_co_u32 v30, s9, s2, v28
	v_add_co_ci_u32_e64 v31, null, s5, 0, s9
	flat_load_b32 v28, v[30:31] offset:2048
.LBB987_27:
	s_or_b32 exec_lo, exec_lo, s8
	s_delay_alu instid0(SALU_CYCLE_1)
	s_mov_b32 s8, exec_lo
                                        ; implicit-def: $vgpr30
	v_cmpx_gt_u32_e64 s18, v20
	s_cbranch_execz .LBB987_29
; %bb.28:
	v_lshlrev_b32_e32 v30, 2, v20
	s_delay_alu instid0(VALU_DEP_1) | instskip(NEXT) | instid1(VALU_DEP_1)
	v_add_co_u32 v30, s9, s2, v30
	v_add_co_ci_u32_e64 v31, null, s5, 0, s9
	flat_load_b32 v30, v[30:31]
.LBB987_29:
	s_or_b32 exec_lo, exec_lo, s8
	s_delay_alu instid0(SALU_CYCLE_1)
	s_mov_b32 s8, exec_lo
                                        ; implicit-def: $vgpr31
	v_cmpx_gt_u32_e64 s18, v23
	s_cbranch_execz .LBB987_31
; %bb.30:
	v_lshlrev_b32_e32 v31, 2, v23
	s_delay_alu instid0(VALU_DEP_1) | instskip(NEXT) | instid1(VALU_DEP_1)
	v_add_co_u32 v31, s9, s2, v31
	v_add_co_ci_u32_e64 v32, null, s5, 0, s9
	flat_load_b32 v31, v[31:32]
.LBB987_31:
	s_or_b32 exec_lo, exec_lo, s8
	s_delay_alu instid0(SALU_CYCLE_1)
	s_mov_b32 s8, exec_lo
                                        ; implicit-def: $vgpr32
	v_cmpx_gt_u32_e64 s18, v22
	s_cbranch_execz .LBB987_33
; %bb.32:
	v_lshlrev_b32_e32 v32, 2, v22
	s_delay_alu instid0(VALU_DEP_1) | instskip(NEXT) | instid1(VALU_DEP_1)
	v_add_co_u32 v32, s9, s2, v32
	v_add_co_ci_u32_e64 v33, null, s5, 0, s9
	flat_load_b32 v32, v[32:33]
.LBB987_33:
	s_or_b32 exec_lo, exec_lo, s8
	s_delay_alu instid0(SALU_CYCLE_1)
	s_mov_b32 s8, exec_lo
                                        ; implicit-def: $vgpr33
	v_cmpx_gt_u32_e64 s18, v18
	s_cbranch_execz .LBB987_35
; %bb.34:
	v_lshlrev_b32_e32 v33, 2, v18
	s_delay_alu instid0(VALU_DEP_1) | instskip(NEXT) | instid1(VALU_DEP_1)
	v_add_co_u32 v33, s9, s2, v33
	v_add_co_ci_u32_e64 v34, null, s5, 0, s9
	flat_load_b32 v33, v[33:34]
.LBB987_35:
	s_or_b32 exec_lo, exec_lo, s8
	s_delay_alu instid0(SALU_CYCLE_1)
	s_mov_b32 s8, exec_lo
                                        ; implicit-def: $vgpr34
	v_cmpx_gt_u32_e64 s18, v17
	s_cbranch_execz .LBB987_37
; %bb.36:
	v_lshlrev_b32_e32 v34, 2, v17
	s_delay_alu instid0(VALU_DEP_1) | instskip(NEXT) | instid1(VALU_DEP_1)
	v_add_co_u32 v34, s9, s2, v34
	v_add_co_ci_u32_e64 v35, null, s5, 0, s9
	flat_load_b32 v34, v[34:35]
.LBB987_37:
	s_or_b32 exec_lo, exec_lo, s8
	s_delay_alu instid0(SALU_CYCLE_1)
	s_mov_b32 s8, exec_lo
                                        ; implicit-def: $vgpr35
	v_cmpx_gt_u32_e64 s18, v19
	s_cbranch_execz .LBB987_39
; %bb.38:
	v_lshlrev_b32_e32 v35, 2, v19
	s_delay_alu instid0(VALU_DEP_1) | instskip(NEXT) | instid1(VALU_DEP_1)
	v_add_co_u32 v35, s2, s2, v35
	v_add_co_ci_u32_e64 v36, null, s5, 0, s2
	flat_load_b32 v35, v[35:36]
.LBB987_39:
	s_or_b32 exec_lo, exec_lo, s8
	v_lshrrev_b32_e32 v21, 3, v21
	v_lshrrev_b32_e32 v20, 3, v20
	;; [unrolled: 1-line block ×4, first 2 shown]
	v_and_b32_e32 v26, 60, v26
	v_lshlrev_b32_e32 v36, 2, v0
	v_lshrrev_b32_e32 v18, 3, v18
	v_lshrrev_b32_e32 v17, 3, v17
	;; [unrolled: 1-line block ×3, first 2 shown]
	v_and_b32_e32 v21, 0x7c, v21
	v_and_b32_e32 v20, 0xfc, v20
	;; [unrolled: 1-line block ×4, first 2 shown]
	v_add_nc_u32_e32 v26, v26, v36
	v_and_b32_e32 v18, 0x1fc, v18
	v_and_b32_e32 v17, 0x1fc, v17
	;; [unrolled: 1-line block ×3, first 2 shown]
	v_add_nc_u32_e32 v21, v21, v36
	v_add_nc_u32_e32 v20, v20, v36
	;; [unrolled: 1-line block ×7, first 2 shown]
	s_waitcnt vmcnt(0) lgkmcnt(0)
	ds_store_b32 v26, v27
	ds_store_b32 v21, v28 offset:2048
	ds_store_b32 v20, v30 offset:4096
	;; [unrolled: 1-line block ×7, first 2 shown]
	s_waitcnt lgkmcnt(0)
	s_barrier
.LBB987_40:
	v_lshlrev_b32_e32 v17, 2, v24
	buffer_gl0_inv
	s_cmp_lg_u32 s15, 0
	s_mov_b32 s9, 0
	s_cselect_b32 s12, -1, 0
	v_sub_nc_u32_e32 v17, v25, v17
	s_cmp_lg_u64 s[6:7], 0
	ds_load_2addr_b32 v[23:24], v17 offset1:1
	ds_load_2addr_b32 v[21:22], v17 offset0:2 offset1:3
	ds_load_2addr_b32 v[19:20], v17 offset0:4 offset1:5
	;; [unrolled: 1-line block ×3, first 2 shown]
	s_cselect_b32 s2, -1, 0
	s_waitcnt lgkmcnt(0)
	s_or_b32 s2, s12, s2
	s_barrier
	s_and_b32 vcc_lo, exec_lo, s2
	buffer_gl0_inv
	s_cbranch_vccz .LBB987_45
; %bb.41:
	v_add_co_u32 v25, s2, -8, s4
	s_delay_alu instid0(VALU_DEP_1)
	v_add_co_ci_u32_e64 v26, null, -1, s3, s2
	s_mov_b32 s3, -1
	s_and_b32 vcc_lo, exec_lo, s20
	flat_load_b64 v[27:28], v[25:26]
	ds_store_b64 v29, v[3:4]
	s_cbranch_vccz .LBB987_46
; %bb.42:
	s_waitcnt vmcnt(0) lgkmcnt(1)
	v_dual_mov_b32 v25, v27 :: v_dual_mov_b32 v26, v28
	s_mov_b32 s3, 0
	s_mov_b32 s2, exec_lo
	s_waitcnt lgkmcnt(0)
	s_barrier
	buffer_gl0_inv
	v_cmpx_ne_u32_e32 0, v0
	s_cbranch_execz .LBB987_44
; %bb.43:
	v_add_nc_u32_e32 v25, -8, v29
	ds_load_b64 v[25:26], v25
.LBB987_44:
	s_or_b32 exec_lo, exec_lo, s2
	v_cmp_ne_u64_e32 vcc_lo, v[1:2], v[3:4]
	s_waitcnt lgkmcnt(0)
	v_cmp_ne_u64_e64 s2, v[25:26], v[13:14]
	v_cndmask_b32_e64 v30, 0, 1, vcc_lo
	v_cmp_ne_u64_e32 vcc_lo, v[7:8], v[1:2]
	s_delay_alu instid0(VALU_DEP_2) | instskip(SKIP_2) | instid1(VALU_DEP_2)
	v_lshlrev_b16 v30, 8, v30
	v_cndmask_b32_e64 v31, 0, 1, vcc_lo
	v_cmp_ne_u64_e32 vcc_lo, v[5:6], v[7:8]
	v_or_b32_e32 v30, v31, v30
	v_cndmask_b32_e64 v32, 0, 1, vcc_lo
	v_cmp_ne_u64_e32 vcc_lo, v[9:10], v[11:12]
	s_delay_alu instid0(VALU_DEP_3) | instskip(NEXT) | instid1(VALU_DEP_3)
	v_lshlrev_b32_e32 v30, 16, v30
	v_lshlrev_b16 v32, 8, v32
	v_cndmask_b32_e64 v33, 0, 1, vcc_lo
	v_cmp_ne_u64_e32 vcc_lo, v[11:12], v[5:6]
	s_delay_alu instid0(VALU_DEP_2) | instskip(SKIP_2) | instid1(VALU_DEP_2)
	v_lshlrev_b16 v33, 8, v33
	v_cndmask_b32_e64 v34, 0, 1, vcc_lo
	v_cmp_ne_u64_e32 vcc_lo, v[15:16], v[9:10]
	v_or_b32_e32 v32, v34, v32
	v_cndmask_b32_e64 v35, 0, 1, vcc_lo
	v_cmp_ne_u64_e32 vcc_lo, v[13:14], v[15:16]
	s_delay_alu instid0(VALU_DEP_3) | instskip(NEXT) | instid1(VALU_DEP_3)
	v_and_b32_e32 v32, 0xffff, v32
	v_or_b32_e32 v33, v35, v33
	v_cndmask_b32_e64 v36, 0, 1, vcc_lo
	s_delay_alu instid0(VALU_DEP_3) | instskip(NEXT) | instid1(VALU_DEP_3)
	v_or_b32_e32 v26, v32, v30
	v_lshlrev_b32_e32 v31, 16, v33
	s_delay_alu instid0(VALU_DEP_3) | instskip(NEXT) | instid1(VALU_DEP_1)
	v_lshlrev_b16 v35, 8, v36
	v_and_b32_e32 v33, 0xffff, v35
	s_delay_alu instid0(VALU_DEP_1)
	v_or_b32_e32 v25, v33, v31
	s_and_b32 vcc_lo, exec_lo, s3
	s_cbranch_vccnz .LBB987_47
	s_branch .LBB987_50
.LBB987_45:
                                        ; implicit-def: $sgpr2
                                        ; implicit-def: $vgpr26
	s_branch .LBB987_51
.LBB987_46:
                                        ; implicit-def: $sgpr2
                                        ; implicit-def: $vgpr26
	s_and_b32 vcc_lo, exec_lo, s3
	s_cbranch_vccz .LBB987_50
.LBB987_47:
	s_mov_b32 s2, exec_lo
	s_waitcnt vmcnt(0) lgkmcnt(0)
	s_barrier
	buffer_gl0_inv
	v_cmpx_ne_u32_e32 0, v0
	s_cbranch_execz .LBB987_49
; %bb.48:
	v_add_nc_u32_e32 v25, -8, v29
	ds_load_b64 v[27:28], v25
.LBB987_49:
	s_or_b32 exec_lo, exec_lo, s2
	v_or_b32_e32 v25, 7, v29
	v_or_b32_e32 v26, 6, v29
	v_cmp_ne_u64_e32 vcc_lo, v[1:2], v[3:4]
	v_or_b32_e32 v30, 5, v29
	v_cmp_ne_u64_e64 s3, v[7:8], v[1:2]
	v_cmp_gt_u32_e64 s2, s18, v25
	v_cmp_gt_u32_e64 s4, s18, v26
	v_cmp_ne_u64_e64 s5, v[5:6], v[7:8]
	v_cmp_gt_u32_e64 s6, s18, v30
	v_or_b32_e32 v30, 3, v29
	s_and_b32 s2, s2, vcc_lo
	v_or_b32_e32 v31, 4, v29
	v_cndmask_b32_e64 v25, 0, 1, s2
	s_and_b32 s2, s4, s3
	v_cmp_ne_u64_e32 vcc_lo, v[9:10], v[11:12]
	v_cndmask_b32_e64 v26, 0, 1, s2
	s_and_b32 s2, s6, s5
	v_cmp_gt_u32_e64 s3, s18, v31
	v_cndmask_b32_e64 v32, 0, 1, s2
	v_cmp_gt_u32_e64 s2, s18, v30
	v_or_b32_e32 v30, 2, v29
	v_or_b32_e32 v31, 1, v29
	v_cmp_ne_u64_e64 s4, v[11:12], v[5:6]
	v_cmp_ne_u64_e64 s6, v[13:14], v[15:16]
	s_and_b32 s2, s2, vcc_lo
	v_cmp_ne_u64_e32 vcc_lo, v[15:16], v[9:10]
	v_cndmask_b32_e64 v33, 0, 1, s2
	v_cmp_gt_u32_e64 s2, s18, v30
	v_cmp_gt_u32_e64 s5, s18, v31
	s_and_b32 s3, s3, s4
	v_lshlrev_b16 v32, 8, v32
	v_cndmask_b32_e64 v30, 0, 1, s3
	s_and_b32 s2, s2, vcc_lo
	v_lshlrev_b16 v33, 8, v33
	v_cndmask_b32_e64 v31, 0, 1, s2
	s_and_b32 s2, s5, s6
	v_lshlrev_b16 v25, 8, v25
	v_cndmask_b32_e64 v34, 0, 1, s2
	v_or_b32_e32 v30, v30, v32
	v_or_b32_e32 v31, v31, v33
	s_waitcnt lgkmcnt(0)
	v_cmp_ne_u64_e32 vcc_lo, v[27:28], v[13:14]
	v_or_b32_e32 v25, v26, v25
	v_lshlrev_b16 v33, 8, v34
	v_and_b32_e32 v30, 0xffff, v30
	v_lshlrev_b32_e32 v26, 16, v31
	v_cmp_gt_u32_e64 s2, s18, v29
	v_lshlrev_b32_e32 v32, 16, v25
	v_and_b32_e32 v31, 0xffff, v33
	s_delay_alu instid0(VALU_DEP_3) | instskip(NEXT) | instid1(VALU_DEP_1)
	s_and_b32 s2, s2, vcc_lo
	v_or_b32_e32 v25, v31, v26
	s_delay_alu instid0(VALU_DEP_3)
	v_or_b32_e32 v26, v30, v32
.LBB987_50:
	s_mov_b32 s9, -1
	s_cbranch_execnz .LBB987_59
.LBB987_51:
	v_cmp_ne_u64_e64 s3, v[1:2], v[3:4]
	v_cmp_ne_u64_e64 s4, v[7:8], v[1:2]
	;; [unrolled: 1-line block ×7, first 2 shown]
	s_and_b32 vcc_lo, exec_lo, s20
	ds_store_b64 v29, v[3:4]
	s_cbranch_vccz .LBB987_55
; %bb.52:
	v_cndmask_b32_e64 v25, 0, 1, s3
	s_waitcnt vmcnt(0) lgkmcnt(2)
	v_cndmask_b32_e64 v27, 0, 1, s5
	v_cndmask_b32_e64 v30, 0, 1, s7
	;; [unrolled: 1-line block ×6, first 2 shown]
	v_lshlrev_b16 v27, 8, v27
	v_lshlrev_b16 v25, 8, v25
	;; [unrolled: 1-line block ×4, first 2 shown]
	s_mov_b32 s3, 0
	v_or_b32_e32 v27, v28, v27
	v_or_b32_e32 v25, v26, v25
	;; [unrolled: 1-line block ×4, first 2 shown]
	s_mov_b32 s4, exec_lo
	v_and_b32_e32 v27, 0xffff, v27
	v_lshlrev_b32_e32 v25, 16, v25
	v_lshlrev_b32_e32 v30, 16, v26
	v_and_b32_e32 v28, 0xffff, v28
	s_waitcnt lgkmcnt(0)
	s_barrier
	v_or_b32_e32 v26, v27, v25
	buffer_gl0_inv
	v_or_b32_e32 v25, v28, v30
                                        ; implicit-def: $sgpr2
	v_cmpx_ne_u32_e32 0, v0
	s_xor_b32 s4, exec_lo, s4
	s_cbranch_execz .LBB987_54
; %bb.53:
	v_add_nc_u32_e32 v27, -8, v29
	s_or_b32 s9, s9, exec_lo
	ds_load_b64 v[27:28], v27
	s_waitcnt lgkmcnt(0)
	v_cmp_ne_u64_e32 vcc_lo, v[27:28], v[13:14]
	s_and_b32 s2, vcc_lo, exec_lo
.LBB987_54:
	s_or_b32 exec_lo, exec_lo, s4
	s_delay_alu instid0(SALU_CYCLE_1)
	s_and_b32 vcc_lo, exec_lo, s3
	s_cbranch_vccnz .LBB987_56
	s_branch .LBB987_59
.LBB987_55:
                                        ; implicit-def: $sgpr2
                                        ; implicit-def: $vgpr26
	s_cbranch_execz .LBB987_59
.LBB987_56:
	v_or_b32_e32 v25, 7, v29
	v_or_b32_e32 v26, 6, v29
	v_cmp_ne_u64_e32 vcc_lo, v[1:2], v[3:4]
	v_cmp_ne_u64_e64 s2, v[7:8], v[1:2]
	s_waitcnt vmcnt(0) lgkmcnt(2)
	v_or_b32_e32 v27, 4, v29
	v_cmp_gt_u32_e64 s3, s18, v25
	v_or_b32_e32 v25, 5, v29
	v_cmp_gt_u32_e64 s5, s18, v26
	v_cmp_ne_u64_e64 s4, v[5:6], v[7:8]
	v_cmp_ne_u64_e64 s6, v[11:12], v[5:6]
	s_and_b32 s3, s3, vcc_lo
	v_cmp_gt_u32_e32 vcc_lo, s18, v25
	v_cndmask_b32_e64 v26, 0, 1, s3
	v_cmp_gt_u32_e64 s3, s18, v27
	s_and_b32 s2, s5, s2
	v_or_b32_e32 v28, 3, v29
	v_cndmask_b32_e64 v25, 0, 1, s2
	s_and_b32 s2, vcc_lo, s4
	v_or_b32_e32 v31, 1, v29
	v_cndmask_b32_e64 v27, 0, 1, s2
	s_and_b32 s2, s3, s6
	v_cmp_ne_u64_e32 vcc_lo, v[9:10], v[11:12]
	v_cndmask_b32_e64 v30, 0, 1, s2
	v_cmp_gt_u32_e64 s2, s18, v28
	v_cmp_ne_u64_e64 s3, v[13:14], v[15:16]
	v_or_b32_e32 v32, 2, v29
	v_cmp_gt_u32_e64 s4, s18, v31
	v_cmp_ne_u64_e64 s5, v[15:16], v[9:10]
	s_and_b32 s2, s2, vcc_lo
	v_lshlrev_b16 v27, 8, v27
	v_cmp_gt_u32_e64 s6, s18, v32
	v_cndmask_b32_e64 v28, 0, 1, s2
	s_and_b32 s2, s4, s3
	v_lshlrev_b16 v26, 8, v26
	v_cndmask_b32_e64 v31, 0, 1, s2
	s_and_b32 s2, s6, s5
	v_lshlrev_b16 v28, 8, v28
	v_cndmask_b32_e64 v32, 0, 1, s2
	v_or_b32_e32 v27, v30, v27
	v_lshlrev_b16 v31, 8, v31
	v_or_b32_e32 v25, v25, v26
	s_mov_b32 s3, exec_lo
	v_or_b32_e32 v26, v32, v28
	v_and_b32_e32 v27, 0xffff, v27
	v_or_b32_e32 v28, 1, v31
	v_lshlrev_b32_e32 v25, 16, v25
	s_waitcnt lgkmcnt(0)
	v_lshlrev_b32_e32 v30, 16, v26
	s_barrier
	v_and_b32_e32 v28, 0xffff, v28
	v_or_b32_e32 v26, v27, v25
	buffer_gl0_inv
                                        ; implicit-def: $sgpr2
	v_or_b32_e32 v25, v28, v30
	v_cmpx_ne_u32_e32 0, v0
	s_cbranch_execz .LBB987_58
; %bb.57:
	v_add_nc_u32_e32 v27, -8, v29
	v_cmp_gt_u32_e64 s2, s18, v29
	s_or_b32 s9, s9, exec_lo
	ds_load_b64 v[27:28], v27
	s_waitcnt lgkmcnt(0)
	v_cmp_ne_u64_e32 vcc_lo, v[27:28], v[13:14]
	s_and_b32 s2, s2, vcc_lo
	s_delay_alu instid0(SALU_CYCLE_1)
	s_and_b32 s2, s2, exec_lo
.LBB987_58:
	s_or_b32 exec_lo, exec_lo, s3
.LBB987_59:
	s_and_saveexec_b32 s3, s9
	s_cbranch_execz .LBB987_61
; %bb.60:
	s_waitcnt vmcnt(0) lgkmcnt(1)
	v_and_b32_e32 v27, 0xffffff00, v25
	v_cndmask_b32_e64 v28, 0, 1, s2
	s_delay_alu instid0(VALU_DEP_1) | instskip(NEXT) | instid1(VALU_DEP_1)
	v_or_b32_e32 v27, v28, v27
	v_and_b32_e32 v27, 0xffff, v27
	s_delay_alu instid0(VALU_DEP_1)
	v_and_or_b32 v25, 0xffff0000, v25, v27
.LBB987_61:
	s_or_b32 exec_lo, exec_lo, s3
	s_load_b64 s[8:9], s[0:1], 0x70
	s_and_not1_b32 vcc_lo, exec_lo, s19
	s_cbranch_vccnz .LBB987_63
; %bb.62:
	v_cmp_gt_u32_e32 vcc_lo, s18, v29
	s_waitcnt vmcnt(0) lgkmcnt(0)
	v_or_b32_e32 v28, 1, v29
	v_or_b32_e32 v31, 2, v29
	v_dual_cndmask_b32 v27, 0, v25 :: v_dual_and_b32 v30, 0xffffff00, v26
	s_delay_alu instid0(VALU_DEP_3) | instskip(SKIP_1) | instid1(VALU_DEP_4)
	v_cmp_gt_u32_e32 vcc_lo, s18, v28
	v_or_b32_e32 v28, 4, v29
	v_cmp_gt_u32_e64 s0, s18, v31
	v_or_b32_e32 v31, 3, v29
	v_and_b32_e32 v27, 0xff, v27
	s_delay_alu instid0(VALU_DEP_2) | instskip(NEXT) | instid1(VALU_DEP_2)
	v_cmp_gt_u32_e64 s1, s18, v31
	v_cndmask_b32_e32 v27, v27, v25, vcc_lo
	v_cmp_gt_u32_e32 vcc_lo, s18, v28
	v_cndmask_b32_e32 v28, v30, v26, vcc_lo
	v_or_b32_e32 v30, 5, v29
	s_delay_alu instid0(VALU_DEP_2) | instskip(SKIP_1) | instid1(VALU_DEP_1)
	v_and_b32_e32 v28, 0xffff00ff, v28
	v_and_b32_e32 v27, 0xffff, v27
	v_cndmask_b32_e64 v27, v27, v25, s0
	s_delay_alu instid0(VALU_DEP_4) | instskip(SKIP_2) | instid1(VALU_DEP_4)
	v_cmp_gt_u32_e64 s0, s18, v30
	v_or_b32_e32 v30, 6, v29
	v_or_b32_e32 v29, 7, v29
	v_and_b32_e32 v27, 0xffffff, v27
	s_delay_alu instid0(VALU_DEP_4) | instskip(NEXT) | instid1(VALU_DEP_2)
	v_cndmask_b32_e64 v28, v28, v26, s0
	v_cndmask_b32_e64 v27, v27, v25, s1
	s_delay_alu instid0(VALU_DEP_1) | instskip(SKIP_1) | instid1(VALU_DEP_2)
	v_dual_cndmask_b32 v27, v27, v25 :: v_dual_and_b32 v28, 0xff00ffff, v28
	v_cmp_gt_u32_e32 vcc_lo, s18, v30
	v_cndmask_b32_e64 v27, v27, v25, s0
	s_delay_alu instid0(VALU_DEP_1) | instskip(NEXT) | instid1(VALU_DEP_1)
	v_dual_cndmask_b32 v28, v28, v26 :: v_dual_cndmask_b32 v27, v27, v25
	v_and_b32_e32 v28, 0xffffff, v28
	v_cmp_gt_u32_e32 vcc_lo, s18, v29
	s_delay_alu instid0(VALU_DEP_2)
	v_dual_cndmask_b32 v26, v28, v26 :: v_dual_cndmask_b32 v25, v27, v25
.LBB987_63:
	s_delay_alu instid0(VALU_DEP_1) | instskip(SKIP_1) | instid1(VALU_DEP_2)
	v_and_b32_e32 v36, 0xff, v25
	s_waitcnt vmcnt(0) lgkmcnt(0)
	v_alignbit_b32 v27, v26, v25, 24
	v_bfe_u32 v37, v25, 8, 8
	v_bfe_u32 v38, v25, 16, 8
	v_and_b32_e32 v40, 0xff, v26
	v_bfe_u32 v41, v26, 8, 8
	v_and_b32_e32 v39, 0xff, v27
	v_add_nc_u32_e32 v27, v37, v36
	v_mbcnt_lo_u32_b32 v43, -1, 0
	v_bfe_u32 v42, v26, 16, 8
	v_lshrrev_b32_e32 v35, 24, v26
	v_lshrrev_b32_e32 v44, 5, v0
	v_add3_u32 v27, v27, v38, v39
	v_and_b32_e32 v28, 15, v43
	v_and_b32_e32 v29, 16, v43
	s_and_b32 vcc_lo, exec_lo, s12
	s_mov_b32 s6, -1
	v_add3_u32 v27, v27, v40, v41
	v_cmp_eq_u32_e64 s2, 0, v28
	v_cmp_lt_u32_e64 s0, 1, v28
	v_cmp_lt_u32_e64 s3, 3, v28
	;; [unrolled: 1-line block ×3, first 2 shown]
	v_add3_u32 v45, v27, v42, v35
	v_or_b32_e32 v27, 31, v0
	v_cmp_eq_u32_e64 s5, 0, v29
	s_barrier
	buffer_gl0_inv
	v_cmp_eq_u32_e64 s4, v27, v0
	s_cbranch_vccz .LBB987_89
; %bb.64:
	v_mov_b32_dpp v27, v45 row_shr:1 row_mask:0xf bank_mask:0xf
	s_delay_alu instid0(VALU_DEP_1) | instskip(NEXT) | instid1(VALU_DEP_1)
	v_cndmask_b32_e64 v27, v27, 0, s2
	v_add_nc_u32_e32 v27, v27, v45
	s_delay_alu instid0(VALU_DEP_1) | instskip(NEXT) | instid1(VALU_DEP_1)
	v_mov_b32_dpp v28, v27 row_shr:2 row_mask:0xf bank_mask:0xf
	v_cndmask_b32_e64 v28, 0, v28, s0
	s_delay_alu instid0(VALU_DEP_1) | instskip(NEXT) | instid1(VALU_DEP_1)
	v_add_nc_u32_e32 v27, v27, v28
	v_mov_b32_dpp v28, v27 row_shr:4 row_mask:0xf bank_mask:0xf
	s_delay_alu instid0(VALU_DEP_1) | instskip(NEXT) | instid1(VALU_DEP_1)
	v_cndmask_b32_e64 v28, 0, v28, s3
	v_add_nc_u32_e32 v27, v27, v28
	s_delay_alu instid0(VALU_DEP_1) | instskip(NEXT) | instid1(VALU_DEP_1)
	v_mov_b32_dpp v28, v27 row_shr:8 row_mask:0xf bank_mask:0xf
	v_cndmask_b32_e64 v28, 0, v28, s1
	s_delay_alu instid0(VALU_DEP_1) | instskip(SKIP_3) | instid1(VALU_DEP_1)
	v_add_nc_u32_e32 v27, v27, v28
	ds_swizzle_b32 v28, v27 offset:swizzle(BROADCAST,32,15)
	s_waitcnt lgkmcnt(0)
	v_cndmask_b32_e64 v28, v28, 0, s5
	v_add_nc_u32_e32 v27, v27, v28
	s_and_saveexec_b32 s6, s4
	s_cbranch_execz .LBB987_66
; %bb.65:
	v_lshlrev_b32_e32 v28, 2, v44
	ds_store_b32 v28, v27
.LBB987_66:
	s_or_b32 exec_lo, exec_lo, s6
	s_delay_alu instid0(SALU_CYCLE_1)
	s_mov_b32 s6, exec_lo
	s_waitcnt lgkmcnt(0)
	s_barrier
	buffer_gl0_inv
	v_cmpx_gt_u32_e32 16, v0
	s_cbranch_execz .LBB987_68
; %bb.67:
	v_lshlrev_b32_e32 v28, 2, v0
	ds_load_b32 v29, v28
	s_waitcnt lgkmcnt(0)
	v_mov_b32_dpp v30, v29 row_shr:1 row_mask:0xf bank_mask:0xf
	s_delay_alu instid0(VALU_DEP_1) | instskip(NEXT) | instid1(VALU_DEP_1)
	v_cndmask_b32_e64 v30, v30, 0, s2
	v_add_nc_u32_e32 v29, v30, v29
	s_delay_alu instid0(VALU_DEP_1) | instskip(NEXT) | instid1(VALU_DEP_1)
	v_mov_b32_dpp v30, v29 row_shr:2 row_mask:0xf bank_mask:0xf
	v_cndmask_b32_e64 v30, 0, v30, s0
	s_delay_alu instid0(VALU_DEP_1) | instskip(NEXT) | instid1(VALU_DEP_1)
	v_add_nc_u32_e32 v29, v29, v30
	v_mov_b32_dpp v30, v29 row_shr:4 row_mask:0xf bank_mask:0xf
	s_delay_alu instid0(VALU_DEP_1) | instskip(NEXT) | instid1(VALU_DEP_1)
	v_cndmask_b32_e64 v30, 0, v30, s3
	v_add_nc_u32_e32 v29, v29, v30
	s_delay_alu instid0(VALU_DEP_1) | instskip(NEXT) | instid1(VALU_DEP_1)
	v_mov_b32_dpp v30, v29 row_shr:8 row_mask:0xf bank_mask:0xf
	v_cndmask_b32_e64 v30, 0, v30, s1
	s_delay_alu instid0(VALU_DEP_1)
	v_add_nc_u32_e32 v29, v29, v30
	ds_store_b32 v28, v29
.LBB987_68:
	s_or_b32 exec_lo, exec_lo, s6
	v_cmp_gt_u32_e32 vcc_lo, 32, v0
	s_mov_b32 s7, exec_lo
	s_waitcnt lgkmcnt(0)
	s_barrier
	buffer_gl0_inv
                                        ; implicit-def: $vgpr46
	v_cmpx_lt_u32_e32 31, v0
	s_cbranch_execz .LBB987_70
; %bb.69:
	v_lshl_add_u32 v28, v44, 2, -4
	ds_load_b32 v46, v28
	s_waitcnt lgkmcnt(0)
	v_add_nc_u32_e32 v27, v46, v27
.LBB987_70:
	s_or_b32 exec_lo, exec_lo, s7
	v_add_nc_u32_e32 v28, -1, v43
	s_delay_alu instid0(VALU_DEP_1) | instskip(NEXT) | instid1(VALU_DEP_1)
	v_cmp_gt_i32_e64 s6, 0, v28
	v_cndmask_b32_e64 v28, v28, v43, s6
	v_cmp_eq_u32_e64 s6, 0, v43
	s_delay_alu instid0(VALU_DEP_2)
	v_lshlrev_b32_e32 v28, 2, v28
	ds_bpermute_b32 v47, v28, v27
	s_and_saveexec_b32 s7, vcc_lo
	s_cbranch_execz .LBB987_88
; %bb.71:
	v_mov_b32_e32 v31, 0
	ds_load_b32 v27, v31 offset:60
	s_and_saveexec_b32 s12, s6
	s_cbranch_execz .LBB987_73
; %bb.72:
	s_add_i32 s18, s15, 32
	s_mov_b32 s19, 0
	v_mov_b32_e32 v28, 1
	s_lshl_b64 s[18:19], s[18:19], 3
	s_delay_alu instid0(SALU_CYCLE_1)
	s_add_u32 s18, s8, s18
	s_addc_u32 s19, s9, s19
	s_waitcnt lgkmcnt(0)
	global_store_b64 v31, v[27:28], s[18:19]
.LBB987_73:
	s_or_b32 exec_lo, exec_lo, s12
	v_xad_u32 v29, v43, -1, s15
	s_mov_b32 s13, 0
	s_mov_b32 s12, exec_lo
	s_delay_alu instid0(VALU_DEP_1) | instskip(NEXT) | instid1(VALU_DEP_1)
	v_add_nc_u32_e32 v30, 32, v29
	v_lshlrev_b64 v[30:31], 3, v[30:31]
	s_delay_alu instid0(VALU_DEP_1) | instskip(NEXT) | instid1(VALU_DEP_2)
	v_add_co_u32 v33, vcc_lo, s8, v30
	v_add_co_ci_u32_e32 v34, vcc_lo, s9, v31, vcc_lo
	global_load_b64 v[31:32], v[33:34], off glc
	s_waitcnt vmcnt(0)
	v_and_b32_e32 v28, 0xff, v32
	s_delay_alu instid0(VALU_DEP_1)
	v_cmpx_eq_u16_e32 0, v28
	s_cbranch_execz .LBB987_76
.LBB987_74:                             ; =>This Inner Loop Header: Depth=1
	global_load_b64 v[31:32], v[33:34], off glc
	s_waitcnt vmcnt(0)
	v_and_b32_e32 v28, 0xff, v32
	s_delay_alu instid0(VALU_DEP_1) | instskip(SKIP_1) | instid1(SALU_CYCLE_1)
	v_cmp_ne_u16_e32 vcc_lo, 0, v28
	s_or_b32 s13, vcc_lo, s13
	s_and_not1_b32 exec_lo, exec_lo, s13
	s_cbranch_execnz .LBB987_74
; %bb.75:
	s_or_b32 exec_lo, exec_lo, s13
.LBB987_76:
	s_delay_alu instid0(SALU_CYCLE_1)
	s_or_b32 exec_lo, exec_lo, s12
	v_cmp_ne_u32_e32 vcc_lo, 31, v43
	v_lshlrev_b32_e64 v49, v43, -1
	v_add_nc_u32_e32 v51, 2, v43
	v_add_nc_u32_e32 v53, 4, v43
	;; [unrolled: 1-line block ×3, first 2 shown]
	v_add_co_ci_u32_e32 v28, vcc_lo, 0, v43, vcc_lo
	v_add_nc_u32_e32 v57, 16, v43
	s_delay_alu instid0(VALU_DEP_2)
	v_lshlrev_b32_e32 v48, 2, v28
	v_and_b32_e32 v28, 0xff, v32
	ds_bpermute_b32 v30, v48, v31
	v_cmp_eq_u16_e32 vcc_lo, 2, v28
	v_and_or_b32 v28, vcc_lo, v49, 0x80000000
	v_cmp_gt_u32_e32 vcc_lo, 30, v43
	s_delay_alu instid0(VALU_DEP_2) | instskip(SKIP_1) | instid1(VALU_DEP_2)
	v_ctz_i32_b32_e32 v28, v28
	v_cndmask_b32_e64 v33, 0, 1, vcc_lo
	v_cmp_lt_u32_e32 vcc_lo, v43, v28
	s_waitcnt lgkmcnt(0)
	s_delay_alu instid0(VALU_DEP_2) | instskip(NEXT) | instid1(VALU_DEP_1)
	v_dual_cndmask_b32 v30, 0, v30 :: v_dual_lshlrev_b32 v33, 1, v33
	v_add_lshl_u32 v50, v33, v43, 2
	v_cmp_gt_u32_e32 vcc_lo, 28, v43
	s_delay_alu instid0(VALU_DEP_3) | instskip(SKIP_4) | instid1(VALU_DEP_1)
	v_add_nc_u32_e32 v30, v30, v31
	v_cndmask_b32_e64 v33, 0, 1, vcc_lo
	v_cmp_le_u32_e32 vcc_lo, v51, v28
	ds_bpermute_b32 v31, v50, v30
	v_lshlrev_b32_e32 v33, 2, v33
	v_add_lshl_u32 v52, v33, v43, 2
	s_waitcnt lgkmcnt(0)
	v_cndmask_b32_e32 v31, 0, v31, vcc_lo
	v_cmp_gt_u32_e32 vcc_lo, 24, v43
	s_delay_alu instid0(VALU_DEP_2) | instskip(SKIP_4) | instid1(VALU_DEP_1)
	v_add_nc_u32_e32 v30, v30, v31
	v_cndmask_b32_e64 v33, 0, 1, vcc_lo
	v_cmp_le_u32_e32 vcc_lo, v53, v28
	ds_bpermute_b32 v31, v52, v30
	v_lshlrev_b32_e32 v33, 3, v33
	v_add_lshl_u32 v54, v33, v43, 2
	s_waitcnt lgkmcnt(0)
	v_cndmask_b32_e32 v31, 0, v31, vcc_lo
	v_cmp_gt_u32_e32 vcc_lo, 16, v43
	s_delay_alu instid0(VALU_DEP_2) | instskip(SKIP_4) | instid1(VALU_DEP_1)
	v_add_nc_u32_e32 v30, v30, v31
	v_cndmask_b32_e64 v33, 0, 1, vcc_lo
	v_cmp_le_u32_e32 vcc_lo, v55, v28
	ds_bpermute_b32 v31, v54, v30
	v_lshlrev_b32_e32 v33, 4, v33
	v_add_lshl_u32 v56, v33, v43, 2
	s_waitcnt lgkmcnt(0)
	v_cndmask_b32_e32 v31, 0, v31, vcc_lo
	v_cmp_le_u32_e32 vcc_lo, v57, v28
	s_delay_alu instid0(VALU_DEP_2) | instskip(SKIP_3) | instid1(VALU_DEP_1)
	v_add_nc_u32_e32 v30, v30, v31
	ds_bpermute_b32 v31, v56, v30
	s_waitcnt lgkmcnt(0)
	v_cndmask_b32_e32 v28, 0, v31, vcc_lo
	v_dual_mov_b32 v30, 0 :: v_dual_add_nc_u32 v31, v30, v28
	s_branch .LBB987_78
.LBB987_77:                             ;   in Loop: Header=BB987_78 Depth=1
	s_or_b32 exec_lo, exec_lo, s12
	ds_bpermute_b32 v34, v48, v31
	v_and_b32_e32 v33, 0xff, v32
	v_subrev_nc_u32_e32 v29, 32, v29
	s_delay_alu instid0(VALU_DEP_2) | instskip(SKIP_1) | instid1(VALU_DEP_1)
	v_cmp_eq_u16_e32 vcc_lo, 2, v33
	v_and_or_b32 v33, vcc_lo, v49, 0x80000000
	v_ctz_i32_b32_e32 v33, v33
	s_delay_alu instid0(VALU_DEP_1) | instskip(SKIP_3) | instid1(VALU_DEP_2)
	v_cmp_lt_u32_e32 vcc_lo, v43, v33
	s_waitcnt lgkmcnt(0)
	v_cndmask_b32_e32 v34, 0, v34, vcc_lo
	v_cmp_le_u32_e32 vcc_lo, v51, v33
	v_add_nc_u32_e32 v31, v34, v31
	ds_bpermute_b32 v34, v50, v31
	s_waitcnt lgkmcnt(0)
	v_cndmask_b32_e32 v34, 0, v34, vcc_lo
	v_cmp_le_u32_e32 vcc_lo, v53, v33
	s_delay_alu instid0(VALU_DEP_2) | instskip(SKIP_4) | instid1(VALU_DEP_2)
	v_add_nc_u32_e32 v31, v31, v34
	ds_bpermute_b32 v34, v52, v31
	s_waitcnt lgkmcnt(0)
	v_cndmask_b32_e32 v34, 0, v34, vcc_lo
	v_cmp_le_u32_e32 vcc_lo, v55, v33
	v_add_nc_u32_e32 v31, v31, v34
	ds_bpermute_b32 v34, v54, v31
	s_waitcnt lgkmcnt(0)
	v_cndmask_b32_e32 v34, 0, v34, vcc_lo
	v_cmp_le_u32_e32 vcc_lo, v57, v33
	s_delay_alu instid0(VALU_DEP_2) | instskip(SKIP_3) | instid1(VALU_DEP_1)
	v_add_nc_u32_e32 v31, v31, v34
	ds_bpermute_b32 v34, v56, v31
	s_waitcnt lgkmcnt(0)
	v_cndmask_b32_e32 v33, 0, v34, vcc_lo
	v_add3_u32 v31, v33, v28, v31
.LBB987_78:                             ; =>This Loop Header: Depth=1
                                        ;     Child Loop BB987_81 Depth 2
	v_and_b32_e32 v28, 0xff, v32
	s_delay_alu instid0(VALU_DEP_1) | instskip(SKIP_2) | instid1(VALU_DEP_1)
	v_cmp_ne_u16_e32 vcc_lo, 2, v28
	v_cndmask_b32_e64 v28, 0, 1, vcc_lo
	;;#ASMSTART
	;;#ASMEND
	v_cmp_ne_u32_e32 vcc_lo, 0, v28
	v_mov_b32_e32 v28, v31
	s_cmp_lg_u32 vcc_lo, exec_lo
	s_cbranch_scc1 .LBB987_83
; %bb.79:                               ;   in Loop: Header=BB987_78 Depth=1
	v_lshlrev_b64 v[31:32], 3, v[29:30]
	s_mov_b32 s12, exec_lo
	s_delay_alu instid0(VALU_DEP_1) | instskip(NEXT) | instid1(VALU_DEP_2)
	v_add_co_u32 v33, vcc_lo, s8, v31
	v_add_co_ci_u32_e32 v34, vcc_lo, s9, v32, vcc_lo
	global_load_b64 v[31:32], v[33:34], off glc
	s_waitcnt vmcnt(0)
	v_and_b32_e32 v58, 0xff, v32
	s_delay_alu instid0(VALU_DEP_1)
	v_cmpx_eq_u16_e32 0, v58
	s_cbranch_execz .LBB987_77
; %bb.80:                               ;   in Loop: Header=BB987_78 Depth=1
	s_mov_b32 s13, 0
.LBB987_81:                             ;   Parent Loop BB987_78 Depth=1
                                        ; =>  This Inner Loop Header: Depth=2
	global_load_b64 v[31:32], v[33:34], off glc
	s_waitcnt vmcnt(0)
	v_and_b32_e32 v58, 0xff, v32
	s_delay_alu instid0(VALU_DEP_1) | instskip(SKIP_1) | instid1(SALU_CYCLE_1)
	v_cmp_ne_u16_e32 vcc_lo, 0, v58
	s_or_b32 s13, vcc_lo, s13
	s_and_not1_b32 exec_lo, exec_lo, s13
	s_cbranch_execnz .LBB987_81
; %bb.82:                               ;   in Loop: Header=BB987_78 Depth=1
	s_or_b32 exec_lo, exec_lo, s13
	s_branch .LBB987_77
.LBB987_83:                             ;   in Loop: Header=BB987_78 Depth=1
                                        ; implicit-def: $vgpr31
                                        ; implicit-def: $vgpr32
	s_cbranch_execz .LBB987_78
; %bb.84:
	s_and_saveexec_b32 s12, s6
	s_cbranch_execz .LBB987_86
; %bb.85:
	s_add_i32 s18, s15, 32
	s_mov_b32 s19, 0
	v_dual_mov_b32 v30, 2 :: v_dual_add_nc_u32 v29, v28, v27
	s_lshl_b64 s[18:19], s[18:19], 3
	v_mov_b32_e32 v31, 0
	s_add_u32 s18, s8, s18
	s_addc_u32 s19, s9, s19
	global_store_b64 v31, v[29:30], s[18:19]
	ds_store_b64 v31, v[27:28] offset:33792
.LBB987_86:
	s_or_b32 exec_lo, exec_lo, s12
	v_cmp_eq_u32_e32 vcc_lo, 0, v0
	s_and_b32 exec_lo, exec_lo, vcc_lo
	s_cbranch_execz .LBB987_88
; %bb.87:
	v_mov_b32_e32 v27, 0
	ds_store_b32 v27, v28 offset:60
.LBB987_88:
	s_or_b32 exec_lo, exec_lo, s7
	v_mov_b32_e32 v27, 0
	s_waitcnt lgkmcnt(0)
	s_waitcnt_vscnt null, 0x0
	s_barrier
	buffer_gl0_inv
	v_cndmask_b32_e64 v29, v47, v46, s6
	ds_load_b32 v28, v27 offset:60
	v_cmp_ne_u32_e32 vcc_lo, 0, v0
	s_waitcnt lgkmcnt(0)
	s_barrier
	buffer_gl0_inv
	v_cndmask_b32_e32 v29, 0, v29, vcc_lo
	s_delay_alu instid0(VALU_DEP_1) | instskip(NEXT) | instid1(VALU_DEP_1)
	v_add_nc_u32_e32 v49, v28, v29
	v_add_nc_u32_e32 v48, v49, v36
	ds_load_b64 v[27:28], v27 offset:33792
	v_add_nc_u32_e32 v47, v48, v37
	s_delay_alu instid0(VALU_DEP_1) | instskip(NEXT) | instid1(VALU_DEP_1)
	v_add_nc_u32_e32 v46, v47, v38
	v_add_nc_u32_e32 v34, v46, v39
	s_delay_alu instid0(VALU_DEP_1) | instskip(NEXT) | instid1(VALU_DEP_1)
	v_add_nc_u32_e32 v33, v34, v40
	v_add_nc_u32_e32 v32, v33, v41
	s_delay_alu instid0(VALU_DEP_1)
	v_add_nc_u32_e32 v31, v32, v42
	v_lshrrev_b64 v[29:30], 24, v[25:26]
	s_branch .LBB987_99
.LBB987_89:
                                        ; implicit-def: $vgpr31
                                        ; implicit-def: $vgpr32
                                        ; implicit-def: $vgpr33
                                        ; implicit-def: $vgpr34
                                        ; implicit-def: $vgpr46
                                        ; implicit-def: $vgpr47
                                        ; implicit-def: $vgpr48
                                        ; implicit-def: $vgpr49
                                        ; implicit-def: $vgpr28
	v_lshrrev_b64 v[29:30], 24, v[25:26]
	s_and_b32 vcc_lo, exec_lo, s6
	s_cbranch_vccz .LBB987_99
; %bb.90:
	s_waitcnt lgkmcnt(0)
	v_mov_b32_dpp v27, v45 row_shr:1 row_mask:0xf bank_mask:0xf
	s_delay_alu instid0(VALU_DEP_1) | instskip(NEXT) | instid1(VALU_DEP_1)
	v_cndmask_b32_e64 v27, v27, 0, s2
	v_add_nc_u32_e32 v27, v27, v45
	s_delay_alu instid0(VALU_DEP_1) | instskip(NEXT) | instid1(VALU_DEP_1)
	v_mov_b32_dpp v28, v27 row_shr:2 row_mask:0xf bank_mask:0xf
	v_cndmask_b32_e64 v28, 0, v28, s0
	s_delay_alu instid0(VALU_DEP_1) | instskip(NEXT) | instid1(VALU_DEP_1)
	v_add_nc_u32_e32 v27, v27, v28
	v_mov_b32_dpp v28, v27 row_shr:4 row_mask:0xf bank_mask:0xf
	s_delay_alu instid0(VALU_DEP_1) | instskip(NEXT) | instid1(VALU_DEP_1)
	v_cndmask_b32_e64 v28, 0, v28, s3
	v_add_nc_u32_e32 v27, v27, v28
	s_delay_alu instid0(VALU_DEP_1) | instskip(NEXT) | instid1(VALU_DEP_1)
	v_mov_b32_dpp v28, v27 row_shr:8 row_mask:0xf bank_mask:0xf
	v_cndmask_b32_e64 v28, 0, v28, s1
	s_delay_alu instid0(VALU_DEP_1) | instskip(SKIP_3) | instid1(VALU_DEP_1)
	v_add_nc_u32_e32 v27, v27, v28
	ds_swizzle_b32 v28, v27 offset:swizzle(BROADCAST,32,15)
	s_waitcnt lgkmcnt(0)
	v_cndmask_b32_e64 v28, v28, 0, s5
	v_add_nc_u32_e32 v27, v27, v28
	s_and_saveexec_b32 s5, s4
	s_cbranch_execz .LBB987_92
; %bb.91:
	v_lshlrev_b32_e32 v28, 2, v44
	ds_store_b32 v28, v27
.LBB987_92:
	s_or_b32 exec_lo, exec_lo, s5
	s_delay_alu instid0(SALU_CYCLE_1)
	s_mov_b32 s4, exec_lo
	s_waitcnt lgkmcnt(0)
	s_barrier
	buffer_gl0_inv
	v_cmpx_gt_u32_e32 16, v0
	s_cbranch_execz .LBB987_94
; %bb.93:
	v_lshlrev_b32_e32 v28, 2, v0
	ds_load_b32 v30, v28
	s_waitcnt lgkmcnt(0)
	v_mov_b32_dpp v31, v30 row_shr:1 row_mask:0xf bank_mask:0xf
	s_delay_alu instid0(VALU_DEP_1) | instskip(NEXT) | instid1(VALU_DEP_1)
	v_cndmask_b32_e64 v31, v31, 0, s2
	v_add_nc_u32_e32 v30, v31, v30
	s_delay_alu instid0(VALU_DEP_1) | instskip(NEXT) | instid1(VALU_DEP_1)
	v_mov_b32_dpp v31, v30 row_shr:2 row_mask:0xf bank_mask:0xf
	v_cndmask_b32_e64 v31, 0, v31, s0
	s_delay_alu instid0(VALU_DEP_1) | instskip(NEXT) | instid1(VALU_DEP_1)
	v_add_nc_u32_e32 v30, v30, v31
	v_mov_b32_dpp v31, v30 row_shr:4 row_mask:0xf bank_mask:0xf
	s_delay_alu instid0(VALU_DEP_1) | instskip(NEXT) | instid1(VALU_DEP_1)
	v_cndmask_b32_e64 v31, 0, v31, s3
	v_add_nc_u32_e32 v30, v30, v31
	s_delay_alu instid0(VALU_DEP_1) | instskip(NEXT) | instid1(VALU_DEP_1)
	v_mov_b32_dpp v31, v30 row_shr:8 row_mask:0xf bank_mask:0xf
	v_cndmask_b32_e64 v31, 0, v31, s1
	s_delay_alu instid0(VALU_DEP_1)
	v_add_nc_u32_e32 v30, v30, v31
	ds_store_b32 v28, v30
.LBB987_94:
	s_or_b32 exec_lo, exec_lo, s4
	v_mov_b32_e32 v28, 0
	v_mov_b32_e32 v30, 0
	s_mov_b32 s0, exec_lo
	s_waitcnt lgkmcnt(0)
	s_barrier
	buffer_gl0_inv
	v_cmpx_lt_u32_e32 31, v0
	s_cbranch_execz .LBB987_96
; %bb.95:
	v_lshl_add_u32 v30, v44, 2, -4
	ds_load_b32 v30, v30
.LBB987_96:
	s_or_b32 exec_lo, exec_lo, s0
	v_add_nc_u32_e32 v31, -1, v43
	s_waitcnt lgkmcnt(0)
	v_add_nc_u32_e32 v27, v30, v27
	s_delay_alu instid0(VALU_DEP_2) | instskip(SKIP_2) | instid1(VALU_DEP_2)
	v_cmp_gt_i32_e32 vcc_lo, 0, v31
	v_cndmask_b32_e32 v31, v31, v43, vcc_lo
	v_cmp_eq_u32_e32 vcc_lo, 0, v0
	v_lshlrev_b32_e32 v31, 2, v31
	ds_bpermute_b32 v31, v31, v27
	ds_load_b32 v27, v28 offset:60
	s_and_saveexec_b32 s0, vcc_lo
	s_cbranch_execz .LBB987_98
; %bb.97:
	v_mov_b32_e32 v32, 0
	v_mov_b32_e32 v28, 2
	s_waitcnt lgkmcnt(0)
	global_store_b64 v32, v[27:28], s[8:9] offset:256
.LBB987_98:
	s_or_b32 exec_lo, exec_lo, s0
	v_cmp_eq_u32_e64 s0, 0, v43
	s_waitcnt lgkmcnt(0)
	s_waitcnt_vscnt null, 0x0
	s_barrier
	buffer_gl0_inv
	v_cndmask_b32_e64 v28, v31, v30, s0
	s_delay_alu instid0(VALU_DEP_1) | instskip(SKIP_1) | instid1(VALU_DEP_2)
	v_cndmask_b32_e64 v49, v28, 0, vcc_lo
	v_mov_b32_e32 v28, 0
	v_add_nc_u32_e32 v48, v49, v36
	s_delay_alu instid0(VALU_DEP_1) | instskip(NEXT) | instid1(VALU_DEP_1)
	v_add_nc_u32_e32 v47, v48, v37
	v_add_nc_u32_e32 v46, v47, v38
	s_delay_alu instid0(VALU_DEP_1) | instskip(NEXT) | instid1(VALU_DEP_1)
	v_add_nc_u32_e32 v34, v46, v39
	;; [unrolled: 3-line block ×3, first 2 shown]
	v_add_nc_u32_e32 v31, v32, v42
.LBB987_99:
	v_lshrrev_b32_e32 v38, 8, v25
	v_lshrrev_b32_e32 v37, 16, v25
	v_and_b32_e32 v25, 1, v25
	s_waitcnt lgkmcnt(0)
	v_cmp_gt_u32_e32 vcc_lo, 0x201, v27
	v_lshrrev_b32_e32 v36, 8, v26
	v_lshrrev_b32_e32 v30, 16, v26
	v_cmp_lt_u32_e64 s0, 0x200, v27
	v_cmp_eq_u32_e64 s1, 1, v25
	s_cbranch_vccnz .LBB987_117
; %bb.100:
	s_delay_alu instid0(VALU_DEP_1)
	s_and_saveexec_b32 s2, s1
	s_cbranch_execz .LBB987_102
; %bb.101:
	v_sub_nc_u32_e32 v39, v49, v28
	s_delay_alu instid0(VALU_DEP_1)
	v_lshlrev_b32_e32 v39, 3, v39
	ds_store_b64 v39, v[13:14]
.LBB987_102:
	s_or_b32 exec_lo, exec_lo, s2
	v_and_b32_e32 v13, 1, v38
	s_mov_b32 s1, exec_lo
	s_delay_alu instid0(VALU_DEP_1)
	v_cmpx_eq_u32_e32 1, v13
	s_cbranch_execz .LBB987_104
; %bb.103:
	v_sub_nc_u32_e32 v13, v48, v28
	s_delay_alu instid0(VALU_DEP_1)
	v_lshlrev_b32_e32 v13, 3, v13
	ds_store_b64 v13, v[15:16]
.LBB987_104:
	s_or_b32 exec_lo, exec_lo, s1
	v_and_b32_e32 v13, 1, v37
	s_mov_b32 s1, exec_lo
	s_delay_alu instid0(VALU_DEP_1)
	v_cmpx_eq_u32_e32 1, v13
	s_cbranch_execz .LBB987_106
; %bb.105:
	v_sub_nc_u32_e32 v13, v47, v28
	s_delay_alu instid0(VALU_DEP_1)
	v_lshlrev_b32_e32 v13, 3, v13
	ds_store_b64 v13, v[9:10]
.LBB987_106:
	s_or_b32 exec_lo, exec_lo, s1
	v_and_b32_e32 v9, 1, v29
	s_mov_b32 s1, exec_lo
	s_delay_alu instid0(VALU_DEP_1)
	v_cmpx_eq_u32_e32 1, v9
	s_cbranch_execz .LBB987_108
; %bb.107:
	v_sub_nc_u32_e32 v9, v46, v28
	s_delay_alu instid0(VALU_DEP_1)
	v_lshlrev_b32_e32 v9, 3, v9
	ds_store_b64 v9, v[11:12]
.LBB987_108:
	s_or_b32 exec_lo, exec_lo, s1
	v_and_b32_e32 v9, 1, v26
	s_mov_b32 s1, exec_lo
	s_delay_alu instid0(VALU_DEP_1)
	v_cmpx_eq_u32_e32 1, v9
	s_cbranch_execz .LBB987_110
; %bb.109:
	v_sub_nc_u32_e32 v9, v34, v28
	s_delay_alu instid0(VALU_DEP_1)
	v_lshlrev_b32_e32 v9, 3, v9
	ds_store_b64 v9, v[5:6]
.LBB987_110:
	s_or_b32 exec_lo, exec_lo, s1
	v_and_b32_e32 v5, 1, v36
	s_mov_b32 s1, exec_lo
	s_delay_alu instid0(VALU_DEP_1)
	v_cmpx_eq_u32_e32 1, v5
	s_cbranch_execz .LBB987_112
; %bb.111:
	v_sub_nc_u32_e32 v5, v33, v28
	s_delay_alu instid0(VALU_DEP_1)
	v_lshlrev_b32_e32 v5, 3, v5
	ds_store_b64 v5, v[7:8]
.LBB987_112:
	s_or_b32 exec_lo, exec_lo, s1
	v_and_b32_e32 v5, 1, v30
	s_mov_b32 s1, exec_lo
	s_delay_alu instid0(VALU_DEP_1)
	v_cmpx_eq_u32_e32 1, v5
	s_cbranch_execz .LBB987_114
; %bb.113:
	v_sub_nc_u32_e32 v5, v32, v28
	s_delay_alu instid0(VALU_DEP_1)
	v_lshlrev_b32_e32 v5, 3, v5
	ds_store_b64 v5, v[1:2]
.LBB987_114:
	s_or_b32 exec_lo, exec_lo, s1
	v_and_b32_e32 v1, 1, v35
	s_mov_b32 s1, exec_lo
	s_delay_alu instid0(VALU_DEP_1)
	v_cmpx_eq_u32_e32 1, v1
	s_cbranch_execz .LBB987_116
; %bb.115:
	v_sub_nc_u32_e32 v1, v31, v28
	s_delay_alu instid0(VALU_DEP_1)
	v_lshlrev_b32_e32 v1, 3, v1
	ds_store_b64 v1, v[3:4]
.LBB987_116:
	s_or_b32 exec_lo, exec_lo, s1
	s_waitcnt lgkmcnt(0)
	s_barrier
	buffer_gl0_inv
.LBB987_117:
	s_delay_alu instid0(VALU_DEP_2)
	s_and_not1_b32 vcc_lo, exec_lo, s0
	s_barrier
	buffer_gl0_inv
	s_cbranch_vccnz .LBB987_136
; %bb.118:
	s_mov_b32 s0, exec_lo
	v_cmpx_eq_u32_e32 1, v25
	s_cbranch_execz .LBB987_120
; %bb.119:
	v_sub_nc_u32_e32 v1, v49, v28
	s_delay_alu instid0(VALU_DEP_1)
	v_lshlrev_b32_e32 v1, 2, v1
	ds_store_b32 v1, v23
.LBB987_120:
	s_or_b32 exec_lo, exec_lo, s0
	v_and_b32_e32 v1, 1, v38
	s_mov_b32 s0, exec_lo
	s_delay_alu instid0(VALU_DEP_1)
	v_cmpx_eq_u32_e32 1, v1
	s_cbranch_execz .LBB987_122
; %bb.121:
	v_sub_nc_u32_e32 v1, v48, v28
	s_delay_alu instid0(VALU_DEP_1)
	v_lshlrev_b32_e32 v1, 2, v1
	ds_store_b32 v1, v24
.LBB987_122:
	s_or_b32 exec_lo, exec_lo, s0
	v_and_b32_e32 v1, 1, v37
	s_mov_b32 s0, exec_lo
	s_delay_alu instid0(VALU_DEP_1)
	;; [unrolled: 12-line block ×7, first 2 shown]
	v_cmpx_eq_u32_e32 1, v1
	s_cbranch_execz .LBB987_134
; %bb.133:
	v_sub_nc_u32_e32 v1, v31, v28
	s_delay_alu instid0(VALU_DEP_1)
	v_lshlrev_b32_e32 v1, 2, v1
	ds_store_b32 v1, v18
.LBB987_134:
	s_or_b32 exec_lo, exec_lo, s0
	s_waitcnt lgkmcnt(0)
	s_barrier
	buffer_gl0_inv
	v_cmp_eq_u32_e32 vcc_lo, 0, v0
	s_and_b32 s0, vcc_lo, s14
	s_delay_alu instid0(SALU_CYCLE_1)
	s_and_saveexec_b32 s1, s0
	s_cbranch_execnz .LBB987_137
.LBB987_135:
	s_endpgm
.LBB987_136:
	v_cmp_eq_u32_e32 vcc_lo, 0, v0
	s_and_b32 s0, vcc_lo, s14
	s_delay_alu instid0(SALU_CYCLE_1)
	s_and_saveexec_b32 s1, s0
	s_cbranch_execz .LBB987_135
.LBB987_137:
	v_add_co_u32 v0, s0, s10, v27
	s_delay_alu instid0(VALU_DEP_1) | instskip(SKIP_1) | instid1(VALU_DEP_3)
	v_add_co_ci_u32_e64 v1, null, s11, 0, s0
	v_mov_b32_e32 v2, 0
	v_add_co_u32 v0, vcc_lo, v0, v28
	s_delay_alu instid0(VALU_DEP_3)
	v_add_co_ci_u32_e32 v1, vcc_lo, 0, v1, vcc_lo
	global_store_b64 v2, v[0:1], s[16:17]
	s_nop 0
	s_sendmsg sendmsg(MSG_DEALLOC_VGPRS)
	s_endpgm
	.section	.rodata,"a",@progbits
	.p2align	6, 0x0
	.amdhsa_kernel _ZN7rocprim17ROCPRIM_400000_NS6detail17trampoline_kernelINS0_14default_configENS1_25partition_config_selectorILNS1_17partition_subalgoE9ExjbEEZZNS1_14partition_implILS5_9ELb0ES3_jN6thrust23THRUST_200600_302600_NS6detail15normal_iteratorINS9_10device_ptrIxEEEENSB_INSC_IjEEEEPNS0_10empty_typeENS0_5tupleIJNS9_16discard_iteratorINS9_11use_defaultEEESH_EEENSJ_IJSM_SI_EEENS0_18inequality_wrapperINS9_8equal_toIxEEEEPmJSH_EEE10hipError_tPvRmT3_T4_T5_T6_T7_T9_mT8_P12ihipStream_tbDpT10_ENKUlT_T0_E_clISt17integral_constantIbLb0EES1D_EEDaS18_S19_EUlS18_E_NS1_11comp_targetILNS1_3genE9ELNS1_11target_archE1100ELNS1_3gpuE3ELNS1_3repE0EEENS1_30default_config_static_selectorELNS0_4arch9wavefront6targetE0EEEvT1_
		.amdhsa_group_segment_fixed_size 33800
		.amdhsa_private_segment_fixed_size 0
		.amdhsa_kernarg_size 128
		.amdhsa_user_sgpr_count 15
		.amdhsa_user_sgpr_dispatch_ptr 0
		.amdhsa_user_sgpr_queue_ptr 0
		.amdhsa_user_sgpr_kernarg_segment_ptr 1
		.amdhsa_user_sgpr_dispatch_id 0
		.amdhsa_user_sgpr_private_segment_size 0
		.amdhsa_wavefront_size32 1
		.amdhsa_uses_dynamic_stack 0
		.amdhsa_enable_private_segment 0
		.amdhsa_system_sgpr_workgroup_id_x 1
		.amdhsa_system_sgpr_workgroup_id_y 0
		.amdhsa_system_sgpr_workgroup_id_z 0
		.amdhsa_system_sgpr_workgroup_info 0
		.amdhsa_system_vgpr_workitem_id 0
		.amdhsa_next_free_vgpr 59
		.amdhsa_next_free_sgpr 24
		.amdhsa_reserve_vcc 1
		.amdhsa_float_round_mode_32 0
		.amdhsa_float_round_mode_16_64 0
		.amdhsa_float_denorm_mode_32 3
		.amdhsa_float_denorm_mode_16_64 3
		.amdhsa_dx10_clamp 1
		.amdhsa_ieee_mode 1
		.amdhsa_fp16_overflow 0
		.amdhsa_workgroup_processor_mode 1
		.amdhsa_memory_ordered 1
		.amdhsa_forward_progress 0
		.amdhsa_shared_vgpr_count 0
		.amdhsa_exception_fp_ieee_invalid_op 0
		.amdhsa_exception_fp_denorm_src 0
		.amdhsa_exception_fp_ieee_div_zero 0
		.amdhsa_exception_fp_ieee_overflow 0
		.amdhsa_exception_fp_ieee_underflow 0
		.amdhsa_exception_fp_ieee_inexact 0
		.amdhsa_exception_int_div_zero 0
	.end_amdhsa_kernel
	.section	.text._ZN7rocprim17ROCPRIM_400000_NS6detail17trampoline_kernelINS0_14default_configENS1_25partition_config_selectorILNS1_17partition_subalgoE9ExjbEEZZNS1_14partition_implILS5_9ELb0ES3_jN6thrust23THRUST_200600_302600_NS6detail15normal_iteratorINS9_10device_ptrIxEEEENSB_INSC_IjEEEEPNS0_10empty_typeENS0_5tupleIJNS9_16discard_iteratorINS9_11use_defaultEEESH_EEENSJ_IJSM_SI_EEENS0_18inequality_wrapperINS9_8equal_toIxEEEEPmJSH_EEE10hipError_tPvRmT3_T4_T5_T6_T7_T9_mT8_P12ihipStream_tbDpT10_ENKUlT_T0_E_clISt17integral_constantIbLb0EES1D_EEDaS18_S19_EUlS18_E_NS1_11comp_targetILNS1_3genE9ELNS1_11target_archE1100ELNS1_3gpuE3ELNS1_3repE0EEENS1_30default_config_static_selectorELNS0_4arch9wavefront6targetE0EEEvT1_,"axG",@progbits,_ZN7rocprim17ROCPRIM_400000_NS6detail17trampoline_kernelINS0_14default_configENS1_25partition_config_selectorILNS1_17partition_subalgoE9ExjbEEZZNS1_14partition_implILS5_9ELb0ES3_jN6thrust23THRUST_200600_302600_NS6detail15normal_iteratorINS9_10device_ptrIxEEEENSB_INSC_IjEEEEPNS0_10empty_typeENS0_5tupleIJNS9_16discard_iteratorINS9_11use_defaultEEESH_EEENSJ_IJSM_SI_EEENS0_18inequality_wrapperINS9_8equal_toIxEEEEPmJSH_EEE10hipError_tPvRmT3_T4_T5_T6_T7_T9_mT8_P12ihipStream_tbDpT10_ENKUlT_T0_E_clISt17integral_constantIbLb0EES1D_EEDaS18_S19_EUlS18_E_NS1_11comp_targetILNS1_3genE9ELNS1_11target_archE1100ELNS1_3gpuE3ELNS1_3repE0EEENS1_30default_config_static_selectorELNS0_4arch9wavefront6targetE0EEEvT1_,comdat
.Lfunc_end987:
	.size	_ZN7rocprim17ROCPRIM_400000_NS6detail17trampoline_kernelINS0_14default_configENS1_25partition_config_selectorILNS1_17partition_subalgoE9ExjbEEZZNS1_14partition_implILS5_9ELb0ES3_jN6thrust23THRUST_200600_302600_NS6detail15normal_iteratorINS9_10device_ptrIxEEEENSB_INSC_IjEEEEPNS0_10empty_typeENS0_5tupleIJNS9_16discard_iteratorINS9_11use_defaultEEESH_EEENSJ_IJSM_SI_EEENS0_18inequality_wrapperINS9_8equal_toIxEEEEPmJSH_EEE10hipError_tPvRmT3_T4_T5_T6_T7_T9_mT8_P12ihipStream_tbDpT10_ENKUlT_T0_E_clISt17integral_constantIbLb0EES1D_EEDaS18_S19_EUlS18_E_NS1_11comp_targetILNS1_3genE9ELNS1_11target_archE1100ELNS1_3gpuE3ELNS1_3repE0EEENS1_30default_config_static_selectorELNS0_4arch9wavefront6targetE0EEEvT1_, .Lfunc_end987-_ZN7rocprim17ROCPRIM_400000_NS6detail17trampoline_kernelINS0_14default_configENS1_25partition_config_selectorILNS1_17partition_subalgoE9ExjbEEZZNS1_14partition_implILS5_9ELb0ES3_jN6thrust23THRUST_200600_302600_NS6detail15normal_iteratorINS9_10device_ptrIxEEEENSB_INSC_IjEEEEPNS0_10empty_typeENS0_5tupleIJNS9_16discard_iteratorINS9_11use_defaultEEESH_EEENSJ_IJSM_SI_EEENS0_18inequality_wrapperINS9_8equal_toIxEEEEPmJSH_EEE10hipError_tPvRmT3_T4_T5_T6_T7_T9_mT8_P12ihipStream_tbDpT10_ENKUlT_T0_E_clISt17integral_constantIbLb0EES1D_EEDaS18_S19_EUlS18_E_NS1_11comp_targetILNS1_3genE9ELNS1_11target_archE1100ELNS1_3gpuE3ELNS1_3repE0EEENS1_30default_config_static_selectorELNS0_4arch9wavefront6targetE0EEEvT1_
                                        ; -- End function
	.section	.AMDGPU.csdata,"",@progbits
; Kernel info:
; codeLenInByte = 7552
; NumSgprs: 26
; NumVgprs: 59
; ScratchSize: 0
; MemoryBound: 0
; FloatMode: 240
; IeeeMode: 1
; LDSByteSize: 33800 bytes/workgroup (compile time only)
; SGPRBlocks: 3
; VGPRBlocks: 7
; NumSGPRsForWavesPerEU: 26
; NumVGPRsForWavesPerEU: 59
; Occupancy: 12
; WaveLimiterHint : 1
; COMPUTE_PGM_RSRC2:SCRATCH_EN: 0
; COMPUTE_PGM_RSRC2:USER_SGPR: 15
; COMPUTE_PGM_RSRC2:TRAP_HANDLER: 0
; COMPUTE_PGM_RSRC2:TGID_X_EN: 1
; COMPUTE_PGM_RSRC2:TGID_Y_EN: 0
; COMPUTE_PGM_RSRC2:TGID_Z_EN: 0
; COMPUTE_PGM_RSRC2:TIDIG_COMP_CNT: 0
	.section	.text._ZN7rocprim17ROCPRIM_400000_NS6detail17trampoline_kernelINS0_14default_configENS1_25partition_config_selectorILNS1_17partition_subalgoE9ExjbEEZZNS1_14partition_implILS5_9ELb0ES3_jN6thrust23THRUST_200600_302600_NS6detail15normal_iteratorINS9_10device_ptrIxEEEENSB_INSC_IjEEEEPNS0_10empty_typeENS0_5tupleIJNS9_16discard_iteratorINS9_11use_defaultEEESH_EEENSJ_IJSM_SI_EEENS0_18inequality_wrapperINS9_8equal_toIxEEEEPmJSH_EEE10hipError_tPvRmT3_T4_T5_T6_T7_T9_mT8_P12ihipStream_tbDpT10_ENKUlT_T0_E_clISt17integral_constantIbLb0EES1D_EEDaS18_S19_EUlS18_E_NS1_11comp_targetILNS1_3genE8ELNS1_11target_archE1030ELNS1_3gpuE2ELNS1_3repE0EEENS1_30default_config_static_selectorELNS0_4arch9wavefront6targetE0EEEvT1_,"axG",@progbits,_ZN7rocprim17ROCPRIM_400000_NS6detail17trampoline_kernelINS0_14default_configENS1_25partition_config_selectorILNS1_17partition_subalgoE9ExjbEEZZNS1_14partition_implILS5_9ELb0ES3_jN6thrust23THRUST_200600_302600_NS6detail15normal_iteratorINS9_10device_ptrIxEEEENSB_INSC_IjEEEEPNS0_10empty_typeENS0_5tupleIJNS9_16discard_iteratorINS9_11use_defaultEEESH_EEENSJ_IJSM_SI_EEENS0_18inequality_wrapperINS9_8equal_toIxEEEEPmJSH_EEE10hipError_tPvRmT3_T4_T5_T6_T7_T9_mT8_P12ihipStream_tbDpT10_ENKUlT_T0_E_clISt17integral_constantIbLb0EES1D_EEDaS18_S19_EUlS18_E_NS1_11comp_targetILNS1_3genE8ELNS1_11target_archE1030ELNS1_3gpuE2ELNS1_3repE0EEENS1_30default_config_static_selectorELNS0_4arch9wavefront6targetE0EEEvT1_,comdat
	.protected	_ZN7rocprim17ROCPRIM_400000_NS6detail17trampoline_kernelINS0_14default_configENS1_25partition_config_selectorILNS1_17partition_subalgoE9ExjbEEZZNS1_14partition_implILS5_9ELb0ES3_jN6thrust23THRUST_200600_302600_NS6detail15normal_iteratorINS9_10device_ptrIxEEEENSB_INSC_IjEEEEPNS0_10empty_typeENS0_5tupleIJNS9_16discard_iteratorINS9_11use_defaultEEESH_EEENSJ_IJSM_SI_EEENS0_18inequality_wrapperINS9_8equal_toIxEEEEPmJSH_EEE10hipError_tPvRmT3_T4_T5_T6_T7_T9_mT8_P12ihipStream_tbDpT10_ENKUlT_T0_E_clISt17integral_constantIbLb0EES1D_EEDaS18_S19_EUlS18_E_NS1_11comp_targetILNS1_3genE8ELNS1_11target_archE1030ELNS1_3gpuE2ELNS1_3repE0EEENS1_30default_config_static_selectorELNS0_4arch9wavefront6targetE0EEEvT1_ ; -- Begin function _ZN7rocprim17ROCPRIM_400000_NS6detail17trampoline_kernelINS0_14default_configENS1_25partition_config_selectorILNS1_17partition_subalgoE9ExjbEEZZNS1_14partition_implILS5_9ELb0ES3_jN6thrust23THRUST_200600_302600_NS6detail15normal_iteratorINS9_10device_ptrIxEEEENSB_INSC_IjEEEEPNS0_10empty_typeENS0_5tupleIJNS9_16discard_iteratorINS9_11use_defaultEEESH_EEENSJ_IJSM_SI_EEENS0_18inequality_wrapperINS9_8equal_toIxEEEEPmJSH_EEE10hipError_tPvRmT3_T4_T5_T6_T7_T9_mT8_P12ihipStream_tbDpT10_ENKUlT_T0_E_clISt17integral_constantIbLb0EES1D_EEDaS18_S19_EUlS18_E_NS1_11comp_targetILNS1_3genE8ELNS1_11target_archE1030ELNS1_3gpuE2ELNS1_3repE0EEENS1_30default_config_static_selectorELNS0_4arch9wavefront6targetE0EEEvT1_
	.globl	_ZN7rocprim17ROCPRIM_400000_NS6detail17trampoline_kernelINS0_14default_configENS1_25partition_config_selectorILNS1_17partition_subalgoE9ExjbEEZZNS1_14partition_implILS5_9ELb0ES3_jN6thrust23THRUST_200600_302600_NS6detail15normal_iteratorINS9_10device_ptrIxEEEENSB_INSC_IjEEEEPNS0_10empty_typeENS0_5tupleIJNS9_16discard_iteratorINS9_11use_defaultEEESH_EEENSJ_IJSM_SI_EEENS0_18inequality_wrapperINS9_8equal_toIxEEEEPmJSH_EEE10hipError_tPvRmT3_T4_T5_T6_T7_T9_mT8_P12ihipStream_tbDpT10_ENKUlT_T0_E_clISt17integral_constantIbLb0EES1D_EEDaS18_S19_EUlS18_E_NS1_11comp_targetILNS1_3genE8ELNS1_11target_archE1030ELNS1_3gpuE2ELNS1_3repE0EEENS1_30default_config_static_selectorELNS0_4arch9wavefront6targetE0EEEvT1_
	.p2align	8
	.type	_ZN7rocprim17ROCPRIM_400000_NS6detail17trampoline_kernelINS0_14default_configENS1_25partition_config_selectorILNS1_17partition_subalgoE9ExjbEEZZNS1_14partition_implILS5_9ELb0ES3_jN6thrust23THRUST_200600_302600_NS6detail15normal_iteratorINS9_10device_ptrIxEEEENSB_INSC_IjEEEEPNS0_10empty_typeENS0_5tupleIJNS9_16discard_iteratorINS9_11use_defaultEEESH_EEENSJ_IJSM_SI_EEENS0_18inequality_wrapperINS9_8equal_toIxEEEEPmJSH_EEE10hipError_tPvRmT3_T4_T5_T6_T7_T9_mT8_P12ihipStream_tbDpT10_ENKUlT_T0_E_clISt17integral_constantIbLb0EES1D_EEDaS18_S19_EUlS18_E_NS1_11comp_targetILNS1_3genE8ELNS1_11target_archE1030ELNS1_3gpuE2ELNS1_3repE0EEENS1_30default_config_static_selectorELNS0_4arch9wavefront6targetE0EEEvT1_,@function
_ZN7rocprim17ROCPRIM_400000_NS6detail17trampoline_kernelINS0_14default_configENS1_25partition_config_selectorILNS1_17partition_subalgoE9ExjbEEZZNS1_14partition_implILS5_9ELb0ES3_jN6thrust23THRUST_200600_302600_NS6detail15normal_iteratorINS9_10device_ptrIxEEEENSB_INSC_IjEEEEPNS0_10empty_typeENS0_5tupleIJNS9_16discard_iteratorINS9_11use_defaultEEESH_EEENSJ_IJSM_SI_EEENS0_18inequality_wrapperINS9_8equal_toIxEEEEPmJSH_EEE10hipError_tPvRmT3_T4_T5_T6_T7_T9_mT8_P12ihipStream_tbDpT10_ENKUlT_T0_E_clISt17integral_constantIbLb0EES1D_EEDaS18_S19_EUlS18_E_NS1_11comp_targetILNS1_3genE8ELNS1_11target_archE1030ELNS1_3gpuE2ELNS1_3repE0EEENS1_30default_config_static_selectorELNS0_4arch9wavefront6targetE0EEEvT1_: ; @_ZN7rocprim17ROCPRIM_400000_NS6detail17trampoline_kernelINS0_14default_configENS1_25partition_config_selectorILNS1_17partition_subalgoE9ExjbEEZZNS1_14partition_implILS5_9ELb0ES3_jN6thrust23THRUST_200600_302600_NS6detail15normal_iteratorINS9_10device_ptrIxEEEENSB_INSC_IjEEEEPNS0_10empty_typeENS0_5tupleIJNS9_16discard_iteratorINS9_11use_defaultEEESH_EEENSJ_IJSM_SI_EEENS0_18inequality_wrapperINS9_8equal_toIxEEEEPmJSH_EEE10hipError_tPvRmT3_T4_T5_T6_T7_T9_mT8_P12ihipStream_tbDpT10_ENKUlT_T0_E_clISt17integral_constantIbLb0EES1D_EEDaS18_S19_EUlS18_E_NS1_11comp_targetILNS1_3genE8ELNS1_11target_archE1030ELNS1_3gpuE2ELNS1_3repE0EEENS1_30default_config_static_selectorELNS0_4arch9wavefront6targetE0EEEvT1_
; %bb.0:
	.section	.rodata,"a",@progbits
	.p2align	6, 0x0
	.amdhsa_kernel _ZN7rocprim17ROCPRIM_400000_NS6detail17trampoline_kernelINS0_14default_configENS1_25partition_config_selectorILNS1_17partition_subalgoE9ExjbEEZZNS1_14partition_implILS5_9ELb0ES3_jN6thrust23THRUST_200600_302600_NS6detail15normal_iteratorINS9_10device_ptrIxEEEENSB_INSC_IjEEEEPNS0_10empty_typeENS0_5tupleIJNS9_16discard_iteratorINS9_11use_defaultEEESH_EEENSJ_IJSM_SI_EEENS0_18inequality_wrapperINS9_8equal_toIxEEEEPmJSH_EEE10hipError_tPvRmT3_T4_T5_T6_T7_T9_mT8_P12ihipStream_tbDpT10_ENKUlT_T0_E_clISt17integral_constantIbLb0EES1D_EEDaS18_S19_EUlS18_E_NS1_11comp_targetILNS1_3genE8ELNS1_11target_archE1030ELNS1_3gpuE2ELNS1_3repE0EEENS1_30default_config_static_selectorELNS0_4arch9wavefront6targetE0EEEvT1_
		.amdhsa_group_segment_fixed_size 0
		.amdhsa_private_segment_fixed_size 0
		.amdhsa_kernarg_size 128
		.amdhsa_user_sgpr_count 15
		.amdhsa_user_sgpr_dispatch_ptr 0
		.amdhsa_user_sgpr_queue_ptr 0
		.amdhsa_user_sgpr_kernarg_segment_ptr 1
		.amdhsa_user_sgpr_dispatch_id 0
		.amdhsa_user_sgpr_private_segment_size 0
		.amdhsa_wavefront_size32 1
		.amdhsa_uses_dynamic_stack 0
		.amdhsa_enable_private_segment 0
		.amdhsa_system_sgpr_workgroup_id_x 1
		.amdhsa_system_sgpr_workgroup_id_y 0
		.amdhsa_system_sgpr_workgroup_id_z 0
		.amdhsa_system_sgpr_workgroup_info 0
		.amdhsa_system_vgpr_workitem_id 0
		.amdhsa_next_free_vgpr 1
		.amdhsa_next_free_sgpr 1
		.amdhsa_reserve_vcc 0
		.amdhsa_float_round_mode_32 0
		.amdhsa_float_round_mode_16_64 0
		.amdhsa_float_denorm_mode_32 3
		.amdhsa_float_denorm_mode_16_64 3
		.amdhsa_dx10_clamp 1
		.amdhsa_ieee_mode 1
		.amdhsa_fp16_overflow 0
		.amdhsa_workgroup_processor_mode 1
		.amdhsa_memory_ordered 1
		.amdhsa_forward_progress 0
		.amdhsa_shared_vgpr_count 0
		.amdhsa_exception_fp_ieee_invalid_op 0
		.amdhsa_exception_fp_denorm_src 0
		.amdhsa_exception_fp_ieee_div_zero 0
		.amdhsa_exception_fp_ieee_overflow 0
		.amdhsa_exception_fp_ieee_underflow 0
		.amdhsa_exception_fp_ieee_inexact 0
		.amdhsa_exception_int_div_zero 0
	.end_amdhsa_kernel
	.section	.text._ZN7rocprim17ROCPRIM_400000_NS6detail17trampoline_kernelINS0_14default_configENS1_25partition_config_selectorILNS1_17partition_subalgoE9ExjbEEZZNS1_14partition_implILS5_9ELb0ES3_jN6thrust23THRUST_200600_302600_NS6detail15normal_iteratorINS9_10device_ptrIxEEEENSB_INSC_IjEEEEPNS0_10empty_typeENS0_5tupleIJNS9_16discard_iteratorINS9_11use_defaultEEESH_EEENSJ_IJSM_SI_EEENS0_18inequality_wrapperINS9_8equal_toIxEEEEPmJSH_EEE10hipError_tPvRmT3_T4_T5_T6_T7_T9_mT8_P12ihipStream_tbDpT10_ENKUlT_T0_E_clISt17integral_constantIbLb0EES1D_EEDaS18_S19_EUlS18_E_NS1_11comp_targetILNS1_3genE8ELNS1_11target_archE1030ELNS1_3gpuE2ELNS1_3repE0EEENS1_30default_config_static_selectorELNS0_4arch9wavefront6targetE0EEEvT1_,"axG",@progbits,_ZN7rocprim17ROCPRIM_400000_NS6detail17trampoline_kernelINS0_14default_configENS1_25partition_config_selectorILNS1_17partition_subalgoE9ExjbEEZZNS1_14partition_implILS5_9ELb0ES3_jN6thrust23THRUST_200600_302600_NS6detail15normal_iteratorINS9_10device_ptrIxEEEENSB_INSC_IjEEEEPNS0_10empty_typeENS0_5tupleIJNS9_16discard_iteratorINS9_11use_defaultEEESH_EEENSJ_IJSM_SI_EEENS0_18inequality_wrapperINS9_8equal_toIxEEEEPmJSH_EEE10hipError_tPvRmT3_T4_T5_T6_T7_T9_mT8_P12ihipStream_tbDpT10_ENKUlT_T0_E_clISt17integral_constantIbLb0EES1D_EEDaS18_S19_EUlS18_E_NS1_11comp_targetILNS1_3genE8ELNS1_11target_archE1030ELNS1_3gpuE2ELNS1_3repE0EEENS1_30default_config_static_selectorELNS0_4arch9wavefront6targetE0EEEvT1_,comdat
.Lfunc_end988:
	.size	_ZN7rocprim17ROCPRIM_400000_NS6detail17trampoline_kernelINS0_14default_configENS1_25partition_config_selectorILNS1_17partition_subalgoE9ExjbEEZZNS1_14partition_implILS5_9ELb0ES3_jN6thrust23THRUST_200600_302600_NS6detail15normal_iteratorINS9_10device_ptrIxEEEENSB_INSC_IjEEEEPNS0_10empty_typeENS0_5tupleIJNS9_16discard_iteratorINS9_11use_defaultEEESH_EEENSJ_IJSM_SI_EEENS0_18inequality_wrapperINS9_8equal_toIxEEEEPmJSH_EEE10hipError_tPvRmT3_T4_T5_T6_T7_T9_mT8_P12ihipStream_tbDpT10_ENKUlT_T0_E_clISt17integral_constantIbLb0EES1D_EEDaS18_S19_EUlS18_E_NS1_11comp_targetILNS1_3genE8ELNS1_11target_archE1030ELNS1_3gpuE2ELNS1_3repE0EEENS1_30default_config_static_selectorELNS0_4arch9wavefront6targetE0EEEvT1_, .Lfunc_end988-_ZN7rocprim17ROCPRIM_400000_NS6detail17trampoline_kernelINS0_14default_configENS1_25partition_config_selectorILNS1_17partition_subalgoE9ExjbEEZZNS1_14partition_implILS5_9ELb0ES3_jN6thrust23THRUST_200600_302600_NS6detail15normal_iteratorINS9_10device_ptrIxEEEENSB_INSC_IjEEEEPNS0_10empty_typeENS0_5tupleIJNS9_16discard_iteratorINS9_11use_defaultEEESH_EEENSJ_IJSM_SI_EEENS0_18inequality_wrapperINS9_8equal_toIxEEEEPmJSH_EEE10hipError_tPvRmT3_T4_T5_T6_T7_T9_mT8_P12ihipStream_tbDpT10_ENKUlT_T0_E_clISt17integral_constantIbLb0EES1D_EEDaS18_S19_EUlS18_E_NS1_11comp_targetILNS1_3genE8ELNS1_11target_archE1030ELNS1_3gpuE2ELNS1_3repE0EEENS1_30default_config_static_selectorELNS0_4arch9wavefront6targetE0EEEvT1_
                                        ; -- End function
	.section	.AMDGPU.csdata,"",@progbits
; Kernel info:
; codeLenInByte = 0
; NumSgprs: 0
; NumVgprs: 0
; ScratchSize: 0
; MemoryBound: 0
; FloatMode: 240
; IeeeMode: 1
; LDSByteSize: 0 bytes/workgroup (compile time only)
; SGPRBlocks: 0
; VGPRBlocks: 0
; NumSGPRsForWavesPerEU: 1
; NumVGPRsForWavesPerEU: 1
; Occupancy: 16
; WaveLimiterHint : 0
; COMPUTE_PGM_RSRC2:SCRATCH_EN: 0
; COMPUTE_PGM_RSRC2:USER_SGPR: 15
; COMPUTE_PGM_RSRC2:TRAP_HANDLER: 0
; COMPUTE_PGM_RSRC2:TGID_X_EN: 1
; COMPUTE_PGM_RSRC2:TGID_Y_EN: 0
; COMPUTE_PGM_RSRC2:TGID_Z_EN: 0
; COMPUTE_PGM_RSRC2:TIDIG_COMP_CNT: 0
	.section	.text._ZN7rocprim17ROCPRIM_400000_NS6detail17trampoline_kernelINS0_14default_configENS1_25partition_config_selectorILNS1_17partition_subalgoE9ExjbEEZZNS1_14partition_implILS5_9ELb0ES3_jN6thrust23THRUST_200600_302600_NS6detail15normal_iteratorINS9_10device_ptrIxEEEENSB_INSC_IjEEEEPNS0_10empty_typeENS0_5tupleIJNS9_16discard_iteratorINS9_11use_defaultEEESH_EEENSJ_IJSM_SI_EEENS0_18inequality_wrapperINS9_8equal_toIxEEEEPmJSH_EEE10hipError_tPvRmT3_T4_T5_T6_T7_T9_mT8_P12ihipStream_tbDpT10_ENKUlT_T0_E_clISt17integral_constantIbLb1EES1D_EEDaS18_S19_EUlS18_E_NS1_11comp_targetILNS1_3genE0ELNS1_11target_archE4294967295ELNS1_3gpuE0ELNS1_3repE0EEENS1_30default_config_static_selectorELNS0_4arch9wavefront6targetE0EEEvT1_,"axG",@progbits,_ZN7rocprim17ROCPRIM_400000_NS6detail17trampoline_kernelINS0_14default_configENS1_25partition_config_selectorILNS1_17partition_subalgoE9ExjbEEZZNS1_14partition_implILS5_9ELb0ES3_jN6thrust23THRUST_200600_302600_NS6detail15normal_iteratorINS9_10device_ptrIxEEEENSB_INSC_IjEEEEPNS0_10empty_typeENS0_5tupleIJNS9_16discard_iteratorINS9_11use_defaultEEESH_EEENSJ_IJSM_SI_EEENS0_18inequality_wrapperINS9_8equal_toIxEEEEPmJSH_EEE10hipError_tPvRmT3_T4_T5_T6_T7_T9_mT8_P12ihipStream_tbDpT10_ENKUlT_T0_E_clISt17integral_constantIbLb1EES1D_EEDaS18_S19_EUlS18_E_NS1_11comp_targetILNS1_3genE0ELNS1_11target_archE4294967295ELNS1_3gpuE0ELNS1_3repE0EEENS1_30default_config_static_selectorELNS0_4arch9wavefront6targetE0EEEvT1_,comdat
	.protected	_ZN7rocprim17ROCPRIM_400000_NS6detail17trampoline_kernelINS0_14default_configENS1_25partition_config_selectorILNS1_17partition_subalgoE9ExjbEEZZNS1_14partition_implILS5_9ELb0ES3_jN6thrust23THRUST_200600_302600_NS6detail15normal_iteratorINS9_10device_ptrIxEEEENSB_INSC_IjEEEEPNS0_10empty_typeENS0_5tupleIJNS9_16discard_iteratorINS9_11use_defaultEEESH_EEENSJ_IJSM_SI_EEENS0_18inequality_wrapperINS9_8equal_toIxEEEEPmJSH_EEE10hipError_tPvRmT3_T4_T5_T6_T7_T9_mT8_P12ihipStream_tbDpT10_ENKUlT_T0_E_clISt17integral_constantIbLb1EES1D_EEDaS18_S19_EUlS18_E_NS1_11comp_targetILNS1_3genE0ELNS1_11target_archE4294967295ELNS1_3gpuE0ELNS1_3repE0EEENS1_30default_config_static_selectorELNS0_4arch9wavefront6targetE0EEEvT1_ ; -- Begin function _ZN7rocprim17ROCPRIM_400000_NS6detail17trampoline_kernelINS0_14default_configENS1_25partition_config_selectorILNS1_17partition_subalgoE9ExjbEEZZNS1_14partition_implILS5_9ELb0ES3_jN6thrust23THRUST_200600_302600_NS6detail15normal_iteratorINS9_10device_ptrIxEEEENSB_INSC_IjEEEEPNS0_10empty_typeENS0_5tupleIJNS9_16discard_iteratorINS9_11use_defaultEEESH_EEENSJ_IJSM_SI_EEENS0_18inequality_wrapperINS9_8equal_toIxEEEEPmJSH_EEE10hipError_tPvRmT3_T4_T5_T6_T7_T9_mT8_P12ihipStream_tbDpT10_ENKUlT_T0_E_clISt17integral_constantIbLb1EES1D_EEDaS18_S19_EUlS18_E_NS1_11comp_targetILNS1_3genE0ELNS1_11target_archE4294967295ELNS1_3gpuE0ELNS1_3repE0EEENS1_30default_config_static_selectorELNS0_4arch9wavefront6targetE0EEEvT1_
	.globl	_ZN7rocprim17ROCPRIM_400000_NS6detail17trampoline_kernelINS0_14default_configENS1_25partition_config_selectorILNS1_17partition_subalgoE9ExjbEEZZNS1_14partition_implILS5_9ELb0ES3_jN6thrust23THRUST_200600_302600_NS6detail15normal_iteratorINS9_10device_ptrIxEEEENSB_INSC_IjEEEEPNS0_10empty_typeENS0_5tupleIJNS9_16discard_iteratorINS9_11use_defaultEEESH_EEENSJ_IJSM_SI_EEENS0_18inequality_wrapperINS9_8equal_toIxEEEEPmJSH_EEE10hipError_tPvRmT3_T4_T5_T6_T7_T9_mT8_P12ihipStream_tbDpT10_ENKUlT_T0_E_clISt17integral_constantIbLb1EES1D_EEDaS18_S19_EUlS18_E_NS1_11comp_targetILNS1_3genE0ELNS1_11target_archE4294967295ELNS1_3gpuE0ELNS1_3repE0EEENS1_30default_config_static_selectorELNS0_4arch9wavefront6targetE0EEEvT1_
	.p2align	8
	.type	_ZN7rocprim17ROCPRIM_400000_NS6detail17trampoline_kernelINS0_14default_configENS1_25partition_config_selectorILNS1_17partition_subalgoE9ExjbEEZZNS1_14partition_implILS5_9ELb0ES3_jN6thrust23THRUST_200600_302600_NS6detail15normal_iteratorINS9_10device_ptrIxEEEENSB_INSC_IjEEEEPNS0_10empty_typeENS0_5tupleIJNS9_16discard_iteratorINS9_11use_defaultEEESH_EEENSJ_IJSM_SI_EEENS0_18inequality_wrapperINS9_8equal_toIxEEEEPmJSH_EEE10hipError_tPvRmT3_T4_T5_T6_T7_T9_mT8_P12ihipStream_tbDpT10_ENKUlT_T0_E_clISt17integral_constantIbLb1EES1D_EEDaS18_S19_EUlS18_E_NS1_11comp_targetILNS1_3genE0ELNS1_11target_archE4294967295ELNS1_3gpuE0ELNS1_3repE0EEENS1_30default_config_static_selectorELNS0_4arch9wavefront6targetE0EEEvT1_,@function
_ZN7rocprim17ROCPRIM_400000_NS6detail17trampoline_kernelINS0_14default_configENS1_25partition_config_selectorILNS1_17partition_subalgoE9ExjbEEZZNS1_14partition_implILS5_9ELb0ES3_jN6thrust23THRUST_200600_302600_NS6detail15normal_iteratorINS9_10device_ptrIxEEEENSB_INSC_IjEEEEPNS0_10empty_typeENS0_5tupleIJNS9_16discard_iteratorINS9_11use_defaultEEESH_EEENSJ_IJSM_SI_EEENS0_18inequality_wrapperINS9_8equal_toIxEEEEPmJSH_EEE10hipError_tPvRmT3_T4_T5_T6_T7_T9_mT8_P12ihipStream_tbDpT10_ENKUlT_T0_E_clISt17integral_constantIbLb1EES1D_EEDaS18_S19_EUlS18_E_NS1_11comp_targetILNS1_3genE0ELNS1_11target_archE4294967295ELNS1_3gpuE0ELNS1_3repE0EEENS1_30default_config_static_selectorELNS0_4arch9wavefront6targetE0EEEvT1_: ; @_ZN7rocprim17ROCPRIM_400000_NS6detail17trampoline_kernelINS0_14default_configENS1_25partition_config_selectorILNS1_17partition_subalgoE9ExjbEEZZNS1_14partition_implILS5_9ELb0ES3_jN6thrust23THRUST_200600_302600_NS6detail15normal_iteratorINS9_10device_ptrIxEEEENSB_INSC_IjEEEEPNS0_10empty_typeENS0_5tupleIJNS9_16discard_iteratorINS9_11use_defaultEEESH_EEENSJ_IJSM_SI_EEENS0_18inequality_wrapperINS9_8equal_toIxEEEEPmJSH_EEE10hipError_tPvRmT3_T4_T5_T6_T7_T9_mT8_P12ihipStream_tbDpT10_ENKUlT_T0_E_clISt17integral_constantIbLb1EES1D_EEDaS18_S19_EUlS18_E_NS1_11comp_targetILNS1_3genE0ELNS1_11target_archE4294967295ELNS1_3gpuE0ELNS1_3repE0EEENS1_30default_config_static_selectorELNS0_4arch9wavefront6targetE0EEEvT1_
; %bb.0:
	.section	.rodata,"a",@progbits
	.p2align	6, 0x0
	.amdhsa_kernel _ZN7rocprim17ROCPRIM_400000_NS6detail17trampoline_kernelINS0_14default_configENS1_25partition_config_selectorILNS1_17partition_subalgoE9ExjbEEZZNS1_14partition_implILS5_9ELb0ES3_jN6thrust23THRUST_200600_302600_NS6detail15normal_iteratorINS9_10device_ptrIxEEEENSB_INSC_IjEEEEPNS0_10empty_typeENS0_5tupleIJNS9_16discard_iteratorINS9_11use_defaultEEESH_EEENSJ_IJSM_SI_EEENS0_18inequality_wrapperINS9_8equal_toIxEEEEPmJSH_EEE10hipError_tPvRmT3_T4_T5_T6_T7_T9_mT8_P12ihipStream_tbDpT10_ENKUlT_T0_E_clISt17integral_constantIbLb1EES1D_EEDaS18_S19_EUlS18_E_NS1_11comp_targetILNS1_3genE0ELNS1_11target_archE4294967295ELNS1_3gpuE0ELNS1_3repE0EEENS1_30default_config_static_selectorELNS0_4arch9wavefront6targetE0EEEvT1_
		.amdhsa_group_segment_fixed_size 0
		.amdhsa_private_segment_fixed_size 0
		.amdhsa_kernarg_size 144
		.amdhsa_user_sgpr_count 15
		.amdhsa_user_sgpr_dispatch_ptr 0
		.amdhsa_user_sgpr_queue_ptr 0
		.amdhsa_user_sgpr_kernarg_segment_ptr 1
		.amdhsa_user_sgpr_dispatch_id 0
		.amdhsa_user_sgpr_private_segment_size 0
		.amdhsa_wavefront_size32 1
		.amdhsa_uses_dynamic_stack 0
		.amdhsa_enable_private_segment 0
		.amdhsa_system_sgpr_workgroup_id_x 1
		.amdhsa_system_sgpr_workgroup_id_y 0
		.amdhsa_system_sgpr_workgroup_id_z 0
		.amdhsa_system_sgpr_workgroup_info 0
		.amdhsa_system_vgpr_workitem_id 0
		.amdhsa_next_free_vgpr 1
		.amdhsa_next_free_sgpr 1
		.amdhsa_reserve_vcc 0
		.amdhsa_float_round_mode_32 0
		.amdhsa_float_round_mode_16_64 0
		.amdhsa_float_denorm_mode_32 3
		.amdhsa_float_denorm_mode_16_64 3
		.amdhsa_dx10_clamp 1
		.amdhsa_ieee_mode 1
		.amdhsa_fp16_overflow 0
		.amdhsa_workgroup_processor_mode 1
		.amdhsa_memory_ordered 1
		.amdhsa_forward_progress 0
		.amdhsa_shared_vgpr_count 0
		.amdhsa_exception_fp_ieee_invalid_op 0
		.amdhsa_exception_fp_denorm_src 0
		.amdhsa_exception_fp_ieee_div_zero 0
		.amdhsa_exception_fp_ieee_overflow 0
		.amdhsa_exception_fp_ieee_underflow 0
		.amdhsa_exception_fp_ieee_inexact 0
		.amdhsa_exception_int_div_zero 0
	.end_amdhsa_kernel
	.section	.text._ZN7rocprim17ROCPRIM_400000_NS6detail17trampoline_kernelINS0_14default_configENS1_25partition_config_selectorILNS1_17partition_subalgoE9ExjbEEZZNS1_14partition_implILS5_9ELb0ES3_jN6thrust23THRUST_200600_302600_NS6detail15normal_iteratorINS9_10device_ptrIxEEEENSB_INSC_IjEEEEPNS0_10empty_typeENS0_5tupleIJNS9_16discard_iteratorINS9_11use_defaultEEESH_EEENSJ_IJSM_SI_EEENS0_18inequality_wrapperINS9_8equal_toIxEEEEPmJSH_EEE10hipError_tPvRmT3_T4_T5_T6_T7_T9_mT8_P12ihipStream_tbDpT10_ENKUlT_T0_E_clISt17integral_constantIbLb1EES1D_EEDaS18_S19_EUlS18_E_NS1_11comp_targetILNS1_3genE0ELNS1_11target_archE4294967295ELNS1_3gpuE0ELNS1_3repE0EEENS1_30default_config_static_selectorELNS0_4arch9wavefront6targetE0EEEvT1_,"axG",@progbits,_ZN7rocprim17ROCPRIM_400000_NS6detail17trampoline_kernelINS0_14default_configENS1_25partition_config_selectorILNS1_17partition_subalgoE9ExjbEEZZNS1_14partition_implILS5_9ELb0ES3_jN6thrust23THRUST_200600_302600_NS6detail15normal_iteratorINS9_10device_ptrIxEEEENSB_INSC_IjEEEEPNS0_10empty_typeENS0_5tupleIJNS9_16discard_iteratorINS9_11use_defaultEEESH_EEENSJ_IJSM_SI_EEENS0_18inequality_wrapperINS9_8equal_toIxEEEEPmJSH_EEE10hipError_tPvRmT3_T4_T5_T6_T7_T9_mT8_P12ihipStream_tbDpT10_ENKUlT_T0_E_clISt17integral_constantIbLb1EES1D_EEDaS18_S19_EUlS18_E_NS1_11comp_targetILNS1_3genE0ELNS1_11target_archE4294967295ELNS1_3gpuE0ELNS1_3repE0EEENS1_30default_config_static_selectorELNS0_4arch9wavefront6targetE0EEEvT1_,comdat
.Lfunc_end989:
	.size	_ZN7rocprim17ROCPRIM_400000_NS6detail17trampoline_kernelINS0_14default_configENS1_25partition_config_selectorILNS1_17partition_subalgoE9ExjbEEZZNS1_14partition_implILS5_9ELb0ES3_jN6thrust23THRUST_200600_302600_NS6detail15normal_iteratorINS9_10device_ptrIxEEEENSB_INSC_IjEEEEPNS0_10empty_typeENS0_5tupleIJNS9_16discard_iteratorINS9_11use_defaultEEESH_EEENSJ_IJSM_SI_EEENS0_18inequality_wrapperINS9_8equal_toIxEEEEPmJSH_EEE10hipError_tPvRmT3_T4_T5_T6_T7_T9_mT8_P12ihipStream_tbDpT10_ENKUlT_T0_E_clISt17integral_constantIbLb1EES1D_EEDaS18_S19_EUlS18_E_NS1_11comp_targetILNS1_3genE0ELNS1_11target_archE4294967295ELNS1_3gpuE0ELNS1_3repE0EEENS1_30default_config_static_selectorELNS0_4arch9wavefront6targetE0EEEvT1_, .Lfunc_end989-_ZN7rocprim17ROCPRIM_400000_NS6detail17trampoline_kernelINS0_14default_configENS1_25partition_config_selectorILNS1_17partition_subalgoE9ExjbEEZZNS1_14partition_implILS5_9ELb0ES3_jN6thrust23THRUST_200600_302600_NS6detail15normal_iteratorINS9_10device_ptrIxEEEENSB_INSC_IjEEEEPNS0_10empty_typeENS0_5tupleIJNS9_16discard_iteratorINS9_11use_defaultEEESH_EEENSJ_IJSM_SI_EEENS0_18inequality_wrapperINS9_8equal_toIxEEEEPmJSH_EEE10hipError_tPvRmT3_T4_T5_T6_T7_T9_mT8_P12ihipStream_tbDpT10_ENKUlT_T0_E_clISt17integral_constantIbLb1EES1D_EEDaS18_S19_EUlS18_E_NS1_11comp_targetILNS1_3genE0ELNS1_11target_archE4294967295ELNS1_3gpuE0ELNS1_3repE0EEENS1_30default_config_static_selectorELNS0_4arch9wavefront6targetE0EEEvT1_
                                        ; -- End function
	.section	.AMDGPU.csdata,"",@progbits
; Kernel info:
; codeLenInByte = 0
; NumSgprs: 0
; NumVgprs: 0
; ScratchSize: 0
; MemoryBound: 0
; FloatMode: 240
; IeeeMode: 1
; LDSByteSize: 0 bytes/workgroup (compile time only)
; SGPRBlocks: 0
; VGPRBlocks: 0
; NumSGPRsForWavesPerEU: 1
; NumVGPRsForWavesPerEU: 1
; Occupancy: 16
; WaveLimiterHint : 0
; COMPUTE_PGM_RSRC2:SCRATCH_EN: 0
; COMPUTE_PGM_RSRC2:USER_SGPR: 15
; COMPUTE_PGM_RSRC2:TRAP_HANDLER: 0
; COMPUTE_PGM_RSRC2:TGID_X_EN: 1
; COMPUTE_PGM_RSRC2:TGID_Y_EN: 0
; COMPUTE_PGM_RSRC2:TGID_Z_EN: 0
; COMPUTE_PGM_RSRC2:TIDIG_COMP_CNT: 0
	.section	.text._ZN7rocprim17ROCPRIM_400000_NS6detail17trampoline_kernelINS0_14default_configENS1_25partition_config_selectorILNS1_17partition_subalgoE9ExjbEEZZNS1_14partition_implILS5_9ELb0ES3_jN6thrust23THRUST_200600_302600_NS6detail15normal_iteratorINS9_10device_ptrIxEEEENSB_INSC_IjEEEEPNS0_10empty_typeENS0_5tupleIJNS9_16discard_iteratorINS9_11use_defaultEEESH_EEENSJ_IJSM_SI_EEENS0_18inequality_wrapperINS9_8equal_toIxEEEEPmJSH_EEE10hipError_tPvRmT3_T4_T5_T6_T7_T9_mT8_P12ihipStream_tbDpT10_ENKUlT_T0_E_clISt17integral_constantIbLb1EES1D_EEDaS18_S19_EUlS18_E_NS1_11comp_targetILNS1_3genE5ELNS1_11target_archE942ELNS1_3gpuE9ELNS1_3repE0EEENS1_30default_config_static_selectorELNS0_4arch9wavefront6targetE0EEEvT1_,"axG",@progbits,_ZN7rocprim17ROCPRIM_400000_NS6detail17trampoline_kernelINS0_14default_configENS1_25partition_config_selectorILNS1_17partition_subalgoE9ExjbEEZZNS1_14partition_implILS5_9ELb0ES3_jN6thrust23THRUST_200600_302600_NS6detail15normal_iteratorINS9_10device_ptrIxEEEENSB_INSC_IjEEEEPNS0_10empty_typeENS0_5tupleIJNS9_16discard_iteratorINS9_11use_defaultEEESH_EEENSJ_IJSM_SI_EEENS0_18inequality_wrapperINS9_8equal_toIxEEEEPmJSH_EEE10hipError_tPvRmT3_T4_T5_T6_T7_T9_mT8_P12ihipStream_tbDpT10_ENKUlT_T0_E_clISt17integral_constantIbLb1EES1D_EEDaS18_S19_EUlS18_E_NS1_11comp_targetILNS1_3genE5ELNS1_11target_archE942ELNS1_3gpuE9ELNS1_3repE0EEENS1_30default_config_static_selectorELNS0_4arch9wavefront6targetE0EEEvT1_,comdat
	.protected	_ZN7rocprim17ROCPRIM_400000_NS6detail17trampoline_kernelINS0_14default_configENS1_25partition_config_selectorILNS1_17partition_subalgoE9ExjbEEZZNS1_14partition_implILS5_9ELb0ES3_jN6thrust23THRUST_200600_302600_NS6detail15normal_iteratorINS9_10device_ptrIxEEEENSB_INSC_IjEEEEPNS0_10empty_typeENS0_5tupleIJNS9_16discard_iteratorINS9_11use_defaultEEESH_EEENSJ_IJSM_SI_EEENS0_18inequality_wrapperINS9_8equal_toIxEEEEPmJSH_EEE10hipError_tPvRmT3_T4_T5_T6_T7_T9_mT8_P12ihipStream_tbDpT10_ENKUlT_T0_E_clISt17integral_constantIbLb1EES1D_EEDaS18_S19_EUlS18_E_NS1_11comp_targetILNS1_3genE5ELNS1_11target_archE942ELNS1_3gpuE9ELNS1_3repE0EEENS1_30default_config_static_selectorELNS0_4arch9wavefront6targetE0EEEvT1_ ; -- Begin function _ZN7rocprim17ROCPRIM_400000_NS6detail17trampoline_kernelINS0_14default_configENS1_25partition_config_selectorILNS1_17partition_subalgoE9ExjbEEZZNS1_14partition_implILS5_9ELb0ES3_jN6thrust23THRUST_200600_302600_NS6detail15normal_iteratorINS9_10device_ptrIxEEEENSB_INSC_IjEEEEPNS0_10empty_typeENS0_5tupleIJNS9_16discard_iteratorINS9_11use_defaultEEESH_EEENSJ_IJSM_SI_EEENS0_18inequality_wrapperINS9_8equal_toIxEEEEPmJSH_EEE10hipError_tPvRmT3_T4_T5_T6_T7_T9_mT8_P12ihipStream_tbDpT10_ENKUlT_T0_E_clISt17integral_constantIbLb1EES1D_EEDaS18_S19_EUlS18_E_NS1_11comp_targetILNS1_3genE5ELNS1_11target_archE942ELNS1_3gpuE9ELNS1_3repE0EEENS1_30default_config_static_selectorELNS0_4arch9wavefront6targetE0EEEvT1_
	.globl	_ZN7rocprim17ROCPRIM_400000_NS6detail17trampoline_kernelINS0_14default_configENS1_25partition_config_selectorILNS1_17partition_subalgoE9ExjbEEZZNS1_14partition_implILS5_9ELb0ES3_jN6thrust23THRUST_200600_302600_NS6detail15normal_iteratorINS9_10device_ptrIxEEEENSB_INSC_IjEEEEPNS0_10empty_typeENS0_5tupleIJNS9_16discard_iteratorINS9_11use_defaultEEESH_EEENSJ_IJSM_SI_EEENS0_18inequality_wrapperINS9_8equal_toIxEEEEPmJSH_EEE10hipError_tPvRmT3_T4_T5_T6_T7_T9_mT8_P12ihipStream_tbDpT10_ENKUlT_T0_E_clISt17integral_constantIbLb1EES1D_EEDaS18_S19_EUlS18_E_NS1_11comp_targetILNS1_3genE5ELNS1_11target_archE942ELNS1_3gpuE9ELNS1_3repE0EEENS1_30default_config_static_selectorELNS0_4arch9wavefront6targetE0EEEvT1_
	.p2align	8
	.type	_ZN7rocprim17ROCPRIM_400000_NS6detail17trampoline_kernelINS0_14default_configENS1_25partition_config_selectorILNS1_17partition_subalgoE9ExjbEEZZNS1_14partition_implILS5_9ELb0ES3_jN6thrust23THRUST_200600_302600_NS6detail15normal_iteratorINS9_10device_ptrIxEEEENSB_INSC_IjEEEEPNS0_10empty_typeENS0_5tupleIJNS9_16discard_iteratorINS9_11use_defaultEEESH_EEENSJ_IJSM_SI_EEENS0_18inequality_wrapperINS9_8equal_toIxEEEEPmJSH_EEE10hipError_tPvRmT3_T4_T5_T6_T7_T9_mT8_P12ihipStream_tbDpT10_ENKUlT_T0_E_clISt17integral_constantIbLb1EES1D_EEDaS18_S19_EUlS18_E_NS1_11comp_targetILNS1_3genE5ELNS1_11target_archE942ELNS1_3gpuE9ELNS1_3repE0EEENS1_30default_config_static_selectorELNS0_4arch9wavefront6targetE0EEEvT1_,@function
_ZN7rocprim17ROCPRIM_400000_NS6detail17trampoline_kernelINS0_14default_configENS1_25partition_config_selectorILNS1_17partition_subalgoE9ExjbEEZZNS1_14partition_implILS5_9ELb0ES3_jN6thrust23THRUST_200600_302600_NS6detail15normal_iteratorINS9_10device_ptrIxEEEENSB_INSC_IjEEEEPNS0_10empty_typeENS0_5tupleIJNS9_16discard_iteratorINS9_11use_defaultEEESH_EEENSJ_IJSM_SI_EEENS0_18inequality_wrapperINS9_8equal_toIxEEEEPmJSH_EEE10hipError_tPvRmT3_T4_T5_T6_T7_T9_mT8_P12ihipStream_tbDpT10_ENKUlT_T0_E_clISt17integral_constantIbLb1EES1D_EEDaS18_S19_EUlS18_E_NS1_11comp_targetILNS1_3genE5ELNS1_11target_archE942ELNS1_3gpuE9ELNS1_3repE0EEENS1_30default_config_static_selectorELNS0_4arch9wavefront6targetE0EEEvT1_: ; @_ZN7rocprim17ROCPRIM_400000_NS6detail17trampoline_kernelINS0_14default_configENS1_25partition_config_selectorILNS1_17partition_subalgoE9ExjbEEZZNS1_14partition_implILS5_9ELb0ES3_jN6thrust23THRUST_200600_302600_NS6detail15normal_iteratorINS9_10device_ptrIxEEEENSB_INSC_IjEEEEPNS0_10empty_typeENS0_5tupleIJNS9_16discard_iteratorINS9_11use_defaultEEESH_EEENSJ_IJSM_SI_EEENS0_18inequality_wrapperINS9_8equal_toIxEEEEPmJSH_EEE10hipError_tPvRmT3_T4_T5_T6_T7_T9_mT8_P12ihipStream_tbDpT10_ENKUlT_T0_E_clISt17integral_constantIbLb1EES1D_EEDaS18_S19_EUlS18_E_NS1_11comp_targetILNS1_3genE5ELNS1_11target_archE942ELNS1_3gpuE9ELNS1_3repE0EEENS1_30default_config_static_selectorELNS0_4arch9wavefront6targetE0EEEvT1_
; %bb.0:
	.section	.rodata,"a",@progbits
	.p2align	6, 0x0
	.amdhsa_kernel _ZN7rocprim17ROCPRIM_400000_NS6detail17trampoline_kernelINS0_14default_configENS1_25partition_config_selectorILNS1_17partition_subalgoE9ExjbEEZZNS1_14partition_implILS5_9ELb0ES3_jN6thrust23THRUST_200600_302600_NS6detail15normal_iteratorINS9_10device_ptrIxEEEENSB_INSC_IjEEEEPNS0_10empty_typeENS0_5tupleIJNS9_16discard_iteratorINS9_11use_defaultEEESH_EEENSJ_IJSM_SI_EEENS0_18inequality_wrapperINS9_8equal_toIxEEEEPmJSH_EEE10hipError_tPvRmT3_T4_T5_T6_T7_T9_mT8_P12ihipStream_tbDpT10_ENKUlT_T0_E_clISt17integral_constantIbLb1EES1D_EEDaS18_S19_EUlS18_E_NS1_11comp_targetILNS1_3genE5ELNS1_11target_archE942ELNS1_3gpuE9ELNS1_3repE0EEENS1_30default_config_static_selectorELNS0_4arch9wavefront6targetE0EEEvT1_
		.amdhsa_group_segment_fixed_size 0
		.amdhsa_private_segment_fixed_size 0
		.amdhsa_kernarg_size 144
		.amdhsa_user_sgpr_count 15
		.amdhsa_user_sgpr_dispatch_ptr 0
		.amdhsa_user_sgpr_queue_ptr 0
		.amdhsa_user_sgpr_kernarg_segment_ptr 1
		.amdhsa_user_sgpr_dispatch_id 0
		.amdhsa_user_sgpr_private_segment_size 0
		.amdhsa_wavefront_size32 1
		.amdhsa_uses_dynamic_stack 0
		.amdhsa_enable_private_segment 0
		.amdhsa_system_sgpr_workgroup_id_x 1
		.amdhsa_system_sgpr_workgroup_id_y 0
		.amdhsa_system_sgpr_workgroup_id_z 0
		.amdhsa_system_sgpr_workgroup_info 0
		.amdhsa_system_vgpr_workitem_id 0
		.amdhsa_next_free_vgpr 1
		.amdhsa_next_free_sgpr 1
		.amdhsa_reserve_vcc 0
		.amdhsa_float_round_mode_32 0
		.amdhsa_float_round_mode_16_64 0
		.amdhsa_float_denorm_mode_32 3
		.amdhsa_float_denorm_mode_16_64 3
		.amdhsa_dx10_clamp 1
		.amdhsa_ieee_mode 1
		.amdhsa_fp16_overflow 0
		.amdhsa_workgroup_processor_mode 1
		.amdhsa_memory_ordered 1
		.amdhsa_forward_progress 0
		.amdhsa_shared_vgpr_count 0
		.amdhsa_exception_fp_ieee_invalid_op 0
		.amdhsa_exception_fp_denorm_src 0
		.amdhsa_exception_fp_ieee_div_zero 0
		.amdhsa_exception_fp_ieee_overflow 0
		.amdhsa_exception_fp_ieee_underflow 0
		.amdhsa_exception_fp_ieee_inexact 0
		.amdhsa_exception_int_div_zero 0
	.end_amdhsa_kernel
	.section	.text._ZN7rocprim17ROCPRIM_400000_NS6detail17trampoline_kernelINS0_14default_configENS1_25partition_config_selectorILNS1_17partition_subalgoE9ExjbEEZZNS1_14partition_implILS5_9ELb0ES3_jN6thrust23THRUST_200600_302600_NS6detail15normal_iteratorINS9_10device_ptrIxEEEENSB_INSC_IjEEEEPNS0_10empty_typeENS0_5tupleIJNS9_16discard_iteratorINS9_11use_defaultEEESH_EEENSJ_IJSM_SI_EEENS0_18inequality_wrapperINS9_8equal_toIxEEEEPmJSH_EEE10hipError_tPvRmT3_T4_T5_T6_T7_T9_mT8_P12ihipStream_tbDpT10_ENKUlT_T0_E_clISt17integral_constantIbLb1EES1D_EEDaS18_S19_EUlS18_E_NS1_11comp_targetILNS1_3genE5ELNS1_11target_archE942ELNS1_3gpuE9ELNS1_3repE0EEENS1_30default_config_static_selectorELNS0_4arch9wavefront6targetE0EEEvT1_,"axG",@progbits,_ZN7rocprim17ROCPRIM_400000_NS6detail17trampoline_kernelINS0_14default_configENS1_25partition_config_selectorILNS1_17partition_subalgoE9ExjbEEZZNS1_14partition_implILS5_9ELb0ES3_jN6thrust23THRUST_200600_302600_NS6detail15normal_iteratorINS9_10device_ptrIxEEEENSB_INSC_IjEEEEPNS0_10empty_typeENS0_5tupleIJNS9_16discard_iteratorINS9_11use_defaultEEESH_EEENSJ_IJSM_SI_EEENS0_18inequality_wrapperINS9_8equal_toIxEEEEPmJSH_EEE10hipError_tPvRmT3_T4_T5_T6_T7_T9_mT8_P12ihipStream_tbDpT10_ENKUlT_T0_E_clISt17integral_constantIbLb1EES1D_EEDaS18_S19_EUlS18_E_NS1_11comp_targetILNS1_3genE5ELNS1_11target_archE942ELNS1_3gpuE9ELNS1_3repE0EEENS1_30default_config_static_selectorELNS0_4arch9wavefront6targetE0EEEvT1_,comdat
.Lfunc_end990:
	.size	_ZN7rocprim17ROCPRIM_400000_NS6detail17trampoline_kernelINS0_14default_configENS1_25partition_config_selectorILNS1_17partition_subalgoE9ExjbEEZZNS1_14partition_implILS5_9ELb0ES3_jN6thrust23THRUST_200600_302600_NS6detail15normal_iteratorINS9_10device_ptrIxEEEENSB_INSC_IjEEEEPNS0_10empty_typeENS0_5tupleIJNS9_16discard_iteratorINS9_11use_defaultEEESH_EEENSJ_IJSM_SI_EEENS0_18inequality_wrapperINS9_8equal_toIxEEEEPmJSH_EEE10hipError_tPvRmT3_T4_T5_T6_T7_T9_mT8_P12ihipStream_tbDpT10_ENKUlT_T0_E_clISt17integral_constantIbLb1EES1D_EEDaS18_S19_EUlS18_E_NS1_11comp_targetILNS1_3genE5ELNS1_11target_archE942ELNS1_3gpuE9ELNS1_3repE0EEENS1_30default_config_static_selectorELNS0_4arch9wavefront6targetE0EEEvT1_, .Lfunc_end990-_ZN7rocprim17ROCPRIM_400000_NS6detail17trampoline_kernelINS0_14default_configENS1_25partition_config_selectorILNS1_17partition_subalgoE9ExjbEEZZNS1_14partition_implILS5_9ELb0ES3_jN6thrust23THRUST_200600_302600_NS6detail15normal_iteratorINS9_10device_ptrIxEEEENSB_INSC_IjEEEEPNS0_10empty_typeENS0_5tupleIJNS9_16discard_iteratorINS9_11use_defaultEEESH_EEENSJ_IJSM_SI_EEENS0_18inequality_wrapperINS9_8equal_toIxEEEEPmJSH_EEE10hipError_tPvRmT3_T4_T5_T6_T7_T9_mT8_P12ihipStream_tbDpT10_ENKUlT_T0_E_clISt17integral_constantIbLb1EES1D_EEDaS18_S19_EUlS18_E_NS1_11comp_targetILNS1_3genE5ELNS1_11target_archE942ELNS1_3gpuE9ELNS1_3repE0EEENS1_30default_config_static_selectorELNS0_4arch9wavefront6targetE0EEEvT1_
                                        ; -- End function
	.section	.AMDGPU.csdata,"",@progbits
; Kernel info:
; codeLenInByte = 0
; NumSgprs: 0
; NumVgprs: 0
; ScratchSize: 0
; MemoryBound: 0
; FloatMode: 240
; IeeeMode: 1
; LDSByteSize: 0 bytes/workgroup (compile time only)
; SGPRBlocks: 0
; VGPRBlocks: 0
; NumSGPRsForWavesPerEU: 1
; NumVGPRsForWavesPerEU: 1
; Occupancy: 16
; WaveLimiterHint : 0
; COMPUTE_PGM_RSRC2:SCRATCH_EN: 0
; COMPUTE_PGM_RSRC2:USER_SGPR: 15
; COMPUTE_PGM_RSRC2:TRAP_HANDLER: 0
; COMPUTE_PGM_RSRC2:TGID_X_EN: 1
; COMPUTE_PGM_RSRC2:TGID_Y_EN: 0
; COMPUTE_PGM_RSRC2:TGID_Z_EN: 0
; COMPUTE_PGM_RSRC2:TIDIG_COMP_CNT: 0
	.section	.text._ZN7rocprim17ROCPRIM_400000_NS6detail17trampoline_kernelINS0_14default_configENS1_25partition_config_selectorILNS1_17partition_subalgoE9ExjbEEZZNS1_14partition_implILS5_9ELb0ES3_jN6thrust23THRUST_200600_302600_NS6detail15normal_iteratorINS9_10device_ptrIxEEEENSB_INSC_IjEEEEPNS0_10empty_typeENS0_5tupleIJNS9_16discard_iteratorINS9_11use_defaultEEESH_EEENSJ_IJSM_SI_EEENS0_18inequality_wrapperINS9_8equal_toIxEEEEPmJSH_EEE10hipError_tPvRmT3_T4_T5_T6_T7_T9_mT8_P12ihipStream_tbDpT10_ENKUlT_T0_E_clISt17integral_constantIbLb1EES1D_EEDaS18_S19_EUlS18_E_NS1_11comp_targetILNS1_3genE4ELNS1_11target_archE910ELNS1_3gpuE8ELNS1_3repE0EEENS1_30default_config_static_selectorELNS0_4arch9wavefront6targetE0EEEvT1_,"axG",@progbits,_ZN7rocprim17ROCPRIM_400000_NS6detail17trampoline_kernelINS0_14default_configENS1_25partition_config_selectorILNS1_17partition_subalgoE9ExjbEEZZNS1_14partition_implILS5_9ELb0ES3_jN6thrust23THRUST_200600_302600_NS6detail15normal_iteratorINS9_10device_ptrIxEEEENSB_INSC_IjEEEEPNS0_10empty_typeENS0_5tupleIJNS9_16discard_iteratorINS9_11use_defaultEEESH_EEENSJ_IJSM_SI_EEENS0_18inequality_wrapperINS9_8equal_toIxEEEEPmJSH_EEE10hipError_tPvRmT3_T4_T5_T6_T7_T9_mT8_P12ihipStream_tbDpT10_ENKUlT_T0_E_clISt17integral_constantIbLb1EES1D_EEDaS18_S19_EUlS18_E_NS1_11comp_targetILNS1_3genE4ELNS1_11target_archE910ELNS1_3gpuE8ELNS1_3repE0EEENS1_30default_config_static_selectorELNS0_4arch9wavefront6targetE0EEEvT1_,comdat
	.protected	_ZN7rocprim17ROCPRIM_400000_NS6detail17trampoline_kernelINS0_14default_configENS1_25partition_config_selectorILNS1_17partition_subalgoE9ExjbEEZZNS1_14partition_implILS5_9ELb0ES3_jN6thrust23THRUST_200600_302600_NS6detail15normal_iteratorINS9_10device_ptrIxEEEENSB_INSC_IjEEEEPNS0_10empty_typeENS0_5tupleIJNS9_16discard_iteratorINS9_11use_defaultEEESH_EEENSJ_IJSM_SI_EEENS0_18inequality_wrapperINS9_8equal_toIxEEEEPmJSH_EEE10hipError_tPvRmT3_T4_T5_T6_T7_T9_mT8_P12ihipStream_tbDpT10_ENKUlT_T0_E_clISt17integral_constantIbLb1EES1D_EEDaS18_S19_EUlS18_E_NS1_11comp_targetILNS1_3genE4ELNS1_11target_archE910ELNS1_3gpuE8ELNS1_3repE0EEENS1_30default_config_static_selectorELNS0_4arch9wavefront6targetE0EEEvT1_ ; -- Begin function _ZN7rocprim17ROCPRIM_400000_NS6detail17trampoline_kernelINS0_14default_configENS1_25partition_config_selectorILNS1_17partition_subalgoE9ExjbEEZZNS1_14partition_implILS5_9ELb0ES3_jN6thrust23THRUST_200600_302600_NS6detail15normal_iteratorINS9_10device_ptrIxEEEENSB_INSC_IjEEEEPNS0_10empty_typeENS0_5tupleIJNS9_16discard_iteratorINS9_11use_defaultEEESH_EEENSJ_IJSM_SI_EEENS0_18inequality_wrapperINS9_8equal_toIxEEEEPmJSH_EEE10hipError_tPvRmT3_T4_T5_T6_T7_T9_mT8_P12ihipStream_tbDpT10_ENKUlT_T0_E_clISt17integral_constantIbLb1EES1D_EEDaS18_S19_EUlS18_E_NS1_11comp_targetILNS1_3genE4ELNS1_11target_archE910ELNS1_3gpuE8ELNS1_3repE0EEENS1_30default_config_static_selectorELNS0_4arch9wavefront6targetE0EEEvT1_
	.globl	_ZN7rocprim17ROCPRIM_400000_NS6detail17trampoline_kernelINS0_14default_configENS1_25partition_config_selectorILNS1_17partition_subalgoE9ExjbEEZZNS1_14partition_implILS5_9ELb0ES3_jN6thrust23THRUST_200600_302600_NS6detail15normal_iteratorINS9_10device_ptrIxEEEENSB_INSC_IjEEEEPNS0_10empty_typeENS0_5tupleIJNS9_16discard_iteratorINS9_11use_defaultEEESH_EEENSJ_IJSM_SI_EEENS0_18inequality_wrapperINS9_8equal_toIxEEEEPmJSH_EEE10hipError_tPvRmT3_T4_T5_T6_T7_T9_mT8_P12ihipStream_tbDpT10_ENKUlT_T0_E_clISt17integral_constantIbLb1EES1D_EEDaS18_S19_EUlS18_E_NS1_11comp_targetILNS1_3genE4ELNS1_11target_archE910ELNS1_3gpuE8ELNS1_3repE0EEENS1_30default_config_static_selectorELNS0_4arch9wavefront6targetE0EEEvT1_
	.p2align	8
	.type	_ZN7rocprim17ROCPRIM_400000_NS6detail17trampoline_kernelINS0_14default_configENS1_25partition_config_selectorILNS1_17partition_subalgoE9ExjbEEZZNS1_14partition_implILS5_9ELb0ES3_jN6thrust23THRUST_200600_302600_NS6detail15normal_iteratorINS9_10device_ptrIxEEEENSB_INSC_IjEEEEPNS0_10empty_typeENS0_5tupleIJNS9_16discard_iteratorINS9_11use_defaultEEESH_EEENSJ_IJSM_SI_EEENS0_18inequality_wrapperINS9_8equal_toIxEEEEPmJSH_EEE10hipError_tPvRmT3_T4_T5_T6_T7_T9_mT8_P12ihipStream_tbDpT10_ENKUlT_T0_E_clISt17integral_constantIbLb1EES1D_EEDaS18_S19_EUlS18_E_NS1_11comp_targetILNS1_3genE4ELNS1_11target_archE910ELNS1_3gpuE8ELNS1_3repE0EEENS1_30default_config_static_selectorELNS0_4arch9wavefront6targetE0EEEvT1_,@function
_ZN7rocprim17ROCPRIM_400000_NS6detail17trampoline_kernelINS0_14default_configENS1_25partition_config_selectorILNS1_17partition_subalgoE9ExjbEEZZNS1_14partition_implILS5_9ELb0ES3_jN6thrust23THRUST_200600_302600_NS6detail15normal_iteratorINS9_10device_ptrIxEEEENSB_INSC_IjEEEEPNS0_10empty_typeENS0_5tupleIJNS9_16discard_iteratorINS9_11use_defaultEEESH_EEENSJ_IJSM_SI_EEENS0_18inequality_wrapperINS9_8equal_toIxEEEEPmJSH_EEE10hipError_tPvRmT3_T4_T5_T6_T7_T9_mT8_P12ihipStream_tbDpT10_ENKUlT_T0_E_clISt17integral_constantIbLb1EES1D_EEDaS18_S19_EUlS18_E_NS1_11comp_targetILNS1_3genE4ELNS1_11target_archE910ELNS1_3gpuE8ELNS1_3repE0EEENS1_30default_config_static_selectorELNS0_4arch9wavefront6targetE0EEEvT1_: ; @_ZN7rocprim17ROCPRIM_400000_NS6detail17trampoline_kernelINS0_14default_configENS1_25partition_config_selectorILNS1_17partition_subalgoE9ExjbEEZZNS1_14partition_implILS5_9ELb0ES3_jN6thrust23THRUST_200600_302600_NS6detail15normal_iteratorINS9_10device_ptrIxEEEENSB_INSC_IjEEEEPNS0_10empty_typeENS0_5tupleIJNS9_16discard_iteratorINS9_11use_defaultEEESH_EEENSJ_IJSM_SI_EEENS0_18inequality_wrapperINS9_8equal_toIxEEEEPmJSH_EEE10hipError_tPvRmT3_T4_T5_T6_T7_T9_mT8_P12ihipStream_tbDpT10_ENKUlT_T0_E_clISt17integral_constantIbLb1EES1D_EEDaS18_S19_EUlS18_E_NS1_11comp_targetILNS1_3genE4ELNS1_11target_archE910ELNS1_3gpuE8ELNS1_3repE0EEENS1_30default_config_static_selectorELNS0_4arch9wavefront6targetE0EEEvT1_
; %bb.0:
	.section	.rodata,"a",@progbits
	.p2align	6, 0x0
	.amdhsa_kernel _ZN7rocprim17ROCPRIM_400000_NS6detail17trampoline_kernelINS0_14default_configENS1_25partition_config_selectorILNS1_17partition_subalgoE9ExjbEEZZNS1_14partition_implILS5_9ELb0ES3_jN6thrust23THRUST_200600_302600_NS6detail15normal_iteratorINS9_10device_ptrIxEEEENSB_INSC_IjEEEEPNS0_10empty_typeENS0_5tupleIJNS9_16discard_iteratorINS9_11use_defaultEEESH_EEENSJ_IJSM_SI_EEENS0_18inequality_wrapperINS9_8equal_toIxEEEEPmJSH_EEE10hipError_tPvRmT3_T4_T5_T6_T7_T9_mT8_P12ihipStream_tbDpT10_ENKUlT_T0_E_clISt17integral_constantIbLb1EES1D_EEDaS18_S19_EUlS18_E_NS1_11comp_targetILNS1_3genE4ELNS1_11target_archE910ELNS1_3gpuE8ELNS1_3repE0EEENS1_30default_config_static_selectorELNS0_4arch9wavefront6targetE0EEEvT1_
		.amdhsa_group_segment_fixed_size 0
		.amdhsa_private_segment_fixed_size 0
		.amdhsa_kernarg_size 144
		.amdhsa_user_sgpr_count 15
		.amdhsa_user_sgpr_dispatch_ptr 0
		.amdhsa_user_sgpr_queue_ptr 0
		.amdhsa_user_sgpr_kernarg_segment_ptr 1
		.amdhsa_user_sgpr_dispatch_id 0
		.amdhsa_user_sgpr_private_segment_size 0
		.amdhsa_wavefront_size32 1
		.amdhsa_uses_dynamic_stack 0
		.amdhsa_enable_private_segment 0
		.amdhsa_system_sgpr_workgroup_id_x 1
		.amdhsa_system_sgpr_workgroup_id_y 0
		.amdhsa_system_sgpr_workgroup_id_z 0
		.amdhsa_system_sgpr_workgroup_info 0
		.amdhsa_system_vgpr_workitem_id 0
		.amdhsa_next_free_vgpr 1
		.amdhsa_next_free_sgpr 1
		.amdhsa_reserve_vcc 0
		.amdhsa_float_round_mode_32 0
		.amdhsa_float_round_mode_16_64 0
		.amdhsa_float_denorm_mode_32 3
		.amdhsa_float_denorm_mode_16_64 3
		.amdhsa_dx10_clamp 1
		.amdhsa_ieee_mode 1
		.amdhsa_fp16_overflow 0
		.amdhsa_workgroup_processor_mode 1
		.amdhsa_memory_ordered 1
		.amdhsa_forward_progress 0
		.amdhsa_shared_vgpr_count 0
		.amdhsa_exception_fp_ieee_invalid_op 0
		.amdhsa_exception_fp_denorm_src 0
		.amdhsa_exception_fp_ieee_div_zero 0
		.amdhsa_exception_fp_ieee_overflow 0
		.amdhsa_exception_fp_ieee_underflow 0
		.amdhsa_exception_fp_ieee_inexact 0
		.amdhsa_exception_int_div_zero 0
	.end_amdhsa_kernel
	.section	.text._ZN7rocprim17ROCPRIM_400000_NS6detail17trampoline_kernelINS0_14default_configENS1_25partition_config_selectorILNS1_17partition_subalgoE9ExjbEEZZNS1_14partition_implILS5_9ELb0ES3_jN6thrust23THRUST_200600_302600_NS6detail15normal_iteratorINS9_10device_ptrIxEEEENSB_INSC_IjEEEEPNS0_10empty_typeENS0_5tupleIJNS9_16discard_iteratorINS9_11use_defaultEEESH_EEENSJ_IJSM_SI_EEENS0_18inequality_wrapperINS9_8equal_toIxEEEEPmJSH_EEE10hipError_tPvRmT3_T4_T5_T6_T7_T9_mT8_P12ihipStream_tbDpT10_ENKUlT_T0_E_clISt17integral_constantIbLb1EES1D_EEDaS18_S19_EUlS18_E_NS1_11comp_targetILNS1_3genE4ELNS1_11target_archE910ELNS1_3gpuE8ELNS1_3repE0EEENS1_30default_config_static_selectorELNS0_4arch9wavefront6targetE0EEEvT1_,"axG",@progbits,_ZN7rocprim17ROCPRIM_400000_NS6detail17trampoline_kernelINS0_14default_configENS1_25partition_config_selectorILNS1_17partition_subalgoE9ExjbEEZZNS1_14partition_implILS5_9ELb0ES3_jN6thrust23THRUST_200600_302600_NS6detail15normal_iteratorINS9_10device_ptrIxEEEENSB_INSC_IjEEEEPNS0_10empty_typeENS0_5tupleIJNS9_16discard_iteratorINS9_11use_defaultEEESH_EEENSJ_IJSM_SI_EEENS0_18inequality_wrapperINS9_8equal_toIxEEEEPmJSH_EEE10hipError_tPvRmT3_T4_T5_T6_T7_T9_mT8_P12ihipStream_tbDpT10_ENKUlT_T0_E_clISt17integral_constantIbLb1EES1D_EEDaS18_S19_EUlS18_E_NS1_11comp_targetILNS1_3genE4ELNS1_11target_archE910ELNS1_3gpuE8ELNS1_3repE0EEENS1_30default_config_static_selectorELNS0_4arch9wavefront6targetE0EEEvT1_,comdat
.Lfunc_end991:
	.size	_ZN7rocprim17ROCPRIM_400000_NS6detail17trampoline_kernelINS0_14default_configENS1_25partition_config_selectorILNS1_17partition_subalgoE9ExjbEEZZNS1_14partition_implILS5_9ELb0ES3_jN6thrust23THRUST_200600_302600_NS6detail15normal_iteratorINS9_10device_ptrIxEEEENSB_INSC_IjEEEEPNS0_10empty_typeENS0_5tupleIJNS9_16discard_iteratorINS9_11use_defaultEEESH_EEENSJ_IJSM_SI_EEENS0_18inequality_wrapperINS9_8equal_toIxEEEEPmJSH_EEE10hipError_tPvRmT3_T4_T5_T6_T7_T9_mT8_P12ihipStream_tbDpT10_ENKUlT_T0_E_clISt17integral_constantIbLb1EES1D_EEDaS18_S19_EUlS18_E_NS1_11comp_targetILNS1_3genE4ELNS1_11target_archE910ELNS1_3gpuE8ELNS1_3repE0EEENS1_30default_config_static_selectorELNS0_4arch9wavefront6targetE0EEEvT1_, .Lfunc_end991-_ZN7rocprim17ROCPRIM_400000_NS6detail17trampoline_kernelINS0_14default_configENS1_25partition_config_selectorILNS1_17partition_subalgoE9ExjbEEZZNS1_14partition_implILS5_9ELb0ES3_jN6thrust23THRUST_200600_302600_NS6detail15normal_iteratorINS9_10device_ptrIxEEEENSB_INSC_IjEEEEPNS0_10empty_typeENS0_5tupleIJNS9_16discard_iteratorINS9_11use_defaultEEESH_EEENSJ_IJSM_SI_EEENS0_18inequality_wrapperINS9_8equal_toIxEEEEPmJSH_EEE10hipError_tPvRmT3_T4_T5_T6_T7_T9_mT8_P12ihipStream_tbDpT10_ENKUlT_T0_E_clISt17integral_constantIbLb1EES1D_EEDaS18_S19_EUlS18_E_NS1_11comp_targetILNS1_3genE4ELNS1_11target_archE910ELNS1_3gpuE8ELNS1_3repE0EEENS1_30default_config_static_selectorELNS0_4arch9wavefront6targetE0EEEvT1_
                                        ; -- End function
	.section	.AMDGPU.csdata,"",@progbits
; Kernel info:
; codeLenInByte = 0
; NumSgprs: 0
; NumVgprs: 0
; ScratchSize: 0
; MemoryBound: 0
; FloatMode: 240
; IeeeMode: 1
; LDSByteSize: 0 bytes/workgroup (compile time only)
; SGPRBlocks: 0
; VGPRBlocks: 0
; NumSGPRsForWavesPerEU: 1
; NumVGPRsForWavesPerEU: 1
; Occupancy: 15
; WaveLimiterHint : 0
; COMPUTE_PGM_RSRC2:SCRATCH_EN: 0
; COMPUTE_PGM_RSRC2:USER_SGPR: 15
; COMPUTE_PGM_RSRC2:TRAP_HANDLER: 0
; COMPUTE_PGM_RSRC2:TGID_X_EN: 1
; COMPUTE_PGM_RSRC2:TGID_Y_EN: 0
; COMPUTE_PGM_RSRC2:TGID_Z_EN: 0
; COMPUTE_PGM_RSRC2:TIDIG_COMP_CNT: 0
	.section	.text._ZN7rocprim17ROCPRIM_400000_NS6detail17trampoline_kernelINS0_14default_configENS1_25partition_config_selectorILNS1_17partition_subalgoE9ExjbEEZZNS1_14partition_implILS5_9ELb0ES3_jN6thrust23THRUST_200600_302600_NS6detail15normal_iteratorINS9_10device_ptrIxEEEENSB_INSC_IjEEEEPNS0_10empty_typeENS0_5tupleIJNS9_16discard_iteratorINS9_11use_defaultEEESH_EEENSJ_IJSM_SI_EEENS0_18inequality_wrapperINS9_8equal_toIxEEEEPmJSH_EEE10hipError_tPvRmT3_T4_T5_T6_T7_T9_mT8_P12ihipStream_tbDpT10_ENKUlT_T0_E_clISt17integral_constantIbLb1EES1D_EEDaS18_S19_EUlS18_E_NS1_11comp_targetILNS1_3genE3ELNS1_11target_archE908ELNS1_3gpuE7ELNS1_3repE0EEENS1_30default_config_static_selectorELNS0_4arch9wavefront6targetE0EEEvT1_,"axG",@progbits,_ZN7rocprim17ROCPRIM_400000_NS6detail17trampoline_kernelINS0_14default_configENS1_25partition_config_selectorILNS1_17partition_subalgoE9ExjbEEZZNS1_14partition_implILS5_9ELb0ES3_jN6thrust23THRUST_200600_302600_NS6detail15normal_iteratorINS9_10device_ptrIxEEEENSB_INSC_IjEEEEPNS0_10empty_typeENS0_5tupleIJNS9_16discard_iteratorINS9_11use_defaultEEESH_EEENSJ_IJSM_SI_EEENS0_18inequality_wrapperINS9_8equal_toIxEEEEPmJSH_EEE10hipError_tPvRmT3_T4_T5_T6_T7_T9_mT8_P12ihipStream_tbDpT10_ENKUlT_T0_E_clISt17integral_constantIbLb1EES1D_EEDaS18_S19_EUlS18_E_NS1_11comp_targetILNS1_3genE3ELNS1_11target_archE908ELNS1_3gpuE7ELNS1_3repE0EEENS1_30default_config_static_selectorELNS0_4arch9wavefront6targetE0EEEvT1_,comdat
	.protected	_ZN7rocprim17ROCPRIM_400000_NS6detail17trampoline_kernelINS0_14default_configENS1_25partition_config_selectorILNS1_17partition_subalgoE9ExjbEEZZNS1_14partition_implILS5_9ELb0ES3_jN6thrust23THRUST_200600_302600_NS6detail15normal_iteratorINS9_10device_ptrIxEEEENSB_INSC_IjEEEEPNS0_10empty_typeENS0_5tupleIJNS9_16discard_iteratorINS9_11use_defaultEEESH_EEENSJ_IJSM_SI_EEENS0_18inequality_wrapperINS9_8equal_toIxEEEEPmJSH_EEE10hipError_tPvRmT3_T4_T5_T6_T7_T9_mT8_P12ihipStream_tbDpT10_ENKUlT_T0_E_clISt17integral_constantIbLb1EES1D_EEDaS18_S19_EUlS18_E_NS1_11comp_targetILNS1_3genE3ELNS1_11target_archE908ELNS1_3gpuE7ELNS1_3repE0EEENS1_30default_config_static_selectorELNS0_4arch9wavefront6targetE0EEEvT1_ ; -- Begin function _ZN7rocprim17ROCPRIM_400000_NS6detail17trampoline_kernelINS0_14default_configENS1_25partition_config_selectorILNS1_17partition_subalgoE9ExjbEEZZNS1_14partition_implILS5_9ELb0ES3_jN6thrust23THRUST_200600_302600_NS6detail15normal_iteratorINS9_10device_ptrIxEEEENSB_INSC_IjEEEEPNS0_10empty_typeENS0_5tupleIJNS9_16discard_iteratorINS9_11use_defaultEEESH_EEENSJ_IJSM_SI_EEENS0_18inequality_wrapperINS9_8equal_toIxEEEEPmJSH_EEE10hipError_tPvRmT3_T4_T5_T6_T7_T9_mT8_P12ihipStream_tbDpT10_ENKUlT_T0_E_clISt17integral_constantIbLb1EES1D_EEDaS18_S19_EUlS18_E_NS1_11comp_targetILNS1_3genE3ELNS1_11target_archE908ELNS1_3gpuE7ELNS1_3repE0EEENS1_30default_config_static_selectorELNS0_4arch9wavefront6targetE0EEEvT1_
	.globl	_ZN7rocprim17ROCPRIM_400000_NS6detail17trampoline_kernelINS0_14default_configENS1_25partition_config_selectorILNS1_17partition_subalgoE9ExjbEEZZNS1_14partition_implILS5_9ELb0ES3_jN6thrust23THRUST_200600_302600_NS6detail15normal_iteratorINS9_10device_ptrIxEEEENSB_INSC_IjEEEEPNS0_10empty_typeENS0_5tupleIJNS9_16discard_iteratorINS9_11use_defaultEEESH_EEENSJ_IJSM_SI_EEENS0_18inequality_wrapperINS9_8equal_toIxEEEEPmJSH_EEE10hipError_tPvRmT3_T4_T5_T6_T7_T9_mT8_P12ihipStream_tbDpT10_ENKUlT_T0_E_clISt17integral_constantIbLb1EES1D_EEDaS18_S19_EUlS18_E_NS1_11comp_targetILNS1_3genE3ELNS1_11target_archE908ELNS1_3gpuE7ELNS1_3repE0EEENS1_30default_config_static_selectorELNS0_4arch9wavefront6targetE0EEEvT1_
	.p2align	8
	.type	_ZN7rocprim17ROCPRIM_400000_NS6detail17trampoline_kernelINS0_14default_configENS1_25partition_config_selectorILNS1_17partition_subalgoE9ExjbEEZZNS1_14partition_implILS5_9ELb0ES3_jN6thrust23THRUST_200600_302600_NS6detail15normal_iteratorINS9_10device_ptrIxEEEENSB_INSC_IjEEEEPNS0_10empty_typeENS0_5tupleIJNS9_16discard_iteratorINS9_11use_defaultEEESH_EEENSJ_IJSM_SI_EEENS0_18inequality_wrapperINS9_8equal_toIxEEEEPmJSH_EEE10hipError_tPvRmT3_T4_T5_T6_T7_T9_mT8_P12ihipStream_tbDpT10_ENKUlT_T0_E_clISt17integral_constantIbLb1EES1D_EEDaS18_S19_EUlS18_E_NS1_11comp_targetILNS1_3genE3ELNS1_11target_archE908ELNS1_3gpuE7ELNS1_3repE0EEENS1_30default_config_static_selectorELNS0_4arch9wavefront6targetE0EEEvT1_,@function
_ZN7rocprim17ROCPRIM_400000_NS6detail17trampoline_kernelINS0_14default_configENS1_25partition_config_selectorILNS1_17partition_subalgoE9ExjbEEZZNS1_14partition_implILS5_9ELb0ES3_jN6thrust23THRUST_200600_302600_NS6detail15normal_iteratorINS9_10device_ptrIxEEEENSB_INSC_IjEEEEPNS0_10empty_typeENS0_5tupleIJNS9_16discard_iteratorINS9_11use_defaultEEESH_EEENSJ_IJSM_SI_EEENS0_18inequality_wrapperINS9_8equal_toIxEEEEPmJSH_EEE10hipError_tPvRmT3_T4_T5_T6_T7_T9_mT8_P12ihipStream_tbDpT10_ENKUlT_T0_E_clISt17integral_constantIbLb1EES1D_EEDaS18_S19_EUlS18_E_NS1_11comp_targetILNS1_3genE3ELNS1_11target_archE908ELNS1_3gpuE7ELNS1_3repE0EEENS1_30default_config_static_selectorELNS0_4arch9wavefront6targetE0EEEvT1_: ; @_ZN7rocprim17ROCPRIM_400000_NS6detail17trampoline_kernelINS0_14default_configENS1_25partition_config_selectorILNS1_17partition_subalgoE9ExjbEEZZNS1_14partition_implILS5_9ELb0ES3_jN6thrust23THRUST_200600_302600_NS6detail15normal_iteratorINS9_10device_ptrIxEEEENSB_INSC_IjEEEEPNS0_10empty_typeENS0_5tupleIJNS9_16discard_iteratorINS9_11use_defaultEEESH_EEENSJ_IJSM_SI_EEENS0_18inequality_wrapperINS9_8equal_toIxEEEEPmJSH_EEE10hipError_tPvRmT3_T4_T5_T6_T7_T9_mT8_P12ihipStream_tbDpT10_ENKUlT_T0_E_clISt17integral_constantIbLb1EES1D_EEDaS18_S19_EUlS18_E_NS1_11comp_targetILNS1_3genE3ELNS1_11target_archE908ELNS1_3gpuE7ELNS1_3repE0EEENS1_30default_config_static_selectorELNS0_4arch9wavefront6targetE0EEEvT1_
; %bb.0:
	.section	.rodata,"a",@progbits
	.p2align	6, 0x0
	.amdhsa_kernel _ZN7rocprim17ROCPRIM_400000_NS6detail17trampoline_kernelINS0_14default_configENS1_25partition_config_selectorILNS1_17partition_subalgoE9ExjbEEZZNS1_14partition_implILS5_9ELb0ES3_jN6thrust23THRUST_200600_302600_NS6detail15normal_iteratorINS9_10device_ptrIxEEEENSB_INSC_IjEEEEPNS0_10empty_typeENS0_5tupleIJNS9_16discard_iteratorINS9_11use_defaultEEESH_EEENSJ_IJSM_SI_EEENS0_18inequality_wrapperINS9_8equal_toIxEEEEPmJSH_EEE10hipError_tPvRmT3_T4_T5_T6_T7_T9_mT8_P12ihipStream_tbDpT10_ENKUlT_T0_E_clISt17integral_constantIbLb1EES1D_EEDaS18_S19_EUlS18_E_NS1_11comp_targetILNS1_3genE3ELNS1_11target_archE908ELNS1_3gpuE7ELNS1_3repE0EEENS1_30default_config_static_selectorELNS0_4arch9wavefront6targetE0EEEvT1_
		.amdhsa_group_segment_fixed_size 0
		.amdhsa_private_segment_fixed_size 0
		.amdhsa_kernarg_size 144
		.amdhsa_user_sgpr_count 15
		.amdhsa_user_sgpr_dispatch_ptr 0
		.amdhsa_user_sgpr_queue_ptr 0
		.amdhsa_user_sgpr_kernarg_segment_ptr 1
		.amdhsa_user_sgpr_dispatch_id 0
		.amdhsa_user_sgpr_private_segment_size 0
		.amdhsa_wavefront_size32 1
		.amdhsa_uses_dynamic_stack 0
		.amdhsa_enable_private_segment 0
		.amdhsa_system_sgpr_workgroup_id_x 1
		.amdhsa_system_sgpr_workgroup_id_y 0
		.amdhsa_system_sgpr_workgroup_id_z 0
		.amdhsa_system_sgpr_workgroup_info 0
		.amdhsa_system_vgpr_workitem_id 0
		.amdhsa_next_free_vgpr 1
		.amdhsa_next_free_sgpr 1
		.amdhsa_reserve_vcc 0
		.amdhsa_float_round_mode_32 0
		.amdhsa_float_round_mode_16_64 0
		.amdhsa_float_denorm_mode_32 3
		.amdhsa_float_denorm_mode_16_64 3
		.amdhsa_dx10_clamp 1
		.amdhsa_ieee_mode 1
		.amdhsa_fp16_overflow 0
		.amdhsa_workgroup_processor_mode 1
		.amdhsa_memory_ordered 1
		.amdhsa_forward_progress 0
		.amdhsa_shared_vgpr_count 0
		.amdhsa_exception_fp_ieee_invalid_op 0
		.amdhsa_exception_fp_denorm_src 0
		.amdhsa_exception_fp_ieee_div_zero 0
		.amdhsa_exception_fp_ieee_overflow 0
		.amdhsa_exception_fp_ieee_underflow 0
		.amdhsa_exception_fp_ieee_inexact 0
		.amdhsa_exception_int_div_zero 0
	.end_amdhsa_kernel
	.section	.text._ZN7rocprim17ROCPRIM_400000_NS6detail17trampoline_kernelINS0_14default_configENS1_25partition_config_selectorILNS1_17partition_subalgoE9ExjbEEZZNS1_14partition_implILS5_9ELb0ES3_jN6thrust23THRUST_200600_302600_NS6detail15normal_iteratorINS9_10device_ptrIxEEEENSB_INSC_IjEEEEPNS0_10empty_typeENS0_5tupleIJNS9_16discard_iteratorINS9_11use_defaultEEESH_EEENSJ_IJSM_SI_EEENS0_18inequality_wrapperINS9_8equal_toIxEEEEPmJSH_EEE10hipError_tPvRmT3_T4_T5_T6_T7_T9_mT8_P12ihipStream_tbDpT10_ENKUlT_T0_E_clISt17integral_constantIbLb1EES1D_EEDaS18_S19_EUlS18_E_NS1_11comp_targetILNS1_3genE3ELNS1_11target_archE908ELNS1_3gpuE7ELNS1_3repE0EEENS1_30default_config_static_selectorELNS0_4arch9wavefront6targetE0EEEvT1_,"axG",@progbits,_ZN7rocprim17ROCPRIM_400000_NS6detail17trampoline_kernelINS0_14default_configENS1_25partition_config_selectorILNS1_17partition_subalgoE9ExjbEEZZNS1_14partition_implILS5_9ELb0ES3_jN6thrust23THRUST_200600_302600_NS6detail15normal_iteratorINS9_10device_ptrIxEEEENSB_INSC_IjEEEEPNS0_10empty_typeENS0_5tupleIJNS9_16discard_iteratorINS9_11use_defaultEEESH_EEENSJ_IJSM_SI_EEENS0_18inequality_wrapperINS9_8equal_toIxEEEEPmJSH_EEE10hipError_tPvRmT3_T4_T5_T6_T7_T9_mT8_P12ihipStream_tbDpT10_ENKUlT_T0_E_clISt17integral_constantIbLb1EES1D_EEDaS18_S19_EUlS18_E_NS1_11comp_targetILNS1_3genE3ELNS1_11target_archE908ELNS1_3gpuE7ELNS1_3repE0EEENS1_30default_config_static_selectorELNS0_4arch9wavefront6targetE0EEEvT1_,comdat
.Lfunc_end992:
	.size	_ZN7rocprim17ROCPRIM_400000_NS6detail17trampoline_kernelINS0_14default_configENS1_25partition_config_selectorILNS1_17partition_subalgoE9ExjbEEZZNS1_14partition_implILS5_9ELb0ES3_jN6thrust23THRUST_200600_302600_NS6detail15normal_iteratorINS9_10device_ptrIxEEEENSB_INSC_IjEEEEPNS0_10empty_typeENS0_5tupleIJNS9_16discard_iteratorINS9_11use_defaultEEESH_EEENSJ_IJSM_SI_EEENS0_18inequality_wrapperINS9_8equal_toIxEEEEPmJSH_EEE10hipError_tPvRmT3_T4_T5_T6_T7_T9_mT8_P12ihipStream_tbDpT10_ENKUlT_T0_E_clISt17integral_constantIbLb1EES1D_EEDaS18_S19_EUlS18_E_NS1_11comp_targetILNS1_3genE3ELNS1_11target_archE908ELNS1_3gpuE7ELNS1_3repE0EEENS1_30default_config_static_selectorELNS0_4arch9wavefront6targetE0EEEvT1_, .Lfunc_end992-_ZN7rocprim17ROCPRIM_400000_NS6detail17trampoline_kernelINS0_14default_configENS1_25partition_config_selectorILNS1_17partition_subalgoE9ExjbEEZZNS1_14partition_implILS5_9ELb0ES3_jN6thrust23THRUST_200600_302600_NS6detail15normal_iteratorINS9_10device_ptrIxEEEENSB_INSC_IjEEEEPNS0_10empty_typeENS0_5tupleIJNS9_16discard_iteratorINS9_11use_defaultEEESH_EEENSJ_IJSM_SI_EEENS0_18inequality_wrapperINS9_8equal_toIxEEEEPmJSH_EEE10hipError_tPvRmT3_T4_T5_T6_T7_T9_mT8_P12ihipStream_tbDpT10_ENKUlT_T0_E_clISt17integral_constantIbLb1EES1D_EEDaS18_S19_EUlS18_E_NS1_11comp_targetILNS1_3genE3ELNS1_11target_archE908ELNS1_3gpuE7ELNS1_3repE0EEENS1_30default_config_static_selectorELNS0_4arch9wavefront6targetE0EEEvT1_
                                        ; -- End function
	.section	.AMDGPU.csdata,"",@progbits
; Kernel info:
; codeLenInByte = 0
; NumSgprs: 0
; NumVgprs: 0
; ScratchSize: 0
; MemoryBound: 0
; FloatMode: 240
; IeeeMode: 1
; LDSByteSize: 0 bytes/workgroup (compile time only)
; SGPRBlocks: 0
; VGPRBlocks: 0
; NumSGPRsForWavesPerEU: 1
; NumVGPRsForWavesPerEU: 1
; Occupancy: 16
; WaveLimiterHint : 0
; COMPUTE_PGM_RSRC2:SCRATCH_EN: 0
; COMPUTE_PGM_RSRC2:USER_SGPR: 15
; COMPUTE_PGM_RSRC2:TRAP_HANDLER: 0
; COMPUTE_PGM_RSRC2:TGID_X_EN: 1
; COMPUTE_PGM_RSRC2:TGID_Y_EN: 0
; COMPUTE_PGM_RSRC2:TGID_Z_EN: 0
; COMPUTE_PGM_RSRC2:TIDIG_COMP_CNT: 0
	.section	.text._ZN7rocprim17ROCPRIM_400000_NS6detail17trampoline_kernelINS0_14default_configENS1_25partition_config_selectorILNS1_17partition_subalgoE9ExjbEEZZNS1_14partition_implILS5_9ELb0ES3_jN6thrust23THRUST_200600_302600_NS6detail15normal_iteratorINS9_10device_ptrIxEEEENSB_INSC_IjEEEEPNS0_10empty_typeENS0_5tupleIJNS9_16discard_iteratorINS9_11use_defaultEEESH_EEENSJ_IJSM_SI_EEENS0_18inequality_wrapperINS9_8equal_toIxEEEEPmJSH_EEE10hipError_tPvRmT3_T4_T5_T6_T7_T9_mT8_P12ihipStream_tbDpT10_ENKUlT_T0_E_clISt17integral_constantIbLb1EES1D_EEDaS18_S19_EUlS18_E_NS1_11comp_targetILNS1_3genE2ELNS1_11target_archE906ELNS1_3gpuE6ELNS1_3repE0EEENS1_30default_config_static_selectorELNS0_4arch9wavefront6targetE0EEEvT1_,"axG",@progbits,_ZN7rocprim17ROCPRIM_400000_NS6detail17trampoline_kernelINS0_14default_configENS1_25partition_config_selectorILNS1_17partition_subalgoE9ExjbEEZZNS1_14partition_implILS5_9ELb0ES3_jN6thrust23THRUST_200600_302600_NS6detail15normal_iteratorINS9_10device_ptrIxEEEENSB_INSC_IjEEEEPNS0_10empty_typeENS0_5tupleIJNS9_16discard_iteratorINS9_11use_defaultEEESH_EEENSJ_IJSM_SI_EEENS0_18inequality_wrapperINS9_8equal_toIxEEEEPmJSH_EEE10hipError_tPvRmT3_T4_T5_T6_T7_T9_mT8_P12ihipStream_tbDpT10_ENKUlT_T0_E_clISt17integral_constantIbLb1EES1D_EEDaS18_S19_EUlS18_E_NS1_11comp_targetILNS1_3genE2ELNS1_11target_archE906ELNS1_3gpuE6ELNS1_3repE0EEENS1_30default_config_static_selectorELNS0_4arch9wavefront6targetE0EEEvT1_,comdat
	.protected	_ZN7rocprim17ROCPRIM_400000_NS6detail17trampoline_kernelINS0_14default_configENS1_25partition_config_selectorILNS1_17partition_subalgoE9ExjbEEZZNS1_14partition_implILS5_9ELb0ES3_jN6thrust23THRUST_200600_302600_NS6detail15normal_iteratorINS9_10device_ptrIxEEEENSB_INSC_IjEEEEPNS0_10empty_typeENS0_5tupleIJNS9_16discard_iteratorINS9_11use_defaultEEESH_EEENSJ_IJSM_SI_EEENS0_18inequality_wrapperINS9_8equal_toIxEEEEPmJSH_EEE10hipError_tPvRmT3_T4_T5_T6_T7_T9_mT8_P12ihipStream_tbDpT10_ENKUlT_T0_E_clISt17integral_constantIbLb1EES1D_EEDaS18_S19_EUlS18_E_NS1_11comp_targetILNS1_3genE2ELNS1_11target_archE906ELNS1_3gpuE6ELNS1_3repE0EEENS1_30default_config_static_selectorELNS0_4arch9wavefront6targetE0EEEvT1_ ; -- Begin function _ZN7rocprim17ROCPRIM_400000_NS6detail17trampoline_kernelINS0_14default_configENS1_25partition_config_selectorILNS1_17partition_subalgoE9ExjbEEZZNS1_14partition_implILS5_9ELb0ES3_jN6thrust23THRUST_200600_302600_NS6detail15normal_iteratorINS9_10device_ptrIxEEEENSB_INSC_IjEEEEPNS0_10empty_typeENS0_5tupleIJNS9_16discard_iteratorINS9_11use_defaultEEESH_EEENSJ_IJSM_SI_EEENS0_18inequality_wrapperINS9_8equal_toIxEEEEPmJSH_EEE10hipError_tPvRmT3_T4_T5_T6_T7_T9_mT8_P12ihipStream_tbDpT10_ENKUlT_T0_E_clISt17integral_constantIbLb1EES1D_EEDaS18_S19_EUlS18_E_NS1_11comp_targetILNS1_3genE2ELNS1_11target_archE906ELNS1_3gpuE6ELNS1_3repE0EEENS1_30default_config_static_selectorELNS0_4arch9wavefront6targetE0EEEvT1_
	.globl	_ZN7rocprim17ROCPRIM_400000_NS6detail17trampoline_kernelINS0_14default_configENS1_25partition_config_selectorILNS1_17partition_subalgoE9ExjbEEZZNS1_14partition_implILS5_9ELb0ES3_jN6thrust23THRUST_200600_302600_NS6detail15normal_iteratorINS9_10device_ptrIxEEEENSB_INSC_IjEEEEPNS0_10empty_typeENS0_5tupleIJNS9_16discard_iteratorINS9_11use_defaultEEESH_EEENSJ_IJSM_SI_EEENS0_18inequality_wrapperINS9_8equal_toIxEEEEPmJSH_EEE10hipError_tPvRmT3_T4_T5_T6_T7_T9_mT8_P12ihipStream_tbDpT10_ENKUlT_T0_E_clISt17integral_constantIbLb1EES1D_EEDaS18_S19_EUlS18_E_NS1_11comp_targetILNS1_3genE2ELNS1_11target_archE906ELNS1_3gpuE6ELNS1_3repE0EEENS1_30default_config_static_selectorELNS0_4arch9wavefront6targetE0EEEvT1_
	.p2align	8
	.type	_ZN7rocprim17ROCPRIM_400000_NS6detail17trampoline_kernelINS0_14default_configENS1_25partition_config_selectorILNS1_17partition_subalgoE9ExjbEEZZNS1_14partition_implILS5_9ELb0ES3_jN6thrust23THRUST_200600_302600_NS6detail15normal_iteratorINS9_10device_ptrIxEEEENSB_INSC_IjEEEEPNS0_10empty_typeENS0_5tupleIJNS9_16discard_iteratorINS9_11use_defaultEEESH_EEENSJ_IJSM_SI_EEENS0_18inequality_wrapperINS9_8equal_toIxEEEEPmJSH_EEE10hipError_tPvRmT3_T4_T5_T6_T7_T9_mT8_P12ihipStream_tbDpT10_ENKUlT_T0_E_clISt17integral_constantIbLb1EES1D_EEDaS18_S19_EUlS18_E_NS1_11comp_targetILNS1_3genE2ELNS1_11target_archE906ELNS1_3gpuE6ELNS1_3repE0EEENS1_30default_config_static_selectorELNS0_4arch9wavefront6targetE0EEEvT1_,@function
_ZN7rocprim17ROCPRIM_400000_NS6detail17trampoline_kernelINS0_14default_configENS1_25partition_config_selectorILNS1_17partition_subalgoE9ExjbEEZZNS1_14partition_implILS5_9ELb0ES3_jN6thrust23THRUST_200600_302600_NS6detail15normal_iteratorINS9_10device_ptrIxEEEENSB_INSC_IjEEEEPNS0_10empty_typeENS0_5tupleIJNS9_16discard_iteratorINS9_11use_defaultEEESH_EEENSJ_IJSM_SI_EEENS0_18inequality_wrapperINS9_8equal_toIxEEEEPmJSH_EEE10hipError_tPvRmT3_T4_T5_T6_T7_T9_mT8_P12ihipStream_tbDpT10_ENKUlT_T0_E_clISt17integral_constantIbLb1EES1D_EEDaS18_S19_EUlS18_E_NS1_11comp_targetILNS1_3genE2ELNS1_11target_archE906ELNS1_3gpuE6ELNS1_3repE0EEENS1_30default_config_static_selectorELNS0_4arch9wavefront6targetE0EEEvT1_: ; @_ZN7rocprim17ROCPRIM_400000_NS6detail17trampoline_kernelINS0_14default_configENS1_25partition_config_selectorILNS1_17partition_subalgoE9ExjbEEZZNS1_14partition_implILS5_9ELb0ES3_jN6thrust23THRUST_200600_302600_NS6detail15normal_iteratorINS9_10device_ptrIxEEEENSB_INSC_IjEEEEPNS0_10empty_typeENS0_5tupleIJNS9_16discard_iteratorINS9_11use_defaultEEESH_EEENSJ_IJSM_SI_EEENS0_18inequality_wrapperINS9_8equal_toIxEEEEPmJSH_EEE10hipError_tPvRmT3_T4_T5_T6_T7_T9_mT8_P12ihipStream_tbDpT10_ENKUlT_T0_E_clISt17integral_constantIbLb1EES1D_EEDaS18_S19_EUlS18_E_NS1_11comp_targetILNS1_3genE2ELNS1_11target_archE906ELNS1_3gpuE6ELNS1_3repE0EEENS1_30default_config_static_selectorELNS0_4arch9wavefront6targetE0EEEvT1_
; %bb.0:
	.section	.rodata,"a",@progbits
	.p2align	6, 0x0
	.amdhsa_kernel _ZN7rocprim17ROCPRIM_400000_NS6detail17trampoline_kernelINS0_14default_configENS1_25partition_config_selectorILNS1_17partition_subalgoE9ExjbEEZZNS1_14partition_implILS5_9ELb0ES3_jN6thrust23THRUST_200600_302600_NS6detail15normal_iteratorINS9_10device_ptrIxEEEENSB_INSC_IjEEEEPNS0_10empty_typeENS0_5tupleIJNS9_16discard_iteratorINS9_11use_defaultEEESH_EEENSJ_IJSM_SI_EEENS0_18inequality_wrapperINS9_8equal_toIxEEEEPmJSH_EEE10hipError_tPvRmT3_T4_T5_T6_T7_T9_mT8_P12ihipStream_tbDpT10_ENKUlT_T0_E_clISt17integral_constantIbLb1EES1D_EEDaS18_S19_EUlS18_E_NS1_11comp_targetILNS1_3genE2ELNS1_11target_archE906ELNS1_3gpuE6ELNS1_3repE0EEENS1_30default_config_static_selectorELNS0_4arch9wavefront6targetE0EEEvT1_
		.amdhsa_group_segment_fixed_size 0
		.amdhsa_private_segment_fixed_size 0
		.amdhsa_kernarg_size 144
		.amdhsa_user_sgpr_count 15
		.amdhsa_user_sgpr_dispatch_ptr 0
		.amdhsa_user_sgpr_queue_ptr 0
		.amdhsa_user_sgpr_kernarg_segment_ptr 1
		.amdhsa_user_sgpr_dispatch_id 0
		.amdhsa_user_sgpr_private_segment_size 0
		.amdhsa_wavefront_size32 1
		.amdhsa_uses_dynamic_stack 0
		.amdhsa_enable_private_segment 0
		.amdhsa_system_sgpr_workgroup_id_x 1
		.amdhsa_system_sgpr_workgroup_id_y 0
		.amdhsa_system_sgpr_workgroup_id_z 0
		.amdhsa_system_sgpr_workgroup_info 0
		.amdhsa_system_vgpr_workitem_id 0
		.amdhsa_next_free_vgpr 1
		.amdhsa_next_free_sgpr 1
		.amdhsa_reserve_vcc 0
		.amdhsa_float_round_mode_32 0
		.amdhsa_float_round_mode_16_64 0
		.amdhsa_float_denorm_mode_32 3
		.amdhsa_float_denorm_mode_16_64 3
		.amdhsa_dx10_clamp 1
		.amdhsa_ieee_mode 1
		.amdhsa_fp16_overflow 0
		.amdhsa_workgroup_processor_mode 1
		.amdhsa_memory_ordered 1
		.amdhsa_forward_progress 0
		.amdhsa_shared_vgpr_count 0
		.amdhsa_exception_fp_ieee_invalid_op 0
		.amdhsa_exception_fp_denorm_src 0
		.amdhsa_exception_fp_ieee_div_zero 0
		.amdhsa_exception_fp_ieee_overflow 0
		.amdhsa_exception_fp_ieee_underflow 0
		.amdhsa_exception_fp_ieee_inexact 0
		.amdhsa_exception_int_div_zero 0
	.end_amdhsa_kernel
	.section	.text._ZN7rocprim17ROCPRIM_400000_NS6detail17trampoline_kernelINS0_14default_configENS1_25partition_config_selectorILNS1_17partition_subalgoE9ExjbEEZZNS1_14partition_implILS5_9ELb0ES3_jN6thrust23THRUST_200600_302600_NS6detail15normal_iteratorINS9_10device_ptrIxEEEENSB_INSC_IjEEEEPNS0_10empty_typeENS0_5tupleIJNS9_16discard_iteratorINS9_11use_defaultEEESH_EEENSJ_IJSM_SI_EEENS0_18inequality_wrapperINS9_8equal_toIxEEEEPmJSH_EEE10hipError_tPvRmT3_T4_T5_T6_T7_T9_mT8_P12ihipStream_tbDpT10_ENKUlT_T0_E_clISt17integral_constantIbLb1EES1D_EEDaS18_S19_EUlS18_E_NS1_11comp_targetILNS1_3genE2ELNS1_11target_archE906ELNS1_3gpuE6ELNS1_3repE0EEENS1_30default_config_static_selectorELNS0_4arch9wavefront6targetE0EEEvT1_,"axG",@progbits,_ZN7rocprim17ROCPRIM_400000_NS6detail17trampoline_kernelINS0_14default_configENS1_25partition_config_selectorILNS1_17partition_subalgoE9ExjbEEZZNS1_14partition_implILS5_9ELb0ES3_jN6thrust23THRUST_200600_302600_NS6detail15normal_iteratorINS9_10device_ptrIxEEEENSB_INSC_IjEEEEPNS0_10empty_typeENS0_5tupleIJNS9_16discard_iteratorINS9_11use_defaultEEESH_EEENSJ_IJSM_SI_EEENS0_18inequality_wrapperINS9_8equal_toIxEEEEPmJSH_EEE10hipError_tPvRmT3_T4_T5_T6_T7_T9_mT8_P12ihipStream_tbDpT10_ENKUlT_T0_E_clISt17integral_constantIbLb1EES1D_EEDaS18_S19_EUlS18_E_NS1_11comp_targetILNS1_3genE2ELNS1_11target_archE906ELNS1_3gpuE6ELNS1_3repE0EEENS1_30default_config_static_selectorELNS0_4arch9wavefront6targetE0EEEvT1_,comdat
.Lfunc_end993:
	.size	_ZN7rocprim17ROCPRIM_400000_NS6detail17trampoline_kernelINS0_14default_configENS1_25partition_config_selectorILNS1_17partition_subalgoE9ExjbEEZZNS1_14partition_implILS5_9ELb0ES3_jN6thrust23THRUST_200600_302600_NS6detail15normal_iteratorINS9_10device_ptrIxEEEENSB_INSC_IjEEEEPNS0_10empty_typeENS0_5tupleIJNS9_16discard_iteratorINS9_11use_defaultEEESH_EEENSJ_IJSM_SI_EEENS0_18inequality_wrapperINS9_8equal_toIxEEEEPmJSH_EEE10hipError_tPvRmT3_T4_T5_T6_T7_T9_mT8_P12ihipStream_tbDpT10_ENKUlT_T0_E_clISt17integral_constantIbLb1EES1D_EEDaS18_S19_EUlS18_E_NS1_11comp_targetILNS1_3genE2ELNS1_11target_archE906ELNS1_3gpuE6ELNS1_3repE0EEENS1_30default_config_static_selectorELNS0_4arch9wavefront6targetE0EEEvT1_, .Lfunc_end993-_ZN7rocprim17ROCPRIM_400000_NS6detail17trampoline_kernelINS0_14default_configENS1_25partition_config_selectorILNS1_17partition_subalgoE9ExjbEEZZNS1_14partition_implILS5_9ELb0ES3_jN6thrust23THRUST_200600_302600_NS6detail15normal_iteratorINS9_10device_ptrIxEEEENSB_INSC_IjEEEEPNS0_10empty_typeENS0_5tupleIJNS9_16discard_iteratorINS9_11use_defaultEEESH_EEENSJ_IJSM_SI_EEENS0_18inequality_wrapperINS9_8equal_toIxEEEEPmJSH_EEE10hipError_tPvRmT3_T4_T5_T6_T7_T9_mT8_P12ihipStream_tbDpT10_ENKUlT_T0_E_clISt17integral_constantIbLb1EES1D_EEDaS18_S19_EUlS18_E_NS1_11comp_targetILNS1_3genE2ELNS1_11target_archE906ELNS1_3gpuE6ELNS1_3repE0EEENS1_30default_config_static_selectorELNS0_4arch9wavefront6targetE0EEEvT1_
                                        ; -- End function
	.section	.AMDGPU.csdata,"",@progbits
; Kernel info:
; codeLenInByte = 0
; NumSgprs: 0
; NumVgprs: 0
; ScratchSize: 0
; MemoryBound: 0
; FloatMode: 240
; IeeeMode: 1
; LDSByteSize: 0 bytes/workgroup (compile time only)
; SGPRBlocks: 0
; VGPRBlocks: 0
; NumSGPRsForWavesPerEU: 1
; NumVGPRsForWavesPerEU: 1
; Occupancy: 16
; WaveLimiterHint : 0
; COMPUTE_PGM_RSRC2:SCRATCH_EN: 0
; COMPUTE_PGM_RSRC2:USER_SGPR: 15
; COMPUTE_PGM_RSRC2:TRAP_HANDLER: 0
; COMPUTE_PGM_RSRC2:TGID_X_EN: 1
; COMPUTE_PGM_RSRC2:TGID_Y_EN: 0
; COMPUTE_PGM_RSRC2:TGID_Z_EN: 0
; COMPUTE_PGM_RSRC2:TIDIG_COMP_CNT: 0
	.section	.text._ZN7rocprim17ROCPRIM_400000_NS6detail17trampoline_kernelINS0_14default_configENS1_25partition_config_selectorILNS1_17partition_subalgoE9ExjbEEZZNS1_14partition_implILS5_9ELb0ES3_jN6thrust23THRUST_200600_302600_NS6detail15normal_iteratorINS9_10device_ptrIxEEEENSB_INSC_IjEEEEPNS0_10empty_typeENS0_5tupleIJNS9_16discard_iteratorINS9_11use_defaultEEESH_EEENSJ_IJSM_SI_EEENS0_18inequality_wrapperINS9_8equal_toIxEEEEPmJSH_EEE10hipError_tPvRmT3_T4_T5_T6_T7_T9_mT8_P12ihipStream_tbDpT10_ENKUlT_T0_E_clISt17integral_constantIbLb1EES1D_EEDaS18_S19_EUlS18_E_NS1_11comp_targetILNS1_3genE10ELNS1_11target_archE1200ELNS1_3gpuE4ELNS1_3repE0EEENS1_30default_config_static_selectorELNS0_4arch9wavefront6targetE0EEEvT1_,"axG",@progbits,_ZN7rocprim17ROCPRIM_400000_NS6detail17trampoline_kernelINS0_14default_configENS1_25partition_config_selectorILNS1_17partition_subalgoE9ExjbEEZZNS1_14partition_implILS5_9ELb0ES3_jN6thrust23THRUST_200600_302600_NS6detail15normal_iteratorINS9_10device_ptrIxEEEENSB_INSC_IjEEEEPNS0_10empty_typeENS0_5tupleIJNS9_16discard_iteratorINS9_11use_defaultEEESH_EEENSJ_IJSM_SI_EEENS0_18inequality_wrapperINS9_8equal_toIxEEEEPmJSH_EEE10hipError_tPvRmT3_T4_T5_T6_T7_T9_mT8_P12ihipStream_tbDpT10_ENKUlT_T0_E_clISt17integral_constantIbLb1EES1D_EEDaS18_S19_EUlS18_E_NS1_11comp_targetILNS1_3genE10ELNS1_11target_archE1200ELNS1_3gpuE4ELNS1_3repE0EEENS1_30default_config_static_selectorELNS0_4arch9wavefront6targetE0EEEvT1_,comdat
	.protected	_ZN7rocprim17ROCPRIM_400000_NS6detail17trampoline_kernelINS0_14default_configENS1_25partition_config_selectorILNS1_17partition_subalgoE9ExjbEEZZNS1_14partition_implILS5_9ELb0ES3_jN6thrust23THRUST_200600_302600_NS6detail15normal_iteratorINS9_10device_ptrIxEEEENSB_INSC_IjEEEEPNS0_10empty_typeENS0_5tupleIJNS9_16discard_iteratorINS9_11use_defaultEEESH_EEENSJ_IJSM_SI_EEENS0_18inequality_wrapperINS9_8equal_toIxEEEEPmJSH_EEE10hipError_tPvRmT3_T4_T5_T6_T7_T9_mT8_P12ihipStream_tbDpT10_ENKUlT_T0_E_clISt17integral_constantIbLb1EES1D_EEDaS18_S19_EUlS18_E_NS1_11comp_targetILNS1_3genE10ELNS1_11target_archE1200ELNS1_3gpuE4ELNS1_3repE0EEENS1_30default_config_static_selectorELNS0_4arch9wavefront6targetE0EEEvT1_ ; -- Begin function _ZN7rocprim17ROCPRIM_400000_NS6detail17trampoline_kernelINS0_14default_configENS1_25partition_config_selectorILNS1_17partition_subalgoE9ExjbEEZZNS1_14partition_implILS5_9ELb0ES3_jN6thrust23THRUST_200600_302600_NS6detail15normal_iteratorINS9_10device_ptrIxEEEENSB_INSC_IjEEEEPNS0_10empty_typeENS0_5tupleIJNS9_16discard_iteratorINS9_11use_defaultEEESH_EEENSJ_IJSM_SI_EEENS0_18inequality_wrapperINS9_8equal_toIxEEEEPmJSH_EEE10hipError_tPvRmT3_T4_T5_T6_T7_T9_mT8_P12ihipStream_tbDpT10_ENKUlT_T0_E_clISt17integral_constantIbLb1EES1D_EEDaS18_S19_EUlS18_E_NS1_11comp_targetILNS1_3genE10ELNS1_11target_archE1200ELNS1_3gpuE4ELNS1_3repE0EEENS1_30default_config_static_selectorELNS0_4arch9wavefront6targetE0EEEvT1_
	.globl	_ZN7rocprim17ROCPRIM_400000_NS6detail17trampoline_kernelINS0_14default_configENS1_25partition_config_selectorILNS1_17partition_subalgoE9ExjbEEZZNS1_14partition_implILS5_9ELb0ES3_jN6thrust23THRUST_200600_302600_NS6detail15normal_iteratorINS9_10device_ptrIxEEEENSB_INSC_IjEEEEPNS0_10empty_typeENS0_5tupleIJNS9_16discard_iteratorINS9_11use_defaultEEESH_EEENSJ_IJSM_SI_EEENS0_18inequality_wrapperINS9_8equal_toIxEEEEPmJSH_EEE10hipError_tPvRmT3_T4_T5_T6_T7_T9_mT8_P12ihipStream_tbDpT10_ENKUlT_T0_E_clISt17integral_constantIbLb1EES1D_EEDaS18_S19_EUlS18_E_NS1_11comp_targetILNS1_3genE10ELNS1_11target_archE1200ELNS1_3gpuE4ELNS1_3repE0EEENS1_30default_config_static_selectorELNS0_4arch9wavefront6targetE0EEEvT1_
	.p2align	8
	.type	_ZN7rocprim17ROCPRIM_400000_NS6detail17trampoline_kernelINS0_14default_configENS1_25partition_config_selectorILNS1_17partition_subalgoE9ExjbEEZZNS1_14partition_implILS5_9ELb0ES3_jN6thrust23THRUST_200600_302600_NS6detail15normal_iteratorINS9_10device_ptrIxEEEENSB_INSC_IjEEEEPNS0_10empty_typeENS0_5tupleIJNS9_16discard_iteratorINS9_11use_defaultEEESH_EEENSJ_IJSM_SI_EEENS0_18inequality_wrapperINS9_8equal_toIxEEEEPmJSH_EEE10hipError_tPvRmT3_T4_T5_T6_T7_T9_mT8_P12ihipStream_tbDpT10_ENKUlT_T0_E_clISt17integral_constantIbLb1EES1D_EEDaS18_S19_EUlS18_E_NS1_11comp_targetILNS1_3genE10ELNS1_11target_archE1200ELNS1_3gpuE4ELNS1_3repE0EEENS1_30default_config_static_selectorELNS0_4arch9wavefront6targetE0EEEvT1_,@function
_ZN7rocprim17ROCPRIM_400000_NS6detail17trampoline_kernelINS0_14default_configENS1_25partition_config_selectorILNS1_17partition_subalgoE9ExjbEEZZNS1_14partition_implILS5_9ELb0ES3_jN6thrust23THRUST_200600_302600_NS6detail15normal_iteratorINS9_10device_ptrIxEEEENSB_INSC_IjEEEEPNS0_10empty_typeENS0_5tupleIJNS9_16discard_iteratorINS9_11use_defaultEEESH_EEENSJ_IJSM_SI_EEENS0_18inequality_wrapperINS9_8equal_toIxEEEEPmJSH_EEE10hipError_tPvRmT3_T4_T5_T6_T7_T9_mT8_P12ihipStream_tbDpT10_ENKUlT_T0_E_clISt17integral_constantIbLb1EES1D_EEDaS18_S19_EUlS18_E_NS1_11comp_targetILNS1_3genE10ELNS1_11target_archE1200ELNS1_3gpuE4ELNS1_3repE0EEENS1_30default_config_static_selectorELNS0_4arch9wavefront6targetE0EEEvT1_: ; @_ZN7rocprim17ROCPRIM_400000_NS6detail17trampoline_kernelINS0_14default_configENS1_25partition_config_selectorILNS1_17partition_subalgoE9ExjbEEZZNS1_14partition_implILS5_9ELb0ES3_jN6thrust23THRUST_200600_302600_NS6detail15normal_iteratorINS9_10device_ptrIxEEEENSB_INSC_IjEEEEPNS0_10empty_typeENS0_5tupleIJNS9_16discard_iteratorINS9_11use_defaultEEESH_EEENSJ_IJSM_SI_EEENS0_18inequality_wrapperINS9_8equal_toIxEEEEPmJSH_EEE10hipError_tPvRmT3_T4_T5_T6_T7_T9_mT8_P12ihipStream_tbDpT10_ENKUlT_T0_E_clISt17integral_constantIbLb1EES1D_EEDaS18_S19_EUlS18_E_NS1_11comp_targetILNS1_3genE10ELNS1_11target_archE1200ELNS1_3gpuE4ELNS1_3repE0EEENS1_30default_config_static_selectorELNS0_4arch9wavefront6targetE0EEEvT1_
; %bb.0:
	.section	.rodata,"a",@progbits
	.p2align	6, 0x0
	.amdhsa_kernel _ZN7rocprim17ROCPRIM_400000_NS6detail17trampoline_kernelINS0_14default_configENS1_25partition_config_selectorILNS1_17partition_subalgoE9ExjbEEZZNS1_14partition_implILS5_9ELb0ES3_jN6thrust23THRUST_200600_302600_NS6detail15normal_iteratorINS9_10device_ptrIxEEEENSB_INSC_IjEEEEPNS0_10empty_typeENS0_5tupleIJNS9_16discard_iteratorINS9_11use_defaultEEESH_EEENSJ_IJSM_SI_EEENS0_18inequality_wrapperINS9_8equal_toIxEEEEPmJSH_EEE10hipError_tPvRmT3_T4_T5_T6_T7_T9_mT8_P12ihipStream_tbDpT10_ENKUlT_T0_E_clISt17integral_constantIbLb1EES1D_EEDaS18_S19_EUlS18_E_NS1_11comp_targetILNS1_3genE10ELNS1_11target_archE1200ELNS1_3gpuE4ELNS1_3repE0EEENS1_30default_config_static_selectorELNS0_4arch9wavefront6targetE0EEEvT1_
		.amdhsa_group_segment_fixed_size 0
		.amdhsa_private_segment_fixed_size 0
		.amdhsa_kernarg_size 144
		.amdhsa_user_sgpr_count 15
		.amdhsa_user_sgpr_dispatch_ptr 0
		.amdhsa_user_sgpr_queue_ptr 0
		.amdhsa_user_sgpr_kernarg_segment_ptr 1
		.amdhsa_user_sgpr_dispatch_id 0
		.amdhsa_user_sgpr_private_segment_size 0
		.amdhsa_wavefront_size32 1
		.amdhsa_uses_dynamic_stack 0
		.amdhsa_enable_private_segment 0
		.amdhsa_system_sgpr_workgroup_id_x 1
		.amdhsa_system_sgpr_workgroup_id_y 0
		.amdhsa_system_sgpr_workgroup_id_z 0
		.amdhsa_system_sgpr_workgroup_info 0
		.amdhsa_system_vgpr_workitem_id 0
		.amdhsa_next_free_vgpr 1
		.amdhsa_next_free_sgpr 1
		.amdhsa_reserve_vcc 0
		.amdhsa_float_round_mode_32 0
		.amdhsa_float_round_mode_16_64 0
		.amdhsa_float_denorm_mode_32 3
		.amdhsa_float_denorm_mode_16_64 3
		.amdhsa_dx10_clamp 1
		.amdhsa_ieee_mode 1
		.amdhsa_fp16_overflow 0
		.amdhsa_workgroup_processor_mode 1
		.amdhsa_memory_ordered 1
		.amdhsa_forward_progress 0
		.amdhsa_shared_vgpr_count 0
		.amdhsa_exception_fp_ieee_invalid_op 0
		.amdhsa_exception_fp_denorm_src 0
		.amdhsa_exception_fp_ieee_div_zero 0
		.amdhsa_exception_fp_ieee_overflow 0
		.amdhsa_exception_fp_ieee_underflow 0
		.amdhsa_exception_fp_ieee_inexact 0
		.amdhsa_exception_int_div_zero 0
	.end_amdhsa_kernel
	.section	.text._ZN7rocprim17ROCPRIM_400000_NS6detail17trampoline_kernelINS0_14default_configENS1_25partition_config_selectorILNS1_17partition_subalgoE9ExjbEEZZNS1_14partition_implILS5_9ELb0ES3_jN6thrust23THRUST_200600_302600_NS6detail15normal_iteratorINS9_10device_ptrIxEEEENSB_INSC_IjEEEEPNS0_10empty_typeENS0_5tupleIJNS9_16discard_iteratorINS9_11use_defaultEEESH_EEENSJ_IJSM_SI_EEENS0_18inequality_wrapperINS9_8equal_toIxEEEEPmJSH_EEE10hipError_tPvRmT3_T4_T5_T6_T7_T9_mT8_P12ihipStream_tbDpT10_ENKUlT_T0_E_clISt17integral_constantIbLb1EES1D_EEDaS18_S19_EUlS18_E_NS1_11comp_targetILNS1_3genE10ELNS1_11target_archE1200ELNS1_3gpuE4ELNS1_3repE0EEENS1_30default_config_static_selectorELNS0_4arch9wavefront6targetE0EEEvT1_,"axG",@progbits,_ZN7rocprim17ROCPRIM_400000_NS6detail17trampoline_kernelINS0_14default_configENS1_25partition_config_selectorILNS1_17partition_subalgoE9ExjbEEZZNS1_14partition_implILS5_9ELb0ES3_jN6thrust23THRUST_200600_302600_NS6detail15normal_iteratorINS9_10device_ptrIxEEEENSB_INSC_IjEEEEPNS0_10empty_typeENS0_5tupleIJNS9_16discard_iteratorINS9_11use_defaultEEESH_EEENSJ_IJSM_SI_EEENS0_18inequality_wrapperINS9_8equal_toIxEEEEPmJSH_EEE10hipError_tPvRmT3_T4_T5_T6_T7_T9_mT8_P12ihipStream_tbDpT10_ENKUlT_T0_E_clISt17integral_constantIbLb1EES1D_EEDaS18_S19_EUlS18_E_NS1_11comp_targetILNS1_3genE10ELNS1_11target_archE1200ELNS1_3gpuE4ELNS1_3repE0EEENS1_30default_config_static_selectorELNS0_4arch9wavefront6targetE0EEEvT1_,comdat
.Lfunc_end994:
	.size	_ZN7rocprim17ROCPRIM_400000_NS6detail17trampoline_kernelINS0_14default_configENS1_25partition_config_selectorILNS1_17partition_subalgoE9ExjbEEZZNS1_14partition_implILS5_9ELb0ES3_jN6thrust23THRUST_200600_302600_NS6detail15normal_iteratorINS9_10device_ptrIxEEEENSB_INSC_IjEEEEPNS0_10empty_typeENS0_5tupleIJNS9_16discard_iteratorINS9_11use_defaultEEESH_EEENSJ_IJSM_SI_EEENS0_18inequality_wrapperINS9_8equal_toIxEEEEPmJSH_EEE10hipError_tPvRmT3_T4_T5_T6_T7_T9_mT8_P12ihipStream_tbDpT10_ENKUlT_T0_E_clISt17integral_constantIbLb1EES1D_EEDaS18_S19_EUlS18_E_NS1_11comp_targetILNS1_3genE10ELNS1_11target_archE1200ELNS1_3gpuE4ELNS1_3repE0EEENS1_30default_config_static_selectorELNS0_4arch9wavefront6targetE0EEEvT1_, .Lfunc_end994-_ZN7rocprim17ROCPRIM_400000_NS6detail17trampoline_kernelINS0_14default_configENS1_25partition_config_selectorILNS1_17partition_subalgoE9ExjbEEZZNS1_14partition_implILS5_9ELb0ES3_jN6thrust23THRUST_200600_302600_NS6detail15normal_iteratorINS9_10device_ptrIxEEEENSB_INSC_IjEEEEPNS0_10empty_typeENS0_5tupleIJNS9_16discard_iteratorINS9_11use_defaultEEESH_EEENSJ_IJSM_SI_EEENS0_18inequality_wrapperINS9_8equal_toIxEEEEPmJSH_EEE10hipError_tPvRmT3_T4_T5_T6_T7_T9_mT8_P12ihipStream_tbDpT10_ENKUlT_T0_E_clISt17integral_constantIbLb1EES1D_EEDaS18_S19_EUlS18_E_NS1_11comp_targetILNS1_3genE10ELNS1_11target_archE1200ELNS1_3gpuE4ELNS1_3repE0EEENS1_30default_config_static_selectorELNS0_4arch9wavefront6targetE0EEEvT1_
                                        ; -- End function
	.section	.AMDGPU.csdata,"",@progbits
; Kernel info:
; codeLenInByte = 0
; NumSgprs: 0
; NumVgprs: 0
; ScratchSize: 0
; MemoryBound: 0
; FloatMode: 240
; IeeeMode: 1
; LDSByteSize: 0 bytes/workgroup (compile time only)
; SGPRBlocks: 0
; VGPRBlocks: 0
; NumSGPRsForWavesPerEU: 1
; NumVGPRsForWavesPerEU: 1
; Occupancy: 15
; WaveLimiterHint : 0
; COMPUTE_PGM_RSRC2:SCRATCH_EN: 0
; COMPUTE_PGM_RSRC2:USER_SGPR: 15
; COMPUTE_PGM_RSRC2:TRAP_HANDLER: 0
; COMPUTE_PGM_RSRC2:TGID_X_EN: 1
; COMPUTE_PGM_RSRC2:TGID_Y_EN: 0
; COMPUTE_PGM_RSRC2:TGID_Z_EN: 0
; COMPUTE_PGM_RSRC2:TIDIG_COMP_CNT: 0
	.section	.text._ZN7rocprim17ROCPRIM_400000_NS6detail17trampoline_kernelINS0_14default_configENS1_25partition_config_selectorILNS1_17partition_subalgoE9ExjbEEZZNS1_14partition_implILS5_9ELb0ES3_jN6thrust23THRUST_200600_302600_NS6detail15normal_iteratorINS9_10device_ptrIxEEEENSB_INSC_IjEEEEPNS0_10empty_typeENS0_5tupleIJNS9_16discard_iteratorINS9_11use_defaultEEESH_EEENSJ_IJSM_SI_EEENS0_18inequality_wrapperINS9_8equal_toIxEEEEPmJSH_EEE10hipError_tPvRmT3_T4_T5_T6_T7_T9_mT8_P12ihipStream_tbDpT10_ENKUlT_T0_E_clISt17integral_constantIbLb1EES1D_EEDaS18_S19_EUlS18_E_NS1_11comp_targetILNS1_3genE9ELNS1_11target_archE1100ELNS1_3gpuE3ELNS1_3repE0EEENS1_30default_config_static_selectorELNS0_4arch9wavefront6targetE0EEEvT1_,"axG",@progbits,_ZN7rocprim17ROCPRIM_400000_NS6detail17trampoline_kernelINS0_14default_configENS1_25partition_config_selectorILNS1_17partition_subalgoE9ExjbEEZZNS1_14partition_implILS5_9ELb0ES3_jN6thrust23THRUST_200600_302600_NS6detail15normal_iteratorINS9_10device_ptrIxEEEENSB_INSC_IjEEEEPNS0_10empty_typeENS0_5tupleIJNS9_16discard_iteratorINS9_11use_defaultEEESH_EEENSJ_IJSM_SI_EEENS0_18inequality_wrapperINS9_8equal_toIxEEEEPmJSH_EEE10hipError_tPvRmT3_T4_T5_T6_T7_T9_mT8_P12ihipStream_tbDpT10_ENKUlT_T0_E_clISt17integral_constantIbLb1EES1D_EEDaS18_S19_EUlS18_E_NS1_11comp_targetILNS1_3genE9ELNS1_11target_archE1100ELNS1_3gpuE3ELNS1_3repE0EEENS1_30default_config_static_selectorELNS0_4arch9wavefront6targetE0EEEvT1_,comdat
	.protected	_ZN7rocprim17ROCPRIM_400000_NS6detail17trampoline_kernelINS0_14default_configENS1_25partition_config_selectorILNS1_17partition_subalgoE9ExjbEEZZNS1_14partition_implILS5_9ELb0ES3_jN6thrust23THRUST_200600_302600_NS6detail15normal_iteratorINS9_10device_ptrIxEEEENSB_INSC_IjEEEEPNS0_10empty_typeENS0_5tupleIJNS9_16discard_iteratorINS9_11use_defaultEEESH_EEENSJ_IJSM_SI_EEENS0_18inequality_wrapperINS9_8equal_toIxEEEEPmJSH_EEE10hipError_tPvRmT3_T4_T5_T6_T7_T9_mT8_P12ihipStream_tbDpT10_ENKUlT_T0_E_clISt17integral_constantIbLb1EES1D_EEDaS18_S19_EUlS18_E_NS1_11comp_targetILNS1_3genE9ELNS1_11target_archE1100ELNS1_3gpuE3ELNS1_3repE0EEENS1_30default_config_static_selectorELNS0_4arch9wavefront6targetE0EEEvT1_ ; -- Begin function _ZN7rocprim17ROCPRIM_400000_NS6detail17trampoline_kernelINS0_14default_configENS1_25partition_config_selectorILNS1_17partition_subalgoE9ExjbEEZZNS1_14partition_implILS5_9ELb0ES3_jN6thrust23THRUST_200600_302600_NS6detail15normal_iteratorINS9_10device_ptrIxEEEENSB_INSC_IjEEEEPNS0_10empty_typeENS0_5tupleIJNS9_16discard_iteratorINS9_11use_defaultEEESH_EEENSJ_IJSM_SI_EEENS0_18inequality_wrapperINS9_8equal_toIxEEEEPmJSH_EEE10hipError_tPvRmT3_T4_T5_T6_T7_T9_mT8_P12ihipStream_tbDpT10_ENKUlT_T0_E_clISt17integral_constantIbLb1EES1D_EEDaS18_S19_EUlS18_E_NS1_11comp_targetILNS1_3genE9ELNS1_11target_archE1100ELNS1_3gpuE3ELNS1_3repE0EEENS1_30default_config_static_selectorELNS0_4arch9wavefront6targetE0EEEvT1_
	.globl	_ZN7rocprim17ROCPRIM_400000_NS6detail17trampoline_kernelINS0_14default_configENS1_25partition_config_selectorILNS1_17partition_subalgoE9ExjbEEZZNS1_14partition_implILS5_9ELb0ES3_jN6thrust23THRUST_200600_302600_NS6detail15normal_iteratorINS9_10device_ptrIxEEEENSB_INSC_IjEEEEPNS0_10empty_typeENS0_5tupleIJNS9_16discard_iteratorINS9_11use_defaultEEESH_EEENSJ_IJSM_SI_EEENS0_18inequality_wrapperINS9_8equal_toIxEEEEPmJSH_EEE10hipError_tPvRmT3_T4_T5_T6_T7_T9_mT8_P12ihipStream_tbDpT10_ENKUlT_T0_E_clISt17integral_constantIbLb1EES1D_EEDaS18_S19_EUlS18_E_NS1_11comp_targetILNS1_3genE9ELNS1_11target_archE1100ELNS1_3gpuE3ELNS1_3repE0EEENS1_30default_config_static_selectorELNS0_4arch9wavefront6targetE0EEEvT1_
	.p2align	8
	.type	_ZN7rocprim17ROCPRIM_400000_NS6detail17trampoline_kernelINS0_14default_configENS1_25partition_config_selectorILNS1_17partition_subalgoE9ExjbEEZZNS1_14partition_implILS5_9ELb0ES3_jN6thrust23THRUST_200600_302600_NS6detail15normal_iteratorINS9_10device_ptrIxEEEENSB_INSC_IjEEEEPNS0_10empty_typeENS0_5tupleIJNS9_16discard_iteratorINS9_11use_defaultEEESH_EEENSJ_IJSM_SI_EEENS0_18inequality_wrapperINS9_8equal_toIxEEEEPmJSH_EEE10hipError_tPvRmT3_T4_T5_T6_T7_T9_mT8_P12ihipStream_tbDpT10_ENKUlT_T0_E_clISt17integral_constantIbLb1EES1D_EEDaS18_S19_EUlS18_E_NS1_11comp_targetILNS1_3genE9ELNS1_11target_archE1100ELNS1_3gpuE3ELNS1_3repE0EEENS1_30default_config_static_selectorELNS0_4arch9wavefront6targetE0EEEvT1_,@function
_ZN7rocprim17ROCPRIM_400000_NS6detail17trampoline_kernelINS0_14default_configENS1_25partition_config_selectorILNS1_17partition_subalgoE9ExjbEEZZNS1_14partition_implILS5_9ELb0ES3_jN6thrust23THRUST_200600_302600_NS6detail15normal_iteratorINS9_10device_ptrIxEEEENSB_INSC_IjEEEEPNS0_10empty_typeENS0_5tupleIJNS9_16discard_iteratorINS9_11use_defaultEEESH_EEENSJ_IJSM_SI_EEENS0_18inequality_wrapperINS9_8equal_toIxEEEEPmJSH_EEE10hipError_tPvRmT3_T4_T5_T6_T7_T9_mT8_P12ihipStream_tbDpT10_ENKUlT_T0_E_clISt17integral_constantIbLb1EES1D_EEDaS18_S19_EUlS18_E_NS1_11comp_targetILNS1_3genE9ELNS1_11target_archE1100ELNS1_3gpuE3ELNS1_3repE0EEENS1_30default_config_static_selectorELNS0_4arch9wavefront6targetE0EEEvT1_: ; @_ZN7rocprim17ROCPRIM_400000_NS6detail17trampoline_kernelINS0_14default_configENS1_25partition_config_selectorILNS1_17partition_subalgoE9ExjbEEZZNS1_14partition_implILS5_9ELb0ES3_jN6thrust23THRUST_200600_302600_NS6detail15normal_iteratorINS9_10device_ptrIxEEEENSB_INSC_IjEEEEPNS0_10empty_typeENS0_5tupleIJNS9_16discard_iteratorINS9_11use_defaultEEESH_EEENSJ_IJSM_SI_EEENS0_18inequality_wrapperINS9_8equal_toIxEEEEPmJSH_EEE10hipError_tPvRmT3_T4_T5_T6_T7_T9_mT8_P12ihipStream_tbDpT10_ENKUlT_T0_E_clISt17integral_constantIbLb1EES1D_EEDaS18_S19_EUlS18_E_NS1_11comp_targetILNS1_3genE9ELNS1_11target_archE1100ELNS1_3gpuE3ELNS1_3repE0EEENS1_30default_config_static_selectorELNS0_4arch9wavefront6targetE0EEEvT1_
; %bb.0:
	s_clause 0x4
	s_load_b128 s[4:7], s[0:1], 0x8
	s_load_b64 s[8:9], s[0:1], 0x18
	s_load_b64 s[16:17], s[0:1], 0x60
	s_load_b128 s[12:15], s[0:1], 0x50
	s_load_b64 s[10:11], s[0:1], 0x70
	v_cmp_ne_u32_e64 s3, 0, v0
	v_cmp_eq_u32_e64 s2, 0, v0
	s_delay_alu instid0(VALU_DEP_1)
	s_and_saveexec_b32 s18, s2
	s_cbranch_execz .LBB995_4
; %bb.1:
	s_mov_b32 s20, exec_lo
	s_mov_b32 s19, exec_lo
	v_mbcnt_lo_u32_b32 v1, s20, 0
                                        ; implicit-def: $vgpr2
	s_delay_alu instid0(VALU_DEP_1)
	v_cmpx_eq_u32_e32 0, v1
	s_cbranch_execz .LBB995_3
; %bb.2:
	s_load_b64 s[22:23], s[0:1], 0x80
	s_bcnt1_i32_b32 s20, s20
	s_delay_alu instid0(SALU_CYCLE_1)
	v_dual_mov_b32 v2, 0 :: v_dual_mov_b32 v3, s20
	s_waitcnt lgkmcnt(0)
	global_atomic_add_u32 v2, v2, v3, s[22:23] glc
.LBB995_3:
	s_or_b32 exec_lo, exec_lo, s19
	s_waitcnt vmcnt(0)
	v_readfirstlane_b32 s19, v2
	s_delay_alu instid0(VALU_DEP_1)
	v_dual_mov_b32 v2, 0 :: v_dual_add_nc_u32 v1, s19, v1
	ds_store_b32 v2, v1
.LBB995_4:
	s_or_b32 exec_lo, exec_lo, s18
	v_mov_b32_e32 v1, 0
	s_waitcnt lgkmcnt(0)
	s_barrier
	buffer_gl0_inv
	s_load_b32 s0, s[0:1], 0x78
	ds_load_b32 v2, v1
	s_waitcnt lgkmcnt(0)
	s_barrier
	buffer_gl0_inv
	global_load_b64 v[17:18], v1, s[14:15]
	s_lshl_b64 s[18:19], s[6:7], 3
	v_lshlrev_b32_e32 v31, 3, v0
	s_add_u32 s20, s4, s18
	s_addc_u32 s21, s5, s19
	v_lshrrev_b32_e32 v26, 2, v0
	v_or_b32_e32 v25, 0x200, v0
	v_or_b32_e32 v24, 0x400, v0
	;; [unrolled: 1-line block ×7, first 2 shown]
	s_add_i32 s5, s0, -1
	v_readfirstlane_b32 s15, v2
	s_lshl_b32 s1, s5, 12
	s_lshl_b32 s0, s0, 12
	s_add_i32 s1, s6, s1
	s_delay_alu instid0(SALU_CYCLE_1)
	s_sub_i32 s18, s16, s1
	s_lshl_b32 s4, s15, 12
	s_add_u32 s0, s6, s0
	s_addc_u32 s1, s7, 0
	s_cmp_eq_u32 s15, s5
	v_cmp_ge_u64_e64 s0, s[0:1], s[16:17]
	s_cselect_b32 s14, -1, 0
	s_mov_b32 s5, 0
	s_delay_alu instid0(VALU_DEP_1)
	s_and_b32 s16, s0, s14
	s_lshl_b64 s[0:1], s[4:5], 3
	s_xor_b32 s17, s16, -1
	s_add_u32 s19, s20, s0
	s_addc_u32 s1, s21, s1
	s_and_b32 vcc_lo, exec_lo, s17
	s_mov_b32 s20, -1
	s_cbranch_vccz .LBB995_6
; %bb.5:
	v_add_co_u32 v1, s0, s19, v31
	s_delay_alu instid0(VALU_DEP_1) | instskip(SKIP_1) | instid1(VALU_DEP_3)
	v_add_co_ci_u32_e64 v2, null, s1, 0, s0
	v_lshrrev_b32_e32 v28, 2, v25
	v_add_co_u32 v3, vcc_lo, 0x1000, v1
	s_delay_alu instid0(VALU_DEP_3)
	v_add_co_ci_u32_e32 v4, vcc_lo, 0, v2, vcc_lo
	v_add_co_u32 v5, vcc_lo, 0x2000, v1
	v_add_co_ci_u32_e32 v6, vcc_lo, 0, v2, vcc_lo
	v_add_co_u32 v7, vcc_lo, 0x3000, v1
	;; [unrolled: 2-line block ×6, first 2 shown]
	v_add_co_ci_u32_e32 v16, vcc_lo, 0, v2, vcc_lo
	s_clause 0x7
	flat_load_b64 v[1:2], v[1:2]
	flat_load_b64 v[3:4], v[3:4]
	;; [unrolled: 1-line block ×8, first 2 shown]
	v_lshrrev_b32_e32 v29, 2, v24
	v_lshrrev_b32_e32 v30, 2, v23
	;; [unrolled: 1-line block ×3, first 2 shown]
	v_and_b32_e32 v27, 0x78, v26
	v_lshrrev_b32_e32 v33, 2, v21
	v_lshrrev_b32_e32 v34, 2, v20
	;; [unrolled: 1-line block ×3, first 2 shown]
	v_and_b32_e32 v28, 0xf8, v28
	v_and_b32_e32 v29, 0x178, v29
	;; [unrolled: 1-line block ×4, first 2 shown]
	v_add_nc_u32_e32 v27, v27, v31
	v_and_b32_e32 v33, 0x2f8, v33
	v_and_b32_e32 v34, 0x378, v34
	;; [unrolled: 1-line block ×3, first 2 shown]
	v_add_nc_u32_e32 v28, v28, v31
	v_add_nc_u32_e32 v29, v29, v31
	;; [unrolled: 1-line block ×4, first 2 shown]
	s_mov_b32 s20, s5
	v_add_nc_u32_e32 v33, v33, v31
	v_add_nc_u32_e32 v34, v34, v31
	;; [unrolled: 1-line block ×3, first 2 shown]
	s_waitcnt vmcnt(7) lgkmcnt(7)
	ds_store_b64 v27, v[1:2]
	s_waitcnt vmcnt(6) lgkmcnt(7)
	ds_store_b64 v28, v[3:4] offset:4096
	s_waitcnt vmcnt(5) lgkmcnt(7)
	ds_store_b64 v29, v[5:6] offset:8192
	;; [unrolled: 2-line block ×7, first 2 shown]
	s_waitcnt lgkmcnt(0)
	s_barrier
.LBB995_6:
	v_cmp_gt_u32_e64 s0, s18, v0
	s_and_not1_b32 vcc_lo, exec_lo, s20
	s_cbranch_vccnz .LBB995_24
; %bb.7:
                                        ; implicit-def: $vgpr1_vgpr2_vgpr3_vgpr4_vgpr5_vgpr6_vgpr7_vgpr8_vgpr9_vgpr10_vgpr11_vgpr12_vgpr13_vgpr14_vgpr15_vgpr16
	s_delay_alu instid0(VALU_DEP_1)
	s_and_saveexec_b32 s20, s0
	s_cbranch_execz .LBB995_15
; %bb.8:
	v_add_co_u32 v1, s0, s19, v31
	s_delay_alu instid0(VALU_DEP_1) | instskip(SKIP_2) | instid1(SALU_CYCLE_1)
	v_add_co_ci_u32_e64 v2, null, s1, 0, s0
	flat_load_b64 v[1:2], v[1:2]
	s_or_b32 exec_lo, exec_lo, s20
	s_mov_b32 s0, exec_lo
	v_cmpx_gt_u32_e64 s18, v25
	s_cbranch_execnz .LBB995_16
.LBB995_9:
	s_or_b32 exec_lo, exec_lo, s0
	s_delay_alu instid0(SALU_CYCLE_1)
	s_mov_b32 s0, exec_lo
	v_cmpx_gt_u32_e64 s18, v24
	s_cbranch_execz .LBB995_17
.LBB995_10:
	v_lshlrev_b32_e32 v5, 3, v24
	s_delay_alu instid0(VALU_DEP_1) | instskip(NEXT) | instid1(VALU_DEP_1)
	v_add_co_u32 v5, s20, s19, v5
	v_add_co_ci_u32_e64 v6, null, s1, 0, s20
	flat_load_b64 v[5:6], v[5:6]
	s_or_b32 exec_lo, exec_lo, s0
	s_delay_alu instid0(SALU_CYCLE_1)
	s_mov_b32 s0, exec_lo
	v_cmpx_gt_u32_e64 s18, v23
	s_cbranch_execnz .LBB995_18
.LBB995_11:
	s_or_b32 exec_lo, exec_lo, s0
	s_delay_alu instid0(SALU_CYCLE_1)
	s_mov_b32 s0, exec_lo
	v_cmpx_gt_u32_e64 s18, v22
	s_cbranch_execz .LBB995_19
.LBB995_12:
	v_lshlrev_b32_e32 v9, 3, v22
	s_delay_alu instid0(VALU_DEP_1) | instskip(NEXT) | instid1(VALU_DEP_1)
	v_add_co_u32 v9, s20, s19, v9
	v_add_co_ci_u32_e64 v10, null, s1, 0, s20
	flat_load_b64 v[9:10], v[9:10]
	s_or_b32 exec_lo, exec_lo, s0
	s_delay_alu instid0(SALU_CYCLE_1)
	s_mov_b32 s0, exec_lo
	v_cmpx_gt_u32_e64 s18, v21
	s_cbranch_execnz .LBB995_20
.LBB995_13:
	s_or_b32 exec_lo, exec_lo, s0
	s_delay_alu instid0(SALU_CYCLE_1)
	s_mov_b32 s0, exec_lo
	v_cmpx_gt_u32_e64 s18, v20
	s_cbranch_execz .LBB995_21
.LBB995_14:
	v_lshlrev_b32_e32 v13, 3, v20
	s_delay_alu instid0(VALU_DEP_1) | instskip(NEXT) | instid1(VALU_DEP_1)
	v_add_co_u32 v13, s20, s19, v13
	v_add_co_ci_u32_e64 v14, null, s1, 0, s20
	flat_load_b64 v[13:14], v[13:14]
	s_or_b32 exec_lo, exec_lo, s0
	s_delay_alu instid0(SALU_CYCLE_1)
	s_mov_b32 s0, exec_lo
	v_cmpx_gt_u32_e64 s18, v19
	s_cbranch_execnz .LBB995_22
	s_branch .LBB995_23
.LBB995_15:
	s_or_b32 exec_lo, exec_lo, s20
	s_delay_alu instid0(SALU_CYCLE_1)
	s_mov_b32 s0, exec_lo
	v_cmpx_gt_u32_e64 s18, v25
	s_cbranch_execz .LBB995_9
.LBB995_16:
	v_lshlrev_b32_e32 v3, 3, v25
	s_delay_alu instid0(VALU_DEP_1) | instskip(NEXT) | instid1(VALU_DEP_1)
	v_add_co_u32 v3, s20, s19, v3
	v_add_co_ci_u32_e64 v4, null, s1, 0, s20
	flat_load_b64 v[3:4], v[3:4]
	s_or_b32 exec_lo, exec_lo, s0
	s_delay_alu instid0(SALU_CYCLE_1)
	s_mov_b32 s0, exec_lo
	v_cmpx_gt_u32_e64 s18, v24
	s_cbranch_execnz .LBB995_10
.LBB995_17:
	s_or_b32 exec_lo, exec_lo, s0
	s_delay_alu instid0(SALU_CYCLE_1)
	s_mov_b32 s0, exec_lo
	v_cmpx_gt_u32_e64 s18, v23
	s_cbranch_execz .LBB995_11
.LBB995_18:
	v_lshlrev_b32_e32 v7, 3, v23
	s_delay_alu instid0(VALU_DEP_1) | instskip(NEXT) | instid1(VALU_DEP_1)
	v_add_co_u32 v7, s20, s19, v7
	v_add_co_ci_u32_e64 v8, null, s1, 0, s20
	flat_load_b64 v[7:8], v[7:8]
	s_or_b32 exec_lo, exec_lo, s0
	s_delay_alu instid0(SALU_CYCLE_1)
	s_mov_b32 s0, exec_lo
	v_cmpx_gt_u32_e64 s18, v22
	s_cbranch_execnz .LBB995_12
.LBB995_19:
	s_or_b32 exec_lo, exec_lo, s0
	s_delay_alu instid0(SALU_CYCLE_1)
	s_mov_b32 s0, exec_lo
	v_cmpx_gt_u32_e64 s18, v21
	s_cbranch_execz .LBB995_13
.LBB995_20:
	v_lshlrev_b32_e32 v11, 3, v21
	s_delay_alu instid0(VALU_DEP_1) | instskip(NEXT) | instid1(VALU_DEP_1)
	v_add_co_u32 v11, s20, s19, v11
	v_add_co_ci_u32_e64 v12, null, s1, 0, s20
	flat_load_b64 v[11:12], v[11:12]
	s_or_b32 exec_lo, exec_lo, s0
	s_delay_alu instid0(SALU_CYCLE_1)
	s_mov_b32 s0, exec_lo
	v_cmpx_gt_u32_e64 s18, v20
	s_cbranch_execnz .LBB995_14
.LBB995_21:
	s_or_b32 exec_lo, exec_lo, s0
	s_delay_alu instid0(SALU_CYCLE_1)
	s_mov_b32 s0, exec_lo
	v_cmpx_gt_u32_e64 s18, v19
	s_cbranch_execz .LBB995_23
.LBB995_22:
	v_lshlrev_b32_e32 v15, 3, v19
	s_delay_alu instid0(VALU_DEP_1) | instskip(NEXT) | instid1(VALU_DEP_1)
	v_add_co_u32 v15, s20, s19, v15
	v_add_co_ci_u32_e64 v16, null, s1, 0, s20
	flat_load_b64 v[15:16], v[15:16]
.LBB995_23:
	s_or_b32 exec_lo, exec_lo, s0
	v_lshrrev_b32_e32 v27, 2, v25
	v_lshrrev_b32_e32 v28, 2, v24
	;; [unrolled: 1-line block ×4, first 2 shown]
	v_and_b32_e32 v29, 0x78, v26
	v_lshrrev_b32_e32 v33, 2, v21
	v_lshrrev_b32_e32 v34, 2, v20
	;; [unrolled: 1-line block ×3, first 2 shown]
	v_and_b32_e32 v27, 0xf8, v27
	v_and_b32_e32 v28, 0x1f8, v28
	;; [unrolled: 1-line block ×4, first 2 shown]
	v_add_nc_u32_e32 v29, v29, v31
	v_and_b32_e32 v33, 0x3f8, v33
	v_and_b32_e32 v34, 0x3f8, v34
	;; [unrolled: 1-line block ×3, first 2 shown]
	v_add_nc_u32_e32 v27, v27, v31
	v_add_nc_u32_e32 v28, v28, v31
	v_add_nc_u32_e32 v30, v30, v31
	v_add_nc_u32_e32 v32, v32, v31
	v_add_nc_u32_e32 v33, v33, v31
	v_add_nc_u32_e32 v34, v34, v31
	v_add_nc_u32_e32 v35, v35, v31
	s_waitcnt vmcnt(0) lgkmcnt(0)
	ds_store_b64 v29, v[1:2]
	ds_store_b64 v27, v[3:4] offset:4096
	ds_store_b64 v28, v[5:6] offset:8192
	;; [unrolled: 1-line block ×7, first 2 shown]
	s_waitcnt lgkmcnt(0)
	s_barrier
.LBB995_24:
	v_add_nc_u32_e32 v26, v26, v31
	s_waitcnt vmcnt(0)
	buffer_gl0_inv
	s_lshl_b64 s[20:21], s[6:7], 2
	v_lshrrev_b32_e32 v28, 3, v0
	s_add_u32 s0, s8, s20
	v_lshlrev_b32_e32 v27, 3, v26
	s_addc_u32 s8, s9, s21
	s_lshl_b64 s[4:5], s[4:5], 2
	ds_load_2addr_b64 v[13:16], v27 offset1:1
	ds_load_2addr_b64 v[9:12], v27 offset0:2 offset1:3
	ds_load_2addr_b64 v[5:8], v27 offset0:4 offset1:5
	;; [unrolled: 1-line block ×3, first 2 shown]
	s_add_u32 s0, s0, s4
	s_addc_u32 s4, s8, s5
	s_and_b32 vcc_lo, exec_lo, s17
	s_mov_b32 s5, -1
	s_waitcnt lgkmcnt(0)
	s_barrier
	buffer_gl0_inv
	s_cbranch_vccz .LBB995_26
; %bb.25:
	v_lshlrev_b32_e32 v38, 2, v0
	v_lshrrev_b32_e32 v40, 3, v25
	v_lshrrev_b32_e32 v41, 3, v24
	;; [unrolled: 1-line block ×4, first 2 shown]
	v_add_co_u32 v29, s5, s0, v38
	s_delay_alu instid0(VALU_DEP_1) | instskip(SKIP_1) | instid1(VALU_DEP_3)
	v_add_co_ci_u32_e64 v30, null, s4, 0, s5
	v_lshrrev_b32_e32 v44, 3, v21
	v_add_co_u32 v32, vcc_lo, 0x1000, v29
	s_delay_alu instid0(VALU_DEP_3)
	v_add_co_ci_u32_e32 v33, vcc_lo, 0, v30, vcc_lo
	v_add_co_u32 v34, vcc_lo, 0x2000, v29
	v_add_co_ci_u32_e32 v35, vcc_lo, 0, v30, vcc_lo
	v_add_co_u32 v36, vcc_lo, 0x3000, v29
	v_add_co_ci_u32_e32 v37, vcc_lo, 0, v30, vcc_lo
	s_clause 0x7
	flat_load_b32 v39, v[29:30]
	flat_load_b32 v29, v[29:30] offset:2048
	flat_load_b32 v30, v[32:33]
	flat_load_b32 v32, v[32:33] offset:2048
	;; [unrolled: 2-line block ×4, first 2 shown]
	v_and_b32_e32 v37, 60, v28
	v_lshrrev_b32_e32 v45, 3, v20
	v_lshrrev_b32_e32 v46, 3, v19
	v_and_b32_e32 v40, 0x7c, v40
	v_and_b32_e32 v41, 0xbc, v41
	;; [unrolled: 1-line block ×4, first 2 shown]
	v_add_nc_u32_e32 v37, v37, v38
	v_and_b32_e32 v44, 0x17c, v44
	v_and_b32_e32 v45, 0x1bc, v45
	;; [unrolled: 1-line block ×3, first 2 shown]
	v_add_nc_u32_e32 v40, v40, v38
	v_add_nc_u32_e32 v41, v41, v38
	;; [unrolled: 1-line block ×4, first 2 shown]
	s_mov_b32 s5, 0
	v_add_nc_u32_e32 v44, v44, v38
	v_add_nc_u32_e32 v45, v45, v38
	;; [unrolled: 1-line block ×3, first 2 shown]
	s_waitcnt vmcnt(7) lgkmcnt(7)
	ds_store_b32 v37, v39
	s_waitcnt vmcnt(6) lgkmcnt(7)
	ds_store_b32 v40, v29 offset:2048
	s_waitcnt vmcnt(5) lgkmcnt(7)
	ds_store_b32 v41, v30 offset:4096
	s_waitcnt vmcnt(4) lgkmcnt(7)
	ds_store_b32 v42, v32 offset:6144
	s_waitcnt vmcnt(3) lgkmcnt(7)
	ds_store_b32 v43, v33 offset:8192
	s_waitcnt vmcnt(2) lgkmcnt(7)
	ds_store_b32 v44, v34 offset:10240
	s_waitcnt vmcnt(1) lgkmcnt(7)
	ds_store_b32 v45, v35 offset:12288
	s_waitcnt vmcnt(0) lgkmcnt(7)
	ds_store_b32 v38, v36 offset:14336
	s_waitcnt lgkmcnt(0)
	s_barrier
.LBB995_26:
	s_and_not1_b32 vcc_lo, exec_lo, s5
	s_cbranch_vccnz .LBB995_44
; %bb.27:
	s_mov_b32 s5, exec_lo
                                        ; implicit-def: $vgpr29
	v_cmpx_gt_u32_e64 s18, v0
	s_cbranch_execz .LBB995_29
; %bb.28:
	v_lshlrev_b32_e32 v29, 2, v0
	s_delay_alu instid0(VALU_DEP_1) | instskip(NEXT) | instid1(VALU_DEP_1)
	v_add_co_u32 v29, s8, s0, v29
	v_add_co_ci_u32_e64 v30, null, s4, 0, s8
	flat_load_b32 v29, v[29:30]
.LBB995_29:
	s_or_b32 exec_lo, exec_lo, s5
	s_delay_alu instid0(SALU_CYCLE_1)
	s_mov_b32 s5, exec_lo
                                        ; implicit-def: $vgpr30
	v_cmpx_gt_u32_e64 s18, v25
	s_cbranch_execz .LBB995_31
; %bb.30:
	v_lshlrev_b32_e32 v30, 2, v0
	s_delay_alu instid0(VALU_DEP_1) | instskip(NEXT) | instid1(VALU_DEP_1)
	v_add_co_u32 v32, s8, s0, v30
	v_add_co_ci_u32_e64 v33, null, s4, 0, s8
	flat_load_b32 v30, v[32:33] offset:2048
.LBB995_31:
	s_or_b32 exec_lo, exec_lo, s5
	s_delay_alu instid0(SALU_CYCLE_1)
	s_mov_b32 s5, exec_lo
                                        ; implicit-def: $vgpr32
	v_cmpx_gt_u32_e64 s18, v24
	s_cbranch_execz .LBB995_33
; %bb.32:
	v_lshlrev_b32_e32 v32, 2, v24
	s_delay_alu instid0(VALU_DEP_1) | instskip(NEXT) | instid1(VALU_DEP_1)
	v_add_co_u32 v32, s8, s0, v32
	v_add_co_ci_u32_e64 v33, null, s4, 0, s8
	flat_load_b32 v32, v[32:33]
.LBB995_33:
	s_or_b32 exec_lo, exec_lo, s5
	s_delay_alu instid0(SALU_CYCLE_1)
	s_mov_b32 s5, exec_lo
                                        ; implicit-def: $vgpr33
	v_cmpx_gt_u32_e64 s18, v23
	s_cbranch_execz .LBB995_35
; %bb.34:
	v_lshlrev_b32_e32 v33, 2, v23
	s_delay_alu instid0(VALU_DEP_1) | instskip(NEXT) | instid1(VALU_DEP_1)
	v_add_co_u32 v33, s8, s0, v33
	v_add_co_ci_u32_e64 v34, null, s4, 0, s8
	flat_load_b32 v33, v[33:34]
.LBB995_35:
	s_or_b32 exec_lo, exec_lo, s5
	s_delay_alu instid0(SALU_CYCLE_1)
	s_mov_b32 s5, exec_lo
                                        ; implicit-def: $vgpr34
	v_cmpx_gt_u32_e64 s18, v22
	s_cbranch_execz .LBB995_37
; %bb.36:
	v_lshlrev_b32_e32 v34, 2, v22
	s_delay_alu instid0(VALU_DEP_1) | instskip(NEXT) | instid1(VALU_DEP_1)
	v_add_co_u32 v34, s8, s0, v34
	v_add_co_ci_u32_e64 v35, null, s4, 0, s8
	flat_load_b32 v34, v[34:35]
.LBB995_37:
	s_or_b32 exec_lo, exec_lo, s5
	s_delay_alu instid0(SALU_CYCLE_1)
	s_mov_b32 s5, exec_lo
                                        ; implicit-def: $vgpr35
	v_cmpx_gt_u32_e64 s18, v21
	s_cbranch_execz .LBB995_39
; %bb.38:
	v_lshlrev_b32_e32 v35, 2, v21
	s_delay_alu instid0(VALU_DEP_1) | instskip(NEXT) | instid1(VALU_DEP_1)
	v_add_co_u32 v35, s8, s0, v35
	v_add_co_ci_u32_e64 v36, null, s4, 0, s8
	flat_load_b32 v35, v[35:36]
.LBB995_39:
	s_or_b32 exec_lo, exec_lo, s5
	s_delay_alu instid0(SALU_CYCLE_1)
	s_mov_b32 s5, exec_lo
                                        ; implicit-def: $vgpr36
	v_cmpx_gt_u32_e64 s18, v20
	s_cbranch_execz .LBB995_41
; %bb.40:
	v_lshlrev_b32_e32 v36, 2, v20
	s_delay_alu instid0(VALU_DEP_1) | instskip(NEXT) | instid1(VALU_DEP_1)
	v_add_co_u32 v36, s8, s0, v36
	v_add_co_ci_u32_e64 v37, null, s4, 0, s8
	flat_load_b32 v36, v[36:37]
.LBB995_41:
	s_or_b32 exec_lo, exec_lo, s5
	s_delay_alu instid0(SALU_CYCLE_1)
	s_mov_b32 s5, exec_lo
                                        ; implicit-def: $vgpr37
	v_cmpx_gt_u32_e64 s18, v19
	s_cbranch_execz .LBB995_43
; %bb.42:
	v_lshlrev_b32_e32 v37, 2, v19
	s_delay_alu instid0(VALU_DEP_1) | instskip(NEXT) | instid1(VALU_DEP_1)
	v_add_co_u32 v37, s0, s0, v37
	v_add_co_ci_u32_e64 v38, null, s4, 0, s0
	flat_load_b32 v37, v[37:38]
.LBB995_43:
	s_or_b32 exec_lo, exec_lo, s5
	v_lshrrev_b32_e32 v25, 3, v25
	v_lshrrev_b32_e32 v24, 3, v24
	;; [unrolled: 1-line block ×4, first 2 shown]
	v_and_b32_e32 v28, 60, v28
	v_lshlrev_b32_e32 v38, 2, v0
	v_lshrrev_b32_e32 v21, 3, v21
	v_lshrrev_b32_e32 v20, 3, v20
	;; [unrolled: 1-line block ×3, first 2 shown]
	v_and_b32_e32 v25, 0x7c, v25
	v_and_b32_e32 v24, 0xfc, v24
	;; [unrolled: 1-line block ×4, first 2 shown]
	v_add_nc_u32_e32 v28, v28, v38
	v_and_b32_e32 v21, 0x1fc, v21
	v_and_b32_e32 v20, 0x1fc, v20
	;; [unrolled: 1-line block ×3, first 2 shown]
	v_add_nc_u32_e32 v25, v25, v38
	v_add_nc_u32_e32 v24, v24, v38
	;; [unrolled: 1-line block ×7, first 2 shown]
	s_waitcnt vmcnt(0) lgkmcnt(0)
	ds_store_b32 v28, v29
	ds_store_b32 v25, v30 offset:2048
	ds_store_b32 v24, v32 offset:4096
	;; [unrolled: 1-line block ×7, first 2 shown]
	s_waitcnt lgkmcnt(0)
	s_barrier
.LBB995_44:
	v_lshlrev_b32_e32 v19, 2, v26
	buffer_gl0_inv
	s_cmp_lg_u32 s15, 0
	s_mov_b32 s20, 0
	s_cselect_b32 s9, -1, 0
	v_sub_nc_u32_e32 v19, v27, v19
	s_cmp_lg_u64 s[6:7], 0
	ds_load_2addr_b32 v[25:26], v19 offset1:1
	ds_load_2addr_b32 v[23:24], v19 offset0:2 offset1:3
	ds_load_2addr_b32 v[21:22], v19 offset0:4 offset1:5
	;; [unrolled: 1-line block ×3, first 2 shown]
	s_cselect_b32 s0, -1, 0
	s_waitcnt lgkmcnt(0)
	s_or_b32 s0, s0, s9
	s_barrier
	s_and_b32 vcc_lo, exec_lo, s0
	buffer_gl0_inv
	s_cbranch_vccz .LBB995_49
; %bb.45:
	v_add_co_u32 v27, s0, -8, s19
	s_delay_alu instid0(VALU_DEP_1)
	v_add_co_ci_u32_e64 v28, null, -1, s1, s0
	s_mov_b32 s1, -1
	s_and_b32 vcc_lo, exec_lo, s17
	flat_load_b64 v[29:30], v[27:28]
	ds_store_b64 v31, v[3:4]
	s_cbranch_vccz .LBB995_50
; %bb.46:
	s_waitcnt vmcnt(0) lgkmcnt(1)
	v_dual_mov_b32 v27, v29 :: v_dual_mov_b32 v28, v30
	s_waitcnt lgkmcnt(0)
	s_barrier
	buffer_gl0_inv
	s_and_saveexec_b32 s0, s3
	s_cbranch_execz .LBB995_48
; %bb.47:
	v_add_nc_u32_e32 v27, -8, v31
	ds_load_b64 v[27:28], v27
.LBB995_48:
	s_or_b32 exec_lo, exec_lo, s0
	v_cmp_ne_u64_e32 vcc_lo, v[1:2], v[3:4]
	s_waitcnt lgkmcnt(0)
	v_cmp_ne_u64_e64 s0, v[27:28], v[13:14]
	v_cndmask_b32_e64 v32, 0, 1, vcc_lo
	v_cmp_ne_u64_e32 vcc_lo, v[7:8], v[1:2]
	s_delay_alu instid0(VALU_DEP_2) | instskip(SKIP_2) | instid1(VALU_DEP_2)
	v_lshlrev_b16 v32, 8, v32
	v_cndmask_b32_e64 v33, 0, 1, vcc_lo
	v_cmp_ne_u64_e32 vcc_lo, v[5:6], v[7:8]
	v_or_b32_e32 v32, v33, v32
	v_cndmask_b32_e64 v34, 0, 1, vcc_lo
	v_cmp_ne_u64_e32 vcc_lo, v[9:10], v[11:12]
	s_delay_alu instid0(VALU_DEP_3) | instskip(NEXT) | instid1(VALU_DEP_3)
	v_lshlrev_b32_e32 v32, 16, v32
	v_lshlrev_b16 v34, 8, v34
	v_cndmask_b32_e64 v35, 0, 1, vcc_lo
	v_cmp_ne_u64_e32 vcc_lo, v[11:12], v[5:6]
	s_delay_alu instid0(VALU_DEP_2) | instskip(SKIP_2) | instid1(VALU_DEP_2)
	v_lshlrev_b16 v35, 8, v35
	v_cndmask_b32_e64 v36, 0, 1, vcc_lo
	v_cmp_ne_u64_e32 vcc_lo, v[15:16], v[9:10]
	v_or_b32_e32 v34, v36, v34
	v_cndmask_b32_e64 v37, 0, 1, vcc_lo
	v_cmp_ne_u64_e32 vcc_lo, v[13:14], v[15:16]
	s_delay_alu instid0(VALU_DEP_3) | instskip(NEXT) | instid1(VALU_DEP_3)
	v_and_b32_e32 v34, 0xffff, v34
	v_or_b32_e32 v35, v37, v35
	v_cndmask_b32_e64 v38, 0, 1, vcc_lo
	s_delay_alu instid0(VALU_DEP_3) | instskip(NEXT) | instid1(VALU_DEP_3)
	v_or_b32_e32 v28, v34, v32
	v_lshlrev_b32_e32 v33, 16, v35
	s_delay_alu instid0(VALU_DEP_3) | instskip(NEXT) | instid1(VALU_DEP_1)
	v_lshlrev_b16 v37, 8, v38
	v_and_b32_e32 v35, 0xffff, v37
	s_delay_alu instid0(VALU_DEP_1)
	v_or_b32_e32 v27, v35, v33
	s_branch .LBB995_54
.LBB995_49:
                                        ; implicit-def: $sgpr0
                                        ; implicit-def: $vgpr28
	s_branch .LBB995_55
.LBB995_50:
                                        ; implicit-def: $sgpr0
                                        ; implicit-def: $vgpr28
	s_and_b32 vcc_lo, exec_lo, s1
	s_cbranch_vccz .LBB995_54
; %bb.51:
	s_waitcnt vmcnt(0) lgkmcnt(0)
	s_barrier
	buffer_gl0_inv
	s_and_saveexec_b32 s0, s3
	s_cbranch_execz .LBB995_53
; %bb.52:
	v_add_nc_u32_e32 v27, -8, v31
	ds_load_b64 v[29:30], v27
.LBB995_53:
	s_or_b32 exec_lo, exec_lo, s0
	v_or_b32_e32 v27, 7, v31
	v_or_b32_e32 v28, 6, v31
	v_cmp_ne_u64_e32 vcc_lo, v[1:2], v[3:4]
	v_or_b32_e32 v32, 5, v31
	v_cmp_ne_u64_e64 s1, v[7:8], v[1:2]
	v_cmp_gt_u32_e64 s0, s18, v27
	v_cmp_gt_u32_e64 s4, s18, v28
	v_cmp_ne_u64_e64 s5, v[5:6], v[7:8]
	v_cmp_gt_u32_e64 s6, s18, v32
	v_or_b32_e32 v32, 3, v31
	s_and_b32 s0, s0, vcc_lo
	v_or_b32_e32 v33, 4, v31
	v_cndmask_b32_e64 v27, 0, 1, s0
	s_and_b32 s0, s4, s1
	v_cmp_ne_u64_e32 vcc_lo, v[9:10], v[11:12]
	v_cndmask_b32_e64 v28, 0, 1, s0
	s_and_b32 s0, s6, s5
	v_cmp_gt_u32_e64 s1, s18, v33
	v_cndmask_b32_e64 v34, 0, 1, s0
	v_cmp_gt_u32_e64 s0, s18, v32
	v_or_b32_e32 v32, 2, v31
	v_or_b32_e32 v33, 1, v31
	v_cmp_ne_u64_e64 s4, v[11:12], v[5:6]
	v_cmp_ne_u64_e64 s6, v[13:14], v[15:16]
	s_and_b32 s0, s0, vcc_lo
	v_cmp_ne_u64_e32 vcc_lo, v[15:16], v[9:10]
	v_cndmask_b32_e64 v35, 0, 1, s0
	v_cmp_gt_u32_e64 s0, s18, v32
	v_cmp_gt_u32_e64 s5, s18, v33
	s_and_b32 s1, s1, s4
	v_lshlrev_b16 v34, 8, v34
	v_cndmask_b32_e64 v32, 0, 1, s1
	s_and_b32 s0, s0, vcc_lo
	v_lshlrev_b16 v35, 8, v35
	v_cndmask_b32_e64 v33, 0, 1, s0
	s_and_b32 s0, s5, s6
	v_lshlrev_b16 v27, 8, v27
	v_cndmask_b32_e64 v36, 0, 1, s0
	v_or_b32_e32 v32, v32, v34
	v_or_b32_e32 v33, v33, v35
	s_waitcnt lgkmcnt(0)
	v_cmp_ne_u64_e32 vcc_lo, v[29:30], v[13:14]
	v_or_b32_e32 v27, v28, v27
	v_lshlrev_b16 v35, 8, v36
	v_and_b32_e32 v32, 0xffff, v32
	v_lshlrev_b32_e32 v28, 16, v33
	v_cmp_gt_u32_e64 s0, s18, v31
	v_lshlrev_b32_e32 v34, 16, v27
	v_and_b32_e32 v33, 0xffff, v35
	s_delay_alu instid0(VALU_DEP_3) | instskip(NEXT) | instid1(VALU_DEP_1)
	s_and_b32 s0, s0, vcc_lo
	v_or_b32_e32 v27, v33, v28
	s_delay_alu instid0(VALU_DEP_3)
	v_or_b32_e32 v28, v32, v34
.LBB995_54:
	s_mov_b32 s20, -1
	s_cbranch_execnz .LBB995_63
.LBB995_55:
	v_cmp_ne_u64_e64 s1, v[1:2], v[3:4]
	v_cmp_ne_u64_e64 s4, v[7:8], v[1:2]
	;; [unrolled: 1-line block ×7, first 2 shown]
	s_and_b32 vcc_lo, exec_lo, s17
	ds_store_b64 v31, v[3:4]
	s_cbranch_vccz .LBB995_59
; %bb.56:
	v_cndmask_b32_e64 v27, 0, 1, s1
	s_waitcnt vmcnt(0) lgkmcnt(2)
	v_cndmask_b32_e64 v29, 0, 1, s5
	v_cndmask_b32_e64 v32, 0, 1, s7
	;; [unrolled: 1-line block ×6, first 2 shown]
	v_lshlrev_b16 v29, 8, v29
	v_lshlrev_b16 v27, 8, v27
	;; [unrolled: 1-line block ×4, first 2 shown]
	s_waitcnt lgkmcnt(0)
	v_or_b32_e32 v29, v30, v29
	v_or_b32_e32 v27, v28, v27
	;; [unrolled: 1-line block ×4, first 2 shown]
	s_barrier
	v_and_b32_e32 v29, 0xffff, v29
	v_lshlrev_b32_e32 v27, 16, v27
	v_lshlrev_b32_e32 v32, 16, v28
	v_and_b32_e32 v30, 0xffff, v30
	buffer_gl0_inv
                                        ; implicit-def: $sgpr0
	v_or_b32_e32 v28, v29, v27
	v_or_b32_e32 v27, v30, v32
	s_and_saveexec_b32 s1, s3
	s_delay_alu instid0(SALU_CYCLE_1)
	s_xor_b32 s1, exec_lo, s1
	s_cbranch_execz .LBB995_58
; %bb.57:
	v_add_nc_u32_e32 v29, -8, v31
	s_or_b32 s20, s20, exec_lo
	ds_load_b64 v[29:30], v29
	s_waitcnt lgkmcnt(0)
	v_cmp_ne_u64_e32 vcc_lo, v[29:30], v[13:14]
	s_and_b32 s0, vcc_lo, exec_lo
.LBB995_58:
	s_or_b32 exec_lo, exec_lo, s1
	s_branch .LBB995_63
.LBB995_59:
                                        ; implicit-def: $sgpr0
                                        ; implicit-def: $vgpr28
	s_cbranch_execz .LBB995_63
; %bb.60:
	v_or_b32_e32 v27, 7, v31
	v_or_b32_e32 v28, 6, v31
	v_cmp_ne_u64_e32 vcc_lo, v[1:2], v[3:4]
	v_cmp_ne_u64_e64 s0, v[7:8], v[1:2]
	s_waitcnt vmcnt(0) lgkmcnt(2)
	v_or_b32_e32 v29, 4, v31
	v_cmp_gt_u32_e64 s1, s18, v27
	v_or_b32_e32 v27, 5, v31
	v_cmp_gt_u32_e64 s5, s18, v28
	v_cmp_ne_u64_e64 s4, v[5:6], v[7:8]
	v_cmp_ne_u64_e64 s6, v[11:12], v[5:6]
	s_and_b32 s1, s1, vcc_lo
	v_cmp_gt_u32_e32 vcc_lo, s18, v27
	v_cndmask_b32_e64 v28, 0, 1, s1
	v_cmp_gt_u32_e64 s1, s18, v29
	s_and_b32 s0, s5, s0
	v_or_b32_e32 v30, 3, v31
	v_cndmask_b32_e64 v27, 0, 1, s0
	s_and_b32 s0, vcc_lo, s4
	v_or_b32_e32 v33, 1, v31
	v_cndmask_b32_e64 v29, 0, 1, s0
	s_and_b32 s0, s1, s6
	v_cmp_ne_u64_e32 vcc_lo, v[9:10], v[11:12]
	v_cndmask_b32_e64 v32, 0, 1, s0
	v_cmp_gt_u32_e64 s0, s18, v30
	v_cmp_ne_u64_e64 s1, v[13:14], v[15:16]
	v_or_b32_e32 v34, 2, v31
	v_cmp_gt_u32_e64 s4, s18, v33
	v_cmp_ne_u64_e64 s5, v[15:16], v[9:10]
	s_and_b32 s0, s0, vcc_lo
	v_lshlrev_b16 v29, 8, v29
	v_cmp_gt_u32_e64 s6, s18, v34
	v_cndmask_b32_e64 v30, 0, 1, s0
	s_and_b32 s0, s4, s1
	v_lshlrev_b16 v28, 8, v28
	v_cndmask_b32_e64 v33, 0, 1, s0
	s_and_b32 s0, s6, s5
	v_lshlrev_b16 v30, 8, v30
	v_cndmask_b32_e64 v34, 0, 1, s0
	v_or_b32_e32 v29, v32, v29
	v_lshlrev_b16 v33, 8, v33
	v_or_b32_e32 v27, v27, v28
	s_waitcnt lgkmcnt(0)
	v_or_b32_e32 v28, v34, v30
	v_and_b32_e32 v29, 0xffff, v29
	v_or_b32_e32 v30, 1, v33
	v_lshlrev_b32_e32 v27, 16, v27
	s_barrier
	v_lshlrev_b32_e32 v32, 16, v28
	buffer_gl0_inv
	v_and_b32_e32 v30, 0xffff, v30
	v_or_b32_e32 v28, v29, v27
                                        ; implicit-def: $sgpr0
	s_delay_alu instid0(VALU_DEP_2)
	v_or_b32_e32 v27, v30, v32
	s_and_saveexec_b32 s1, s3
	s_cbranch_execz .LBB995_62
; %bb.61:
	v_add_nc_u32_e32 v29, -8, v31
	v_cmp_gt_u32_e64 s0, s18, v31
	s_or_b32 s20, s20, exec_lo
	ds_load_b64 v[29:30], v29
	s_waitcnt lgkmcnt(0)
	v_cmp_ne_u64_e32 vcc_lo, v[29:30], v[13:14]
	s_and_b32 s0, s0, vcc_lo
	s_delay_alu instid0(SALU_CYCLE_1)
	s_and_b32 s0, s0, exec_lo
.LBB995_62:
	s_or_b32 exec_lo, exec_lo, s1
.LBB995_63:
	s_and_saveexec_b32 s1, s20
	s_cbranch_execz .LBB995_65
; %bb.64:
	s_waitcnt vmcnt(0) lgkmcnt(1)
	v_and_b32_e32 v29, 0xffffff00, v27
	v_cndmask_b32_e64 v30, 0, 1, s0
	s_delay_alu instid0(VALU_DEP_1) | instskip(NEXT) | instid1(VALU_DEP_1)
	v_or_b32_e32 v29, v30, v29
	v_and_b32_e32 v29, 0xffff, v29
	s_delay_alu instid0(VALU_DEP_1)
	v_and_or_b32 v27, 0xffff0000, v27, v29
.LBB995_65:
	s_or_b32 exec_lo, exec_lo, s1
	s_delay_alu instid0(SALU_CYCLE_1)
	s_and_not1_b32 vcc_lo, exec_lo, s16
	s_cbranch_vccnz .LBB995_67
; %bb.66:
	v_cmp_gt_u32_e32 vcc_lo, s18, v31
	s_waitcnt vmcnt(0) lgkmcnt(1)
	v_or_b32_e32 v30, 1, v31
	v_or_b32_e32 v33, 2, v31
	v_dual_cndmask_b32 v29, 0, v27 :: v_dual_and_b32 v32, 0xffffff00, v28
	s_delay_alu instid0(VALU_DEP_3) | instskip(SKIP_1) | instid1(VALU_DEP_4)
	v_cmp_gt_u32_e32 vcc_lo, s18, v30
	v_or_b32_e32 v30, 4, v31
	v_cmp_gt_u32_e64 s0, s18, v33
	v_or_b32_e32 v33, 3, v31
	v_and_b32_e32 v29, 0xff, v29
	s_delay_alu instid0(VALU_DEP_2) | instskip(NEXT) | instid1(VALU_DEP_2)
	v_cmp_gt_u32_e64 s1, s18, v33
	v_cndmask_b32_e32 v29, v29, v27, vcc_lo
	v_cmp_gt_u32_e32 vcc_lo, s18, v30
	v_cndmask_b32_e32 v30, v32, v28, vcc_lo
	v_or_b32_e32 v32, 5, v31
	s_delay_alu instid0(VALU_DEP_2) | instskip(SKIP_1) | instid1(VALU_DEP_1)
	v_and_b32_e32 v30, 0xffff00ff, v30
	v_and_b32_e32 v29, 0xffff, v29
	v_cndmask_b32_e64 v29, v29, v27, s0
	s_delay_alu instid0(VALU_DEP_4) | instskip(SKIP_2) | instid1(VALU_DEP_4)
	v_cmp_gt_u32_e64 s0, s18, v32
	v_or_b32_e32 v32, 6, v31
	v_or_b32_e32 v31, 7, v31
	v_and_b32_e32 v29, 0xffffff, v29
	s_delay_alu instid0(VALU_DEP_4) | instskip(NEXT) | instid1(VALU_DEP_2)
	v_cndmask_b32_e64 v30, v30, v28, s0
	v_cndmask_b32_e64 v29, v29, v27, s1
	s_delay_alu instid0(VALU_DEP_1) | instskip(SKIP_1) | instid1(VALU_DEP_2)
	v_dual_cndmask_b32 v29, v29, v27 :: v_dual_and_b32 v30, 0xff00ffff, v30
	v_cmp_gt_u32_e32 vcc_lo, s18, v32
	v_cndmask_b32_e64 v29, v29, v27, s0
	s_delay_alu instid0(VALU_DEP_1) | instskip(NEXT) | instid1(VALU_DEP_1)
	v_dual_cndmask_b32 v30, v30, v28 :: v_dual_cndmask_b32 v29, v29, v27
	v_and_b32_e32 v30, 0xffffff, v30
	v_cmp_gt_u32_e32 vcc_lo, s18, v31
	s_delay_alu instid0(VALU_DEP_2)
	v_dual_cndmask_b32 v28, v30, v28 :: v_dual_cndmask_b32 v27, v29, v27
.LBB995_67:
	s_delay_alu instid0(VALU_DEP_1) | instskip(SKIP_1) | instid1(VALU_DEP_2)
	v_and_b32_e32 v38, 0xff, v27
	s_waitcnt vmcnt(0) lgkmcnt(1)
	v_alignbit_b32 v29, v28, v27, 24
	v_bfe_u32 v39, v27, 8, 8
	v_bfe_u32 v40, v27, 16, 8
	v_and_b32_e32 v42, 0xff, v28
	v_bfe_u32 v43, v28, 8, 8
	v_and_b32_e32 v41, 0xff, v29
	v_add_nc_u32_e32 v29, v39, v38
	v_mbcnt_lo_u32_b32 v45, -1, 0
	v_bfe_u32 v44, v28, 16, 8
	v_lshrrev_b32_e32 v37, 24, v28
	v_lshrrev_b32_e32 v46, 5, v0
	v_add3_u32 v29, v29, v40, v41
	v_and_b32_e32 v30, 15, v45
	v_and_b32_e32 v31, 16, v45
	s_and_b32 vcc_lo, exec_lo, s9
	s_mov_b32 s7, -1
	v_add3_u32 v29, v29, v42, v43
	v_cmp_eq_u32_e64 s3, 0, v30
	v_cmp_lt_u32_e64 s0, 1, v30
	v_cmp_lt_u32_e64 s4, 3, v30
	;; [unrolled: 1-line block ×3, first 2 shown]
	v_add3_u32 v47, v29, v44, v37
	v_or_b32_e32 v29, 31, v0
	v_cmp_eq_u32_e64 s6, 0, v31
	s_waitcnt lgkmcnt(0)
	s_barrier
	buffer_gl0_inv
	v_cmp_eq_u32_e64 s5, v29, v0
	s_cbranch_vccz .LBB995_98
; %bb.68:
	v_mov_b32_dpp v29, v47 row_shr:1 row_mask:0xf bank_mask:0xf
	s_delay_alu instid0(VALU_DEP_1) | instskip(NEXT) | instid1(VALU_DEP_1)
	v_cndmask_b32_e64 v29, v29, 0, s3
	v_add_nc_u32_e32 v29, v29, v47
	s_delay_alu instid0(VALU_DEP_1) | instskip(NEXT) | instid1(VALU_DEP_1)
	v_mov_b32_dpp v30, v29 row_shr:2 row_mask:0xf bank_mask:0xf
	v_cndmask_b32_e64 v30, 0, v30, s0
	s_delay_alu instid0(VALU_DEP_1) | instskip(NEXT) | instid1(VALU_DEP_1)
	v_add_nc_u32_e32 v29, v29, v30
	v_mov_b32_dpp v30, v29 row_shr:4 row_mask:0xf bank_mask:0xf
	s_delay_alu instid0(VALU_DEP_1) | instskip(NEXT) | instid1(VALU_DEP_1)
	v_cndmask_b32_e64 v30, 0, v30, s4
	v_add_nc_u32_e32 v29, v29, v30
	s_delay_alu instid0(VALU_DEP_1) | instskip(NEXT) | instid1(VALU_DEP_1)
	v_mov_b32_dpp v30, v29 row_shr:8 row_mask:0xf bank_mask:0xf
	v_cndmask_b32_e64 v30, 0, v30, s1
	s_delay_alu instid0(VALU_DEP_1) | instskip(SKIP_3) | instid1(VALU_DEP_1)
	v_add_nc_u32_e32 v29, v29, v30
	ds_swizzle_b32 v30, v29 offset:swizzle(BROADCAST,32,15)
	s_waitcnt lgkmcnt(0)
	v_cndmask_b32_e64 v30, v30, 0, s6
	v_add_nc_u32_e32 v29, v29, v30
	s_and_saveexec_b32 s7, s5
	s_cbranch_execz .LBB995_70
; %bb.69:
	v_lshlrev_b32_e32 v30, 2, v46
	ds_store_b32 v30, v29
.LBB995_70:
	s_or_b32 exec_lo, exec_lo, s7
	s_delay_alu instid0(SALU_CYCLE_1)
	s_mov_b32 s7, exec_lo
	s_waitcnt lgkmcnt(0)
	s_barrier
	buffer_gl0_inv
	v_cmpx_gt_u32_e32 16, v0
	s_cbranch_execz .LBB995_72
; %bb.71:
	v_lshlrev_b32_e32 v30, 2, v0
	ds_load_b32 v31, v30
	s_waitcnt lgkmcnt(0)
	v_mov_b32_dpp v32, v31 row_shr:1 row_mask:0xf bank_mask:0xf
	s_delay_alu instid0(VALU_DEP_1) | instskip(NEXT) | instid1(VALU_DEP_1)
	v_cndmask_b32_e64 v32, v32, 0, s3
	v_add_nc_u32_e32 v31, v32, v31
	s_delay_alu instid0(VALU_DEP_1) | instskip(NEXT) | instid1(VALU_DEP_1)
	v_mov_b32_dpp v32, v31 row_shr:2 row_mask:0xf bank_mask:0xf
	v_cndmask_b32_e64 v32, 0, v32, s0
	s_delay_alu instid0(VALU_DEP_1) | instskip(NEXT) | instid1(VALU_DEP_1)
	v_add_nc_u32_e32 v31, v31, v32
	v_mov_b32_dpp v32, v31 row_shr:4 row_mask:0xf bank_mask:0xf
	s_delay_alu instid0(VALU_DEP_1) | instskip(NEXT) | instid1(VALU_DEP_1)
	v_cndmask_b32_e64 v32, 0, v32, s4
	v_add_nc_u32_e32 v31, v31, v32
	s_delay_alu instid0(VALU_DEP_1) | instskip(NEXT) | instid1(VALU_DEP_1)
	v_mov_b32_dpp v32, v31 row_shr:8 row_mask:0xf bank_mask:0xf
	v_cndmask_b32_e64 v32, 0, v32, s1
	s_delay_alu instid0(VALU_DEP_1)
	v_add_nc_u32_e32 v31, v31, v32
	ds_store_b32 v30, v31
.LBB995_72:
	s_or_b32 exec_lo, exec_lo, s7
	v_cmp_gt_u32_e32 vcc_lo, 32, v0
	s_mov_b32 s8, exec_lo
	s_waitcnt lgkmcnt(0)
	s_barrier
	buffer_gl0_inv
                                        ; implicit-def: $vgpr48
	v_cmpx_lt_u32_e32 31, v0
	s_cbranch_execz .LBB995_74
; %bb.73:
	v_lshl_add_u32 v30, v46, 2, -4
	ds_load_b32 v48, v30
	s_waitcnt lgkmcnt(0)
	v_add_nc_u32_e32 v29, v48, v29
.LBB995_74:
	s_or_b32 exec_lo, exec_lo, s8
	v_add_nc_u32_e32 v30, -1, v45
	s_delay_alu instid0(VALU_DEP_1) | instskip(NEXT) | instid1(VALU_DEP_1)
	v_cmp_gt_i32_e64 s7, 0, v30
	v_cndmask_b32_e64 v30, v30, v45, s7
	v_cmp_eq_u32_e64 s7, 0, v45
	s_delay_alu instid0(VALU_DEP_2)
	v_lshlrev_b32_e32 v30, 2, v30
	ds_bpermute_b32 v49, v30, v29
	s_and_saveexec_b32 s8, vcc_lo
	s_cbranch_execz .LBB995_97
; %bb.75:
	v_mov_b32_e32 v33, 0
	ds_load_b32 v29, v33 offset:60
	s_and_saveexec_b32 s9, s7
	s_cbranch_execz .LBB995_77
; %bb.76:
	s_add_i32 s16, s15, 32
	s_mov_b32 s17, 0
	v_mov_b32_e32 v30, 1
	s_lshl_b64 s[16:17], s[16:17], 3
	s_delay_alu instid0(SALU_CYCLE_1)
	s_add_u32 s16, s10, s16
	s_addc_u32 s17, s11, s17
	s_waitcnt lgkmcnt(0)
	global_store_b64 v33, v[29:30], s[16:17]
.LBB995_77:
	s_or_b32 exec_lo, exec_lo, s9
	v_xad_u32 v31, v45, -1, s15
	s_mov_b32 s16, 0
	s_mov_b32 s9, exec_lo
	s_delay_alu instid0(VALU_DEP_1) | instskip(NEXT) | instid1(VALU_DEP_1)
	v_add_nc_u32_e32 v32, 32, v31
	v_lshlrev_b64 v[32:33], 3, v[32:33]
	s_delay_alu instid0(VALU_DEP_1) | instskip(NEXT) | instid1(VALU_DEP_2)
	v_add_co_u32 v35, vcc_lo, s10, v32
	v_add_co_ci_u32_e32 v36, vcc_lo, s11, v33, vcc_lo
	global_load_b64 v[33:34], v[35:36], off glc
	s_waitcnt vmcnt(0)
	v_and_b32_e32 v30, 0xff, v34
	s_delay_alu instid0(VALU_DEP_1)
	v_cmpx_eq_u16_e32 0, v30
	s_cbranch_execz .LBB995_83
; %bb.78:
	s_mov_b32 s17, 1
	.p2align	6
.LBB995_79:                             ; =>This Loop Header: Depth=1
                                        ;     Child Loop BB995_80 Depth 2
	s_delay_alu instid0(SALU_CYCLE_1)
	s_max_u32 s18, s17, 1
.LBB995_80:                             ;   Parent Loop BB995_79 Depth=1
                                        ; =>  This Inner Loop Header: Depth=2
	s_delay_alu instid0(SALU_CYCLE_1)
	s_add_i32 s18, s18, -1
	s_sleep 1
	s_cmp_eq_u32 s18, 0
	s_cbranch_scc0 .LBB995_80
; %bb.81:                               ;   in Loop: Header=BB995_79 Depth=1
	global_load_b64 v[33:34], v[35:36], off glc
	s_cmp_lt_u32 s17, 32
	s_cselect_b32 s18, -1, 0
	s_delay_alu instid0(SALU_CYCLE_1) | instskip(SKIP_3) | instid1(VALU_DEP_1)
	s_cmp_lg_u32 s18, 0
	s_addc_u32 s17, s17, 0
	s_waitcnt vmcnt(0)
	v_and_b32_e32 v30, 0xff, v34
	v_cmp_ne_u16_e32 vcc_lo, 0, v30
	s_or_b32 s16, vcc_lo, s16
	s_delay_alu instid0(SALU_CYCLE_1)
	s_and_not1_b32 exec_lo, exec_lo, s16
	s_cbranch_execnz .LBB995_79
; %bb.82:
	s_or_b32 exec_lo, exec_lo, s16
.LBB995_83:
	s_delay_alu instid0(SALU_CYCLE_1)
	s_or_b32 exec_lo, exec_lo, s9
	v_cmp_ne_u32_e32 vcc_lo, 31, v45
	v_lshlrev_b32_e64 v51, v45, -1
	v_add_nc_u32_e32 v53, 2, v45
	v_add_nc_u32_e32 v55, 4, v45
	;; [unrolled: 1-line block ×3, first 2 shown]
	v_add_co_ci_u32_e32 v30, vcc_lo, 0, v45, vcc_lo
	v_add_nc_u32_e32 v59, 16, v45
	s_delay_alu instid0(VALU_DEP_2)
	v_lshlrev_b32_e32 v50, 2, v30
	v_and_b32_e32 v30, 0xff, v34
	ds_bpermute_b32 v32, v50, v33
	v_cmp_eq_u16_e32 vcc_lo, 2, v30
	v_and_or_b32 v30, vcc_lo, v51, 0x80000000
	v_cmp_gt_u32_e32 vcc_lo, 30, v45
	s_delay_alu instid0(VALU_DEP_2) | instskip(SKIP_1) | instid1(VALU_DEP_2)
	v_ctz_i32_b32_e32 v30, v30
	v_cndmask_b32_e64 v35, 0, 1, vcc_lo
	v_cmp_lt_u32_e32 vcc_lo, v45, v30
	s_waitcnt lgkmcnt(0)
	s_delay_alu instid0(VALU_DEP_2) | instskip(NEXT) | instid1(VALU_DEP_1)
	v_dual_cndmask_b32 v32, 0, v32 :: v_dual_lshlrev_b32 v35, 1, v35
	v_add_lshl_u32 v52, v35, v45, 2
	v_cmp_gt_u32_e32 vcc_lo, 28, v45
	s_delay_alu instid0(VALU_DEP_3) | instskip(SKIP_4) | instid1(VALU_DEP_1)
	v_add_nc_u32_e32 v32, v32, v33
	v_cndmask_b32_e64 v35, 0, 1, vcc_lo
	v_cmp_le_u32_e32 vcc_lo, v53, v30
	ds_bpermute_b32 v33, v52, v32
	v_lshlrev_b32_e32 v35, 2, v35
	v_add_lshl_u32 v54, v35, v45, 2
	s_waitcnt lgkmcnt(0)
	v_cndmask_b32_e32 v33, 0, v33, vcc_lo
	v_cmp_gt_u32_e32 vcc_lo, 24, v45
	s_delay_alu instid0(VALU_DEP_2) | instskip(SKIP_4) | instid1(VALU_DEP_1)
	v_add_nc_u32_e32 v32, v32, v33
	v_cndmask_b32_e64 v35, 0, 1, vcc_lo
	v_cmp_le_u32_e32 vcc_lo, v55, v30
	ds_bpermute_b32 v33, v54, v32
	v_lshlrev_b32_e32 v35, 3, v35
	v_add_lshl_u32 v56, v35, v45, 2
	s_waitcnt lgkmcnt(0)
	v_cndmask_b32_e32 v33, 0, v33, vcc_lo
	v_cmp_gt_u32_e32 vcc_lo, 16, v45
	s_delay_alu instid0(VALU_DEP_2) | instskip(SKIP_4) | instid1(VALU_DEP_1)
	v_add_nc_u32_e32 v32, v32, v33
	v_cndmask_b32_e64 v35, 0, 1, vcc_lo
	v_cmp_le_u32_e32 vcc_lo, v57, v30
	ds_bpermute_b32 v33, v56, v32
	v_lshlrev_b32_e32 v35, 4, v35
	v_add_lshl_u32 v58, v35, v45, 2
	s_waitcnt lgkmcnt(0)
	v_cndmask_b32_e32 v33, 0, v33, vcc_lo
	v_cmp_le_u32_e32 vcc_lo, v59, v30
	s_delay_alu instid0(VALU_DEP_2) | instskip(SKIP_3) | instid1(VALU_DEP_1)
	v_add_nc_u32_e32 v32, v32, v33
	ds_bpermute_b32 v33, v58, v32
	s_waitcnt lgkmcnt(0)
	v_cndmask_b32_e32 v30, 0, v33, vcc_lo
	v_dual_mov_b32 v32, 0 :: v_dual_add_nc_u32 v33, v32, v30
	s_branch .LBB995_85
.LBB995_84:                             ;   in Loop: Header=BB995_85 Depth=1
	s_or_b32 exec_lo, exec_lo, s9
	ds_bpermute_b32 v36, v50, v33
	v_and_b32_e32 v35, 0xff, v34
	v_subrev_nc_u32_e32 v31, 32, v31
	s_delay_alu instid0(VALU_DEP_2) | instskip(SKIP_1) | instid1(VALU_DEP_1)
	v_cmp_eq_u16_e32 vcc_lo, 2, v35
	v_and_or_b32 v35, vcc_lo, v51, 0x80000000
	v_ctz_i32_b32_e32 v35, v35
	s_delay_alu instid0(VALU_DEP_1) | instskip(SKIP_3) | instid1(VALU_DEP_2)
	v_cmp_lt_u32_e32 vcc_lo, v45, v35
	s_waitcnt lgkmcnt(0)
	v_cndmask_b32_e32 v36, 0, v36, vcc_lo
	v_cmp_le_u32_e32 vcc_lo, v53, v35
	v_add_nc_u32_e32 v33, v36, v33
	ds_bpermute_b32 v36, v52, v33
	s_waitcnt lgkmcnt(0)
	v_cndmask_b32_e32 v36, 0, v36, vcc_lo
	v_cmp_le_u32_e32 vcc_lo, v55, v35
	s_delay_alu instid0(VALU_DEP_2) | instskip(SKIP_4) | instid1(VALU_DEP_2)
	v_add_nc_u32_e32 v33, v33, v36
	ds_bpermute_b32 v36, v54, v33
	s_waitcnt lgkmcnt(0)
	v_cndmask_b32_e32 v36, 0, v36, vcc_lo
	v_cmp_le_u32_e32 vcc_lo, v57, v35
	v_add_nc_u32_e32 v33, v33, v36
	ds_bpermute_b32 v36, v56, v33
	s_waitcnt lgkmcnt(0)
	v_cndmask_b32_e32 v36, 0, v36, vcc_lo
	v_cmp_le_u32_e32 vcc_lo, v59, v35
	s_delay_alu instid0(VALU_DEP_2) | instskip(SKIP_3) | instid1(VALU_DEP_1)
	v_add_nc_u32_e32 v33, v33, v36
	ds_bpermute_b32 v36, v58, v33
	s_waitcnt lgkmcnt(0)
	v_cndmask_b32_e32 v35, 0, v36, vcc_lo
	v_add3_u32 v33, v35, v30, v33
.LBB995_85:                             ; =>This Loop Header: Depth=1
                                        ;     Child Loop BB995_88 Depth 2
                                        ;       Child Loop BB995_89 Depth 3
	v_and_b32_e32 v30, 0xff, v34
	s_delay_alu instid0(VALU_DEP_1) | instskip(SKIP_2) | instid1(VALU_DEP_1)
	v_cmp_ne_u16_e32 vcc_lo, 2, v30
	v_cndmask_b32_e64 v30, 0, 1, vcc_lo
	;;#ASMSTART
	;;#ASMEND
	v_cmp_ne_u32_e32 vcc_lo, 0, v30
	v_mov_b32_e32 v30, v33
	s_cmp_lg_u32 vcc_lo, exec_lo
	s_cbranch_scc1 .LBB995_92
; %bb.86:                               ;   in Loop: Header=BB995_85 Depth=1
	v_lshlrev_b64 v[33:34], 3, v[31:32]
	s_mov_b32 s9, exec_lo
	s_delay_alu instid0(VALU_DEP_1) | instskip(NEXT) | instid1(VALU_DEP_2)
	v_add_co_u32 v35, vcc_lo, s10, v33
	v_add_co_ci_u32_e32 v36, vcc_lo, s11, v34, vcc_lo
	global_load_b64 v[33:34], v[35:36], off glc
	s_waitcnt vmcnt(0)
	v_and_b32_e32 v60, 0xff, v34
	s_delay_alu instid0(VALU_DEP_1)
	v_cmpx_eq_u16_e32 0, v60
	s_cbranch_execz .LBB995_84
; %bb.87:                               ;   in Loop: Header=BB995_85 Depth=1
	s_mov_b32 s17, 1
	s_mov_b32 s16, 0
	.p2align	6
.LBB995_88:                             ;   Parent Loop BB995_85 Depth=1
                                        ; =>  This Loop Header: Depth=2
                                        ;       Child Loop BB995_89 Depth 3
	s_max_u32 s18, s17, 1
.LBB995_89:                             ;   Parent Loop BB995_85 Depth=1
                                        ;     Parent Loop BB995_88 Depth=2
                                        ; =>    This Inner Loop Header: Depth=3
	s_delay_alu instid0(SALU_CYCLE_1)
	s_add_i32 s18, s18, -1
	s_sleep 1
	s_cmp_eq_u32 s18, 0
	s_cbranch_scc0 .LBB995_89
; %bb.90:                               ;   in Loop: Header=BB995_88 Depth=2
	global_load_b64 v[33:34], v[35:36], off glc
	s_cmp_lt_u32 s17, 32
	s_cselect_b32 s18, -1, 0
	s_delay_alu instid0(SALU_CYCLE_1) | instskip(SKIP_3) | instid1(VALU_DEP_1)
	s_cmp_lg_u32 s18, 0
	s_addc_u32 s17, s17, 0
	s_waitcnt vmcnt(0)
	v_and_b32_e32 v60, 0xff, v34
	v_cmp_ne_u16_e32 vcc_lo, 0, v60
	s_or_b32 s16, vcc_lo, s16
	s_delay_alu instid0(SALU_CYCLE_1)
	s_and_not1_b32 exec_lo, exec_lo, s16
	s_cbranch_execnz .LBB995_88
; %bb.91:                               ;   in Loop: Header=BB995_85 Depth=1
	s_or_b32 exec_lo, exec_lo, s16
	s_branch .LBB995_84
.LBB995_92:                             ;   in Loop: Header=BB995_85 Depth=1
                                        ; implicit-def: $vgpr33
                                        ; implicit-def: $vgpr34
	s_cbranch_execz .LBB995_85
; %bb.93:
	s_and_saveexec_b32 s9, s7
	s_cbranch_execz .LBB995_95
; %bb.94:
	s_add_i32 s16, s15, 32
	s_mov_b32 s17, 0
	v_dual_mov_b32 v32, 2 :: v_dual_add_nc_u32 v31, v30, v29
	s_lshl_b64 s[16:17], s[16:17], 3
	v_mov_b32_e32 v33, 0
	s_add_u32 s16, s10, s16
	s_addc_u32 s17, s11, s17
	global_store_b64 v33, v[31:32], s[16:17]
	ds_store_b64 v33, v[29:30] offset:33792
.LBB995_95:
	s_or_b32 exec_lo, exec_lo, s9
	s_delay_alu instid0(SALU_CYCLE_1)
	s_and_b32 exec_lo, exec_lo, s2
	s_cbranch_execz .LBB995_97
; %bb.96:
	v_mov_b32_e32 v29, 0
	ds_store_b32 v29, v30 offset:60
.LBB995_97:
	s_or_b32 exec_lo, exec_lo, s8
	v_mov_b32_e32 v29, 0
	s_waitcnt lgkmcnt(0)
	s_waitcnt_vscnt null, 0x0
	s_barrier
	buffer_gl0_inv
	v_cndmask_b32_e64 v31, v49, v48, s7
	ds_load_b32 v30, v29 offset:60
	s_waitcnt lgkmcnt(0)
	s_barrier
	buffer_gl0_inv
	v_cndmask_b32_e64 v31, v31, 0, s2
	s_delay_alu instid0(VALU_DEP_1) | instskip(NEXT) | instid1(VALU_DEP_1)
	v_add_nc_u32_e32 v51, v30, v31
	v_add_nc_u32_e32 v50, v51, v38
	ds_load_b64 v[29:30], v29 offset:33792
	v_add_nc_u32_e32 v49, v50, v39
	s_delay_alu instid0(VALU_DEP_1) | instskip(NEXT) | instid1(VALU_DEP_1)
	v_add_nc_u32_e32 v48, v49, v40
	v_add_nc_u32_e32 v36, v48, v41
	s_delay_alu instid0(VALU_DEP_1) | instskip(NEXT) | instid1(VALU_DEP_1)
	v_add_nc_u32_e32 v35, v36, v42
	v_add_nc_u32_e32 v34, v35, v43
	s_delay_alu instid0(VALU_DEP_1)
	v_add_nc_u32_e32 v33, v34, v44
	v_lshrrev_b64 v[31:32], 24, v[27:28]
	s_branch .LBB995_108
.LBB995_98:
                                        ; implicit-def: $vgpr33
                                        ; implicit-def: $vgpr34
                                        ; implicit-def: $vgpr35
                                        ; implicit-def: $vgpr36
                                        ; implicit-def: $vgpr48
                                        ; implicit-def: $vgpr49
                                        ; implicit-def: $vgpr50
                                        ; implicit-def: $vgpr51
                                        ; implicit-def: $vgpr30
	v_lshrrev_b64 v[31:32], 24, v[27:28]
	s_and_b32 vcc_lo, exec_lo, s7
	s_cbranch_vccz .LBB995_108
; %bb.99:
	s_waitcnt lgkmcnt(0)
	v_mov_b32_dpp v29, v47 row_shr:1 row_mask:0xf bank_mask:0xf
	s_delay_alu instid0(VALU_DEP_1) | instskip(NEXT) | instid1(VALU_DEP_1)
	v_cndmask_b32_e64 v29, v29, 0, s3
	v_add_nc_u32_e32 v29, v29, v47
	s_delay_alu instid0(VALU_DEP_1) | instskip(NEXT) | instid1(VALU_DEP_1)
	v_mov_b32_dpp v30, v29 row_shr:2 row_mask:0xf bank_mask:0xf
	v_cndmask_b32_e64 v30, 0, v30, s0
	s_delay_alu instid0(VALU_DEP_1) | instskip(NEXT) | instid1(VALU_DEP_1)
	v_add_nc_u32_e32 v29, v29, v30
	v_mov_b32_dpp v30, v29 row_shr:4 row_mask:0xf bank_mask:0xf
	s_delay_alu instid0(VALU_DEP_1) | instskip(NEXT) | instid1(VALU_DEP_1)
	v_cndmask_b32_e64 v30, 0, v30, s4
	v_add_nc_u32_e32 v29, v29, v30
	s_delay_alu instid0(VALU_DEP_1) | instskip(NEXT) | instid1(VALU_DEP_1)
	v_mov_b32_dpp v30, v29 row_shr:8 row_mask:0xf bank_mask:0xf
	v_cndmask_b32_e64 v30, 0, v30, s1
	s_delay_alu instid0(VALU_DEP_1) | instskip(SKIP_3) | instid1(VALU_DEP_1)
	v_add_nc_u32_e32 v29, v29, v30
	ds_swizzle_b32 v30, v29 offset:swizzle(BROADCAST,32,15)
	s_waitcnt lgkmcnt(0)
	v_cndmask_b32_e64 v30, v30, 0, s6
	v_add_nc_u32_e32 v29, v29, v30
	s_and_saveexec_b32 s6, s5
	s_cbranch_execz .LBB995_101
; %bb.100:
	v_lshlrev_b32_e32 v30, 2, v46
	ds_store_b32 v30, v29
.LBB995_101:
	s_or_b32 exec_lo, exec_lo, s6
	s_delay_alu instid0(SALU_CYCLE_1)
	s_mov_b32 s5, exec_lo
	s_waitcnt lgkmcnt(0)
	s_barrier
	buffer_gl0_inv
	v_cmpx_gt_u32_e32 16, v0
	s_cbranch_execz .LBB995_103
; %bb.102:
	v_lshlrev_b32_e32 v30, 2, v0
	ds_load_b32 v32, v30
	s_waitcnt lgkmcnt(0)
	v_mov_b32_dpp v33, v32 row_shr:1 row_mask:0xf bank_mask:0xf
	s_delay_alu instid0(VALU_DEP_1) | instskip(NEXT) | instid1(VALU_DEP_1)
	v_cndmask_b32_e64 v33, v33, 0, s3
	v_add_nc_u32_e32 v32, v33, v32
	s_delay_alu instid0(VALU_DEP_1) | instskip(NEXT) | instid1(VALU_DEP_1)
	v_mov_b32_dpp v33, v32 row_shr:2 row_mask:0xf bank_mask:0xf
	v_cndmask_b32_e64 v33, 0, v33, s0
	s_delay_alu instid0(VALU_DEP_1) | instskip(NEXT) | instid1(VALU_DEP_1)
	v_add_nc_u32_e32 v32, v32, v33
	v_mov_b32_dpp v33, v32 row_shr:4 row_mask:0xf bank_mask:0xf
	s_delay_alu instid0(VALU_DEP_1) | instskip(NEXT) | instid1(VALU_DEP_1)
	v_cndmask_b32_e64 v33, 0, v33, s4
	v_add_nc_u32_e32 v32, v32, v33
	s_delay_alu instid0(VALU_DEP_1) | instskip(NEXT) | instid1(VALU_DEP_1)
	v_mov_b32_dpp v33, v32 row_shr:8 row_mask:0xf bank_mask:0xf
	v_cndmask_b32_e64 v33, 0, v33, s1
	s_delay_alu instid0(VALU_DEP_1)
	v_add_nc_u32_e32 v32, v32, v33
	ds_store_b32 v30, v32
.LBB995_103:
	s_or_b32 exec_lo, exec_lo, s5
	v_cmp_lt_u32_e32 vcc_lo, 31, v0
	v_mov_b32_e32 v30, 0
	v_mov_b32_e32 v0, 0
	s_waitcnt lgkmcnt(0)
	s_barrier
	buffer_gl0_inv
	s_and_saveexec_b32 s0, vcc_lo
	s_cbranch_execz .LBB995_105
; %bb.104:
	v_lshl_add_u32 v0, v46, 2, -4
	ds_load_b32 v0, v0
.LBB995_105:
	s_or_b32 exec_lo, exec_lo, s0
	v_add_nc_u32_e32 v32, -1, v45
	s_waitcnt lgkmcnt(0)
	v_add_nc_u32_e32 v29, v0, v29
	s_delay_alu instid0(VALU_DEP_2) | instskip(SKIP_1) | instid1(VALU_DEP_1)
	v_cmp_gt_i32_e32 vcc_lo, 0, v32
	v_cndmask_b32_e32 v32, v32, v45, vcc_lo
	v_lshlrev_b32_e32 v32, 2, v32
	ds_bpermute_b32 v32, v32, v29
	ds_load_b32 v29, v30 offset:60
	s_and_saveexec_b32 s0, s2
	s_cbranch_execz .LBB995_107
; %bb.106:
	v_dual_mov_b32 v33, 0 :: v_dual_mov_b32 v30, 2
	s_waitcnt lgkmcnt(0)
	global_store_b64 v33, v[29:30], s[10:11] offset:256
.LBB995_107:
	s_or_b32 exec_lo, exec_lo, s0
	v_cmp_eq_u32_e32 vcc_lo, 0, v45
	s_waitcnt lgkmcnt(0)
	s_waitcnt_vscnt null, 0x0
	s_barrier
	buffer_gl0_inv
	v_mov_b32_e32 v30, 0
	v_cndmask_b32_e32 v0, v32, v0, vcc_lo
	s_delay_alu instid0(VALU_DEP_1) | instskip(NEXT) | instid1(VALU_DEP_1)
	v_cndmask_b32_e64 v51, v0, 0, s2
	v_add_nc_u32_e32 v50, v51, v38
	s_delay_alu instid0(VALU_DEP_1) | instskip(NEXT) | instid1(VALU_DEP_1)
	v_add_nc_u32_e32 v49, v50, v39
	v_add_nc_u32_e32 v48, v49, v40
	s_delay_alu instid0(VALU_DEP_1) | instskip(NEXT) | instid1(VALU_DEP_1)
	v_add_nc_u32_e32 v36, v48, v41
	;; [unrolled: 3-line block ×3, first 2 shown]
	v_add_nc_u32_e32 v33, v34, v44
.LBB995_108:
	v_lshrrev_b32_e32 v39, 8, v27
	v_lshrrev_b32_e32 v38, 16, v27
	v_and_b32_e32 v27, 1, v27
	s_waitcnt lgkmcnt(0)
	v_cmp_gt_u32_e32 vcc_lo, 0x201, v29
	v_lshrrev_b32_e32 v32, 8, v28
	v_lshrrev_b32_e32 v0, 16, v28
	v_cmp_lt_u32_e64 s0, 0x200, v29
	v_cmp_eq_u32_e64 s1, 1, v27
	s_cbranch_vccnz .LBB995_126
; %bb.109:
	s_delay_alu instid0(VALU_DEP_1)
	s_and_saveexec_b32 s3, s1
	s_cbranch_execz .LBB995_111
; %bb.110:
	v_sub_nc_u32_e32 v40, v51, v30
	s_delay_alu instid0(VALU_DEP_1)
	v_lshlrev_b32_e32 v40, 3, v40
	ds_store_b64 v40, v[13:14]
.LBB995_111:
	s_or_b32 exec_lo, exec_lo, s3
	v_and_b32_e32 v13, 1, v39
	s_mov_b32 s1, exec_lo
	s_delay_alu instid0(VALU_DEP_1)
	v_cmpx_eq_u32_e32 1, v13
	s_cbranch_execz .LBB995_113
; %bb.112:
	v_sub_nc_u32_e32 v13, v50, v30
	s_delay_alu instid0(VALU_DEP_1)
	v_lshlrev_b32_e32 v13, 3, v13
	ds_store_b64 v13, v[15:16]
.LBB995_113:
	s_or_b32 exec_lo, exec_lo, s1
	v_and_b32_e32 v13, 1, v38
	s_mov_b32 s1, exec_lo
	s_delay_alu instid0(VALU_DEP_1)
	v_cmpx_eq_u32_e32 1, v13
	;; [unrolled: 12-line block ×7, first 2 shown]
	s_cbranch_execz .LBB995_125
; %bb.124:
	v_sub_nc_u32_e32 v1, v33, v30
	s_delay_alu instid0(VALU_DEP_1)
	v_lshlrev_b32_e32 v1, 3, v1
	ds_store_b64 v1, v[3:4]
.LBB995_125:
	s_or_b32 exec_lo, exec_lo, s1
	s_waitcnt lgkmcnt(0)
	s_barrier
	buffer_gl0_inv
.LBB995_126:
	s_delay_alu instid0(VALU_DEP_2)
	s_and_not1_b32 vcc_lo, exec_lo, s0
	s_barrier
	buffer_gl0_inv
	s_cbranch_vccnz .LBB995_145
; %bb.127:
	s_mov_b32 s0, exec_lo
	v_cmpx_eq_u32_e32 1, v27
	s_cbranch_execz .LBB995_129
; %bb.128:
	v_sub_nc_u32_e32 v1, v51, v30
	s_delay_alu instid0(VALU_DEP_1)
	v_lshlrev_b32_e32 v1, 2, v1
	ds_store_b32 v1, v25
.LBB995_129:
	s_or_b32 exec_lo, exec_lo, s0
	v_and_b32_e32 v1, 1, v39
	s_mov_b32 s0, exec_lo
	s_delay_alu instid0(VALU_DEP_1)
	v_cmpx_eq_u32_e32 1, v1
	s_cbranch_execz .LBB995_131
; %bb.130:
	v_sub_nc_u32_e32 v1, v50, v30
	s_delay_alu instid0(VALU_DEP_1)
	v_lshlrev_b32_e32 v1, 2, v1
	ds_store_b32 v1, v26
.LBB995_131:
	s_or_b32 exec_lo, exec_lo, s0
	v_and_b32_e32 v1, 1, v38
	s_mov_b32 s0, exec_lo
	s_delay_alu instid0(VALU_DEP_1)
	;; [unrolled: 12-line block ×7, first 2 shown]
	v_cmpx_eq_u32_e32 1, v0
	s_cbranch_execz .LBB995_143
; %bb.142:
	v_sub_nc_u32_e32 v0, v33, v30
	s_delay_alu instid0(VALU_DEP_1)
	v_lshlrev_b32_e32 v0, 2, v0
	ds_store_b32 v0, v20
.LBB995_143:
	s_or_b32 exec_lo, exec_lo, s0
	s_waitcnt lgkmcnt(0)
	s_barrier
	buffer_gl0_inv
	s_and_b32 s0, s2, s14
	s_delay_alu instid0(SALU_CYCLE_1)
	s_and_saveexec_b32 s1, s0
	s_cbranch_execnz .LBB995_146
.LBB995_144:
	s_endpgm
.LBB995_145:
	s_and_b32 s0, s2, s14
	s_delay_alu instid0(SALU_CYCLE_1)
	s_and_saveexec_b32 s1, s0
	s_cbranch_execz .LBB995_144
.LBB995_146:
	v_add_co_u32 v0, vcc_lo, v17, v29
	v_add_co_ci_u32_e32 v1, vcc_lo, 0, v18, vcc_lo
	v_mov_b32_e32 v2, 0
	s_delay_alu instid0(VALU_DEP_3) | instskip(NEXT) | instid1(VALU_DEP_3)
	v_add_co_u32 v0, vcc_lo, v0, v30
	v_add_co_ci_u32_e32 v1, vcc_lo, 0, v1, vcc_lo
	global_store_b64 v2, v[0:1], s[12:13]
	s_nop 0
	s_sendmsg sendmsg(MSG_DEALLOC_VGPRS)
	s_endpgm
	.section	.rodata,"a",@progbits
	.p2align	6, 0x0
	.amdhsa_kernel _ZN7rocprim17ROCPRIM_400000_NS6detail17trampoline_kernelINS0_14default_configENS1_25partition_config_selectorILNS1_17partition_subalgoE9ExjbEEZZNS1_14partition_implILS5_9ELb0ES3_jN6thrust23THRUST_200600_302600_NS6detail15normal_iteratorINS9_10device_ptrIxEEEENSB_INSC_IjEEEEPNS0_10empty_typeENS0_5tupleIJNS9_16discard_iteratorINS9_11use_defaultEEESH_EEENSJ_IJSM_SI_EEENS0_18inequality_wrapperINS9_8equal_toIxEEEEPmJSH_EEE10hipError_tPvRmT3_T4_T5_T6_T7_T9_mT8_P12ihipStream_tbDpT10_ENKUlT_T0_E_clISt17integral_constantIbLb1EES1D_EEDaS18_S19_EUlS18_E_NS1_11comp_targetILNS1_3genE9ELNS1_11target_archE1100ELNS1_3gpuE3ELNS1_3repE0EEENS1_30default_config_static_selectorELNS0_4arch9wavefront6targetE0EEEvT1_
		.amdhsa_group_segment_fixed_size 33800
		.amdhsa_private_segment_fixed_size 0
		.amdhsa_kernarg_size 144
		.amdhsa_user_sgpr_count 15
		.amdhsa_user_sgpr_dispatch_ptr 0
		.amdhsa_user_sgpr_queue_ptr 0
		.amdhsa_user_sgpr_kernarg_segment_ptr 1
		.amdhsa_user_sgpr_dispatch_id 0
		.amdhsa_user_sgpr_private_segment_size 0
		.amdhsa_wavefront_size32 1
		.amdhsa_uses_dynamic_stack 0
		.amdhsa_enable_private_segment 0
		.amdhsa_system_sgpr_workgroup_id_x 1
		.amdhsa_system_sgpr_workgroup_id_y 0
		.amdhsa_system_sgpr_workgroup_id_z 0
		.amdhsa_system_sgpr_workgroup_info 0
		.amdhsa_system_vgpr_workitem_id 0
		.amdhsa_next_free_vgpr 61
		.amdhsa_next_free_sgpr 24
		.amdhsa_reserve_vcc 1
		.amdhsa_float_round_mode_32 0
		.amdhsa_float_round_mode_16_64 0
		.amdhsa_float_denorm_mode_32 3
		.amdhsa_float_denorm_mode_16_64 3
		.amdhsa_dx10_clamp 1
		.amdhsa_ieee_mode 1
		.amdhsa_fp16_overflow 0
		.amdhsa_workgroup_processor_mode 1
		.amdhsa_memory_ordered 1
		.amdhsa_forward_progress 0
		.amdhsa_shared_vgpr_count 0
		.amdhsa_exception_fp_ieee_invalid_op 0
		.amdhsa_exception_fp_denorm_src 0
		.amdhsa_exception_fp_ieee_div_zero 0
		.amdhsa_exception_fp_ieee_overflow 0
		.amdhsa_exception_fp_ieee_underflow 0
		.amdhsa_exception_fp_ieee_inexact 0
		.amdhsa_exception_int_div_zero 0
	.end_amdhsa_kernel
	.section	.text._ZN7rocprim17ROCPRIM_400000_NS6detail17trampoline_kernelINS0_14default_configENS1_25partition_config_selectorILNS1_17partition_subalgoE9ExjbEEZZNS1_14partition_implILS5_9ELb0ES3_jN6thrust23THRUST_200600_302600_NS6detail15normal_iteratorINS9_10device_ptrIxEEEENSB_INSC_IjEEEEPNS0_10empty_typeENS0_5tupleIJNS9_16discard_iteratorINS9_11use_defaultEEESH_EEENSJ_IJSM_SI_EEENS0_18inequality_wrapperINS9_8equal_toIxEEEEPmJSH_EEE10hipError_tPvRmT3_T4_T5_T6_T7_T9_mT8_P12ihipStream_tbDpT10_ENKUlT_T0_E_clISt17integral_constantIbLb1EES1D_EEDaS18_S19_EUlS18_E_NS1_11comp_targetILNS1_3genE9ELNS1_11target_archE1100ELNS1_3gpuE3ELNS1_3repE0EEENS1_30default_config_static_selectorELNS0_4arch9wavefront6targetE0EEEvT1_,"axG",@progbits,_ZN7rocprim17ROCPRIM_400000_NS6detail17trampoline_kernelINS0_14default_configENS1_25partition_config_selectorILNS1_17partition_subalgoE9ExjbEEZZNS1_14partition_implILS5_9ELb0ES3_jN6thrust23THRUST_200600_302600_NS6detail15normal_iteratorINS9_10device_ptrIxEEEENSB_INSC_IjEEEEPNS0_10empty_typeENS0_5tupleIJNS9_16discard_iteratorINS9_11use_defaultEEESH_EEENSJ_IJSM_SI_EEENS0_18inequality_wrapperINS9_8equal_toIxEEEEPmJSH_EEE10hipError_tPvRmT3_T4_T5_T6_T7_T9_mT8_P12ihipStream_tbDpT10_ENKUlT_T0_E_clISt17integral_constantIbLb1EES1D_EEDaS18_S19_EUlS18_E_NS1_11comp_targetILNS1_3genE9ELNS1_11target_archE1100ELNS1_3gpuE3ELNS1_3repE0EEENS1_30default_config_static_selectorELNS0_4arch9wavefront6targetE0EEEvT1_,comdat
.Lfunc_end995:
	.size	_ZN7rocprim17ROCPRIM_400000_NS6detail17trampoline_kernelINS0_14default_configENS1_25partition_config_selectorILNS1_17partition_subalgoE9ExjbEEZZNS1_14partition_implILS5_9ELb0ES3_jN6thrust23THRUST_200600_302600_NS6detail15normal_iteratorINS9_10device_ptrIxEEEENSB_INSC_IjEEEEPNS0_10empty_typeENS0_5tupleIJNS9_16discard_iteratorINS9_11use_defaultEEESH_EEENSJ_IJSM_SI_EEENS0_18inequality_wrapperINS9_8equal_toIxEEEEPmJSH_EEE10hipError_tPvRmT3_T4_T5_T6_T7_T9_mT8_P12ihipStream_tbDpT10_ENKUlT_T0_E_clISt17integral_constantIbLb1EES1D_EEDaS18_S19_EUlS18_E_NS1_11comp_targetILNS1_3genE9ELNS1_11target_archE1100ELNS1_3gpuE3ELNS1_3repE0EEENS1_30default_config_static_selectorELNS0_4arch9wavefront6targetE0EEEvT1_, .Lfunc_end995-_ZN7rocprim17ROCPRIM_400000_NS6detail17trampoline_kernelINS0_14default_configENS1_25partition_config_selectorILNS1_17partition_subalgoE9ExjbEEZZNS1_14partition_implILS5_9ELb0ES3_jN6thrust23THRUST_200600_302600_NS6detail15normal_iteratorINS9_10device_ptrIxEEEENSB_INSC_IjEEEEPNS0_10empty_typeENS0_5tupleIJNS9_16discard_iteratorINS9_11use_defaultEEESH_EEENSJ_IJSM_SI_EEENS0_18inequality_wrapperINS9_8equal_toIxEEEEPmJSH_EEE10hipError_tPvRmT3_T4_T5_T6_T7_T9_mT8_P12ihipStream_tbDpT10_ENKUlT_T0_E_clISt17integral_constantIbLb1EES1D_EEDaS18_S19_EUlS18_E_NS1_11comp_targetILNS1_3genE9ELNS1_11target_archE1100ELNS1_3gpuE3ELNS1_3repE0EEENS1_30default_config_static_selectorELNS0_4arch9wavefront6targetE0EEEvT1_
                                        ; -- End function
	.section	.AMDGPU.csdata,"",@progbits
; Kernel info:
; codeLenInByte = 7768
; NumSgprs: 26
; NumVgprs: 61
; ScratchSize: 0
; MemoryBound: 0
; FloatMode: 240
; IeeeMode: 1
; LDSByteSize: 33800 bytes/workgroup (compile time only)
; SGPRBlocks: 3
; VGPRBlocks: 7
; NumSGPRsForWavesPerEU: 26
; NumVGPRsForWavesPerEU: 61
; Occupancy: 12
; WaveLimiterHint : 1
; COMPUTE_PGM_RSRC2:SCRATCH_EN: 0
; COMPUTE_PGM_RSRC2:USER_SGPR: 15
; COMPUTE_PGM_RSRC2:TRAP_HANDLER: 0
; COMPUTE_PGM_RSRC2:TGID_X_EN: 1
; COMPUTE_PGM_RSRC2:TGID_Y_EN: 0
; COMPUTE_PGM_RSRC2:TGID_Z_EN: 0
; COMPUTE_PGM_RSRC2:TIDIG_COMP_CNT: 0
	.section	.text._ZN7rocprim17ROCPRIM_400000_NS6detail17trampoline_kernelINS0_14default_configENS1_25partition_config_selectorILNS1_17partition_subalgoE9ExjbEEZZNS1_14partition_implILS5_9ELb0ES3_jN6thrust23THRUST_200600_302600_NS6detail15normal_iteratorINS9_10device_ptrIxEEEENSB_INSC_IjEEEEPNS0_10empty_typeENS0_5tupleIJNS9_16discard_iteratorINS9_11use_defaultEEESH_EEENSJ_IJSM_SI_EEENS0_18inequality_wrapperINS9_8equal_toIxEEEEPmJSH_EEE10hipError_tPvRmT3_T4_T5_T6_T7_T9_mT8_P12ihipStream_tbDpT10_ENKUlT_T0_E_clISt17integral_constantIbLb1EES1D_EEDaS18_S19_EUlS18_E_NS1_11comp_targetILNS1_3genE8ELNS1_11target_archE1030ELNS1_3gpuE2ELNS1_3repE0EEENS1_30default_config_static_selectorELNS0_4arch9wavefront6targetE0EEEvT1_,"axG",@progbits,_ZN7rocprim17ROCPRIM_400000_NS6detail17trampoline_kernelINS0_14default_configENS1_25partition_config_selectorILNS1_17partition_subalgoE9ExjbEEZZNS1_14partition_implILS5_9ELb0ES3_jN6thrust23THRUST_200600_302600_NS6detail15normal_iteratorINS9_10device_ptrIxEEEENSB_INSC_IjEEEEPNS0_10empty_typeENS0_5tupleIJNS9_16discard_iteratorINS9_11use_defaultEEESH_EEENSJ_IJSM_SI_EEENS0_18inequality_wrapperINS9_8equal_toIxEEEEPmJSH_EEE10hipError_tPvRmT3_T4_T5_T6_T7_T9_mT8_P12ihipStream_tbDpT10_ENKUlT_T0_E_clISt17integral_constantIbLb1EES1D_EEDaS18_S19_EUlS18_E_NS1_11comp_targetILNS1_3genE8ELNS1_11target_archE1030ELNS1_3gpuE2ELNS1_3repE0EEENS1_30default_config_static_selectorELNS0_4arch9wavefront6targetE0EEEvT1_,comdat
	.protected	_ZN7rocprim17ROCPRIM_400000_NS6detail17trampoline_kernelINS0_14default_configENS1_25partition_config_selectorILNS1_17partition_subalgoE9ExjbEEZZNS1_14partition_implILS5_9ELb0ES3_jN6thrust23THRUST_200600_302600_NS6detail15normal_iteratorINS9_10device_ptrIxEEEENSB_INSC_IjEEEEPNS0_10empty_typeENS0_5tupleIJNS9_16discard_iteratorINS9_11use_defaultEEESH_EEENSJ_IJSM_SI_EEENS0_18inequality_wrapperINS9_8equal_toIxEEEEPmJSH_EEE10hipError_tPvRmT3_T4_T5_T6_T7_T9_mT8_P12ihipStream_tbDpT10_ENKUlT_T0_E_clISt17integral_constantIbLb1EES1D_EEDaS18_S19_EUlS18_E_NS1_11comp_targetILNS1_3genE8ELNS1_11target_archE1030ELNS1_3gpuE2ELNS1_3repE0EEENS1_30default_config_static_selectorELNS0_4arch9wavefront6targetE0EEEvT1_ ; -- Begin function _ZN7rocprim17ROCPRIM_400000_NS6detail17trampoline_kernelINS0_14default_configENS1_25partition_config_selectorILNS1_17partition_subalgoE9ExjbEEZZNS1_14partition_implILS5_9ELb0ES3_jN6thrust23THRUST_200600_302600_NS6detail15normal_iteratorINS9_10device_ptrIxEEEENSB_INSC_IjEEEEPNS0_10empty_typeENS0_5tupleIJNS9_16discard_iteratorINS9_11use_defaultEEESH_EEENSJ_IJSM_SI_EEENS0_18inequality_wrapperINS9_8equal_toIxEEEEPmJSH_EEE10hipError_tPvRmT3_T4_T5_T6_T7_T9_mT8_P12ihipStream_tbDpT10_ENKUlT_T0_E_clISt17integral_constantIbLb1EES1D_EEDaS18_S19_EUlS18_E_NS1_11comp_targetILNS1_3genE8ELNS1_11target_archE1030ELNS1_3gpuE2ELNS1_3repE0EEENS1_30default_config_static_selectorELNS0_4arch9wavefront6targetE0EEEvT1_
	.globl	_ZN7rocprim17ROCPRIM_400000_NS6detail17trampoline_kernelINS0_14default_configENS1_25partition_config_selectorILNS1_17partition_subalgoE9ExjbEEZZNS1_14partition_implILS5_9ELb0ES3_jN6thrust23THRUST_200600_302600_NS6detail15normal_iteratorINS9_10device_ptrIxEEEENSB_INSC_IjEEEEPNS0_10empty_typeENS0_5tupleIJNS9_16discard_iteratorINS9_11use_defaultEEESH_EEENSJ_IJSM_SI_EEENS0_18inequality_wrapperINS9_8equal_toIxEEEEPmJSH_EEE10hipError_tPvRmT3_T4_T5_T6_T7_T9_mT8_P12ihipStream_tbDpT10_ENKUlT_T0_E_clISt17integral_constantIbLb1EES1D_EEDaS18_S19_EUlS18_E_NS1_11comp_targetILNS1_3genE8ELNS1_11target_archE1030ELNS1_3gpuE2ELNS1_3repE0EEENS1_30default_config_static_selectorELNS0_4arch9wavefront6targetE0EEEvT1_
	.p2align	8
	.type	_ZN7rocprim17ROCPRIM_400000_NS6detail17trampoline_kernelINS0_14default_configENS1_25partition_config_selectorILNS1_17partition_subalgoE9ExjbEEZZNS1_14partition_implILS5_9ELb0ES3_jN6thrust23THRUST_200600_302600_NS6detail15normal_iteratorINS9_10device_ptrIxEEEENSB_INSC_IjEEEEPNS0_10empty_typeENS0_5tupleIJNS9_16discard_iteratorINS9_11use_defaultEEESH_EEENSJ_IJSM_SI_EEENS0_18inequality_wrapperINS9_8equal_toIxEEEEPmJSH_EEE10hipError_tPvRmT3_T4_T5_T6_T7_T9_mT8_P12ihipStream_tbDpT10_ENKUlT_T0_E_clISt17integral_constantIbLb1EES1D_EEDaS18_S19_EUlS18_E_NS1_11comp_targetILNS1_3genE8ELNS1_11target_archE1030ELNS1_3gpuE2ELNS1_3repE0EEENS1_30default_config_static_selectorELNS0_4arch9wavefront6targetE0EEEvT1_,@function
_ZN7rocprim17ROCPRIM_400000_NS6detail17trampoline_kernelINS0_14default_configENS1_25partition_config_selectorILNS1_17partition_subalgoE9ExjbEEZZNS1_14partition_implILS5_9ELb0ES3_jN6thrust23THRUST_200600_302600_NS6detail15normal_iteratorINS9_10device_ptrIxEEEENSB_INSC_IjEEEEPNS0_10empty_typeENS0_5tupleIJNS9_16discard_iteratorINS9_11use_defaultEEESH_EEENSJ_IJSM_SI_EEENS0_18inequality_wrapperINS9_8equal_toIxEEEEPmJSH_EEE10hipError_tPvRmT3_T4_T5_T6_T7_T9_mT8_P12ihipStream_tbDpT10_ENKUlT_T0_E_clISt17integral_constantIbLb1EES1D_EEDaS18_S19_EUlS18_E_NS1_11comp_targetILNS1_3genE8ELNS1_11target_archE1030ELNS1_3gpuE2ELNS1_3repE0EEENS1_30default_config_static_selectorELNS0_4arch9wavefront6targetE0EEEvT1_: ; @_ZN7rocprim17ROCPRIM_400000_NS6detail17trampoline_kernelINS0_14default_configENS1_25partition_config_selectorILNS1_17partition_subalgoE9ExjbEEZZNS1_14partition_implILS5_9ELb0ES3_jN6thrust23THRUST_200600_302600_NS6detail15normal_iteratorINS9_10device_ptrIxEEEENSB_INSC_IjEEEEPNS0_10empty_typeENS0_5tupleIJNS9_16discard_iteratorINS9_11use_defaultEEESH_EEENSJ_IJSM_SI_EEENS0_18inequality_wrapperINS9_8equal_toIxEEEEPmJSH_EEE10hipError_tPvRmT3_T4_T5_T6_T7_T9_mT8_P12ihipStream_tbDpT10_ENKUlT_T0_E_clISt17integral_constantIbLb1EES1D_EEDaS18_S19_EUlS18_E_NS1_11comp_targetILNS1_3genE8ELNS1_11target_archE1030ELNS1_3gpuE2ELNS1_3repE0EEENS1_30default_config_static_selectorELNS0_4arch9wavefront6targetE0EEEvT1_
; %bb.0:
	.section	.rodata,"a",@progbits
	.p2align	6, 0x0
	.amdhsa_kernel _ZN7rocprim17ROCPRIM_400000_NS6detail17trampoline_kernelINS0_14default_configENS1_25partition_config_selectorILNS1_17partition_subalgoE9ExjbEEZZNS1_14partition_implILS5_9ELb0ES3_jN6thrust23THRUST_200600_302600_NS6detail15normal_iteratorINS9_10device_ptrIxEEEENSB_INSC_IjEEEEPNS0_10empty_typeENS0_5tupleIJNS9_16discard_iteratorINS9_11use_defaultEEESH_EEENSJ_IJSM_SI_EEENS0_18inequality_wrapperINS9_8equal_toIxEEEEPmJSH_EEE10hipError_tPvRmT3_T4_T5_T6_T7_T9_mT8_P12ihipStream_tbDpT10_ENKUlT_T0_E_clISt17integral_constantIbLb1EES1D_EEDaS18_S19_EUlS18_E_NS1_11comp_targetILNS1_3genE8ELNS1_11target_archE1030ELNS1_3gpuE2ELNS1_3repE0EEENS1_30default_config_static_selectorELNS0_4arch9wavefront6targetE0EEEvT1_
		.amdhsa_group_segment_fixed_size 0
		.amdhsa_private_segment_fixed_size 0
		.amdhsa_kernarg_size 144
		.amdhsa_user_sgpr_count 15
		.amdhsa_user_sgpr_dispatch_ptr 0
		.amdhsa_user_sgpr_queue_ptr 0
		.amdhsa_user_sgpr_kernarg_segment_ptr 1
		.amdhsa_user_sgpr_dispatch_id 0
		.amdhsa_user_sgpr_private_segment_size 0
		.amdhsa_wavefront_size32 1
		.amdhsa_uses_dynamic_stack 0
		.amdhsa_enable_private_segment 0
		.amdhsa_system_sgpr_workgroup_id_x 1
		.amdhsa_system_sgpr_workgroup_id_y 0
		.amdhsa_system_sgpr_workgroup_id_z 0
		.amdhsa_system_sgpr_workgroup_info 0
		.amdhsa_system_vgpr_workitem_id 0
		.amdhsa_next_free_vgpr 1
		.amdhsa_next_free_sgpr 1
		.amdhsa_reserve_vcc 0
		.amdhsa_float_round_mode_32 0
		.amdhsa_float_round_mode_16_64 0
		.amdhsa_float_denorm_mode_32 3
		.amdhsa_float_denorm_mode_16_64 3
		.amdhsa_dx10_clamp 1
		.amdhsa_ieee_mode 1
		.amdhsa_fp16_overflow 0
		.amdhsa_workgroup_processor_mode 1
		.amdhsa_memory_ordered 1
		.amdhsa_forward_progress 0
		.amdhsa_shared_vgpr_count 0
		.amdhsa_exception_fp_ieee_invalid_op 0
		.amdhsa_exception_fp_denorm_src 0
		.amdhsa_exception_fp_ieee_div_zero 0
		.amdhsa_exception_fp_ieee_overflow 0
		.amdhsa_exception_fp_ieee_underflow 0
		.amdhsa_exception_fp_ieee_inexact 0
		.amdhsa_exception_int_div_zero 0
	.end_amdhsa_kernel
	.section	.text._ZN7rocprim17ROCPRIM_400000_NS6detail17trampoline_kernelINS0_14default_configENS1_25partition_config_selectorILNS1_17partition_subalgoE9ExjbEEZZNS1_14partition_implILS5_9ELb0ES3_jN6thrust23THRUST_200600_302600_NS6detail15normal_iteratorINS9_10device_ptrIxEEEENSB_INSC_IjEEEEPNS0_10empty_typeENS0_5tupleIJNS9_16discard_iteratorINS9_11use_defaultEEESH_EEENSJ_IJSM_SI_EEENS0_18inequality_wrapperINS9_8equal_toIxEEEEPmJSH_EEE10hipError_tPvRmT3_T4_T5_T6_T7_T9_mT8_P12ihipStream_tbDpT10_ENKUlT_T0_E_clISt17integral_constantIbLb1EES1D_EEDaS18_S19_EUlS18_E_NS1_11comp_targetILNS1_3genE8ELNS1_11target_archE1030ELNS1_3gpuE2ELNS1_3repE0EEENS1_30default_config_static_selectorELNS0_4arch9wavefront6targetE0EEEvT1_,"axG",@progbits,_ZN7rocprim17ROCPRIM_400000_NS6detail17trampoline_kernelINS0_14default_configENS1_25partition_config_selectorILNS1_17partition_subalgoE9ExjbEEZZNS1_14partition_implILS5_9ELb0ES3_jN6thrust23THRUST_200600_302600_NS6detail15normal_iteratorINS9_10device_ptrIxEEEENSB_INSC_IjEEEEPNS0_10empty_typeENS0_5tupleIJNS9_16discard_iteratorINS9_11use_defaultEEESH_EEENSJ_IJSM_SI_EEENS0_18inequality_wrapperINS9_8equal_toIxEEEEPmJSH_EEE10hipError_tPvRmT3_T4_T5_T6_T7_T9_mT8_P12ihipStream_tbDpT10_ENKUlT_T0_E_clISt17integral_constantIbLb1EES1D_EEDaS18_S19_EUlS18_E_NS1_11comp_targetILNS1_3genE8ELNS1_11target_archE1030ELNS1_3gpuE2ELNS1_3repE0EEENS1_30default_config_static_selectorELNS0_4arch9wavefront6targetE0EEEvT1_,comdat
.Lfunc_end996:
	.size	_ZN7rocprim17ROCPRIM_400000_NS6detail17trampoline_kernelINS0_14default_configENS1_25partition_config_selectorILNS1_17partition_subalgoE9ExjbEEZZNS1_14partition_implILS5_9ELb0ES3_jN6thrust23THRUST_200600_302600_NS6detail15normal_iteratorINS9_10device_ptrIxEEEENSB_INSC_IjEEEEPNS0_10empty_typeENS0_5tupleIJNS9_16discard_iteratorINS9_11use_defaultEEESH_EEENSJ_IJSM_SI_EEENS0_18inequality_wrapperINS9_8equal_toIxEEEEPmJSH_EEE10hipError_tPvRmT3_T4_T5_T6_T7_T9_mT8_P12ihipStream_tbDpT10_ENKUlT_T0_E_clISt17integral_constantIbLb1EES1D_EEDaS18_S19_EUlS18_E_NS1_11comp_targetILNS1_3genE8ELNS1_11target_archE1030ELNS1_3gpuE2ELNS1_3repE0EEENS1_30default_config_static_selectorELNS0_4arch9wavefront6targetE0EEEvT1_, .Lfunc_end996-_ZN7rocprim17ROCPRIM_400000_NS6detail17trampoline_kernelINS0_14default_configENS1_25partition_config_selectorILNS1_17partition_subalgoE9ExjbEEZZNS1_14partition_implILS5_9ELb0ES3_jN6thrust23THRUST_200600_302600_NS6detail15normal_iteratorINS9_10device_ptrIxEEEENSB_INSC_IjEEEEPNS0_10empty_typeENS0_5tupleIJNS9_16discard_iteratorINS9_11use_defaultEEESH_EEENSJ_IJSM_SI_EEENS0_18inequality_wrapperINS9_8equal_toIxEEEEPmJSH_EEE10hipError_tPvRmT3_T4_T5_T6_T7_T9_mT8_P12ihipStream_tbDpT10_ENKUlT_T0_E_clISt17integral_constantIbLb1EES1D_EEDaS18_S19_EUlS18_E_NS1_11comp_targetILNS1_3genE8ELNS1_11target_archE1030ELNS1_3gpuE2ELNS1_3repE0EEENS1_30default_config_static_selectorELNS0_4arch9wavefront6targetE0EEEvT1_
                                        ; -- End function
	.section	.AMDGPU.csdata,"",@progbits
; Kernel info:
; codeLenInByte = 0
; NumSgprs: 0
; NumVgprs: 0
; ScratchSize: 0
; MemoryBound: 0
; FloatMode: 240
; IeeeMode: 1
; LDSByteSize: 0 bytes/workgroup (compile time only)
; SGPRBlocks: 0
; VGPRBlocks: 0
; NumSGPRsForWavesPerEU: 1
; NumVGPRsForWavesPerEU: 1
; Occupancy: 16
; WaveLimiterHint : 0
; COMPUTE_PGM_RSRC2:SCRATCH_EN: 0
; COMPUTE_PGM_RSRC2:USER_SGPR: 15
; COMPUTE_PGM_RSRC2:TRAP_HANDLER: 0
; COMPUTE_PGM_RSRC2:TGID_X_EN: 1
; COMPUTE_PGM_RSRC2:TGID_Y_EN: 0
; COMPUTE_PGM_RSRC2:TGID_Z_EN: 0
; COMPUTE_PGM_RSRC2:TIDIG_COMP_CNT: 0
	.section	.text._ZN7rocprim17ROCPRIM_400000_NS6detail17trampoline_kernelINS0_14default_configENS1_25partition_config_selectorILNS1_17partition_subalgoE9ExjbEEZZNS1_14partition_implILS5_9ELb0ES3_jN6thrust23THRUST_200600_302600_NS6detail15normal_iteratorINS9_10device_ptrIxEEEENSB_INSC_IjEEEEPNS0_10empty_typeENS0_5tupleIJNS9_16discard_iteratorINS9_11use_defaultEEESH_EEENSJ_IJSM_SI_EEENS0_18inequality_wrapperINS9_8equal_toIxEEEEPmJSH_EEE10hipError_tPvRmT3_T4_T5_T6_T7_T9_mT8_P12ihipStream_tbDpT10_ENKUlT_T0_E_clISt17integral_constantIbLb1EES1C_IbLb0EEEEDaS18_S19_EUlS18_E_NS1_11comp_targetILNS1_3genE0ELNS1_11target_archE4294967295ELNS1_3gpuE0ELNS1_3repE0EEENS1_30default_config_static_selectorELNS0_4arch9wavefront6targetE0EEEvT1_,"axG",@progbits,_ZN7rocprim17ROCPRIM_400000_NS6detail17trampoline_kernelINS0_14default_configENS1_25partition_config_selectorILNS1_17partition_subalgoE9ExjbEEZZNS1_14partition_implILS5_9ELb0ES3_jN6thrust23THRUST_200600_302600_NS6detail15normal_iteratorINS9_10device_ptrIxEEEENSB_INSC_IjEEEEPNS0_10empty_typeENS0_5tupleIJNS9_16discard_iteratorINS9_11use_defaultEEESH_EEENSJ_IJSM_SI_EEENS0_18inequality_wrapperINS9_8equal_toIxEEEEPmJSH_EEE10hipError_tPvRmT3_T4_T5_T6_T7_T9_mT8_P12ihipStream_tbDpT10_ENKUlT_T0_E_clISt17integral_constantIbLb1EES1C_IbLb0EEEEDaS18_S19_EUlS18_E_NS1_11comp_targetILNS1_3genE0ELNS1_11target_archE4294967295ELNS1_3gpuE0ELNS1_3repE0EEENS1_30default_config_static_selectorELNS0_4arch9wavefront6targetE0EEEvT1_,comdat
	.protected	_ZN7rocprim17ROCPRIM_400000_NS6detail17trampoline_kernelINS0_14default_configENS1_25partition_config_selectorILNS1_17partition_subalgoE9ExjbEEZZNS1_14partition_implILS5_9ELb0ES3_jN6thrust23THRUST_200600_302600_NS6detail15normal_iteratorINS9_10device_ptrIxEEEENSB_INSC_IjEEEEPNS0_10empty_typeENS0_5tupleIJNS9_16discard_iteratorINS9_11use_defaultEEESH_EEENSJ_IJSM_SI_EEENS0_18inequality_wrapperINS9_8equal_toIxEEEEPmJSH_EEE10hipError_tPvRmT3_T4_T5_T6_T7_T9_mT8_P12ihipStream_tbDpT10_ENKUlT_T0_E_clISt17integral_constantIbLb1EES1C_IbLb0EEEEDaS18_S19_EUlS18_E_NS1_11comp_targetILNS1_3genE0ELNS1_11target_archE4294967295ELNS1_3gpuE0ELNS1_3repE0EEENS1_30default_config_static_selectorELNS0_4arch9wavefront6targetE0EEEvT1_ ; -- Begin function _ZN7rocprim17ROCPRIM_400000_NS6detail17trampoline_kernelINS0_14default_configENS1_25partition_config_selectorILNS1_17partition_subalgoE9ExjbEEZZNS1_14partition_implILS5_9ELb0ES3_jN6thrust23THRUST_200600_302600_NS6detail15normal_iteratorINS9_10device_ptrIxEEEENSB_INSC_IjEEEEPNS0_10empty_typeENS0_5tupleIJNS9_16discard_iteratorINS9_11use_defaultEEESH_EEENSJ_IJSM_SI_EEENS0_18inequality_wrapperINS9_8equal_toIxEEEEPmJSH_EEE10hipError_tPvRmT3_T4_T5_T6_T7_T9_mT8_P12ihipStream_tbDpT10_ENKUlT_T0_E_clISt17integral_constantIbLb1EES1C_IbLb0EEEEDaS18_S19_EUlS18_E_NS1_11comp_targetILNS1_3genE0ELNS1_11target_archE4294967295ELNS1_3gpuE0ELNS1_3repE0EEENS1_30default_config_static_selectorELNS0_4arch9wavefront6targetE0EEEvT1_
	.globl	_ZN7rocprim17ROCPRIM_400000_NS6detail17trampoline_kernelINS0_14default_configENS1_25partition_config_selectorILNS1_17partition_subalgoE9ExjbEEZZNS1_14partition_implILS5_9ELb0ES3_jN6thrust23THRUST_200600_302600_NS6detail15normal_iteratorINS9_10device_ptrIxEEEENSB_INSC_IjEEEEPNS0_10empty_typeENS0_5tupleIJNS9_16discard_iteratorINS9_11use_defaultEEESH_EEENSJ_IJSM_SI_EEENS0_18inequality_wrapperINS9_8equal_toIxEEEEPmJSH_EEE10hipError_tPvRmT3_T4_T5_T6_T7_T9_mT8_P12ihipStream_tbDpT10_ENKUlT_T0_E_clISt17integral_constantIbLb1EES1C_IbLb0EEEEDaS18_S19_EUlS18_E_NS1_11comp_targetILNS1_3genE0ELNS1_11target_archE4294967295ELNS1_3gpuE0ELNS1_3repE0EEENS1_30default_config_static_selectorELNS0_4arch9wavefront6targetE0EEEvT1_
	.p2align	8
	.type	_ZN7rocprim17ROCPRIM_400000_NS6detail17trampoline_kernelINS0_14default_configENS1_25partition_config_selectorILNS1_17partition_subalgoE9ExjbEEZZNS1_14partition_implILS5_9ELb0ES3_jN6thrust23THRUST_200600_302600_NS6detail15normal_iteratorINS9_10device_ptrIxEEEENSB_INSC_IjEEEEPNS0_10empty_typeENS0_5tupleIJNS9_16discard_iteratorINS9_11use_defaultEEESH_EEENSJ_IJSM_SI_EEENS0_18inequality_wrapperINS9_8equal_toIxEEEEPmJSH_EEE10hipError_tPvRmT3_T4_T5_T6_T7_T9_mT8_P12ihipStream_tbDpT10_ENKUlT_T0_E_clISt17integral_constantIbLb1EES1C_IbLb0EEEEDaS18_S19_EUlS18_E_NS1_11comp_targetILNS1_3genE0ELNS1_11target_archE4294967295ELNS1_3gpuE0ELNS1_3repE0EEENS1_30default_config_static_selectorELNS0_4arch9wavefront6targetE0EEEvT1_,@function
_ZN7rocprim17ROCPRIM_400000_NS6detail17trampoline_kernelINS0_14default_configENS1_25partition_config_selectorILNS1_17partition_subalgoE9ExjbEEZZNS1_14partition_implILS5_9ELb0ES3_jN6thrust23THRUST_200600_302600_NS6detail15normal_iteratorINS9_10device_ptrIxEEEENSB_INSC_IjEEEEPNS0_10empty_typeENS0_5tupleIJNS9_16discard_iteratorINS9_11use_defaultEEESH_EEENSJ_IJSM_SI_EEENS0_18inequality_wrapperINS9_8equal_toIxEEEEPmJSH_EEE10hipError_tPvRmT3_T4_T5_T6_T7_T9_mT8_P12ihipStream_tbDpT10_ENKUlT_T0_E_clISt17integral_constantIbLb1EES1C_IbLb0EEEEDaS18_S19_EUlS18_E_NS1_11comp_targetILNS1_3genE0ELNS1_11target_archE4294967295ELNS1_3gpuE0ELNS1_3repE0EEENS1_30default_config_static_selectorELNS0_4arch9wavefront6targetE0EEEvT1_: ; @_ZN7rocprim17ROCPRIM_400000_NS6detail17trampoline_kernelINS0_14default_configENS1_25partition_config_selectorILNS1_17partition_subalgoE9ExjbEEZZNS1_14partition_implILS5_9ELb0ES3_jN6thrust23THRUST_200600_302600_NS6detail15normal_iteratorINS9_10device_ptrIxEEEENSB_INSC_IjEEEEPNS0_10empty_typeENS0_5tupleIJNS9_16discard_iteratorINS9_11use_defaultEEESH_EEENSJ_IJSM_SI_EEENS0_18inequality_wrapperINS9_8equal_toIxEEEEPmJSH_EEE10hipError_tPvRmT3_T4_T5_T6_T7_T9_mT8_P12ihipStream_tbDpT10_ENKUlT_T0_E_clISt17integral_constantIbLb1EES1C_IbLb0EEEEDaS18_S19_EUlS18_E_NS1_11comp_targetILNS1_3genE0ELNS1_11target_archE4294967295ELNS1_3gpuE0ELNS1_3repE0EEENS1_30default_config_static_selectorELNS0_4arch9wavefront6targetE0EEEvT1_
; %bb.0:
	.section	.rodata,"a",@progbits
	.p2align	6, 0x0
	.amdhsa_kernel _ZN7rocprim17ROCPRIM_400000_NS6detail17trampoline_kernelINS0_14default_configENS1_25partition_config_selectorILNS1_17partition_subalgoE9ExjbEEZZNS1_14partition_implILS5_9ELb0ES3_jN6thrust23THRUST_200600_302600_NS6detail15normal_iteratorINS9_10device_ptrIxEEEENSB_INSC_IjEEEEPNS0_10empty_typeENS0_5tupleIJNS9_16discard_iteratorINS9_11use_defaultEEESH_EEENSJ_IJSM_SI_EEENS0_18inequality_wrapperINS9_8equal_toIxEEEEPmJSH_EEE10hipError_tPvRmT3_T4_T5_T6_T7_T9_mT8_P12ihipStream_tbDpT10_ENKUlT_T0_E_clISt17integral_constantIbLb1EES1C_IbLb0EEEEDaS18_S19_EUlS18_E_NS1_11comp_targetILNS1_3genE0ELNS1_11target_archE4294967295ELNS1_3gpuE0ELNS1_3repE0EEENS1_30default_config_static_selectorELNS0_4arch9wavefront6targetE0EEEvT1_
		.amdhsa_group_segment_fixed_size 0
		.amdhsa_private_segment_fixed_size 0
		.amdhsa_kernarg_size 128
		.amdhsa_user_sgpr_count 15
		.amdhsa_user_sgpr_dispatch_ptr 0
		.amdhsa_user_sgpr_queue_ptr 0
		.amdhsa_user_sgpr_kernarg_segment_ptr 1
		.amdhsa_user_sgpr_dispatch_id 0
		.amdhsa_user_sgpr_private_segment_size 0
		.amdhsa_wavefront_size32 1
		.amdhsa_uses_dynamic_stack 0
		.amdhsa_enable_private_segment 0
		.amdhsa_system_sgpr_workgroup_id_x 1
		.amdhsa_system_sgpr_workgroup_id_y 0
		.amdhsa_system_sgpr_workgroup_id_z 0
		.amdhsa_system_sgpr_workgroup_info 0
		.amdhsa_system_vgpr_workitem_id 0
		.amdhsa_next_free_vgpr 1
		.amdhsa_next_free_sgpr 1
		.amdhsa_reserve_vcc 0
		.amdhsa_float_round_mode_32 0
		.amdhsa_float_round_mode_16_64 0
		.amdhsa_float_denorm_mode_32 3
		.amdhsa_float_denorm_mode_16_64 3
		.amdhsa_dx10_clamp 1
		.amdhsa_ieee_mode 1
		.amdhsa_fp16_overflow 0
		.amdhsa_workgroup_processor_mode 1
		.amdhsa_memory_ordered 1
		.amdhsa_forward_progress 0
		.amdhsa_shared_vgpr_count 0
		.amdhsa_exception_fp_ieee_invalid_op 0
		.amdhsa_exception_fp_denorm_src 0
		.amdhsa_exception_fp_ieee_div_zero 0
		.amdhsa_exception_fp_ieee_overflow 0
		.amdhsa_exception_fp_ieee_underflow 0
		.amdhsa_exception_fp_ieee_inexact 0
		.amdhsa_exception_int_div_zero 0
	.end_amdhsa_kernel
	.section	.text._ZN7rocprim17ROCPRIM_400000_NS6detail17trampoline_kernelINS0_14default_configENS1_25partition_config_selectorILNS1_17partition_subalgoE9ExjbEEZZNS1_14partition_implILS5_9ELb0ES3_jN6thrust23THRUST_200600_302600_NS6detail15normal_iteratorINS9_10device_ptrIxEEEENSB_INSC_IjEEEEPNS0_10empty_typeENS0_5tupleIJNS9_16discard_iteratorINS9_11use_defaultEEESH_EEENSJ_IJSM_SI_EEENS0_18inequality_wrapperINS9_8equal_toIxEEEEPmJSH_EEE10hipError_tPvRmT3_T4_T5_T6_T7_T9_mT8_P12ihipStream_tbDpT10_ENKUlT_T0_E_clISt17integral_constantIbLb1EES1C_IbLb0EEEEDaS18_S19_EUlS18_E_NS1_11comp_targetILNS1_3genE0ELNS1_11target_archE4294967295ELNS1_3gpuE0ELNS1_3repE0EEENS1_30default_config_static_selectorELNS0_4arch9wavefront6targetE0EEEvT1_,"axG",@progbits,_ZN7rocprim17ROCPRIM_400000_NS6detail17trampoline_kernelINS0_14default_configENS1_25partition_config_selectorILNS1_17partition_subalgoE9ExjbEEZZNS1_14partition_implILS5_9ELb0ES3_jN6thrust23THRUST_200600_302600_NS6detail15normal_iteratorINS9_10device_ptrIxEEEENSB_INSC_IjEEEEPNS0_10empty_typeENS0_5tupleIJNS9_16discard_iteratorINS9_11use_defaultEEESH_EEENSJ_IJSM_SI_EEENS0_18inequality_wrapperINS9_8equal_toIxEEEEPmJSH_EEE10hipError_tPvRmT3_T4_T5_T6_T7_T9_mT8_P12ihipStream_tbDpT10_ENKUlT_T0_E_clISt17integral_constantIbLb1EES1C_IbLb0EEEEDaS18_S19_EUlS18_E_NS1_11comp_targetILNS1_3genE0ELNS1_11target_archE4294967295ELNS1_3gpuE0ELNS1_3repE0EEENS1_30default_config_static_selectorELNS0_4arch9wavefront6targetE0EEEvT1_,comdat
.Lfunc_end997:
	.size	_ZN7rocprim17ROCPRIM_400000_NS6detail17trampoline_kernelINS0_14default_configENS1_25partition_config_selectorILNS1_17partition_subalgoE9ExjbEEZZNS1_14partition_implILS5_9ELb0ES3_jN6thrust23THRUST_200600_302600_NS6detail15normal_iteratorINS9_10device_ptrIxEEEENSB_INSC_IjEEEEPNS0_10empty_typeENS0_5tupleIJNS9_16discard_iteratorINS9_11use_defaultEEESH_EEENSJ_IJSM_SI_EEENS0_18inequality_wrapperINS9_8equal_toIxEEEEPmJSH_EEE10hipError_tPvRmT3_T4_T5_T6_T7_T9_mT8_P12ihipStream_tbDpT10_ENKUlT_T0_E_clISt17integral_constantIbLb1EES1C_IbLb0EEEEDaS18_S19_EUlS18_E_NS1_11comp_targetILNS1_3genE0ELNS1_11target_archE4294967295ELNS1_3gpuE0ELNS1_3repE0EEENS1_30default_config_static_selectorELNS0_4arch9wavefront6targetE0EEEvT1_, .Lfunc_end997-_ZN7rocprim17ROCPRIM_400000_NS6detail17trampoline_kernelINS0_14default_configENS1_25partition_config_selectorILNS1_17partition_subalgoE9ExjbEEZZNS1_14partition_implILS5_9ELb0ES3_jN6thrust23THRUST_200600_302600_NS6detail15normal_iteratorINS9_10device_ptrIxEEEENSB_INSC_IjEEEEPNS0_10empty_typeENS0_5tupleIJNS9_16discard_iteratorINS9_11use_defaultEEESH_EEENSJ_IJSM_SI_EEENS0_18inequality_wrapperINS9_8equal_toIxEEEEPmJSH_EEE10hipError_tPvRmT3_T4_T5_T6_T7_T9_mT8_P12ihipStream_tbDpT10_ENKUlT_T0_E_clISt17integral_constantIbLb1EES1C_IbLb0EEEEDaS18_S19_EUlS18_E_NS1_11comp_targetILNS1_3genE0ELNS1_11target_archE4294967295ELNS1_3gpuE0ELNS1_3repE0EEENS1_30default_config_static_selectorELNS0_4arch9wavefront6targetE0EEEvT1_
                                        ; -- End function
	.section	.AMDGPU.csdata,"",@progbits
; Kernel info:
; codeLenInByte = 0
; NumSgprs: 0
; NumVgprs: 0
; ScratchSize: 0
; MemoryBound: 0
; FloatMode: 240
; IeeeMode: 1
; LDSByteSize: 0 bytes/workgroup (compile time only)
; SGPRBlocks: 0
; VGPRBlocks: 0
; NumSGPRsForWavesPerEU: 1
; NumVGPRsForWavesPerEU: 1
; Occupancy: 16
; WaveLimiterHint : 0
; COMPUTE_PGM_RSRC2:SCRATCH_EN: 0
; COMPUTE_PGM_RSRC2:USER_SGPR: 15
; COMPUTE_PGM_RSRC2:TRAP_HANDLER: 0
; COMPUTE_PGM_RSRC2:TGID_X_EN: 1
; COMPUTE_PGM_RSRC2:TGID_Y_EN: 0
; COMPUTE_PGM_RSRC2:TGID_Z_EN: 0
; COMPUTE_PGM_RSRC2:TIDIG_COMP_CNT: 0
	.section	.text._ZN7rocprim17ROCPRIM_400000_NS6detail17trampoline_kernelINS0_14default_configENS1_25partition_config_selectorILNS1_17partition_subalgoE9ExjbEEZZNS1_14partition_implILS5_9ELb0ES3_jN6thrust23THRUST_200600_302600_NS6detail15normal_iteratorINS9_10device_ptrIxEEEENSB_INSC_IjEEEEPNS0_10empty_typeENS0_5tupleIJNS9_16discard_iteratorINS9_11use_defaultEEESH_EEENSJ_IJSM_SI_EEENS0_18inequality_wrapperINS9_8equal_toIxEEEEPmJSH_EEE10hipError_tPvRmT3_T4_T5_T6_T7_T9_mT8_P12ihipStream_tbDpT10_ENKUlT_T0_E_clISt17integral_constantIbLb1EES1C_IbLb0EEEEDaS18_S19_EUlS18_E_NS1_11comp_targetILNS1_3genE5ELNS1_11target_archE942ELNS1_3gpuE9ELNS1_3repE0EEENS1_30default_config_static_selectorELNS0_4arch9wavefront6targetE0EEEvT1_,"axG",@progbits,_ZN7rocprim17ROCPRIM_400000_NS6detail17trampoline_kernelINS0_14default_configENS1_25partition_config_selectorILNS1_17partition_subalgoE9ExjbEEZZNS1_14partition_implILS5_9ELb0ES3_jN6thrust23THRUST_200600_302600_NS6detail15normal_iteratorINS9_10device_ptrIxEEEENSB_INSC_IjEEEEPNS0_10empty_typeENS0_5tupleIJNS9_16discard_iteratorINS9_11use_defaultEEESH_EEENSJ_IJSM_SI_EEENS0_18inequality_wrapperINS9_8equal_toIxEEEEPmJSH_EEE10hipError_tPvRmT3_T4_T5_T6_T7_T9_mT8_P12ihipStream_tbDpT10_ENKUlT_T0_E_clISt17integral_constantIbLb1EES1C_IbLb0EEEEDaS18_S19_EUlS18_E_NS1_11comp_targetILNS1_3genE5ELNS1_11target_archE942ELNS1_3gpuE9ELNS1_3repE0EEENS1_30default_config_static_selectorELNS0_4arch9wavefront6targetE0EEEvT1_,comdat
	.protected	_ZN7rocprim17ROCPRIM_400000_NS6detail17trampoline_kernelINS0_14default_configENS1_25partition_config_selectorILNS1_17partition_subalgoE9ExjbEEZZNS1_14partition_implILS5_9ELb0ES3_jN6thrust23THRUST_200600_302600_NS6detail15normal_iteratorINS9_10device_ptrIxEEEENSB_INSC_IjEEEEPNS0_10empty_typeENS0_5tupleIJNS9_16discard_iteratorINS9_11use_defaultEEESH_EEENSJ_IJSM_SI_EEENS0_18inequality_wrapperINS9_8equal_toIxEEEEPmJSH_EEE10hipError_tPvRmT3_T4_T5_T6_T7_T9_mT8_P12ihipStream_tbDpT10_ENKUlT_T0_E_clISt17integral_constantIbLb1EES1C_IbLb0EEEEDaS18_S19_EUlS18_E_NS1_11comp_targetILNS1_3genE5ELNS1_11target_archE942ELNS1_3gpuE9ELNS1_3repE0EEENS1_30default_config_static_selectorELNS0_4arch9wavefront6targetE0EEEvT1_ ; -- Begin function _ZN7rocprim17ROCPRIM_400000_NS6detail17trampoline_kernelINS0_14default_configENS1_25partition_config_selectorILNS1_17partition_subalgoE9ExjbEEZZNS1_14partition_implILS5_9ELb0ES3_jN6thrust23THRUST_200600_302600_NS6detail15normal_iteratorINS9_10device_ptrIxEEEENSB_INSC_IjEEEEPNS0_10empty_typeENS0_5tupleIJNS9_16discard_iteratorINS9_11use_defaultEEESH_EEENSJ_IJSM_SI_EEENS0_18inequality_wrapperINS9_8equal_toIxEEEEPmJSH_EEE10hipError_tPvRmT3_T4_T5_T6_T7_T9_mT8_P12ihipStream_tbDpT10_ENKUlT_T0_E_clISt17integral_constantIbLb1EES1C_IbLb0EEEEDaS18_S19_EUlS18_E_NS1_11comp_targetILNS1_3genE5ELNS1_11target_archE942ELNS1_3gpuE9ELNS1_3repE0EEENS1_30default_config_static_selectorELNS0_4arch9wavefront6targetE0EEEvT1_
	.globl	_ZN7rocprim17ROCPRIM_400000_NS6detail17trampoline_kernelINS0_14default_configENS1_25partition_config_selectorILNS1_17partition_subalgoE9ExjbEEZZNS1_14partition_implILS5_9ELb0ES3_jN6thrust23THRUST_200600_302600_NS6detail15normal_iteratorINS9_10device_ptrIxEEEENSB_INSC_IjEEEEPNS0_10empty_typeENS0_5tupleIJNS9_16discard_iteratorINS9_11use_defaultEEESH_EEENSJ_IJSM_SI_EEENS0_18inequality_wrapperINS9_8equal_toIxEEEEPmJSH_EEE10hipError_tPvRmT3_T4_T5_T6_T7_T9_mT8_P12ihipStream_tbDpT10_ENKUlT_T0_E_clISt17integral_constantIbLb1EES1C_IbLb0EEEEDaS18_S19_EUlS18_E_NS1_11comp_targetILNS1_3genE5ELNS1_11target_archE942ELNS1_3gpuE9ELNS1_3repE0EEENS1_30default_config_static_selectorELNS0_4arch9wavefront6targetE0EEEvT1_
	.p2align	8
	.type	_ZN7rocprim17ROCPRIM_400000_NS6detail17trampoline_kernelINS0_14default_configENS1_25partition_config_selectorILNS1_17partition_subalgoE9ExjbEEZZNS1_14partition_implILS5_9ELb0ES3_jN6thrust23THRUST_200600_302600_NS6detail15normal_iteratorINS9_10device_ptrIxEEEENSB_INSC_IjEEEEPNS0_10empty_typeENS0_5tupleIJNS9_16discard_iteratorINS9_11use_defaultEEESH_EEENSJ_IJSM_SI_EEENS0_18inequality_wrapperINS9_8equal_toIxEEEEPmJSH_EEE10hipError_tPvRmT3_T4_T5_T6_T7_T9_mT8_P12ihipStream_tbDpT10_ENKUlT_T0_E_clISt17integral_constantIbLb1EES1C_IbLb0EEEEDaS18_S19_EUlS18_E_NS1_11comp_targetILNS1_3genE5ELNS1_11target_archE942ELNS1_3gpuE9ELNS1_3repE0EEENS1_30default_config_static_selectorELNS0_4arch9wavefront6targetE0EEEvT1_,@function
_ZN7rocprim17ROCPRIM_400000_NS6detail17trampoline_kernelINS0_14default_configENS1_25partition_config_selectorILNS1_17partition_subalgoE9ExjbEEZZNS1_14partition_implILS5_9ELb0ES3_jN6thrust23THRUST_200600_302600_NS6detail15normal_iteratorINS9_10device_ptrIxEEEENSB_INSC_IjEEEEPNS0_10empty_typeENS0_5tupleIJNS9_16discard_iteratorINS9_11use_defaultEEESH_EEENSJ_IJSM_SI_EEENS0_18inequality_wrapperINS9_8equal_toIxEEEEPmJSH_EEE10hipError_tPvRmT3_T4_T5_T6_T7_T9_mT8_P12ihipStream_tbDpT10_ENKUlT_T0_E_clISt17integral_constantIbLb1EES1C_IbLb0EEEEDaS18_S19_EUlS18_E_NS1_11comp_targetILNS1_3genE5ELNS1_11target_archE942ELNS1_3gpuE9ELNS1_3repE0EEENS1_30default_config_static_selectorELNS0_4arch9wavefront6targetE0EEEvT1_: ; @_ZN7rocprim17ROCPRIM_400000_NS6detail17trampoline_kernelINS0_14default_configENS1_25partition_config_selectorILNS1_17partition_subalgoE9ExjbEEZZNS1_14partition_implILS5_9ELb0ES3_jN6thrust23THRUST_200600_302600_NS6detail15normal_iteratorINS9_10device_ptrIxEEEENSB_INSC_IjEEEEPNS0_10empty_typeENS0_5tupleIJNS9_16discard_iteratorINS9_11use_defaultEEESH_EEENSJ_IJSM_SI_EEENS0_18inequality_wrapperINS9_8equal_toIxEEEEPmJSH_EEE10hipError_tPvRmT3_T4_T5_T6_T7_T9_mT8_P12ihipStream_tbDpT10_ENKUlT_T0_E_clISt17integral_constantIbLb1EES1C_IbLb0EEEEDaS18_S19_EUlS18_E_NS1_11comp_targetILNS1_3genE5ELNS1_11target_archE942ELNS1_3gpuE9ELNS1_3repE0EEENS1_30default_config_static_selectorELNS0_4arch9wavefront6targetE0EEEvT1_
; %bb.0:
	.section	.rodata,"a",@progbits
	.p2align	6, 0x0
	.amdhsa_kernel _ZN7rocprim17ROCPRIM_400000_NS6detail17trampoline_kernelINS0_14default_configENS1_25partition_config_selectorILNS1_17partition_subalgoE9ExjbEEZZNS1_14partition_implILS5_9ELb0ES3_jN6thrust23THRUST_200600_302600_NS6detail15normal_iteratorINS9_10device_ptrIxEEEENSB_INSC_IjEEEEPNS0_10empty_typeENS0_5tupleIJNS9_16discard_iteratorINS9_11use_defaultEEESH_EEENSJ_IJSM_SI_EEENS0_18inequality_wrapperINS9_8equal_toIxEEEEPmJSH_EEE10hipError_tPvRmT3_T4_T5_T6_T7_T9_mT8_P12ihipStream_tbDpT10_ENKUlT_T0_E_clISt17integral_constantIbLb1EES1C_IbLb0EEEEDaS18_S19_EUlS18_E_NS1_11comp_targetILNS1_3genE5ELNS1_11target_archE942ELNS1_3gpuE9ELNS1_3repE0EEENS1_30default_config_static_selectorELNS0_4arch9wavefront6targetE0EEEvT1_
		.amdhsa_group_segment_fixed_size 0
		.amdhsa_private_segment_fixed_size 0
		.amdhsa_kernarg_size 128
		.amdhsa_user_sgpr_count 15
		.amdhsa_user_sgpr_dispatch_ptr 0
		.amdhsa_user_sgpr_queue_ptr 0
		.amdhsa_user_sgpr_kernarg_segment_ptr 1
		.amdhsa_user_sgpr_dispatch_id 0
		.amdhsa_user_sgpr_private_segment_size 0
		.amdhsa_wavefront_size32 1
		.amdhsa_uses_dynamic_stack 0
		.amdhsa_enable_private_segment 0
		.amdhsa_system_sgpr_workgroup_id_x 1
		.amdhsa_system_sgpr_workgroup_id_y 0
		.amdhsa_system_sgpr_workgroup_id_z 0
		.amdhsa_system_sgpr_workgroup_info 0
		.amdhsa_system_vgpr_workitem_id 0
		.amdhsa_next_free_vgpr 1
		.amdhsa_next_free_sgpr 1
		.amdhsa_reserve_vcc 0
		.amdhsa_float_round_mode_32 0
		.amdhsa_float_round_mode_16_64 0
		.amdhsa_float_denorm_mode_32 3
		.amdhsa_float_denorm_mode_16_64 3
		.amdhsa_dx10_clamp 1
		.amdhsa_ieee_mode 1
		.amdhsa_fp16_overflow 0
		.amdhsa_workgroup_processor_mode 1
		.amdhsa_memory_ordered 1
		.amdhsa_forward_progress 0
		.amdhsa_shared_vgpr_count 0
		.amdhsa_exception_fp_ieee_invalid_op 0
		.amdhsa_exception_fp_denorm_src 0
		.amdhsa_exception_fp_ieee_div_zero 0
		.amdhsa_exception_fp_ieee_overflow 0
		.amdhsa_exception_fp_ieee_underflow 0
		.amdhsa_exception_fp_ieee_inexact 0
		.amdhsa_exception_int_div_zero 0
	.end_amdhsa_kernel
	.section	.text._ZN7rocprim17ROCPRIM_400000_NS6detail17trampoline_kernelINS0_14default_configENS1_25partition_config_selectorILNS1_17partition_subalgoE9ExjbEEZZNS1_14partition_implILS5_9ELb0ES3_jN6thrust23THRUST_200600_302600_NS6detail15normal_iteratorINS9_10device_ptrIxEEEENSB_INSC_IjEEEEPNS0_10empty_typeENS0_5tupleIJNS9_16discard_iteratorINS9_11use_defaultEEESH_EEENSJ_IJSM_SI_EEENS0_18inequality_wrapperINS9_8equal_toIxEEEEPmJSH_EEE10hipError_tPvRmT3_T4_T5_T6_T7_T9_mT8_P12ihipStream_tbDpT10_ENKUlT_T0_E_clISt17integral_constantIbLb1EES1C_IbLb0EEEEDaS18_S19_EUlS18_E_NS1_11comp_targetILNS1_3genE5ELNS1_11target_archE942ELNS1_3gpuE9ELNS1_3repE0EEENS1_30default_config_static_selectorELNS0_4arch9wavefront6targetE0EEEvT1_,"axG",@progbits,_ZN7rocprim17ROCPRIM_400000_NS6detail17trampoline_kernelINS0_14default_configENS1_25partition_config_selectorILNS1_17partition_subalgoE9ExjbEEZZNS1_14partition_implILS5_9ELb0ES3_jN6thrust23THRUST_200600_302600_NS6detail15normal_iteratorINS9_10device_ptrIxEEEENSB_INSC_IjEEEEPNS0_10empty_typeENS0_5tupleIJNS9_16discard_iteratorINS9_11use_defaultEEESH_EEENSJ_IJSM_SI_EEENS0_18inequality_wrapperINS9_8equal_toIxEEEEPmJSH_EEE10hipError_tPvRmT3_T4_T5_T6_T7_T9_mT8_P12ihipStream_tbDpT10_ENKUlT_T0_E_clISt17integral_constantIbLb1EES1C_IbLb0EEEEDaS18_S19_EUlS18_E_NS1_11comp_targetILNS1_3genE5ELNS1_11target_archE942ELNS1_3gpuE9ELNS1_3repE0EEENS1_30default_config_static_selectorELNS0_4arch9wavefront6targetE0EEEvT1_,comdat
.Lfunc_end998:
	.size	_ZN7rocprim17ROCPRIM_400000_NS6detail17trampoline_kernelINS0_14default_configENS1_25partition_config_selectorILNS1_17partition_subalgoE9ExjbEEZZNS1_14partition_implILS5_9ELb0ES3_jN6thrust23THRUST_200600_302600_NS6detail15normal_iteratorINS9_10device_ptrIxEEEENSB_INSC_IjEEEEPNS0_10empty_typeENS0_5tupleIJNS9_16discard_iteratorINS9_11use_defaultEEESH_EEENSJ_IJSM_SI_EEENS0_18inequality_wrapperINS9_8equal_toIxEEEEPmJSH_EEE10hipError_tPvRmT3_T4_T5_T6_T7_T9_mT8_P12ihipStream_tbDpT10_ENKUlT_T0_E_clISt17integral_constantIbLb1EES1C_IbLb0EEEEDaS18_S19_EUlS18_E_NS1_11comp_targetILNS1_3genE5ELNS1_11target_archE942ELNS1_3gpuE9ELNS1_3repE0EEENS1_30default_config_static_selectorELNS0_4arch9wavefront6targetE0EEEvT1_, .Lfunc_end998-_ZN7rocprim17ROCPRIM_400000_NS6detail17trampoline_kernelINS0_14default_configENS1_25partition_config_selectorILNS1_17partition_subalgoE9ExjbEEZZNS1_14partition_implILS5_9ELb0ES3_jN6thrust23THRUST_200600_302600_NS6detail15normal_iteratorINS9_10device_ptrIxEEEENSB_INSC_IjEEEEPNS0_10empty_typeENS0_5tupleIJNS9_16discard_iteratorINS9_11use_defaultEEESH_EEENSJ_IJSM_SI_EEENS0_18inequality_wrapperINS9_8equal_toIxEEEEPmJSH_EEE10hipError_tPvRmT3_T4_T5_T6_T7_T9_mT8_P12ihipStream_tbDpT10_ENKUlT_T0_E_clISt17integral_constantIbLb1EES1C_IbLb0EEEEDaS18_S19_EUlS18_E_NS1_11comp_targetILNS1_3genE5ELNS1_11target_archE942ELNS1_3gpuE9ELNS1_3repE0EEENS1_30default_config_static_selectorELNS0_4arch9wavefront6targetE0EEEvT1_
                                        ; -- End function
	.section	.AMDGPU.csdata,"",@progbits
; Kernel info:
; codeLenInByte = 0
; NumSgprs: 0
; NumVgprs: 0
; ScratchSize: 0
; MemoryBound: 0
; FloatMode: 240
; IeeeMode: 1
; LDSByteSize: 0 bytes/workgroup (compile time only)
; SGPRBlocks: 0
; VGPRBlocks: 0
; NumSGPRsForWavesPerEU: 1
; NumVGPRsForWavesPerEU: 1
; Occupancy: 16
; WaveLimiterHint : 0
; COMPUTE_PGM_RSRC2:SCRATCH_EN: 0
; COMPUTE_PGM_RSRC2:USER_SGPR: 15
; COMPUTE_PGM_RSRC2:TRAP_HANDLER: 0
; COMPUTE_PGM_RSRC2:TGID_X_EN: 1
; COMPUTE_PGM_RSRC2:TGID_Y_EN: 0
; COMPUTE_PGM_RSRC2:TGID_Z_EN: 0
; COMPUTE_PGM_RSRC2:TIDIG_COMP_CNT: 0
	.section	.text._ZN7rocprim17ROCPRIM_400000_NS6detail17trampoline_kernelINS0_14default_configENS1_25partition_config_selectorILNS1_17partition_subalgoE9ExjbEEZZNS1_14partition_implILS5_9ELb0ES3_jN6thrust23THRUST_200600_302600_NS6detail15normal_iteratorINS9_10device_ptrIxEEEENSB_INSC_IjEEEEPNS0_10empty_typeENS0_5tupleIJNS9_16discard_iteratorINS9_11use_defaultEEESH_EEENSJ_IJSM_SI_EEENS0_18inequality_wrapperINS9_8equal_toIxEEEEPmJSH_EEE10hipError_tPvRmT3_T4_T5_T6_T7_T9_mT8_P12ihipStream_tbDpT10_ENKUlT_T0_E_clISt17integral_constantIbLb1EES1C_IbLb0EEEEDaS18_S19_EUlS18_E_NS1_11comp_targetILNS1_3genE4ELNS1_11target_archE910ELNS1_3gpuE8ELNS1_3repE0EEENS1_30default_config_static_selectorELNS0_4arch9wavefront6targetE0EEEvT1_,"axG",@progbits,_ZN7rocprim17ROCPRIM_400000_NS6detail17trampoline_kernelINS0_14default_configENS1_25partition_config_selectorILNS1_17partition_subalgoE9ExjbEEZZNS1_14partition_implILS5_9ELb0ES3_jN6thrust23THRUST_200600_302600_NS6detail15normal_iteratorINS9_10device_ptrIxEEEENSB_INSC_IjEEEEPNS0_10empty_typeENS0_5tupleIJNS9_16discard_iteratorINS9_11use_defaultEEESH_EEENSJ_IJSM_SI_EEENS0_18inequality_wrapperINS9_8equal_toIxEEEEPmJSH_EEE10hipError_tPvRmT3_T4_T5_T6_T7_T9_mT8_P12ihipStream_tbDpT10_ENKUlT_T0_E_clISt17integral_constantIbLb1EES1C_IbLb0EEEEDaS18_S19_EUlS18_E_NS1_11comp_targetILNS1_3genE4ELNS1_11target_archE910ELNS1_3gpuE8ELNS1_3repE0EEENS1_30default_config_static_selectorELNS0_4arch9wavefront6targetE0EEEvT1_,comdat
	.protected	_ZN7rocprim17ROCPRIM_400000_NS6detail17trampoline_kernelINS0_14default_configENS1_25partition_config_selectorILNS1_17partition_subalgoE9ExjbEEZZNS1_14partition_implILS5_9ELb0ES3_jN6thrust23THRUST_200600_302600_NS6detail15normal_iteratorINS9_10device_ptrIxEEEENSB_INSC_IjEEEEPNS0_10empty_typeENS0_5tupleIJNS9_16discard_iteratorINS9_11use_defaultEEESH_EEENSJ_IJSM_SI_EEENS0_18inequality_wrapperINS9_8equal_toIxEEEEPmJSH_EEE10hipError_tPvRmT3_T4_T5_T6_T7_T9_mT8_P12ihipStream_tbDpT10_ENKUlT_T0_E_clISt17integral_constantIbLb1EES1C_IbLb0EEEEDaS18_S19_EUlS18_E_NS1_11comp_targetILNS1_3genE4ELNS1_11target_archE910ELNS1_3gpuE8ELNS1_3repE0EEENS1_30default_config_static_selectorELNS0_4arch9wavefront6targetE0EEEvT1_ ; -- Begin function _ZN7rocprim17ROCPRIM_400000_NS6detail17trampoline_kernelINS0_14default_configENS1_25partition_config_selectorILNS1_17partition_subalgoE9ExjbEEZZNS1_14partition_implILS5_9ELb0ES3_jN6thrust23THRUST_200600_302600_NS6detail15normal_iteratorINS9_10device_ptrIxEEEENSB_INSC_IjEEEEPNS0_10empty_typeENS0_5tupleIJNS9_16discard_iteratorINS9_11use_defaultEEESH_EEENSJ_IJSM_SI_EEENS0_18inequality_wrapperINS9_8equal_toIxEEEEPmJSH_EEE10hipError_tPvRmT3_T4_T5_T6_T7_T9_mT8_P12ihipStream_tbDpT10_ENKUlT_T0_E_clISt17integral_constantIbLb1EES1C_IbLb0EEEEDaS18_S19_EUlS18_E_NS1_11comp_targetILNS1_3genE4ELNS1_11target_archE910ELNS1_3gpuE8ELNS1_3repE0EEENS1_30default_config_static_selectorELNS0_4arch9wavefront6targetE0EEEvT1_
	.globl	_ZN7rocprim17ROCPRIM_400000_NS6detail17trampoline_kernelINS0_14default_configENS1_25partition_config_selectorILNS1_17partition_subalgoE9ExjbEEZZNS1_14partition_implILS5_9ELb0ES3_jN6thrust23THRUST_200600_302600_NS6detail15normal_iteratorINS9_10device_ptrIxEEEENSB_INSC_IjEEEEPNS0_10empty_typeENS0_5tupleIJNS9_16discard_iteratorINS9_11use_defaultEEESH_EEENSJ_IJSM_SI_EEENS0_18inequality_wrapperINS9_8equal_toIxEEEEPmJSH_EEE10hipError_tPvRmT3_T4_T5_T6_T7_T9_mT8_P12ihipStream_tbDpT10_ENKUlT_T0_E_clISt17integral_constantIbLb1EES1C_IbLb0EEEEDaS18_S19_EUlS18_E_NS1_11comp_targetILNS1_3genE4ELNS1_11target_archE910ELNS1_3gpuE8ELNS1_3repE0EEENS1_30default_config_static_selectorELNS0_4arch9wavefront6targetE0EEEvT1_
	.p2align	8
	.type	_ZN7rocprim17ROCPRIM_400000_NS6detail17trampoline_kernelINS0_14default_configENS1_25partition_config_selectorILNS1_17partition_subalgoE9ExjbEEZZNS1_14partition_implILS5_9ELb0ES3_jN6thrust23THRUST_200600_302600_NS6detail15normal_iteratorINS9_10device_ptrIxEEEENSB_INSC_IjEEEEPNS0_10empty_typeENS0_5tupleIJNS9_16discard_iteratorINS9_11use_defaultEEESH_EEENSJ_IJSM_SI_EEENS0_18inequality_wrapperINS9_8equal_toIxEEEEPmJSH_EEE10hipError_tPvRmT3_T4_T5_T6_T7_T9_mT8_P12ihipStream_tbDpT10_ENKUlT_T0_E_clISt17integral_constantIbLb1EES1C_IbLb0EEEEDaS18_S19_EUlS18_E_NS1_11comp_targetILNS1_3genE4ELNS1_11target_archE910ELNS1_3gpuE8ELNS1_3repE0EEENS1_30default_config_static_selectorELNS0_4arch9wavefront6targetE0EEEvT1_,@function
_ZN7rocprim17ROCPRIM_400000_NS6detail17trampoline_kernelINS0_14default_configENS1_25partition_config_selectorILNS1_17partition_subalgoE9ExjbEEZZNS1_14partition_implILS5_9ELb0ES3_jN6thrust23THRUST_200600_302600_NS6detail15normal_iteratorINS9_10device_ptrIxEEEENSB_INSC_IjEEEEPNS0_10empty_typeENS0_5tupleIJNS9_16discard_iteratorINS9_11use_defaultEEESH_EEENSJ_IJSM_SI_EEENS0_18inequality_wrapperINS9_8equal_toIxEEEEPmJSH_EEE10hipError_tPvRmT3_T4_T5_T6_T7_T9_mT8_P12ihipStream_tbDpT10_ENKUlT_T0_E_clISt17integral_constantIbLb1EES1C_IbLb0EEEEDaS18_S19_EUlS18_E_NS1_11comp_targetILNS1_3genE4ELNS1_11target_archE910ELNS1_3gpuE8ELNS1_3repE0EEENS1_30default_config_static_selectorELNS0_4arch9wavefront6targetE0EEEvT1_: ; @_ZN7rocprim17ROCPRIM_400000_NS6detail17trampoline_kernelINS0_14default_configENS1_25partition_config_selectorILNS1_17partition_subalgoE9ExjbEEZZNS1_14partition_implILS5_9ELb0ES3_jN6thrust23THRUST_200600_302600_NS6detail15normal_iteratorINS9_10device_ptrIxEEEENSB_INSC_IjEEEEPNS0_10empty_typeENS0_5tupleIJNS9_16discard_iteratorINS9_11use_defaultEEESH_EEENSJ_IJSM_SI_EEENS0_18inequality_wrapperINS9_8equal_toIxEEEEPmJSH_EEE10hipError_tPvRmT3_T4_T5_T6_T7_T9_mT8_P12ihipStream_tbDpT10_ENKUlT_T0_E_clISt17integral_constantIbLb1EES1C_IbLb0EEEEDaS18_S19_EUlS18_E_NS1_11comp_targetILNS1_3genE4ELNS1_11target_archE910ELNS1_3gpuE8ELNS1_3repE0EEENS1_30default_config_static_selectorELNS0_4arch9wavefront6targetE0EEEvT1_
; %bb.0:
	.section	.rodata,"a",@progbits
	.p2align	6, 0x0
	.amdhsa_kernel _ZN7rocprim17ROCPRIM_400000_NS6detail17trampoline_kernelINS0_14default_configENS1_25partition_config_selectorILNS1_17partition_subalgoE9ExjbEEZZNS1_14partition_implILS5_9ELb0ES3_jN6thrust23THRUST_200600_302600_NS6detail15normal_iteratorINS9_10device_ptrIxEEEENSB_INSC_IjEEEEPNS0_10empty_typeENS0_5tupleIJNS9_16discard_iteratorINS9_11use_defaultEEESH_EEENSJ_IJSM_SI_EEENS0_18inequality_wrapperINS9_8equal_toIxEEEEPmJSH_EEE10hipError_tPvRmT3_T4_T5_T6_T7_T9_mT8_P12ihipStream_tbDpT10_ENKUlT_T0_E_clISt17integral_constantIbLb1EES1C_IbLb0EEEEDaS18_S19_EUlS18_E_NS1_11comp_targetILNS1_3genE4ELNS1_11target_archE910ELNS1_3gpuE8ELNS1_3repE0EEENS1_30default_config_static_selectorELNS0_4arch9wavefront6targetE0EEEvT1_
		.amdhsa_group_segment_fixed_size 0
		.amdhsa_private_segment_fixed_size 0
		.amdhsa_kernarg_size 128
		.amdhsa_user_sgpr_count 15
		.amdhsa_user_sgpr_dispatch_ptr 0
		.amdhsa_user_sgpr_queue_ptr 0
		.amdhsa_user_sgpr_kernarg_segment_ptr 1
		.amdhsa_user_sgpr_dispatch_id 0
		.amdhsa_user_sgpr_private_segment_size 0
		.amdhsa_wavefront_size32 1
		.amdhsa_uses_dynamic_stack 0
		.amdhsa_enable_private_segment 0
		.amdhsa_system_sgpr_workgroup_id_x 1
		.amdhsa_system_sgpr_workgroup_id_y 0
		.amdhsa_system_sgpr_workgroup_id_z 0
		.amdhsa_system_sgpr_workgroup_info 0
		.amdhsa_system_vgpr_workitem_id 0
		.amdhsa_next_free_vgpr 1
		.amdhsa_next_free_sgpr 1
		.amdhsa_reserve_vcc 0
		.amdhsa_float_round_mode_32 0
		.amdhsa_float_round_mode_16_64 0
		.amdhsa_float_denorm_mode_32 3
		.amdhsa_float_denorm_mode_16_64 3
		.amdhsa_dx10_clamp 1
		.amdhsa_ieee_mode 1
		.amdhsa_fp16_overflow 0
		.amdhsa_workgroup_processor_mode 1
		.amdhsa_memory_ordered 1
		.amdhsa_forward_progress 0
		.amdhsa_shared_vgpr_count 0
		.amdhsa_exception_fp_ieee_invalid_op 0
		.amdhsa_exception_fp_denorm_src 0
		.amdhsa_exception_fp_ieee_div_zero 0
		.amdhsa_exception_fp_ieee_overflow 0
		.amdhsa_exception_fp_ieee_underflow 0
		.amdhsa_exception_fp_ieee_inexact 0
		.amdhsa_exception_int_div_zero 0
	.end_amdhsa_kernel
	.section	.text._ZN7rocprim17ROCPRIM_400000_NS6detail17trampoline_kernelINS0_14default_configENS1_25partition_config_selectorILNS1_17partition_subalgoE9ExjbEEZZNS1_14partition_implILS5_9ELb0ES3_jN6thrust23THRUST_200600_302600_NS6detail15normal_iteratorINS9_10device_ptrIxEEEENSB_INSC_IjEEEEPNS0_10empty_typeENS0_5tupleIJNS9_16discard_iteratorINS9_11use_defaultEEESH_EEENSJ_IJSM_SI_EEENS0_18inequality_wrapperINS9_8equal_toIxEEEEPmJSH_EEE10hipError_tPvRmT3_T4_T5_T6_T7_T9_mT8_P12ihipStream_tbDpT10_ENKUlT_T0_E_clISt17integral_constantIbLb1EES1C_IbLb0EEEEDaS18_S19_EUlS18_E_NS1_11comp_targetILNS1_3genE4ELNS1_11target_archE910ELNS1_3gpuE8ELNS1_3repE0EEENS1_30default_config_static_selectorELNS0_4arch9wavefront6targetE0EEEvT1_,"axG",@progbits,_ZN7rocprim17ROCPRIM_400000_NS6detail17trampoline_kernelINS0_14default_configENS1_25partition_config_selectorILNS1_17partition_subalgoE9ExjbEEZZNS1_14partition_implILS5_9ELb0ES3_jN6thrust23THRUST_200600_302600_NS6detail15normal_iteratorINS9_10device_ptrIxEEEENSB_INSC_IjEEEEPNS0_10empty_typeENS0_5tupleIJNS9_16discard_iteratorINS9_11use_defaultEEESH_EEENSJ_IJSM_SI_EEENS0_18inequality_wrapperINS9_8equal_toIxEEEEPmJSH_EEE10hipError_tPvRmT3_T4_T5_T6_T7_T9_mT8_P12ihipStream_tbDpT10_ENKUlT_T0_E_clISt17integral_constantIbLb1EES1C_IbLb0EEEEDaS18_S19_EUlS18_E_NS1_11comp_targetILNS1_3genE4ELNS1_11target_archE910ELNS1_3gpuE8ELNS1_3repE0EEENS1_30default_config_static_selectorELNS0_4arch9wavefront6targetE0EEEvT1_,comdat
.Lfunc_end999:
	.size	_ZN7rocprim17ROCPRIM_400000_NS6detail17trampoline_kernelINS0_14default_configENS1_25partition_config_selectorILNS1_17partition_subalgoE9ExjbEEZZNS1_14partition_implILS5_9ELb0ES3_jN6thrust23THRUST_200600_302600_NS6detail15normal_iteratorINS9_10device_ptrIxEEEENSB_INSC_IjEEEEPNS0_10empty_typeENS0_5tupleIJNS9_16discard_iteratorINS9_11use_defaultEEESH_EEENSJ_IJSM_SI_EEENS0_18inequality_wrapperINS9_8equal_toIxEEEEPmJSH_EEE10hipError_tPvRmT3_T4_T5_T6_T7_T9_mT8_P12ihipStream_tbDpT10_ENKUlT_T0_E_clISt17integral_constantIbLb1EES1C_IbLb0EEEEDaS18_S19_EUlS18_E_NS1_11comp_targetILNS1_3genE4ELNS1_11target_archE910ELNS1_3gpuE8ELNS1_3repE0EEENS1_30default_config_static_selectorELNS0_4arch9wavefront6targetE0EEEvT1_, .Lfunc_end999-_ZN7rocprim17ROCPRIM_400000_NS6detail17trampoline_kernelINS0_14default_configENS1_25partition_config_selectorILNS1_17partition_subalgoE9ExjbEEZZNS1_14partition_implILS5_9ELb0ES3_jN6thrust23THRUST_200600_302600_NS6detail15normal_iteratorINS9_10device_ptrIxEEEENSB_INSC_IjEEEEPNS0_10empty_typeENS0_5tupleIJNS9_16discard_iteratorINS9_11use_defaultEEESH_EEENSJ_IJSM_SI_EEENS0_18inequality_wrapperINS9_8equal_toIxEEEEPmJSH_EEE10hipError_tPvRmT3_T4_T5_T6_T7_T9_mT8_P12ihipStream_tbDpT10_ENKUlT_T0_E_clISt17integral_constantIbLb1EES1C_IbLb0EEEEDaS18_S19_EUlS18_E_NS1_11comp_targetILNS1_3genE4ELNS1_11target_archE910ELNS1_3gpuE8ELNS1_3repE0EEENS1_30default_config_static_selectorELNS0_4arch9wavefront6targetE0EEEvT1_
                                        ; -- End function
	.section	.AMDGPU.csdata,"",@progbits
; Kernel info:
; codeLenInByte = 0
; NumSgprs: 0
; NumVgprs: 0
; ScratchSize: 0
; MemoryBound: 0
; FloatMode: 240
; IeeeMode: 1
; LDSByteSize: 0 bytes/workgroup (compile time only)
; SGPRBlocks: 0
; VGPRBlocks: 0
; NumSGPRsForWavesPerEU: 1
; NumVGPRsForWavesPerEU: 1
; Occupancy: 15
; WaveLimiterHint : 0
; COMPUTE_PGM_RSRC2:SCRATCH_EN: 0
; COMPUTE_PGM_RSRC2:USER_SGPR: 15
; COMPUTE_PGM_RSRC2:TRAP_HANDLER: 0
; COMPUTE_PGM_RSRC2:TGID_X_EN: 1
; COMPUTE_PGM_RSRC2:TGID_Y_EN: 0
; COMPUTE_PGM_RSRC2:TGID_Z_EN: 0
; COMPUTE_PGM_RSRC2:TIDIG_COMP_CNT: 0
	.section	.text._ZN7rocprim17ROCPRIM_400000_NS6detail17trampoline_kernelINS0_14default_configENS1_25partition_config_selectorILNS1_17partition_subalgoE9ExjbEEZZNS1_14partition_implILS5_9ELb0ES3_jN6thrust23THRUST_200600_302600_NS6detail15normal_iteratorINS9_10device_ptrIxEEEENSB_INSC_IjEEEEPNS0_10empty_typeENS0_5tupleIJNS9_16discard_iteratorINS9_11use_defaultEEESH_EEENSJ_IJSM_SI_EEENS0_18inequality_wrapperINS9_8equal_toIxEEEEPmJSH_EEE10hipError_tPvRmT3_T4_T5_T6_T7_T9_mT8_P12ihipStream_tbDpT10_ENKUlT_T0_E_clISt17integral_constantIbLb1EES1C_IbLb0EEEEDaS18_S19_EUlS18_E_NS1_11comp_targetILNS1_3genE3ELNS1_11target_archE908ELNS1_3gpuE7ELNS1_3repE0EEENS1_30default_config_static_selectorELNS0_4arch9wavefront6targetE0EEEvT1_,"axG",@progbits,_ZN7rocprim17ROCPRIM_400000_NS6detail17trampoline_kernelINS0_14default_configENS1_25partition_config_selectorILNS1_17partition_subalgoE9ExjbEEZZNS1_14partition_implILS5_9ELb0ES3_jN6thrust23THRUST_200600_302600_NS6detail15normal_iteratorINS9_10device_ptrIxEEEENSB_INSC_IjEEEEPNS0_10empty_typeENS0_5tupleIJNS9_16discard_iteratorINS9_11use_defaultEEESH_EEENSJ_IJSM_SI_EEENS0_18inequality_wrapperINS9_8equal_toIxEEEEPmJSH_EEE10hipError_tPvRmT3_T4_T5_T6_T7_T9_mT8_P12ihipStream_tbDpT10_ENKUlT_T0_E_clISt17integral_constantIbLb1EES1C_IbLb0EEEEDaS18_S19_EUlS18_E_NS1_11comp_targetILNS1_3genE3ELNS1_11target_archE908ELNS1_3gpuE7ELNS1_3repE0EEENS1_30default_config_static_selectorELNS0_4arch9wavefront6targetE0EEEvT1_,comdat
	.protected	_ZN7rocprim17ROCPRIM_400000_NS6detail17trampoline_kernelINS0_14default_configENS1_25partition_config_selectorILNS1_17partition_subalgoE9ExjbEEZZNS1_14partition_implILS5_9ELb0ES3_jN6thrust23THRUST_200600_302600_NS6detail15normal_iteratorINS9_10device_ptrIxEEEENSB_INSC_IjEEEEPNS0_10empty_typeENS0_5tupleIJNS9_16discard_iteratorINS9_11use_defaultEEESH_EEENSJ_IJSM_SI_EEENS0_18inequality_wrapperINS9_8equal_toIxEEEEPmJSH_EEE10hipError_tPvRmT3_T4_T5_T6_T7_T9_mT8_P12ihipStream_tbDpT10_ENKUlT_T0_E_clISt17integral_constantIbLb1EES1C_IbLb0EEEEDaS18_S19_EUlS18_E_NS1_11comp_targetILNS1_3genE3ELNS1_11target_archE908ELNS1_3gpuE7ELNS1_3repE0EEENS1_30default_config_static_selectorELNS0_4arch9wavefront6targetE0EEEvT1_ ; -- Begin function _ZN7rocprim17ROCPRIM_400000_NS6detail17trampoline_kernelINS0_14default_configENS1_25partition_config_selectorILNS1_17partition_subalgoE9ExjbEEZZNS1_14partition_implILS5_9ELb0ES3_jN6thrust23THRUST_200600_302600_NS6detail15normal_iteratorINS9_10device_ptrIxEEEENSB_INSC_IjEEEEPNS0_10empty_typeENS0_5tupleIJNS9_16discard_iteratorINS9_11use_defaultEEESH_EEENSJ_IJSM_SI_EEENS0_18inequality_wrapperINS9_8equal_toIxEEEEPmJSH_EEE10hipError_tPvRmT3_T4_T5_T6_T7_T9_mT8_P12ihipStream_tbDpT10_ENKUlT_T0_E_clISt17integral_constantIbLb1EES1C_IbLb0EEEEDaS18_S19_EUlS18_E_NS1_11comp_targetILNS1_3genE3ELNS1_11target_archE908ELNS1_3gpuE7ELNS1_3repE0EEENS1_30default_config_static_selectorELNS0_4arch9wavefront6targetE0EEEvT1_
	.globl	_ZN7rocprim17ROCPRIM_400000_NS6detail17trampoline_kernelINS0_14default_configENS1_25partition_config_selectorILNS1_17partition_subalgoE9ExjbEEZZNS1_14partition_implILS5_9ELb0ES3_jN6thrust23THRUST_200600_302600_NS6detail15normal_iteratorINS9_10device_ptrIxEEEENSB_INSC_IjEEEEPNS0_10empty_typeENS0_5tupleIJNS9_16discard_iteratorINS9_11use_defaultEEESH_EEENSJ_IJSM_SI_EEENS0_18inequality_wrapperINS9_8equal_toIxEEEEPmJSH_EEE10hipError_tPvRmT3_T4_T5_T6_T7_T9_mT8_P12ihipStream_tbDpT10_ENKUlT_T0_E_clISt17integral_constantIbLb1EES1C_IbLb0EEEEDaS18_S19_EUlS18_E_NS1_11comp_targetILNS1_3genE3ELNS1_11target_archE908ELNS1_3gpuE7ELNS1_3repE0EEENS1_30default_config_static_selectorELNS0_4arch9wavefront6targetE0EEEvT1_
	.p2align	8
	.type	_ZN7rocprim17ROCPRIM_400000_NS6detail17trampoline_kernelINS0_14default_configENS1_25partition_config_selectorILNS1_17partition_subalgoE9ExjbEEZZNS1_14partition_implILS5_9ELb0ES3_jN6thrust23THRUST_200600_302600_NS6detail15normal_iteratorINS9_10device_ptrIxEEEENSB_INSC_IjEEEEPNS0_10empty_typeENS0_5tupleIJNS9_16discard_iteratorINS9_11use_defaultEEESH_EEENSJ_IJSM_SI_EEENS0_18inequality_wrapperINS9_8equal_toIxEEEEPmJSH_EEE10hipError_tPvRmT3_T4_T5_T6_T7_T9_mT8_P12ihipStream_tbDpT10_ENKUlT_T0_E_clISt17integral_constantIbLb1EES1C_IbLb0EEEEDaS18_S19_EUlS18_E_NS1_11comp_targetILNS1_3genE3ELNS1_11target_archE908ELNS1_3gpuE7ELNS1_3repE0EEENS1_30default_config_static_selectorELNS0_4arch9wavefront6targetE0EEEvT1_,@function
_ZN7rocprim17ROCPRIM_400000_NS6detail17trampoline_kernelINS0_14default_configENS1_25partition_config_selectorILNS1_17partition_subalgoE9ExjbEEZZNS1_14partition_implILS5_9ELb0ES3_jN6thrust23THRUST_200600_302600_NS6detail15normal_iteratorINS9_10device_ptrIxEEEENSB_INSC_IjEEEEPNS0_10empty_typeENS0_5tupleIJNS9_16discard_iteratorINS9_11use_defaultEEESH_EEENSJ_IJSM_SI_EEENS0_18inequality_wrapperINS9_8equal_toIxEEEEPmJSH_EEE10hipError_tPvRmT3_T4_T5_T6_T7_T9_mT8_P12ihipStream_tbDpT10_ENKUlT_T0_E_clISt17integral_constantIbLb1EES1C_IbLb0EEEEDaS18_S19_EUlS18_E_NS1_11comp_targetILNS1_3genE3ELNS1_11target_archE908ELNS1_3gpuE7ELNS1_3repE0EEENS1_30default_config_static_selectorELNS0_4arch9wavefront6targetE0EEEvT1_: ; @_ZN7rocprim17ROCPRIM_400000_NS6detail17trampoline_kernelINS0_14default_configENS1_25partition_config_selectorILNS1_17partition_subalgoE9ExjbEEZZNS1_14partition_implILS5_9ELb0ES3_jN6thrust23THRUST_200600_302600_NS6detail15normal_iteratorINS9_10device_ptrIxEEEENSB_INSC_IjEEEEPNS0_10empty_typeENS0_5tupleIJNS9_16discard_iteratorINS9_11use_defaultEEESH_EEENSJ_IJSM_SI_EEENS0_18inequality_wrapperINS9_8equal_toIxEEEEPmJSH_EEE10hipError_tPvRmT3_T4_T5_T6_T7_T9_mT8_P12ihipStream_tbDpT10_ENKUlT_T0_E_clISt17integral_constantIbLb1EES1C_IbLb0EEEEDaS18_S19_EUlS18_E_NS1_11comp_targetILNS1_3genE3ELNS1_11target_archE908ELNS1_3gpuE7ELNS1_3repE0EEENS1_30default_config_static_selectorELNS0_4arch9wavefront6targetE0EEEvT1_
; %bb.0:
	.section	.rodata,"a",@progbits
	.p2align	6, 0x0
	.amdhsa_kernel _ZN7rocprim17ROCPRIM_400000_NS6detail17trampoline_kernelINS0_14default_configENS1_25partition_config_selectorILNS1_17partition_subalgoE9ExjbEEZZNS1_14partition_implILS5_9ELb0ES3_jN6thrust23THRUST_200600_302600_NS6detail15normal_iteratorINS9_10device_ptrIxEEEENSB_INSC_IjEEEEPNS0_10empty_typeENS0_5tupleIJNS9_16discard_iteratorINS9_11use_defaultEEESH_EEENSJ_IJSM_SI_EEENS0_18inequality_wrapperINS9_8equal_toIxEEEEPmJSH_EEE10hipError_tPvRmT3_T4_T5_T6_T7_T9_mT8_P12ihipStream_tbDpT10_ENKUlT_T0_E_clISt17integral_constantIbLb1EES1C_IbLb0EEEEDaS18_S19_EUlS18_E_NS1_11comp_targetILNS1_3genE3ELNS1_11target_archE908ELNS1_3gpuE7ELNS1_3repE0EEENS1_30default_config_static_selectorELNS0_4arch9wavefront6targetE0EEEvT1_
		.amdhsa_group_segment_fixed_size 0
		.amdhsa_private_segment_fixed_size 0
		.amdhsa_kernarg_size 128
		.amdhsa_user_sgpr_count 15
		.amdhsa_user_sgpr_dispatch_ptr 0
		.amdhsa_user_sgpr_queue_ptr 0
		.amdhsa_user_sgpr_kernarg_segment_ptr 1
		.amdhsa_user_sgpr_dispatch_id 0
		.amdhsa_user_sgpr_private_segment_size 0
		.amdhsa_wavefront_size32 1
		.amdhsa_uses_dynamic_stack 0
		.amdhsa_enable_private_segment 0
		.amdhsa_system_sgpr_workgroup_id_x 1
		.amdhsa_system_sgpr_workgroup_id_y 0
		.amdhsa_system_sgpr_workgroup_id_z 0
		.amdhsa_system_sgpr_workgroup_info 0
		.amdhsa_system_vgpr_workitem_id 0
		.amdhsa_next_free_vgpr 1
		.amdhsa_next_free_sgpr 1
		.amdhsa_reserve_vcc 0
		.amdhsa_float_round_mode_32 0
		.amdhsa_float_round_mode_16_64 0
		.amdhsa_float_denorm_mode_32 3
		.amdhsa_float_denorm_mode_16_64 3
		.amdhsa_dx10_clamp 1
		.amdhsa_ieee_mode 1
		.amdhsa_fp16_overflow 0
		.amdhsa_workgroup_processor_mode 1
		.amdhsa_memory_ordered 1
		.amdhsa_forward_progress 0
		.amdhsa_shared_vgpr_count 0
		.amdhsa_exception_fp_ieee_invalid_op 0
		.amdhsa_exception_fp_denorm_src 0
		.amdhsa_exception_fp_ieee_div_zero 0
		.amdhsa_exception_fp_ieee_overflow 0
		.amdhsa_exception_fp_ieee_underflow 0
		.amdhsa_exception_fp_ieee_inexact 0
		.amdhsa_exception_int_div_zero 0
	.end_amdhsa_kernel
	.section	.text._ZN7rocprim17ROCPRIM_400000_NS6detail17trampoline_kernelINS0_14default_configENS1_25partition_config_selectorILNS1_17partition_subalgoE9ExjbEEZZNS1_14partition_implILS5_9ELb0ES3_jN6thrust23THRUST_200600_302600_NS6detail15normal_iteratorINS9_10device_ptrIxEEEENSB_INSC_IjEEEEPNS0_10empty_typeENS0_5tupleIJNS9_16discard_iteratorINS9_11use_defaultEEESH_EEENSJ_IJSM_SI_EEENS0_18inequality_wrapperINS9_8equal_toIxEEEEPmJSH_EEE10hipError_tPvRmT3_T4_T5_T6_T7_T9_mT8_P12ihipStream_tbDpT10_ENKUlT_T0_E_clISt17integral_constantIbLb1EES1C_IbLb0EEEEDaS18_S19_EUlS18_E_NS1_11comp_targetILNS1_3genE3ELNS1_11target_archE908ELNS1_3gpuE7ELNS1_3repE0EEENS1_30default_config_static_selectorELNS0_4arch9wavefront6targetE0EEEvT1_,"axG",@progbits,_ZN7rocprim17ROCPRIM_400000_NS6detail17trampoline_kernelINS0_14default_configENS1_25partition_config_selectorILNS1_17partition_subalgoE9ExjbEEZZNS1_14partition_implILS5_9ELb0ES3_jN6thrust23THRUST_200600_302600_NS6detail15normal_iteratorINS9_10device_ptrIxEEEENSB_INSC_IjEEEEPNS0_10empty_typeENS0_5tupleIJNS9_16discard_iteratorINS9_11use_defaultEEESH_EEENSJ_IJSM_SI_EEENS0_18inequality_wrapperINS9_8equal_toIxEEEEPmJSH_EEE10hipError_tPvRmT3_T4_T5_T6_T7_T9_mT8_P12ihipStream_tbDpT10_ENKUlT_T0_E_clISt17integral_constantIbLb1EES1C_IbLb0EEEEDaS18_S19_EUlS18_E_NS1_11comp_targetILNS1_3genE3ELNS1_11target_archE908ELNS1_3gpuE7ELNS1_3repE0EEENS1_30default_config_static_selectorELNS0_4arch9wavefront6targetE0EEEvT1_,comdat
.Lfunc_end1000:
	.size	_ZN7rocprim17ROCPRIM_400000_NS6detail17trampoline_kernelINS0_14default_configENS1_25partition_config_selectorILNS1_17partition_subalgoE9ExjbEEZZNS1_14partition_implILS5_9ELb0ES3_jN6thrust23THRUST_200600_302600_NS6detail15normal_iteratorINS9_10device_ptrIxEEEENSB_INSC_IjEEEEPNS0_10empty_typeENS0_5tupleIJNS9_16discard_iteratorINS9_11use_defaultEEESH_EEENSJ_IJSM_SI_EEENS0_18inequality_wrapperINS9_8equal_toIxEEEEPmJSH_EEE10hipError_tPvRmT3_T4_T5_T6_T7_T9_mT8_P12ihipStream_tbDpT10_ENKUlT_T0_E_clISt17integral_constantIbLb1EES1C_IbLb0EEEEDaS18_S19_EUlS18_E_NS1_11comp_targetILNS1_3genE3ELNS1_11target_archE908ELNS1_3gpuE7ELNS1_3repE0EEENS1_30default_config_static_selectorELNS0_4arch9wavefront6targetE0EEEvT1_, .Lfunc_end1000-_ZN7rocprim17ROCPRIM_400000_NS6detail17trampoline_kernelINS0_14default_configENS1_25partition_config_selectorILNS1_17partition_subalgoE9ExjbEEZZNS1_14partition_implILS5_9ELb0ES3_jN6thrust23THRUST_200600_302600_NS6detail15normal_iteratorINS9_10device_ptrIxEEEENSB_INSC_IjEEEEPNS0_10empty_typeENS0_5tupleIJNS9_16discard_iteratorINS9_11use_defaultEEESH_EEENSJ_IJSM_SI_EEENS0_18inequality_wrapperINS9_8equal_toIxEEEEPmJSH_EEE10hipError_tPvRmT3_T4_T5_T6_T7_T9_mT8_P12ihipStream_tbDpT10_ENKUlT_T0_E_clISt17integral_constantIbLb1EES1C_IbLb0EEEEDaS18_S19_EUlS18_E_NS1_11comp_targetILNS1_3genE3ELNS1_11target_archE908ELNS1_3gpuE7ELNS1_3repE0EEENS1_30default_config_static_selectorELNS0_4arch9wavefront6targetE0EEEvT1_
                                        ; -- End function
	.section	.AMDGPU.csdata,"",@progbits
; Kernel info:
; codeLenInByte = 0
; NumSgprs: 0
; NumVgprs: 0
; ScratchSize: 0
; MemoryBound: 0
; FloatMode: 240
; IeeeMode: 1
; LDSByteSize: 0 bytes/workgroup (compile time only)
; SGPRBlocks: 0
; VGPRBlocks: 0
; NumSGPRsForWavesPerEU: 1
; NumVGPRsForWavesPerEU: 1
; Occupancy: 16
; WaveLimiterHint : 0
; COMPUTE_PGM_RSRC2:SCRATCH_EN: 0
; COMPUTE_PGM_RSRC2:USER_SGPR: 15
; COMPUTE_PGM_RSRC2:TRAP_HANDLER: 0
; COMPUTE_PGM_RSRC2:TGID_X_EN: 1
; COMPUTE_PGM_RSRC2:TGID_Y_EN: 0
; COMPUTE_PGM_RSRC2:TGID_Z_EN: 0
; COMPUTE_PGM_RSRC2:TIDIG_COMP_CNT: 0
	.section	.text._ZN7rocprim17ROCPRIM_400000_NS6detail17trampoline_kernelINS0_14default_configENS1_25partition_config_selectorILNS1_17partition_subalgoE9ExjbEEZZNS1_14partition_implILS5_9ELb0ES3_jN6thrust23THRUST_200600_302600_NS6detail15normal_iteratorINS9_10device_ptrIxEEEENSB_INSC_IjEEEEPNS0_10empty_typeENS0_5tupleIJNS9_16discard_iteratorINS9_11use_defaultEEESH_EEENSJ_IJSM_SI_EEENS0_18inequality_wrapperINS9_8equal_toIxEEEEPmJSH_EEE10hipError_tPvRmT3_T4_T5_T6_T7_T9_mT8_P12ihipStream_tbDpT10_ENKUlT_T0_E_clISt17integral_constantIbLb1EES1C_IbLb0EEEEDaS18_S19_EUlS18_E_NS1_11comp_targetILNS1_3genE2ELNS1_11target_archE906ELNS1_3gpuE6ELNS1_3repE0EEENS1_30default_config_static_selectorELNS0_4arch9wavefront6targetE0EEEvT1_,"axG",@progbits,_ZN7rocprim17ROCPRIM_400000_NS6detail17trampoline_kernelINS0_14default_configENS1_25partition_config_selectorILNS1_17partition_subalgoE9ExjbEEZZNS1_14partition_implILS5_9ELb0ES3_jN6thrust23THRUST_200600_302600_NS6detail15normal_iteratorINS9_10device_ptrIxEEEENSB_INSC_IjEEEEPNS0_10empty_typeENS0_5tupleIJNS9_16discard_iteratorINS9_11use_defaultEEESH_EEENSJ_IJSM_SI_EEENS0_18inequality_wrapperINS9_8equal_toIxEEEEPmJSH_EEE10hipError_tPvRmT3_T4_T5_T6_T7_T9_mT8_P12ihipStream_tbDpT10_ENKUlT_T0_E_clISt17integral_constantIbLb1EES1C_IbLb0EEEEDaS18_S19_EUlS18_E_NS1_11comp_targetILNS1_3genE2ELNS1_11target_archE906ELNS1_3gpuE6ELNS1_3repE0EEENS1_30default_config_static_selectorELNS0_4arch9wavefront6targetE0EEEvT1_,comdat
	.protected	_ZN7rocprim17ROCPRIM_400000_NS6detail17trampoline_kernelINS0_14default_configENS1_25partition_config_selectorILNS1_17partition_subalgoE9ExjbEEZZNS1_14partition_implILS5_9ELb0ES3_jN6thrust23THRUST_200600_302600_NS6detail15normal_iteratorINS9_10device_ptrIxEEEENSB_INSC_IjEEEEPNS0_10empty_typeENS0_5tupleIJNS9_16discard_iteratorINS9_11use_defaultEEESH_EEENSJ_IJSM_SI_EEENS0_18inequality_wrapperINS9_8equal_toIxEEEEPmJSH_EEE10hipError_tPvRmT3_T4_T5_T6_T7_T9_mT8_P12ihipStream_tbDpT10_ENKUlT_T0_E_clISt17integral_constantIbLb1EES1C_IbLb0EEEEDaS18_S19_EUlS18_E_NS1_11comp_targetILNS1_3genE2ELNS1_11target_archE906ELNS1_3gpuE6ELNS1_3repE0EEENS1_30default_config_static_selectorELNS0_4arch9wavefront6targetE0EEEvT1_ ; -- Begin function _ZN7rocprim17ROCPRIM_400000_NS6detail17trampoline_kernelINS0_14default_configENS1_25partition_config_selectorILNS1_17partition_subalgoE9ExjbEEZZNS1_14partition_implILS5_9ELb0ES3_jN6thrust23THRUST_200600_302600_NS6detail15normal_iteratorINS9_10device_ptrIxEEEENSB_INSC_IjEEEEPNS0_10empty_typeENS0_5tupleIJNS9_16discard_iteratorINS9_11use_defaultEEESH_EEENSJ_IJSM_SI_EEENS0_18inequality_wrapperINS9_8equal_toIxEEEEPmJSH_EEE10hipError_tPvRmT3_T4_T5_T6_T7_T9_mT8_P12ihipStream_tbDpT10_ENKUlT_T0_E_clISt17integral_constantIbLb1EES1C_IbLb0EEEEDaS18_S19_EUlS18_E_NS1_11comp_targetILNS1_3genE2ELNS1_11target_archE906ELNS1_3gpuE6ELNS1_3repE0EEENS1_30default_config_static_selectorELNS0_4arch9wavefront6targetE0EEEvT1_
	.globl	_ZN7rocprim17ROCPRIM_400000_NS6detail17trampoline_kernelINS0_14default_configENS1_25partition_config_selectorILNS1_17partition_subalgoE9ExjbEEZZNS1_14partition_implILS5_9ELb0ES3_jN6thrust23THRUST_200600_302600_NS6detail15normal_iteratorINS9_10device_ptrIxEEEENSB_INSC_IjEEEEPNS0_10empty_typeENS0_5tupleIJNS9_16discard_iteratorINS9_11use_defaultEEESH_EEENSJ_IJSM_SI_EEENS0_18inequality_wrapperINS9_8equal_toIxEEEEPmJSH_EEE10hipError_tPvRmT3_T4_T5_T6_T7_T9_mT8_P12ihipStream_tbDpT10_ENKUlT_T0_E_clISt17integral_constantIbLb1EES1C_IbLb0EEEEDaS18_S19_EUlS18_E_NS1_11comp_targetILNS1_3genE2ELNS1_11target_archE906ELNS1_3gpuE6ELNS1_3repE0EEENS1_30default_config_static_selectorELNS0_4arch9wavefront6targetE0EEEvT1_
	.p2align	8
	.type	_ZN7rocprim17ROCPRIM_400000_NS6detail17trampoline_kernelINS0_14default_configENS1_25partition_config_selectorILNS1_17partition_subalgoE9ExjbEEZZNS1_14partition_implILS5_9ELb0ES3_jN6thrust23THRUST_200600_302600_NS6detail15normal_iteratorINS9_10device_ptrIxEEEENSB_INSC_IjEEEEPNS0_10empty_typeENS0_5tupleIJNS9_16discard_iteratorINS9_11use_defaultEEESH_EEENSJ_IJSM_SI_EEENS0_18inequality_wrapperINS9_8equal_toIxEEEEPmJSH_EEE10hipError_tPvRmT3_T4_T5_T6_T7_T9_mT8_P12ihipStream_tbDpT10_ENKUlT_T0_E_clISt17integral_constantIbLb1EES1C_IbLb0EEEEDaS18_S19_EUlS18_E_NS1_11comp_targetILNS1_3genE2ELNS1_11target_archE906ELNS1_3gpuE6ELNS1_3repE0EEENS1_30default_config_static_selectorELNS0_4arch9wavefront6targetE0EEEvT1_,@function
_ZN7rocprim17ROCPRIM_400000_NS6detail17trampoline_kernelINS0_14default_configENS1_25partition_config_selectorILNS1_17partition_subalgoE9ExjbEEZZNS1_14partition_implILS5_9ELb0ES3_jN6thrust23THRUST_200600_302600_NS6detail15normal_iteratorINS9_10device_ptrIxEEEENSB_INSC_IjEEEEPNS0_10empty_typeENS0_5tupleIJNS9_16discard_iteratorINS9_11use_defaultEEESH_EEENSJ_IJSM_SI_EEENS0_18inequality_wrapperINS9_8equal_toIxEEEEPmJSH_EEE10hipError_tPvRmT3_T4_T5_T6_T7_T9_mT8_P12ihipStream_tbDpT10_ENKUlT_T0_E_clISt17integral_constantIbLb1EES1C_IbLb0EEEEDaS18_S19_EUlS18_E_NS1_11comp_targetILNS1_3genE2ELNS1_11target_archE906ELNS1_3gpuE6ELNS1_3repE0EEENS1_30default_config_static_selectorELNS0_4arch9wavefront6targetE0EEEvT1_: ; @_ZN7rocprim17ROCPRIM_400000_NS6detail17trampoline_kernelINS0_14default_configENS1_25partition_config_selectorILNS1_17partition_subalgoE9ExjbEEZZNS1_14partition_implILS5_9ELb0ES3_jN6thrust23THRUST_200600_302600_NS6detail15normal_iteratorINS9_10device_ptrIxEEEENSB_INSC_IjEEEEPNS0_10empty_typeENS0_5tupleIJNS9_16discard_iteratorINS9_11use_defaultEEESH_EEENSJ_IJSM_SI_EEENS0_18inequality_wrapperINS9_8equal_toIxEEEEPmJSH_EEE10hipError_tPvRmT3_T4_T5_T6_T7_T9_mT8_P12ihipStream_tbDpT10_ENKUlT_T0_E_clISt17integral_constantIbLb1EES1C_IbLb0EEEEDaS18_S19_EUlS18_E_NS1_11comp_targetILNS1_3genE2ELNS1_11target_archE906ELNS1_3gpuE6ELNS1_3repE0EEENS1_30default_config_static_selectorELNS0_4arch9wavefront6targetE0EEEvT1_
; %bb.0:
	.section	.rodata,"a",@progbits
	.p2align	6, 0x0
	.amdhsa_kernel _ZN7rocprim17ROCPRIM_400000_NS6detail17trampoline_kernelINS0_14default_configENS1_25partition_config_selectorILNS1_17partition_subalgoE9ExjbEEZZNS1_14partition_implILS5_9ELb0ES3_jN6thrust23THRUST_200600_302600_NS6detail15normal_iteratorINS9_10device_ptrIxEEEENSB_INSC_IjEEEEPNS0_10empty_typeENS0_5tupleIJNS9_16discard_iteratorINS9_11use_defaultEEESH_EEENSJ_IJSM_SI_EEENS0_18inequality_wrapperINS9_8equal_toIxEEEEPmJSH_EEE10hipError_tPvRmT3_T4_T5_T6_T7_T9_mT8_P12ihipStream_tbDpT10_ENKUlT_T0_E_clISt17integral_constantIbLb1EES1C_IbLb0EEEEDaS18_S19_EUlS18_E_NS1_11comp_targetILNS1_3genE2ELNS1_11target_archE906ELNS1_3gpuE6ELNS1_3repE0EEENS1_30default_config_static_selectorELNS0_4arch9wavefront6targetE0EEEvT1_
		.amdhsa_group_segment_fixed_size 0
		.amdhsa_private_segment_fixed_size 0
		.amdhsa_kernarg_size 128
		.amdhsa_user_sgpr_count 15
		.amdhsa_user_sgpr_dispatch_ptr 0
		.amdhsa_user_sgpr_queue_ptr 0
		.amdhsa_user_sgpr_kernarg_segment_ptr 1
		.amdhsa_user_sgpr_dispatch_id 0
		.amdhsa_user_sgpr_private_segment_size 0
		.amdhsa_wavefront_size32 1
		.amdhsa_uses_dynamic_stack 0
		.amdhsa_enable_private_segment 0
		.amdhsa_system_sgpr_workgroup_id_x 1
		.amdhsa_system_sgpr_workgroup_id_y 0
		.amdhsa_system_sgpr_workgroup_id_z 0
		.amdhsa_system_sgpr_workgroup_info 0
		.amdhsa_system_vgpr_workitem_id 0
		.amdhsa_next_free_vgpr 1
		.amdhsa_next_free_sgpr 1
		.amdhsa_reserve_vcc 0
		.amdhsa_float_round_mode_32 0
		.amdhsa_float_round_mode_16_64 0
		.amdhsa_float_denorm_mode_32 3
		.amdhsa_float_denorm_mode_16_64 3
		.amdhsa_dx10_clamp 1
		.amdhsa_ieee_mode 1
		.amdhsa_fp16_overflow 0
		.amdhsa_workgroup_processor_mode 1
		.amdhsa_memory_ordered 1
		.amdhsa_forward_progress 0
		.amdhsa_shared_vgpr_count 0
		.amdhsa_exception_fp_ieee_invalid_op 0
		.amdhsa_exception_fp_denorm_src 0
		.amdhsa_exception_fp_ieee_div_zero 0
		.amdhsa_exception_fp_ieee_overflow 0
		.amdhsa_exception_fp_ieee_underflow 0
		.amdhsa_exception_fp_ieee_inexact 0
		.amdhsa_exception_int_div_zero 0
	.end_amdhsa_kernel
	.section	.text._ZN7rocprim17ROCPRIM_400000_NS6detail17trampoline_kernelINS0_14default_configENS1_25partition_config_selectorILNS1_17partition_subalgoE9ExjbEEZZNS1_14partition_implILS5_9ELb0ES3_jN6thrust23THRUST_200600_302600_NS6detail15normal_iteratorINS9_10device_ptrIxEEEENSB_INSC_IjEEEEPNS0_10empty_typeENS0_5tupleIJNS9_16discard_iteratorINS9_11use_defaultEEESH_EEENSJ_IJSM_SI_EEENS0_18inequality_wrapperINS9_8equal_toIxEEEEPmJSH_EEE10hipError_tPvRmT3_T4_T5_T6_T7_T9_mT8_P12ihipStream_tbDpT10_ENKUlT_T0_E_clISt17integral_constantIbLb1EES1C_IbLb0EEEEDaS18_S19_EUlS18_E_NS1_11comp_targetILNS1_3genE2ELNS1_11target_archE906ELNS1_3gpuE6ELNS1_3repE0EEENS1_30default_config_static_selectorELNS0_4arch9wavefront6targetE0EEEvT1_,"axG",@progbits,_ZN7rocprim17ROCPRIM_400000_NS6detail17trampoline_kernelINS0_14default_configENS1_25partition_config_selectorILNS1_17partition_subalgoE9ExjbEEZZNS1_14partition_implILS5_9ELb0ES3_jN6thrust23THRUST_200600_302600_NS6detail15normal_iteratorINS9_10device_ptrIxEEEENSB_INSC_IjEEEEPNS0_10empty_typeENS0_5tupleIJNS9_16discard_iteratorINS9_11use_defaultEEESH_EEENSJ_IJSM_SI_EEENS0_18inequality_wrapperINS9_8equal_toIxEEEEPmJSH_EEE10hipError_tPvRmT3_T4_T5_T6_T7_T9_mT8_P12ihipStream_tbDpT10_ENKUlT_T0_E_clISt17integral_constantIbLb1EES1C_IbLb0EEEEDaS18_S19_EUlS18_E_NS1_11comp_targetILNS1_3genE2ELNS1_11target_archE906ELNS1_3gpuE6ELNS1_3repE0EEENS1_30default_config_static_selectorELNS0_4arch9wavefront6targetE0EEEvT1_,comdat
.Lfunc_end1001:
	.size	_ZN7rocprim17ROCPRIM_400000_NS6detail17trampoline_kernelINS0_14default_configENS1_25partition_config_selectorILNS1_17partition_subalgoE9ExjbEEZZNS1_14partition_implILS5_9ELb0ES3_jN6thrust23THRUST_200600_302600_NS6detail15normal_iteratorINS9_10device_ptrIxEEEENSB_INSC_IjEEEEPNS0_10empty_typeENS0_5tupleIJNS9_16discard_iteratorINS9_11use_defaultEEESH_EEENSJ_IJSM_SI_EEENS0_18inequality_wrapperINS9_8equal_toIxEEEEPmJSH_EEE10hipError_tPvRmT3_T4_T5_T6_T7_T9_mT8_P12ihipStream_tbDpT10_ENKUlT_T0_E_clISt17integral_constantIbLb1EES1C_IbLb0EEEEDaS18_S19_EUlS18_E_NS1_11comp_targetILNS1_3genE2ELNS1_11target_archE906ELNS1_3gpuE6ELNS1_3repE0EEENS1_30default_config_static_selectorELNS0_4arch9wavefront6targetE0EEEvT1_, .Lfunc_end1001-_ZN7rocprim17ROCPRIM_400000_NS6detail17trampoline_kernelINS0_14default_configENS1_25partition_config_selectorILNS1_17partition_subalgoE9ExjbEEZZNS1_14partition_implILS5_9ELb0ES3_jN6thrust23THRUST_200600_302600_NS6detail15normal_iteratorINS9_10device_ptrIxEEEENSB_INSC_IjEEEEPNS0_10empty_typeENS0_5tupleIJNS9_16discard_iteratorINS9_11use_defaultEEESH_EEENSJ_IJSM_SI_EEENS0_18inequality_wrapperINS9_8equal_toIxEEEEPmJSH_EEE10hipError_tPvRmT3_T4_T5_T6_T7_T9_mT8_P12ihipStream_tbDpT10_ENKUlT_T0_E_clISt17integral_constantIbLb1EES1C_IbLb0EEEEDaS18_S19_EUlS18_E_NS1_11comp_targetILNS1_3genE2ELNS1_11target_archE906ELNS1_3gpuE6ELNS1_3repE0EEENS1_30default_config_static_selectorELNS0_4arch9wavefront6targetE0EEEvT1_
                                        ; -- End function
	.section	.AMDGPU.csdata,"",@progbits
; Kernel info:
; codeLenInByte = 0
; NumSgprs: 0
; NumVgprs: 0
; ScratchSize: 0
; MemoryBound: 0
; FloatMode: 240
; IeeeMode: 1
; LDSByteSize: 0 bytes/workgroup (compile time only)
; SGPRBlocks: 0
; VGPRBlocks: 0
; NumSGPRsForWavesPerEU: 1
; NumVGPRsForWavesPerEU: 1
; Occupancy: 16
; WaveLimiterHint : 0
; COMPUTE_PGM_RSRC2:SCRATCH_EN: 0
; COMPUTE_PGM_RSRC2:USER_SGPR: 15
; COMPUTE_PGM_RSRC2:TRAP_HANDLER: 0
; COMPUTE_PGM_RSRC2:TGID_X_EN: 1
; COMPUTE_PGM_RSRC2:TGID_Y_EN: 0
; COMPUTE_PGM_RSRC2:TGID_Z_EN: 0
; COMPUTE_PGM_RSRC2:TIDIG_COMP_CNT: 0
	.section	.text._ZN7rocprim17ROCPRIM_400000_NS6detail17trampoline_kernelINS0_14default_configENS1_25partition_config_selectorILNS1_17partition_subalgoE9ExjbEEZZNS1_14partition_implILS5_9ELb0ES3_jN6thrust23THRUST_200600_302600_NS6detail15normal_iteratorINS9_10device_ptrIxEEEENSB_INSC_IjEEEEPNS0_10empty_typeENS0_5tupleIJNS9_16discard_iteratorINS9_11use_defaultEEESH_EEENSJ_IJSM_SI_EEENS0_18inequality_wrapperINS9_8equal_toIxEEEEPmJSH_EEE10hipError_tPvRmT3_T4_T5_T6_T7_T9_mT8_P12ihipStream_tbDpT10_ENKUlT_T0_E_clISt17integral_constantIbLb1EES1C_IbLb0EEEEDaS18_S19_EUlS18_E_NS1_11comp_targetILNS1_3genE10ELNS1_11target_archE1200ELNS1_3gpuE4ELNS1_3repE0EEENS1_30default_config_static_selectorELNS0_4arch9wavefront6targetE0EEEvT1_,"axG",@progbits,_ZN7rocprim17ROCPRIM_400000_NS6detail17trampoline_kernelINS0_14default_configENS1_25partition_config_selectorILNS1_17partition_subalgoE9ExjbEEZZNS1_14partition_implILS5_9ELb0ES3_jN6thrust23THRUST_200600_302600_NS6detail15normal_iteratorINS9_10device_ptrIxEEEENSB_INSC_IjEEEEPNS0_10empty_typeENS0_5tupleIJNS9_16discard_iteratorINS9_11use_defaultEEESH_EEENSJ_IJSM_SI_EEENS0_18inequality_wrapperINS9_8equal_toIxEEEEPmJSH_EEE10hipError_tPvRmT3_T4_T5_T6_T7_T9_mT8_P12ihipStream_tbDpT10_ENKUlT_T0_E_clISt17integral_constantIbLb1EES1C_IbLb0EEEEDaS18_S19_EUlS18_E_NS1_11comp_targetILNS1_3genE10ELNS1_11target_archE1200ELNS1_3gpuE4ELNS1_3repE0EEENS1_30default_config_static_selectorELNS0_4arch9wavefront6targetE0EEEvT1_,comdat
	.protected	_ZN7rocprim17ROCPRIM_400000_NS6detail17trampoline_kernelINS0_14default_configENS1_25partition_config_selectorILNS1_17partition_subalgoE9ExjbEEZZNS1_14partition_implILS5_9ELb0ES3_jN6thrust23THRUST_200600_302600_NS6detail15normal_iteratorINS9_10device_ptrIxEEEENSB_INSC_IjEEEEPNS0_10empty_typeENS0_5tupleIJNS9_16discard_iteratorINS9_11use_defaultEEESH_EEENSJ_IJSM_SI_EEENS0_18inequality_wrapperINS9_8equal_toIxEEEEPmJSH_EEE10hipError_tPvRmT3_T4_T5_T6_T7_T9_mT8_P12ihipStream_tbDpT10_ENKUlT_T0_E_clISt17integral_constantIbLb1EES1C_IbLb0EEEEDaS18_S19_EUlS18_E_NS1_11comp_targetILNS1_3genE10ELNS1_11target_archE1200ELNS1_3gpuE4ELNS1_3repE0EEENS1_30default_config_static_selectorELNS0_4arch9wavefront6targetE0EEEvT1_ ; -- Begin function _ZN7rocprim17ROCPRIM_400000_NS6detail17trampoline_kernelINS0_14default_configENS1_25partition_config_selectorILNS1_17partition_subalgoE9ExjbEEZZNS1_14partition_implILS5_9ELb0ES3_jN6thrust23THRUST_200600_302600_NS6detail15normal_iteratorINS9_10device_ptrIxEEEENSB_INSC_IjEEEEPNS0_10empty_typeENS0_5tupleIJNS9_16discard_iteratorINS9_11use_defaultEEESH_EEENSJ_IJSM_SI_EEENS0_18inequality_wrapperINS9_8equal_toIxEEEEPmJSH_EEE10hipError_tPvRmT3_T4_T5_T6_T7_T9_mT8_P12ihipStream_tbDpT10_ENKUlT_T0_E_clISt17integral_constantIbLb1EES1C_IbLb0EEEEDaS18_S19_EUlS18_E_NS1_11comp_targetILNS1_3genE10ELNS1_11target_archE1200ELNS1_3gpuE4ELNS1_3repE0EEENS1_30default_config_static_selectorELNS0_4arch9wavefront6targetE0EEEvT1_
	.globl	_ZN7rocprim17ROCPRIM_400000_NS6detail17trampoline_kernelINS0_14default_configENS1_25partition_config_selectorILNS1_17partition_subalgoE9ExjbEEZZNS1_14partition_implILS5_9ELb0ES3_jN6thrust23THRUST_200600_302600_NS6detail15normal_iteratorINS9_10device_ptrIxEEEENSB_INSC_IjEEEEPNS0_10empty_typeENS0_5tupleIJNS9_16discard_iteratorINS9_11use_defaultEEESH_EEENSJ_IJSM_SI_EEENS0_18inequality_wrapperINS9_8equal_toIxEEEEPmJSH_EEE10hipError_tPvRmT3_T4_T5_T6_T7_T9_mT8_P12ihipStream_tbDpT10_ENKUlT_T0_E_clISt17integral_constantIbLb1EES1C_IbLb0EEEEDaS18_S19_EUlS18_E_NS1_11comp_targetILNS1_3genE10ELNS1_11target_archE1200ELNS1_3gpuE4ELNS1_3repE0EEENS1_30default_config_static_selectorELNS0_4arch9wavefront6targetE0EEEvT1_
	.p2align	8
	.type	_ZN7rocprim17ROCPRIM_400000_NS6detail17trampoline_kernelINS0_14default_configENS1_25partition_config_selectorILNS1_17partition_subalgoE9ExjbEEZZNS1_14partition_implILS5_9ELb0ES3_jN6thrust23THRUST_200600_302600_NS6detail15normal_iteratorINS9_10device_ptrIxEEEENSB_INSC_IjEEEEPNS0_10empty_typeENS0_5tupleIJNS9_16discard_iteratorINS9_11use_defaultEEESH_EEENSJ_IJSM_SI_EEENS0_18inequality_wrapperINS9_8equal_toIxEEEEPmJSH_EEE10hipError_tPvRmT3_T4_T5_T6_T7_T9_mT8_P12ihipStream_tbDpT10_ENKUlT_T0_E_clISt17integral_constantIbLb1EES1C_IbLb0EEEEDaS18_S19_EUlS18_E_NS1_11comp_targetILNS1_3genE10ELNS1_11target_archE1200ELNS1_3gpuE4ELNS1_3repE0EEENS1_30default_config_static_selectorELNS0_4arch9wavefront6targetE0EEEvT1_,@function
_ZN7rocprim17ROCPRIM_400000_NS6detail17trampoline_kernelINS0_14default_configENS1_25partition_config_selectorILNS1_17partition_subalgoE9ExjbEEZZNS1_14partition_implILS5_9ELb0ES3_jN6thrust23THRUST_200600_302600_NS6detail15normal_iteratorINS9_10device_ptrIxEEEENSB_INSC_IjEEEEPNS0_10empty_typeENS0_5tupleIJNS9_16discard_iteratorINS9_11use_defaultEEESH_EEENSJ_IJSM_SI_EEENS0_18inequality_wrapperINS9_8equal_toIxEEEEPmJSH_EEE10hipError_tPvRmT3_T4_T5_T6_T7_T9_mT8_P12ihipStream_tbDpT10_ENKUlT_T0_E_clISt17integral_constantIbLb1EES1C_IbLb0EEEEDaS18_S19_EUlS18_E_NS1_11comp_targetILNS1_3genE10ELNS1_11target_archE1200ELNS1_3gpuE4ELNS1_3repE0EEENS1_30default_config_static_selectorELNS0_4arch9wavefront6targetE0EEEvT1_: ; @_ZN7rocprim17ROCPRIM_400000_NS6detail17trampoline_kernelINS0_14default_configENS1_25partition_config_selectorILNS1_17partition_subalgoE9ExjbEEZZNS1_14partition_implILS5_9ELb0ES3_jN6thrust23THRUST_200600_302600_NS6detail15normal_iteratorINS9_10device_ptrIxEEEENSB_INSC_IjEEEEPNS0_10empty_typeENS0_5tupleIJNS9_16discard_iteratorINS9_11use_defaultEEESH_EEENSJ_IJSM_SI_EEENS0_18inequality_wrapperINS9_8equal_toIxEEEEPmJSH_EEE10hipError_tPvRmT3_T4_T5_T6_T7_T9_mT8_P12ihipStream_tbDpT10_ENKUlT_T0_E_clISt17integral_constantIbLb1EES1C_IbLb0EEEEDaS18_S19_EUlS18_E_NS1_11comp_targetILNS1_3genE10ELNS1_11target_archE1200ELNS1_3gpuE4ELNS1_3repE0EEENS1_30default_config_static_selectorELNS0_4arch9wavefront6targetE0EEEvT1_
; %bb.0:
	.section	.rodata,"a",@progbits
	.p2align	6, 0x0
	.amdhsa_kernel _ZN7rocprim17ROCPRIM_400000_NS6detail17trampoline_kernelINS0_14default_configENS1_25partition_config_selectorILNS1_17partition_subalgoE9ExjbEEZZNS1_14partition_implILS5_9ELb0ES3_jN6thrust23THRUST_200600_302600_NS6detail15normal_iteratorINS9_10device_ptrIxEEEENSB_INSC_IjEEEEPNS0_10empty_typeENS0_5tupleIJNS9_16discard_iteratorINS9_11use_defaultEEESH_EEENSJ_IJSM_SI_EEENS0_18inequality_wrapperINS9_8equal_toIxEEEEPmJSH_EEE10hipError_tPvRmT3_T4_T5_T6_T7_T9_mT8_P12ihipStream_tbDpT10_ENKUlT_T0_E_clISt17integral_constantIbLb1EES1C_IbLb0EEEEDaS18_S19_EUlS18_E_NS1_11comp_targetILNS1_3genE10ELNS1_11target_archE1200ELNS1_3gpuE4ELNS1_3repE0EEENS1_30default_config_static_selectorELNS0_4arch9wavefront6targetE0EEEvT1_
		.amdhsa_group_segment_fixed_size 0
		.amdhsa_private_segment_fixed_size 0
		.amdhsa_kernarg_size 128
		.amdhsa_user_sgpr_count 15
		.amdhsa_user_sgpr_dispatch_ptr 0
		.amdhsa_user_sgpr_queue_ptr 0
		.amdhsa_user_sgpr_kernarg_segment_ptr 1
		.amdhsa_user_sgpr_dispatch_id 0
		.amdhsa_user_sgpr_private_segment_size 0
		.amdhsa_wavefront_size32 1
		.amdhsa_uses_dynamic_stack 0
		.amdhsa_enable_private_segment 0
		.amdhsa_system_sgpr_workgroup_id_x 1
		.amdhsa_system_sgpr_workgroup_id_y 0
		.amdhsa_system_sgpr_workgroup_id_z 0
		.amdhsa_system_sgpr_workgroup_info 0
		.amdhsa_system_vgpr_workitem_id 0
		.amdhsa_next_free_vgpr 1
		.amdhsa_next_free_sgpr 1
		.amdhsa_reserve_vcc 0
		.amdhsa_float_round_mode_32 0
		.amdhsa_float_round_mode_16_64 0
		.amdhsa_float_denorm_mode_32 3
		.amdhsa_float_denorm_mode_16_64 3
		.amdhsa_dx10_clamp 1
		.amdhsa_ieee_mode 1
		.amdhsa_fp16_overflow 0
		.amdhsa_workgroup_processor_mode 1
		.amdhsa_memory_ordered 1
		.amdhsa_forward_progress 0
		.amdhsa_shared_vgpr_count 0
		.amdhsa_exception_fp_ieee_invalid_op 0
		.amdhsa_exception_fp_denorm_src 0
		.amdhsa_exception_fp_ieee_div_zero 0
		.amdhsa_exception_fp_ieee_overflow 0
		.amdhsa_exception_fp_ieee_underflow 0
		.amdhsa_exception_fp_ieee_inexact 0
		.amdhsa_exception_int_div_zero 0
	.end_amdhsa_kernel
	.section	.text._ZN7rocprim17ROCPRIM_400000_NS6detail17trampoline_kernelINS0_14default_configENS1_25partition_config_selectorILNS1_17partition_subalgoE9ExjbEEZZNS1_14partition_implILS5_9ELb0ES3_jN6thrust23THRUST_200600_302600_NS6detail15normal_iteratorINS9_10device_ptrIxEEEENSB_INSC_IjEEEEPNS0_10empty_typeENS0_5tupleIJNS9_16discard_iteratorINS9_11use_defaultEEESH_EEENSJ_IJSM_SI_EEENS0_18inequality_wrapperINS9_8equal_toIxEEEEPmJSH_EEE10hipError_tPvRmT3_T4_T5_T6_T7_T9_mT8_P12ihipStream_tbDpT10_ENKUlT_T0_E_clISt17integral_constantIbLb1EES1C_IbLb0EEEEDaS18_S19_EUlS18_E_NS1_11comp_targetILNS1_3genE10ELNS1_11target_archE1200ELNS1_3gpuE4ELNS1_3repE0EEENS1_30default_config_static_selectorELNS0_4arch9wavefront6targetE0EEEvT1_,"axG",@progbits,_ZN7rocprim17ROCPRIM_400000_NS6detail17trampoline_kernelINS0_14default_configENS1_25partition_config_selectorILNS1_17partition_subalgoE9ExjbEEZZNS1_14partition_implILS5_9ELb0ES3_jN6thrust23THRUST_200600_302600_NS6detail15normal_iteratorINS9_10device_ptrIxEEEENSB_INSC_IjEEEEPNS0_10empty_typeENS0_5tupleIJNS9_16discard_iteratorINS9_11use_defaultEEESH_EEENSJ_IJSM_SI_EEENS0_18inequality_wrapperINS9_8equal_toIxEEEEPmJSH_EEE10hipError_tPvRmT3_T4_T5_T6_T7_T9_mT8_P12ihipStream_tbDpT10_ENKUlT_T0_E_clISt17integral_constantIbLb1EES1C_IbLb0EEEEDaS18_S19_EUlS18_E_NS1_11comp_targetILNS1_3genE10ELNS1_11target_archE1200ELNS1_3gpuE4ELNS1_3repE0EEENS1_30default_config_static_selectorELNS0_4arch9wavefront6targetE0EEEvT1_,comdat
.Lfunc_end1002:
	.size	_ZN7rocprim17ROCPRIM_400000_NS6detail17trampoline_kernelINS0_14default_configENS1_25partition_config_selectorILNS1_17partition_subalgoE9ExjbEEZZNS1_14partition_implILS5_9ELb0ES3_jN6thrust23THRUST_200600_302600_NS6detail15normal_iteratorINS9_10device_ptrIxEEEENSB_INSC_IjEEEEPNS0_10empty_typeENS0_5tupleIJNS9_16discard_iteratorINS9_11use_defaultEEESH_EEENSJ_IJSM_SI_EEENS0_18inequality_wrapperINS9_8equal_toIxEEEEPmJSH_EEE10hipError_tPvRmT3_T4_T5_T6_T7_T9_mT8_P12ihipStream_tbDpT10_ENKUlT_T0_E_clISt17integral_constantIbLb1EES1C_IbLb0EEEEDaS18_S19_EUlS18_E_NS1_11comp_targetILNS1_3genE10ELNS1_11target_archE1200ELNS1_3gpuE4ELNS1_3repE0EEENS1_30default_config_static_selectorELNS0_4arch9wavefront6targetE0EEEvT1_, .Lfunc_end1002-_ZN7rocprim17ROCPRIM_400000_NS6detail17trampoline_kernelINS0_14default_configENS1_25partition_config_selectorILNS1_17partition_subalgoE9ExjbEEZZNS1_14partition_implILS5_9ELb0ES3_jN6thrust23THRUST_200600_302600_NS6detail15normal_iteratorINS9_10device_ptrIxEEEENSB_INSC_IjEEEEPNS0_10empty_typeENS0_5tupleIJNS9_16discard_iteratorINS9_11use_defaultEEESH_EEENSJ_IJSM_SI_EEENS0_18inequality_wrapperINS9_8equal_toIxEEEEPmJSH_EEE10hipError_tPvRmT3_T4_T5_T6_T7_T9_mT8_P12ihipStream_tbDpT10_ENKUlT_T0_E_clISt17integral_constantIbLb1EES1C_IbLb0EEEEDaS18_S19_EUlS18_E_NS1_11comp_targetILNS1_3genE10ELNS1_11target_archE1200ELNS1_3gpuE4ELNS1_3repE0EEENS1_30default_config_static_selectorELNS0_4arch9wavefront6targetE0EEEvT1_
                                        ; -- End function
	.section	.AMDGPU.csdata,"",@progbits
; Kernel info:
; codeLenInByte = 0
; NumSgprs: 0
; NumVgprs: 0
; ScratchSize: 0
; MemoryBound: 0
; FloatMode: 240
; IeeeMode: 1
; LDSByteSize: 0 bytes/workgroup (compile time only)
; SGPRBlocks: 0
; VGPRBlocks: 0
; NumSGPRsForWavesPerEU: 1
; NumVGPRsForWavesPerEU: 1
; Occupancy: 15
; WaveLimiterHint : 0
; COMPUTE_PGM_RSRC2:SCRATCH_EN: 0
; COMPUTE_PGM_RSRC2:USER_SGPR: 15
; COMPUTE_PGM_RSRC2:TRAP_HANDLER: 0
; COMPUTE_PGM_RSRC2:TGID_X_EN: 1
; COMPUTE_PGM_RSRC2:TGID_Y_EN: 0
; COMPUTE_PGM_RSRC2:TGID_Z_EN: 0
; COMPUTE_PGM_RSRC2:TIDIG_COMP_CNT: 0
	.section	.text._ZN7rocprim17ROCPRIM_400000_NS6detail17trampoline_kernelINS0_14default_configENS1_25partition_config_selectorILNS1_17partition_subalgoE9ExjbEEZZNS1_14partition_implILS5_9ELb0ES3_jN6thrust23THRUST_200600_302600_NS6detail15normal_iteratorINS9_10device_ptrIxEEEENSB_INSC_IjEEEEPNS0_10empty_typeENS0_5tupleIJNS9_16discard_iteratorINS9_11use_defaultEEESH_EEENSJ_IJSM_SI_EEENS0_18inequality_wrapperINS9_8equal_toIxEEEEPmJSH_EEE10hipError_tPvRmT3_T4_T5_T6_T7_T9_mT8_P12ihipStream_tbDpT10_ENKUlT_T0_E_clISt17integral_constantIbLb1EES1C_IbLb0EEEEDaS18_S19_EUlS18_E_NS1_11comp_targetILNS1_3genE9ELNS1_11target_archE1100ELNS1_3gpuE3ELNS1_3repE0EEENS1_30default_config_static_selectorELNS0_4arch9wavefront6targetE0EEEvT1_,"axG",@progbits,_ZN7rocprim17ROCPRIM_400000_NS6detail17trampoline_kernelINS0_14default_configENS1_25partition_config_selectorILNS1_17partition_subalgoE9ExjbEEZZNS1_14partition_implILS5_9ELb0ES3_jN6thrust23THRUST_200600_302600_NS6detail15normal_iteratorINS9_10device_ptrIxEEEENSB_INSC_IjEEEEPNS0_10empty_typeENS0_5tupleIJNS9_16discard_iteratorINS9_11use_defaultEEESH_EEENSJ_IJSM_SI_EEENS0_18inequality_wrapperINS9_8equal_toIxEEEEPmJSH_EEE10hipError_tPvRmT3_T4_T5_T6_T7_T9_mT8_P12ihipStream_tbDpT10_ENKUlT_T0_E_clISt17integral_constantIbLb1EES1C_IbLb0EEEEDaS18_S19_EUlS18_E_NS1_11comp_targetILNS1_3genE9ELNS1_11target_archE1100ELNS1_3gpuE3ELNS1_3repE0EEENS1_30default_config_static_selectorELNS0_4arch9wavefront6targetE0EEEvT1_,comdat
	.protected	_ZN7rocprim17ROCPRIM_400000_NS6detail17trampoline_kernelINS0_14default_configENS1_25partition_config_selectorILNS1_17partition_subalgoE9ExjbEEZZNS1_14partition_implILS5_9ELb0ES3_jN6thrust23THRUST_200600_302600_NS6detail15normal_iteratorINS9_10device_ptrIxEEEENSB_INSC_IjEEEEPNS0_10empty_typeENS0_5tupleIJNS9_16discard_iteratorINS9_11use_defaultEEESH_EEENSJ_IJSM_SI_EEENS0_18inequality_wrapperINS9_8equal_toIxEEEEPmJSH_EEE10hipError_tPvRmT3_T4_T5_T6_T7_T9_mT8_P12ihipStream_tbDpT10_ENKUlT_T0_E_clISt17integral_constantIbLb1EES1C_IbLb0EEEEDaS18_S19_EUlS18_E_NS1_11comp_targetILNS1_3genE9ELNS1_11target_archE1100ELNS1_3gpuE3ELNS1_3repE0EEENS1_30default_config_static_selectorELNS0_4arch9wavefront6targetE0EEEvT1_ ; -- Begin function _ZN7rocprim17ROCPRIM_400000_NS6detail17trampoline_kernelINS0_14default_configENS1_25partition_config_selectorILNS1_17partition_subalgoE9ExjbEEZZNS1_14partition_implILS5_9ELb0ES3_jN6thrust23THRUST_200600_302600_NS6detail15normal_iteratorINS9_10device_ptrIxEEEENSB_INSC_IjEEEEPNS0_10empty_typeENS0_5tupleIJNS9_16discard_iteratorINS9_11use_defaultEEESH_EEENSJ_IJSM_SI_EEENS0_18inequality_wrapperINS9_8equal_toIxEEEEPmJSH_EEE10hipError_tPvRmT3_T4_T5_T6_T7_T9_mT8_P12ihipStream_tbDpT10_ENKUlT_T0_E_clISt17integral_constantIbLb1EES1C_IbLb0EEEEDaS18_S19_EUlS18_E_NS1_11comp_targetILNS1_3genE9ELNS1_11target_archE1100ELNS1_3gpuE3ELNS1_3repE0EEENS1_30default_config_static_selectorELNS0_4arch9wavefront6targetE0EEEvT1_
	.globl	_ZN7rocprim17ROCPRIM_400000_NS6detail17trampoline_kernelINS0_14default_configENS1_25partition_config_selectorILNS1_17partition_subalgoE9ExjbEEZZNS1_14partition_implILS5_9ELb0ES3_jN6thrust23THRUST_200600_302600_NS6detail15normal_iteratorINS9_10device_ptrIxEEEENSB_INSC_IjEEEEPNS0_10empty_typeENS0_5tupleIJNS9_16discard_iteratorINS9_11use_defaultEEESH_EEENSJ_IJSM_SI_EEENS0_18inequality_wrapperINS9_8equal_toIxEEEEPmJSH_EEE10hipError_tPvRmT3_T4_T5_T6_T7_T9_mT8_P12ihipStream_tbDpT10_ENKUlT_T0_E_clISt17integral_constantIbLb1EES1C_IbLb0EEEEDaS18_S19_EUlS18_E_NS1_11comp_targetILNS1_3genE9ELNS1_11target_archE1100ELNS1_3gpuE3ELNS1_3repE0EEENS1_30default_config_static_selectorELNS0_4arch9wavefront6targetE0EEEvT1_
	.p2align	8
	.type	_ZN7rocprim17ROCPRIM_400000_NS6detail17trampoline_kernelINS0_14default_configENS1_25partition_config_selectorILNS1_17partition_subalgoE9ExjbEEZZNS1_14partition_implILS5_9ELb0ES3_jN6thrust23THRUST_200600_302600_NS6detail15normal_iteratorINS9_10device_ptrIxEEEENSB_INSC_IjEEEEPNS0_10empty_typeENS0_5tupleIJNS9_16discard_iteratorINS9_11use_defaultEEESH_EEENSJ_IJSM_SI_EEENS0_18inequality_wrapperINS9_8equal_toIxEEEEPmJSH_EEE10hipError_tPvRmT3_T4_T5_T6_T7_T9_mT8_P12ihipStream_tbDpT10_ENKUlT_T0_E_clISt17integral_constantIbLb1EES1C_IbLb0EEEEDaS18_S19_EUlS18_E_NS1_11comp_targetILNS1_3genE9ELNS1_11target_archE1100ELNS1_3gpuE3ELNS1_3repE0EEENS1_30default_config_static_selectorELNS0_4arch9wavefront6targetE0EEEvT1_,@function
_ZN7rocprim17ROCPRIM_400000_NS6detail17trampoline_kernelINS0_14default_configENS1_25partition_config_selectorILNS1_17partition_subalgoE9ExjbEEZZNS1_14partition_implILS5_9ELb0ES3_jN6thrust23THRUST_200600_302600_NS6detail15normal_iteratorINS9_10device_ptrIxEEEENSB_INSC_IjEEEEPNS0_10empty_typeENS0_5tupleIJNS9_16discard_iteratorINS9_11use_defaultEEESH_EEENSJ_IJSM_SI_EEENS0_18inequality_wrapperINS9_8equal_toIxEEEEPmJSH_EEE10hipError_tPvRmT3_T4_T5_T6_T7_T9_mT8_P12ihipStream_tbDpT10_ENKUlT_T0_E_clISt17integral_constantIbLb1EES1C_IbLb0EEEEDaS18_S19_EUlS18_E_NS1_11comp_targetILNS1_3genE9ELNS1_11target_archE1100ELNS1_3gpuE3ELNS1_3repE0EEENS1_30default_config_static_selectorELNS0_4arch9wavefront6targetE0EEEvT1_: ; @_ZN7rocprim17ROCPRIM_400000_NS6detail17trampoline_kernelINS0_14default_configENS1_25partition_config_selectorILNS1_17partition_subalgoE9ExjbEEZZNS1_14partition_implILS5_9ELb0ES3_jN6thrust23THRUST_200600_302600_NS6detail15normal_iteratorINS9_10device_ptrIxEEEENSB_INSC_IjEEEEPNS0_10empty_typeENS0_5tupleIJNS9_16discard_iteratorINS9_11use_defaultEEESH_EEENSJ_IJSM_SI_EEENS0_18inequality_wrapperINS9_8equal_toIxEEEEPmJSH_EEE10hipError_tPvRmT3_T4_T5_T6_T7_T9_mT8_P12ihipStream_tbDpT10_ENKUlT_T0_E_clISt17integral_constantIbLb1EES1C_IbLb0EEEEDaS18_S19_EUlS18_E_NS1_11comp_targetILNS1_3genE9ELNS1_11target_archE1100ELNS1_3gpuE3ELNS1_3repE0EEENS1_30default_config_static_selectorELNS0_4arch9wavefront6targetE0EEEvT1_
; %bb.0:
	s_clause 0x4
	s_load_b128 s[4:7], s[0:1], 0x8
	s_load_b32 s14, s[0:1], 0x78
	s_load_b128 s[16:19], s[0:1], 0x50
	s_load_b64 s[2:3], s[0:1], 0x60
	s_load_b64 s[12:13], s[0:1], 0x18
	s_mov_b32 s9, 0
	v_lshlrev_b32_e32 v29, 3, v0
	v_lshrrev_b32_e32 v24, 2, v0
	v_or_b32_e32 v21, 0x200, v0
	v_or_b32_e32 v20, 0x400, v0
	;; [unrolled: 1-line block ×7, first 2 shown]
	s_waitcnt lgkmcnt(0)
	s_lshl_b64 s[10:11], s[6:7], 3
	s_delay_alu instid0(SALU_CYCLE_1)
	s_add_u32 s21, s4, s10
	s_addc_u32 s22, s5, s11
	s_add_i32 s20, s14, -1
	s_load_b64 s[10:11], s[18:19], 0x0
	s_lshl_b32 s4, s20, 12
	s_lshl_b32 s5, s14, 12
	s_add_i32 s4, s6, s4
	s_lshl_b32 s8, s15, 12
	s_sub_i32 s18, s2, s4
	s_add_u32 s4, s6, s5
	s_addc_u32 s5, s7, 0
	s_cmp_eq_u32 s15, s20
	v_cmp_ge_u64_e64 s2, s[4:5], s[2:3]
	s_cselect_b32 s14, -1, 0
	s_mov_b32 s5, -1
	s_delay_alu instid0(VALU_DEP_1)
	s_and_b32 s19, s14, s2
	s_lshl_b64 s[2:3], s[8:9], 3
	s_xor_b32 s20, s19, -1
	s_add_u32 s4, s21, s2
	s_addc_u32 s3, s22, s3
	s_and_b32 vcc_lo, exec_lo, s20
	s_cbranch_vccz .LBB1003_2
; %bb.1:
	v_add_co_u32 v1, s2, s4, v29
	s_delay_alu instid0(VALU_DEP_1) | instskip(SKIP_1) | instid1(VALU_DEP_3)
	v_add_co_ci_u32_e64 v2, null, s3, 0, s2
	v_lshrrev_b32_e32 v26, 2, v21
	v_add_co_u32 v3, vcc_lo, 0x1000, v1
	s_delay_alu instid0(VALU_DEP_3)
	v_add_co_ci_u32_e32 v4, vcc_lo, 0, v2, vcc_lo
	v_add_co_u32 v5, vcc_lo, 0x2000, v1
	v_add_co_ci_u32_e32 v6, vcc_lo, 0, v2, vcc_lo
	v_add_co_u32 v7, vcc_lo, 0x3000, v1
	;; [unrolled: 2-line block ×6, first 2 shown]
	v_add_co_ci_u32_e32 v16, vcc_lo, 0, v2, vcc_lo
	s_clause 0x7
	flat_load_b64 v[1:2], v[1:2]
	flat_load_b64 v[3:4], v[3:4]
	;; [unrolled: 1-line block ×8, first 2 shown]
	v_lshrrev_b32_e32 v27, 2, v20
	v_lshrrev_b32_e32 v28, 2, v23
	;; [unrolled: 1-line block ×3, first 2 shown]
	v_and_b32_e32 v25, 0x78, v24
	v_lshrrev_b32_e32 v31, 2, v18
	v_lshrrev_b32_e32 v32, 2, v17
	;; [unrolled: 1-line block ×3, first 2 shown]
	v_and_b32_e32 v26, 0xf8, v26
	v_and_b32_e32 v27, 0x178, v27
	;; [unrolled: 1-line block ×4, first 2 shown]
	v_add_nc_u32_e32 v25, v25, v29
	v_and_b32_e32 v31, 0x2f8, v31
	v_and_b32_e32 v32, 0x378, v32
	v_and_b32_e32 v33, 0x3f8, v33
	v_add_nc_u32_e32 v26, v26, v29
	v_add_nc_u32_e32 v27, v27, v29
	;; [unrolled: 1-line block ×4, first 2 shown]
	s_mov_b32 s5, s9
	v_add_nc_u32_e32 v31, v31, v29
	v_add_nc_u32_e32 v32, v32, v29
	;; [unrolled: 1-line block ×3, first 2 shown]
	s_waitcnt vmcnt(7) lgkmcnt(0)
	ds_store_b64 v25, v[1:2]
	s_waitcnt vmcnt(6)
	ds_store_b64 v26, v[3:4] offset:4096
	s_waitcnt vmcnt(5)
	ds_store_b64 v27, v[5:6] offset:8192
	;; [unrolled: 2-line block ×7, first 2 shown]
	s_waitcnt lgkmcnt(0)
	s_barrier
.LBB1003_2:
	v_cmp_gt_u32_e64 s2, s18, v0
	s_and_not1_b32 vcc_lo, exec_lo, s5
	s_cbranch_vccnz .LBB1003_20
; %bb.3:
                                        ; implicit-def: $vgpr1_vgpr2_vgpr3_vgpr4_vgpr5_vgpr6_vgpr7_vgpr8_vgpr9_vgpr10_vgpr11_vgpr12_vgpr13_vgpr14_vgpr15_vgpr16
	s_delay_alu instid0(VALU_DEP_1)
	s_and_saveexec_b32 s5, s2
	s_cbranch_execz .LBB1003_11
; %bb.4:
	v_add_co_u32 v1, s2, s4, v29
	s_delay_alu instid0(VALU_DEP_1) | instskip(SKIP_2) | instid1(SALU_CYCLE_1)
	v_add_co_ci_u32_e64 v2, null, s3, 0, s2
	flat_load_b64 v[1:2], v[1:2]
	s_or_b32 exec_lo, exec_lo, s5
	s_mov_b32 s2, exec_lo
	v_cmpx_gt_u32_e64 s18, v21
	s_cbranch_execnz .LBB1003_12
.LBB1003_5:
	s_or_b32 exec_lo, exec_lo, s2
	s_delay_alu instid0(SALU_CYCLE_1)
	s_mov_b32 s2, exec_lo
	v_cmpx_gt_u32_e64 s18, v20
	s_cbranch_execz .LBB1003_13
.LBB1003_6:
	v_lshlrev_b32_e32 v5, 3, v20
	s_delay_alu instid0(VALU_DEP_1) | instskip(NEXT) | instid1(VALU_DEP_1)
	v_add_co_u32 v5, s5, s4, v5
	v_add_co_ci_u32_e64 v6, null, s3, 0, s5
	flat_load_b64 v[5:6], v[5:6]
	s_or_b32 exec_lo, exec_lo, s2
	s_delay_alu instid0(SALU_CYCLE_1)
	s_mov_b32 s2, exec_lo
	v_cmpx_gt_u32_e64 s18, v23
	s_cbranch_execnz .LBB1003_14
.LBB1003_7:
	s_or_b32 exec_lo, exec_lo, s2
	s_delay_alu instid0(SALU_CYCLE_1)
	s_mov_b32 s2, exec_lo
	v_cmpx_gt_u32_e64 s18, v22
	s_cbranch_execz .LBB1003_15
.LBB1003_8:
	v_lshlrev_b32_e32 v9, 3, v22
	s_delay_alu instid0(VALU_DEP_1) | instskip(NEXT) | instid1(VALU_DEP_1)
	v_add_co_u32 v9, s5, s4, v9
	v_add_co_ci_u32_e64 v10, null, s3, 0, s5
	flat_load_b64 v[9:10], v[9:10]
	s_or_b32 exec_lo, exec_lo, s2
	s_delay_alu instid0(SALU_CYCLE_1)
	s_mov_b32 s2, exec_lo
	v_cmpx_gt_u32_e64 s18, v18
	s_cbranch_execnz .LBB1003_16
.LBB1003_9:
	s_or_b32 exec_lo, exec_lo, s2
	s_delay_alu instid0(SALU_CYCLE_1)
	s_mov_b32 s2, exec_lo
	v_cmpx_gt_u32_e64 s18, v17
	s_cbranch_execz .LBB1003_17
.LBB1003_10:
	v_lshlrev_b32_e32 v13, 3, v17
	s_delay_alu instid0(VALU_DEP_1) | instskip(NEXT) | instid1(VALU_DEP_1)
	v_add_co_u32 v13, s5, s4, v13
	v_add_co_ci_u32_e64 v14, null, s3, 0, s5
	flat_load_b64 v[13:14], v[13:14]
	s_or_b32 exec_lo, exec_lo, s2
	s_delay_alu instid0(SALU_CYCLE_1)
	s_mov_b32 s2, exec_lo
	v_cmpx_gt_u32_e64 s18, v19
	s_cbranch_execnz .LBB1003_18
	s_branch .LBB1003_19
.LBB1003_11:
	s_or_b32 exec_lo, exec_lo, s5
	s_delay_alu instid0(SALU_CYCLE_1)
	s_mov_b32 s2, exec_lo
	v_cmpx_gt_u32_e64 s18, v21
	s_cbranch_execz .LBB1003_5
.LBB1003_12:
	v_lshlrev_b32_e32 v3, 3, v21
	s_delay_alu instid0(VALU_DEP_1) | instskip(NEXT) | instid1(VALU_DEP_1)
	v_add_co_u32 v3, s5, s4, v3
	v_add_co_ci_u32_e64 v4, null, s3, 0, s5
	flat_load_b64 v[3:4], v[3:4]
	s_or_b32 exec_lo, exec_lo, s2
	s_delay_alu instid0(SALU_CYCLE_1)
	s_mov_b32 s2, exec_lo
	v_cmpx_gt_u32_e64 s18, v20
	s_cbranch_execnz .LBB1003_6
.LBB1003_13:
	s_or_b32 exec_lo, exec_lo, s2
	s_delay_alu instid0(SALU_CYCLE_1)
	s_mov_b32 s2, exec_lo
	v_cmpx_gt_u32_e64 s18, v23
	s_cbranch_execz .LBB1003_7
.LBB1003_14:
	v_lshlrev_b32_e32 v7, 3, v23
	s_delay_alu instid0(VALU_DEP_1) | instskip(NEXT) | instid1(VALU_DEP_1)
	v_add_co_u32 v7, s5, s4, v7
	v_add_co_ci_u32_e64 v8, null, s3, 0, s5
	flat_load_b64 v[7:8], v[7:8]
	s_or_b32 exec_lo, exec_lo, s2
	s_delay_alu instid0(SALU_CYCLE_1)
	s_mov_b32 s2, exec_lo
	v_cmpx_gt_u32_e64 s18, v22
	s_cbranch_execnz .LBB1003_8
.LBB1003_15:
	s_or_b32 exec_lo, exec_lo, s2
	s_delay_alu instid0(SALU_CYCLE_1)
	s_mov_b32 s2, exec_lo
	v_cmpx_gt_u32_e64 s18, v18
	s_cbranch_execz .LBB1003_9
.LBB1003_16:
	v_lshlrev_b32_e32 v11, 3, v18
	s_delay_alu instid0(VALU_DEP_1) | instskip(NEXT) | instid1(VALU_DEP_1)
	v_add_co_u32 v11, s5, s4, v11
	v_add_co_ci_u32_e64 v12, null, s3, 0, s5
	flat_load_b64 v[11:12], v[11:12]
	s_or_b32 exec_lo, exec_lo, s2
	s_delay_alu instid0(SALU_CYCLE_1)
	s_mov_b32 s2, exec_lo
	v_cmpx_gt_u32_e64 s18, v17
	s_cbranch_execnz .LBB1003_10
.LBB1003_17:
	s_or_b32 exec_lo, exec_lo, s2
	s_delay_alu instid0(SALU_CYCLE_1)
	s_mov_b32 s2, exec_lo
	v_cmpx_gt_u32_e64 s18, v19
	s_cbranch_execz .LBB1003_19
.LBB1003_18:
	v_lshlrev_b32_e32 v15, 3, v19
	s_delay_alu instid0(VALU_DEP_1) | instskip(NEXT) | instid1(VALU_DEP_1)
	v_add_co_u32 v15, s5, s4, v15
	v_add_co_ci_u32_e64 v16, null, s3, 0, s5
	flat_load_b64 v[15:16], v[15:16]
.LBB1003_19:
	s_or_b32 exec_lo, exec_lo, s2
	v_lshrrev_b32_e32 v25, 2, v21
	v_lshrrev_b32_e32 v26, 2, v20
	v_lshrrev_b32_e32 v28, 2, v23
	v_lshrrev_b32_e32 v30, 2, v22
	v_and_b32_e32 v27, 0x78, v24
	v_lshrrev_b32_e32 v31, 2, v18
	v_lshrrev_b32_e32 v32, 2, v17
	;; [unrolled: 1-line block ×3, first 2 shown]
	v_and_b32_e32 v25, 0xf8, v25
	v_and_b32_e32 v26, 0x1f8, v26
	;; [unrolled: 1-line block ×4, first 2 shown]
	v_add_nc_u32_e32 v27, v27, v29
	v_and_b32_e32 v31, 0x3f8, v31
	v_and_b32_e32 v32, 0x3f8, v32
	;; [unrolled: 1-line block ×3, first 2 shown]
	v_add_nc_u32_e32 v25, v25, v29
	v_add_nc_u32_e32 v26, v26, v29
	;; [unrolled: 1-line block ×7, first 2 shown]
	s_waitcnt vmcnt(0) lgkmcnt(0)
	ds_store_b64 v27, v[1:2]
	ds_store_b64 v25, v[3:4] offset:4096
	ds_store_b64 v26, v[5:6] offset:8192
	;; [unrolled: 1-line block ×7, first 2 shown]
	s_waitcnt lgkmcnt(0)
	s_barrier
.LBB1003_20:
	v_add_nc_u32_e32 v24, v24, v29
	s_waitcnt lgkmcnt(0)
	buffer_gl0_inv
	s_lshl_b64 s[22:23], s[6:7], 2
	v_lshrrev_b32_e32 v26, 3, v0
	s_add_u32 s2, s12, s22
	v_lshlrev_b32_e32 v25, 3, v24
	s_addc_u32 s5, s13, s23
	s_lshl_b64 s[8:9], s[8:9], 2
	ds_load_2addr_b64 v[13:16], v25 offset1:1
	ds_load_2addr_b64 v[9:12], v25 offset0:2 offset1:3
	ds_load_2addr_b64 v[5:8], v25 offset0:4 offset1:5
	;; [unrolled: 1-line block ×3, first 2 shown]
	s_add_u32 s2, s2, s8
	s_addc_u32 s5, s5, s9
	s_and_b32 vcc_lo, exec_lo, s20
	s_mov_b32 s8, -1
	s_waitcnt lgkmcnt(0)
	s_barrier
	buffer_gl0_inv
	s_cbranch_vccz .LBB1003_22
; %bb.21:
	v_lshlrev_b32_e32 v36, 2, v0
	v_lshrrev_b32_e32 v38, 3, v21
	v_lshrrev_b32_e32 v39, 3, v20
	;; [unrolled: 1-line block ×4, first 2 shown]
	v_add_co_u32 v27, s8, s2, v36
	s_delay_alu instid0(VALU_DEP_1) | instskip(SKIP_1) | instid1(VALU_DEP_3)
	v_add_co_ci_u32_e64 v28, null, s5, 0, s8
	v_lshrrev_b32_e32 v42, 3, v18
	v_add_co_u32 v30, vcc_lo, 0x1000, v27
	s_delay_alu instid0(VALU_DEP_3)
	v_add_co_ci_u32_e32 v31, vcc_lo, 0, v28, vcc_lo
	v_add_co_u32 v32, vcc_lo, 0x2000, v27
	v_add_co_ci_u32_e32 v33, vcc_lo, 0, v28, vcc_lo
	v_add_co_u32 v34, vcc_lo, 0x3000, v27
	v_add_co_ci_u32_e32 v35, vcc_lo, 0, v28, vcc_lo
	s_clause 0x7
	flat_load_b32 v37, v[27:28]
	flat_load_b32 v27, v[27:28] offset:2048
	flat_load_b32 v28, v[30:31]
	flat_load_b32 v30, v[30:31] offset:2048
	;; [unrolled: 2-line block ×4, first 2 shown]
	v_and_b32_e32 v35, 60, v26
	v_lshrrev_b32_e32 v43, 3, v17
	v_lshrrev_b32_e32 v44, 3, v19
	v_and_b32_e32 v38, 0x7c, v38
	v_and_b32_e32 v39, 0xbc, v39
	;; [unrolled: 1-line block ×4, first 2 shown]
	v_add_nc_u32_e32 v35, v35, v36
	v_and_b32_e32 v42, 0x17c, v42
	v_and_b32_e32 v43, 0x1bc, v43
	;; [unrolled: 1-line block ×3, first 2 shown]
	v_add_nc_u32_e32 v38, v38, v36
	v_add_nc_u32_e32 v39, v39, v36
	;; [unrolled: 1-line block ×4, first 2 shown]
	s_mov_b32 s8, 0
	v_add_nc_u32_e32 v42, v42, v36
	v_add_nc_u32_e32 v43, v43, v36
	;; [unrolled: 1-line block ×3, first 2 shown]
	s_waitcnt vmcnt(7) lgkmcnt(7)
	ds_store_b32 v35, v37
	s_waitcnt vmcnt(6) lgkmcnt(7)
	ds_store_b32 v38, v27 offset:2048
	s_waitcnt vmcnt(5) lgkmcnt(7)
	ds_store_b32 v39, v28 offset:4096
	;; [unrolled: 2-line block ×7, first 2 shown]
	s_waitcnt lgkmcnt(0)
	s_barrier
.LBB1003_22:
	s_and_not1_b32 vcc_lo, exec_lo, s8
	s_cbranch_vccnz .LBB1003_40
; %bb.23:
	s_mov_b32 s8, exec_lo
                                        ; implicit-def: $vgpr27
	v_cmpx_gt_u32_e64 s18, v0
	s_cbranch_execz .LBB1003_25
; %bb.24:
	v_lshlrev_b32_e32 v27, 2, v0
	s_delay_alu instid0(VALU_DEP_1) | instskip(NEXT) | instid1(VALU_DEP_1)
	v_add_co_u32 v27, s9, s2, v27
	v_add_co_ci_u32_e64 v28, null, s5, 0, s9
	flat_load_b32 v27, v[27:28]
.LBB1003_25:
	s_or_b32 exec_lo, exec_lo, s8
	s_delay_alu instid0(SALU_CYCLE_1)
	s_mov_b32 s8, exec_lo
                                        ; implicit-def: $vgpr28
	v_cmpx_gt_u32_e64 s18, v21
	s_cbranch_execz .LBB1003_27
; %bb.26:
	v_lshlrev_b32_e32 v28, 2, v0
	s_delay_alu instid0(VALU_DEP_1) | instskip(NEXT) | instid1(VALU_DEP_1)
	v_add_co_u32 v30, s9, s2, v28
	v_add_co_ci_u32_e64 v31, null, s5, 0, s9
	flat_load_b32 v28, v[30:31] offset:2048
.LBB1003_27:
	s_or_b32 exec_lo, exec_lo, s8
	s_delay_alu instid0(SALU_CYCLE_1)
	s_mov_b32 s8, exec_lo
                                        ; implicit-def: $vgpr30
	v_cmpx_gt_u32_e64 s18, v20
	s_cbranch_execz .LBB1003_29
; %bb.28:
	v_lshlrev_b32_e32 v30, 2, v20
	s_delay_alu instid0(VALU_DEP_1) | instskip(NEXT) | instid1(VALU_DEP_1)
	v_add_co_u32 v30, s9, s2, v30
	v_add_co_ci_u32_e64 v31, null, s5, 0, s9
	flat_load_b32 v30, v[30:31]
.LBB1003_29:
	s_or_b32 exec_lo, exec_lo, s8
	s_delay_alu instid0(SALU_CYCLE_1)
	s_mov_b32 s8, exec_lo
                                        ; implicit-def: $vgpr31
	v_cmpx_gt_u32_e64 s18, v23
	s_cbranch_execz .LBB1003_31
; %bb.30:
	v_lshlrev_b32_e32 v31, 2, v23
	s_delay_alu instid0(VALU_DEP_1) | instskip(NEXT) | instid1(VALU_DEP_1)
	v_add_co_u32 v31, s9, s2, v31
	v_add_co_ci_u32_e64 v32, null, s5, 0, s9
	flat_load_b32 v31, v[31:32]
.LBB1003_31:
	s_or_b32 exec_lo, exec_lo, s8
	s_delay_alu instid0(SALU_CYCLE_1)
	s_mov_b32 s8, exec_lo
                                        ; implicit-def: $vgpr32
	v_cmpx_gt_u32_e64 s18, v22
	s_cbranch_execz .LBB1003_33
; %bb.32:
	v_lshlrev_b32_e32 v32, 2, v22
	s_delay_alu instid0(VALU_DEP_1) | instskip(NEXT) | instid1(VALU_DEP_1)
	v_add_co_u32 v32, s9, s2, v32
	v_add_co_ci_u32_e64 v33, null, s5, 0, s9
	flat_load_b32 v32, v[32:33]
.LBB1003_33:
	s_or_b32 exec_lo, exec_lo, s8
	s_delay_alu instid0(SALU_CYCLE_1)
	s_mov_b32 s8, exec_lo
                                        ; implicit-def: $vgpr33
	v_cmpx_gt_u32_e64 s18, v18
	s_cbranch_execz .LBB1003_35
; %bb.34:
	v_lshlrev_b32_e32 v33, 2, v18
	s_delay_alu instid0(VALU_DEP_1) | instskip(NEXT) | instid1(VALU_DEP_1)
	v_add_co_u32 v33, s9, s2, v33
	v_add_co_ci_u32_e64 v34, null, s5, 0, s9
	flat_load_b32 v33, v[33:34]
.LBB1003_35:
	s_or_b32 exec_lo, exec_lo, s8
	s_delay_alu instid0(SALU_CYCLE_1)
	s_mov_b32 s8, exec_lo
                                        ; implicit-def: $vgpr34
	v_cmpx_gt_u32_e64 s18, v17
	s_cbranch_execz .LBB1003_37
; %bb.36:
	v_lshlrev_b32_e32 v34, 2, v17
	s_delay_alu instid0(VALU_DEP_1) | instskip(NEXT) | instid1(VALU_DEP_1)
	v_add_co_u32 v34, s9, s2, v34
	v_add_co_ci_u32_e64 v35, null, s5, 0, s9
	flat_load_b32 v34, v[34:35]
.LBB1003_37:
	s_or_b32 exec_lo, exec_lo, s8
	s_delay_alu instid0(SALU_CYCLE_1)
	s_mov_b32 s8, exec_lo
                                        ; implicit-def: $vgpr35
	v_cmpx_gt_u32_e64 s18, v19
	s_cbranch_execz .LBB1003_39
; %bb.38:
	v_lshlrev_b32_e32 v35, 2, v19
	s_delay_alu instid0(VALU_DEP_1) | instskip(NEXT) | instid1(VALU_DEP_1)
	v_add_co_u32 v35, s2, s2, v35
	v_add_co_ci_u32_e64 v36, null, s5, 0, s2
	flat_load_b32 v35, v[35:36]
.LBB1003_39:
	s_or_b32 exec_lo, exec_lo, s8
	v_lshrrev_b32_e32 v21, 3, v21
	v_lshrrev_b32_e32 v20, 3, v20
	;; [unrolled: 1-line block ×4, first 2 shown]
	v_and_b32_e32 v26, 60, v26
	v_lshlrev_b32_e32 v36, 2, v0
	v_lshrrev_b32_e32 v18, 3, v18
	v_lshrrev_b32_e32 v17, 3, v17
	;; [unrolled: 1-line block ×3, first 2 shown]
	v_and_b32_e32 v21, 0x7c, v21
	v_and_b32_e32 v20, 0xfc, v20
	;; [unrolled: 1-line block ×4, first 2 shown]
	v_add_nc_u32_e32 v26, v26, v36
	v_and_b32_e32 v18, 0x1fc, v18
	v_and_b32_e32 v17, 0x1fc, v17
	;; [unrolled: 1-line block ×3, first 2 shown]
	v_add_nc_u32_e32 v21, v21, v36
	v_add_nc_u32_e32 v20, v20, v36
	;; [unrolled: 1-line block ×7, first 2 shown]
	s_waitcnt vmcnt(0) lgkmcnt(0)
	ds_store_b32 v26, v27
	ds_store_b32 v21, v28 offset:2048
	ds_store_b32 v20, v30 offset:4096
	;; [unrolled: 1-line block ×7, first 2 shown]
	s_waitcnt lgkmcnt(0)
	s_barrier
.LBB1003_40:
	v_lshlrev_b32_e32 v17, 2, v24
	buffer_gl0_inv
	s_cmp_lg_u32 s15, 0
	s_mov_b32 s9, 0
	s_cselect_b32 s12, -1, 0
	v_sub_nc_u32_e32 v17, v25, v17
	s_cmp_lg_u64 s[6:7], 0
	ds_load_2addr_b32 v[23:24], v17 offset1:1
	ds_load_2addr_b32 v[21:22], v17 offset0:2 offset1:3
	ds_load_2addr_b32 v[19:20], v17 offset0:4 offset1:5
	;; [unrolled: 1-line block ×3, first 2 shown]
	s_cselect_b32 s2, -1, 0
	s_waitcnt lgkmcnt(0)
	s_or_b32 s2, s12, s2
	s_barrier
	s_and_b32 vcc_lo, exec_lo, s2
	buffer_gl0_inv
	s_cbranch_vccz .LBB1003_45
; %bb.41:
	v_add_co_u32 v25, s2, -8, s4
	s_delay_alu instid0(VALU_DEP_1)
	v_add_co_ci_u32_e64 v26, null, -1, s3, s2
	s_mov_b32 s3, -1
	s_and_b32 vcc_lo, exec_lo, s20
	flat_load_b64 v[27:28], v[25:26]
	ds_store_b64 v29, v[3:4]
	s_cbranch_vccz .LBB1003_46
; %bb.42:
	s_waitcnt vmcnt(0) lgkmcnt(1)
	v_dual_mov_b32 v25, v27 :: v_dual_mov_b32 v26, v28
	s_mov_b32 s3, 0
	s_mov_b32 s2, exec_lo
	s_waitcnt lgkmcnt(0)
	s_barrier
	buffer_gl0_inv
	v_cmpx_ne_u32_e32 0, v0
	s_cbranch_execz .LBB1003_44
; %bb.43:
	v_add_nc_u32_e32 v25, -8, v29
	ds_load_b64 v[25:26], v25
.LBB1003_44:
	s_or_b32 exec_lo, exec_lo, s2
	v_cmp_ne_u64_e32 vcc_lo, v[1:2], v[3:4]
	s_waitcnt lgkmcnt(0)
	v_cmp_ne_u64_e64 s2, v[25:26], v[13:14]
	v_cndmask_b32_e64 v30, 0, 1, vcc_lo
	v_cmp_ne_u64_e32 vcc_lo, v[7:8], v[1:2]
	s_delay_alu instid0(VALU_DEP_2) | instskip(SKIP_2) | instid1(VALU_DEP_2)
	v_lshlrev_b16 v30, 8, v30
	v_cndmask_b32_e64 v31, 0, 1, vcc_lo
	v_cmp_ne_u64_e32 vcc_lo, v[5:6], v[7:8]
	v_or_b32_e32 v30, v31, v30
	v_cndmask_b32_e64 v32, 0, 1, vcc_lo
	v_cmp_ne_u64_e32 vcc_lo, v[9:10], v[11:12]
	s_delay_alu instid0(VALU_DEP_3) | instskip(NEXT) | instid1(VALU_DEP_3)
	v_lshlrev_b32_e32 v30, 16, v30
	v_lshlrev_b16 v32, 8, v32
	v_cndmask_b32_e64 v33, 0, 1, vcc_lo
	v_cmp_ne_u64_e32 vcc_lo, v[11:12], v[5:6]
	s_delay_alu instid0(VALU_DEP_2) | instskip(SKIP_2) | instid1(VALU_DEP_2)
	v_lshlrev_b16 v33, 8, v33
	v_cndmask_b32_e64 v34, 0, 1, vcc_lo
	v_cmp_ne_u64_e32 vcc_lo, v[15:16], v[9:10]
	v_or_b32_e32 v32, v34, v32
	v_cndmask_b32_e64 v35, 0, 1, vcc_lo
	v_cmp_ne_u64_e32 vcc_lo, v[13:14], v[15:16]
	s_delay_alu instid0(VALU_DEP_3) | instskip(NEXT) | instid1(VALU_DEP_3)
	v_and_b32_e32 v32, 0xffff, v32
	v_or_b32_e32 v33, v35, v33
	v_cndmask_b32_e64 v36, 0, 1, vcc_lo
	s_delay_alu instid0(VALU_DEP_3) | instskip(NEXT) | instid1(VALU_DEP_3)
	v_or_b32_e32 v26, v32, v30
	v_lshlrev_b32_e32 v31, 16, v33
	s_delay_alu instid0(VALU_DEP_3) | instskip(NEXT) | instid1(VALU_DEP_1)
	v_lshlrev_b16 v35, 8, v36
	v_and_b32_e32 v33, 0xffff, v35
	s_delay_alu instid0(VALU_DEP_1)
	v_or_b32_e32 v25, v33, v31
	s_and_b32 vcc_lo, exec_lo, s3
	s_cbranch_vccnz .LBB1003_47
	s_branch .LBB1003_50
.LBB1003_45:
                                        ; implicit-def: $sgpr2
                                        ; implicit-def: $vgpr26
	s_branch .LBB1003_51
.LBB1003_46:
                                        ; implicit-def: $sgpr2
                                        ; implicit-def: $vgpr26
	s_and_b32 vcc_lo, exec_lo, s3
	s_cbranch_vccz .LBB1003_50
.LBB1003_47:
	s_mov_b32 s2, exec_lo
	s_waitcnt vmcnt(0) lgkmcnt(0)
	s_barrier
	buffer_gl0_inv
	v_cmpx_ne_u32_e32 0, v0
	s_cbranch_execz .LBB1003_49
; %bb.48:
	v_add_nc_u32_e32 v25, -8, v29
	ds_load_b64 v[27:28], v25
.LBB1003_49:
	s_or_b32 exec_lo, exec_lo, s2
	v_or_b32_e32 v25, 7, v29
	v_or_b32_e32 v26, 6, v29
	v_cmp_ne_u64_e32 vcc_lo, v[1:2], v[3:4]
	v_or_b32_e32 v30, 5, v29
	v_cmp_ne_u64_e64 s3, v[7:8], v[1:2]
	v_cmp_gt_u32_e64 s2, s18, v25
	v_cmp_gt_u32_e64 s4, s18, v26
	v_cmp_ne_u64_e64 s5, v[5:6], v[7:8]
	v_cmp_gt_u32_e64 s6, s18, v30
	v_or_b32_e32 v30, 3, v29
	s_and_b32 s2, s2, vcc_lo
	v_or_b32_e32 v31, 4, v29
	v_cndmask_b32_e64 v25, 0, 1, s2
	s_and_b32 s2, s4, s3
	v_cmp_ne_u64_e32 vcc_lo, v[9:10], v[11:12]
	v_cndmask_b32_e64 v26, 0, 1, s2
	s_and_b32 s2, s6, s5
	v_cmp_gt_u32_e64 s3, s18, v31
	v_cndmask_b32_e64 v32, 0, 1, s2
	v_cmp_gt_u32_e64 s2, s18, v30
	v_or_b32_e32 v30, 2, v29
	v_or_b32_e32 v31, 1, v29
	v_cmp_ne_u64_e64 s4, v[11:12], v[5:6]
	v_cmp_ne_u64_e64 s6, v[13:14], v[15:16]
	s_and_b32 s2, s2, vcc_lo
	v_cmp_ne_u64_e32 vcc_lo, v[15:16], v[9:10]
	v_cndmask_b32_e64 v33, 0, 1, s2
	v_cmp_gt_u32_e64 s2, s18, v30
	v_cmp_gt_u32_e64 s5, s18, v31
	s_and_b32 s3, s3, s4
	v_lshlrev_b16 v32, 8, v32
	v_cndmask_b32_e64 v30, 0, 1, s3
	s_and_b32 s2, s2, vcc_lo
	v_lshlrev_b16 v33, 8, v33
	v_cndmask_b32_e64 v31, 0, 1, s2
	s_and_b32 s2, s5, s6
	v_lshlrev_b16 v25, 8, v25
	v_cndmask_b32_e64 v34, 0, 1, s2
	v_or_b32_e32 v30, v30, v32
	v_or_b32_e32 v31, v31, v33
	s_waitcnt lgkmcnt(0)
	v_cmp_ne_u64_e32 vcc_lo, v[27:28], v[13:14]
	v_or_b32_e32 v25, v26, v25
	v_lshlrev_b16 v33, 8, v34
	v_and_b32_e32 v30, 0xffff, v30
	v_lshlrev_b32_e32 v26, 16, v31
	v_cmp_gt_u32_e64 s2, s18, v29
	v_lshlrev_b32_e32 v32, 16, v25
	v_and_b32_e32 v31, 0xffff, v33
	s_delay_alu instid0(VALU_DEP_3) | instskip(NEXT) | instid1(VALU_DEP_1)
	s_and_b32 s2, s2, vcc_lo
	v_or_b32_e32 v25, v31, v26
	s_delay_alu instid0(VALU_DEP_3)
	v_or_b32_e32 v26, v30, v32
.LBB1003_50:
	s_mov_b32 s9, -1
	s_cbranch_execnz .LBB1003_59
.LBB1003_51:
	v_cmp_ne_u64_e64 s3, v[1:2], v[3:4]
	v_cmp_ne_u64_e64 s4, v[7:8], v[1:2]
	;; [unrolled: 1-line block ×7, first 2 shown]
	s_and_b32 vcc_lo, exec_lo, s20
	ds_store_b64 v29, v[3:4]
	s_cbranch_vccz .LBB1003_55
; %bb.52:
	v_cndmask_b32_e64 v25, 0, 1, s3
	s_waitcnt vmcnt(0) lgkmcnt(2)
	v_cndmask_b32_e64 v27, 0, 1, s5
	v_cndmask_b32_e64 v30, 0, 1, s7
	;; [unrolled: 1-line block ×6, first 2 shown]
	v_lshlrev_b16 v27, 8, v27
	v_lshlrev_b16 v25, 8, v25
	;; [unrolled: 1-line block ×4, first 2 shown]
	s_mov_b32 s3, 0
	v_or_b32_e32 v27, v28, v27
	v_or_b32_e32 v25, v26, v25
	;; [unrolled: 1-line block ×4, first 2 shown]
	s_mov_b32 s4, exec_lo
	v_and_b32_e32 v27, 0xffff, v27
	v_lshlrev_b32_e32 v25, 16, v25
	v_lshlrev_b32_e32 v30, 16, v26
	v_and_b32_e32 v28, 0xffff, v28
	s_waitcnt lgkmcnt(0)
	s_barrier
	v_or_b32_e32 v26, v27, v25
	buffer_gl0_inv
	v_or_b32_e32 v25, v28, v30
                                        ; implicit-def: $sgpr2
	v_cmpx_ne_u32_e32 0, v0
	s_xor_b32 s4, exec_lo, s4
	s_cbranch_execz .LBB1003_54
; %bb.53:
	v_add_nc_u32_e32 v27, -8, v29
	s_or_b32 s9, s9, exec_lo
	ds_load_b64 v[27:28], v27
	s_waitcnt lgkmcnt(0)
	v_cmp_ne_u64_e32 vcc_lo, v[27:28], v[13:14]
	s_and_b32 s2, vcc_lo, exec_lo
.LBB1003_54:
	s_or_b32 exec_lo, exec_lo, s4
	s_delay_alu instid0(SALU_CYCLE_1)
	s_and_b32 vcc_lo, exec_lo, s3
	s_cbranch_vccnz .LBB1003_56
	s_branch .LBB1003_59
.LBB1003_55:
                                        ; implicit-def: $sgpr2
                                        ; implicit-def: $vgpr26
	s_cbranch_execz .LBB1003_59
.LBB1003_56:
	v_or_b32_e32 v25, 7, v29
	v_or_b32_e32 v26, 6, v29
	v_cmp_ne_u64_e32 vcc_lo, v[1:2], v[3:4]
	v_cmp_ne_u64_e64 s2, v[7:8], v[1:2]
	s_waitcnt vmcnt(0) lgkmcnt(2)
	v_or_b32_e32 v27, 4, v29
	v_cmp_gt_u32_e64 s3, s18, v25
	v_or_b32_e32 v25, 5, v29
	v_cmp_gt_u32_e64 s5, s18, v26
	v_cmp_ne_u64_e64 s4, v[5:6], v[7:8]
	v_cmp_ne_u64_e64 s6, v[11:12], v[5:6]
	s_and_b32 s3, s3, vcc_lo
	v_cmp_gt_u32_e32 vcc_lo, s18, v25
	v_cndmask_b32_e64 v26, 0, 1, s3
	v_cmp_gt_u32_e64 s3, s18, v27
	s_and_b32 s2, s5, s2
	v_or_b32_e32 v28, 3, v29
	v_cndmask_b32_e64 v25, 0, 1, s2
	s_and_b32 s2, vcc_lo, s4
	v_or_b32_e32 v31, 1, v29
	v_cndmask_b32_e64 v27, 0, 1, s2
	s_and_b32 s2, s3, s6
	v_cmp_ne_u64_e32 vcc_lo, v[9:10], v[11:12]
	v_cndmask_b32_e64 v30, 0, 1, s2
	v_cmp_gt_u32_e64 s2, s18, v28
	v_cmp_ne_u64_e64 s3, v[13:14], v[15:16]
	v_or_b32_e32 v32, 2, v29
	v_cmp_gt_u32_e64 s4, s18, v31
	v_cmp_ne_u64_e64 s5, v[15:16], v[9:10]
	s_and_b32 s2, s2, vcc_lo
	v_lshlrev_b16 v27, 8, v27
	v_cmp_gt_u32_e64 s6, s18, v32
	v_cndmask_b32_e64 v28, 0, 1, s2
	s_and_b32 s2, s4, s3
	v_lshlrev_b16 v26, 8, v26
	v_cndmask_b32_e64 v31, 0, 1, s2
	s_and_b32 s2, s6, s5
	v_lshlrev_b16 v28, 8, v28
	v_cndmask_b32_e64 v32, 0, 1, s2
	v_or_b32_e32 v27, v30, v27
	v_lshlrev_b16 v31, 8, v31
	v_or_b32_e32 v25, v25, v26
	s_mov_b32 s3, exec_lo
	v_or_b32_e32 v26, v32, v28
	v_and_b32_e32 v27, 0xffff, v27
	v_or_b32_e32 v28, 1, v31
	v_lshlrev_b32_e32 v25, 16, v25
	s_waitcnt lgkmcnt(0)
	v_lshlrev_b32_e32 v30, 16, v26
	s_barrier
	v_and_b32_e32 v28, 0xffff, v28
	v_or_b32_e32 v26, v27, v25
	buffer_gl0_inv
                                        ; implicit-def: $sgpr2
	v_or_b32_e32 v25, v28, v30
	v_cmpx_ne_u32_e32 0, v0
	s_cbranch_execz .LBB1003_58
; %bb.57:
	v_add_nc_u32_e32 v27, -8, v29
	v_cmp_gt_u32_e64 s2, s18, v29
	s_or_b32 s9, s9, exec_lo
	ds_load_b64 v[27:28], v27
	s_waitcnt lgkmcnt(0)
	v_cmp_ne_u64_e32 vcc_lo, v[27:28], v[13:14]
	s_and_b32 s2, s2, vcc_lo
	s_delay_alu instid0(SALU_CYCLE_1)
	s_and_b32 s2, s2, exec_lo
.LBB1003_58:
	s_or_b32 exec_lo, exec_lo, s3
.LBB1003_59:
	s_and_saveexec_b32 s3, s9
	s_cbranch_execz .LBB1003_61
; %bb.60:
	s_waitcnt vmcnt(0) lgkmcnt(1)
	v_and_b32_e32 v27, 0xffffff00, v25
	v_cndmask_b32_e64 v28, 0, 1, s2
	s_delay_alu instid0(VALU_DEP_1) | instskip(NEXT) | instid1(VALU_DEP_1)
	v_or_b32_e32 v27, v28, v27
	v_and_b32_e32 v27, 0xffff, v27
	s_delay_alu instid0(VALU_DEP_1)
	v_and_or_b32 v25, 0xffff0000, v25, v27
.LBB1003_61:
	s_or_b32 exec_lo, exec_lo, s3
	s_load_b64 s[8:9], s[0:1], 0x70
	s_and_not1_b32 vcc_lo, exec_lo, s19
	s_cbranch_vccnz .LBB1003_63
; %bb.62:
	v_cmp_gt_u32_e32 vcc_lo, s18, v29
	s_waitcnt vmcnt(0) lgkmcnt(0)
	v_or_b32_e32 v28, 1, v29
	v_or_b32_e32 v31, 2, v29
	v_dual_cndmask_b32 v27, 0, v25 :: v_dual_and_b32 v30, 0xffffff00, v26
	s_delay_alu instid0(VALU_DEP_3) | instskip(SKIP_1) | instid1(VALU_DEP_4)
	v_cmp_gt_u32_e32 vcc_lo, s18, v28
	v_or_b32_e32 v28, 4, v29
	v_cmp_gt_u32_e64 s0, s18, v31
	v_or_b32_e32 v31, 3, v29
	v_and_b32_e32 v27, 0xff, v27
	s_delay_alu instid0(VALU_DEP_2) | instskip(NEXT) | instid1(VALU_DEP_2)
	v_cmp_gt_u32_e64 s1, s18, v31
	v_cndmask_b32_e32 v27, v27, v25, vcc_lo
	v_cmp_gt_u32_e32 vcc_lo, s18, v28
	v_cndmask_b32_e32 v28, v30, v26, vcc_lo
	v_or_b32_e32 v30, 5, v29
	s_delay_alu instid0(VALU_DEP_2) | instskip(SKIP_1) | instid1(VALU_DEP_1)
	v_and_b32_e32 v28, 0xffff00ff, v28
	v_and_b32_e32 v27, 0xffff, v27
	v_cndmask_b32_e64 v27, v27, v25, s0
	s_delay_alu instid0(VALU_DEP_4) | instskip(SKIP_2) | instid1(VALU_DEP_4)
	v_cmp_gt_u32_e64 s0, s18, v30
	v_or_b32_e32 v30, 6, v29
	v_or_b32_e32 v29, 7, v29
	v_and_b32_e32 v27, 0xffffff, v27
	s_delay_alu instid0(VALU_DEP_4) | instskip(NEXT) | instid1(VALU_DEP_2)
	v_cndmask_b32_e64 v28, v28, v26, s0
	v_cndmask_b32_e64 v27, v27, v25, s1
	s_delay_alu instid0(VALU_DEP_1) | instskip(SKIP_1) | instid1(VALU_DEP_2)
	v_dual_cndmask_b32 v27, v27, v25 :: v_dual_and_b32 v28, 0xff00ffff, v28
	v_cmp_gt_u32_e32 vcc_lo, s18, v30
	v_cndmask_b32_e64 v27, v27, v25, s0
	s_delay_alu instid0(VALU_DEP_1) | instskip(NEXT) | instid1(VALU_DEP_1)
	v_dual_cndmask_b32 v28, v28, v26 :: v_dual_cndmask_b32 v27, v27, v25
	v_and_b32_e32 v28, 0xffffff, v28
	v_cmp_gt_u32_e32 vcc_lo, s18, v29
	s_delay_alu instid0(VALU_DEP_2)
	v_dual_cndmask_b32 v26, v28, v26 :: v_dual_cndmask_b32 v25, v27, v25
.LBB1003_63:
	s_delay_alu instid0(VALU_DEP_1) | instskip(SKIP_1) | instid1(VALU_DEP_2)
	v_and_b32_e32 v36, 0xff, v25
	s_waitcnt vmcnt(0) lgkmcnt(0)
	v_alignbit_b32 v27, v26, v25, 24
	v_bfe_u32 v37, v25, 8, 8
	v_bfe_u32 v38, v25, 16, 8
	v_and_b32_e32 v40, 0xff, v26
	v_bfe_u32 v41, v26, 8, 8
	v_and_b32_e32 v39, 0xff, v27
	v_add_nc_u32_e32 v27, v37, v36
	v_mbcnt_lo_u32_b32 v43, -1, 0
	v_bfe_u32 v42, v26, 16, 8
	v_lshrrev_b32_e32 v35, 24, v26
	v_lshrrev_b32_e32 v44, 5, v0
	v_add3_u32 v27, v27, v38, v39
	v_and_b32_e32 v28, 15, v43
	v_and_b32_e32 v29, 16, v43
	s_and_b32 vcc_lo, exec_lo, s12
	s_mov_b32 s6, -1
	v_add3_u32 v27, v27, v40, v41
	v_cmp_eq_u32_e64 s2, 0, v28
	v_cmp_lt_u32_e64 s0, 1, v28
	v_cmp_lt_u32_e64 s3, 3, v28
	;; [unrolled: 1-line block ×3, first 2 shown]
	v_add3_u32 v45, v27, v42, v35
	v_or_b32_e32 v27, 31, v0
	v_cmp_eq_u32_e64 s5, 0, v29
	s_barrier
	buffer_gl0_inv
	v_cmp_eq_u32_e64 s4, v27, v0
	s_cbranch_vccz .LBB1003_94
; %bb.64:
	v_mov_b32_dpp v27, v45 row_shr:1 row_mask:0xf bank_mask:0xf
	s_delay_alu instid0(VALU_DEP_1) | instskip(NEXT) | instid1(VALU_DEP_1)
	v_cndmask_b32_e64 v27, v27, 0, s2
	v_add_nc_u32_e32 v27, v27, v45
	s_delay_alu instid0(VALU_DEP_1) | instskip(NEXT) | instid1(VALU_DEP_1)
	v_mov_b32_dpp v28, v27 row_shr:2 row_mask:0xf bank_mask:0xf
	v_cndmask_b32_e64 v28, 0, v28, s0
	s_delay_alu instid0(VALU_DEP_1) | instskip(NEXT) | instid1(VALU_DEP_1)
	v_add_nc_u32_e32 v27, v27, v28
	v_mov_b32_dpp v28, v27 row_shr:4 row_mask:0xf bank_mask:0xf
	s_delay_alu instid0(VALU_DEP_1) | instskip(NEXT) | instid1(VALU_DEP_1)
	v_cndmask_b32_e64 v28, 0, v28, s3
	v_add_nc_u32_e32 v27, v27, v28
	s_delay_alu instid0(VALU_DEP_1) | instskip(NEXT) | instid1(VALU_DEP_1)
	v_mov_b32_dpp v28, v27 row_shr:8 row_mask:0xf bank_mask:0xf
	v_cndmask_b32_e64 v28, 0, v28, s1
	s_delay_alu instid0(VALU_DEP_1) | instskip(SKIP_3) | instid1(VALU_DEP_1)
	v_add_nc_u32_e32 v27, v27, v28
	ds_swizzle_b32 v28, v27 offset:swizzle(BROADCAST,32,15)
	s_waitcnt lgkmcnt(0)
	v_cndmask_b32_e64 v28, v28, 0, s5
	v_add_nc_u32_e32 v27, v27, v28
	s_and_saveexec_b32 s6, s4
	s_cbranch_execz .LBB1003_66
; %bb.65:
	v_lshlrev_b32_e32 v28, 2, v44
	ds_store_b32 v28, v27
.LBB1003_66:
	s_or_b32 exec_lo, exec_lo, s6
	s_delay_alu instid0(SALU_CYCLE_1)
	s_mov_b32 s6, exec_lo
	s_waitcnt lgkmcnt(0)
	s_barrier
	buffer_gl0_inv
	v_cmpx_gt_u32_e32 16, v0
	s_cbranch_execz .LBB1003_68
; %bb.67:
	v_lshlrev_b32_e32 v28, 2, v0
	ds_load_b32 v29, v28
	s_waitcnt lgkmcnt(0)
	v_mov_b32_dpp v30, v29 row_shr:1 row_mask:0xf bank_mask:0xf
	s_delay_alu instid0(VALU_DEP_1) | instskip(NEXT) | instid1(VALU_DEP_1)
	v_cndmask_b32_e64 v30, v30, 0, s2
	v_add_nc_u32_e32 v29, v30, v29
	s_delay_alu instid0(VALU_DEP_1) | instskip(NEXT) | instid1(VALU_DEP_1)
	v_mov_b32_dpp v30, v29 row_shr:2 row_mask:0xf bank_mask:0xf
	v_cndmask_b32_e64 v30, 0, v30, s0
	s_delay_alu instid0(VALU_DEP_1) | instskip(NEXT) | instid1(VALU_DEP_1)
	v_add_nc_u32_e32 v29, v29, v30
	v_mov_b32_dpp v30, v29 row_shr:4 row_mask:0xf bank_mask:0xf
	s_delay_alu instid0(VALU_DEP_1) | instskip(NEXT) | instid1(VALU_DEP_1)
	v_cndmask_b32_e64 v30, 0, v30, s3
	v_add_nc_u32_e32 v29, v29, v30
	s_delay_alu instid0(VALU_DEP_1) | instskip(NEXT) | instid1(VALU_DEP_1)
	v_mov_b32_dpp v30, v29 row_shr:8 row_mask:0xf bank_mask:0xf
	v_cndmask_b32_e64 v30, 0, v30, s1
	s_delay_alu instid0(VALU_DEP_1)
	v_add_nc_u32_e32 v29, v29, v30
	ds_store_b32 v28, v29
.LBB1003_68:
	s_or_b32 exec_lo, exec_lo, s6
	v_cmp_gt_u32_e32 vcc_lo, 32, v0
	s_mov_b32 s7, exec_lo
	s_waitcnt lgkmcnt(0)
	s_barrier
	buffer_gl0_inv
                                        ; implicit-def: $vgpr46
	v_cmpx_lt_u32_e32 31, v0
	s_cbranch_execz .LBB1003_70
; %bb.69:
	v_lshl_add_u32 v28, v44, 2, -4
	ds_load_b32 v46, v28
	s_waitcnt lgkmcnt(0)
	v_add_nc_u32_e32 v27, v46, v27
.LBB1003_70:
	s_or_b32 exec_lo, exec_lo, s7
	v_add_nc_u32_e32 v28, -1, v43
	s_delay_alu instid0(VALU_DEP_1) | instskip(NEXT) | instid1(VALU_DEP_1)
	v_cmp_gt_i32_e64 s6, 0, v28
	v_cndmask_b32_e64 v28, v28, v43, s6
	v_cmp_eq_u32_e64 s6, 0, v43
	s_delay_alu instid0(VALU_DEP_2)
	v_lshlrev_b32_e32 v28, 2, v28
	ds_bpermute_b32 v47, v28, v27
	s_and_saveexec_b32 s7, vcc_lo
	s_cbranch_execz .LBB1003_93
; %bb.71:
	v_mov_b32_e32 v31, 0
	ds_load_b32 v27, v31 offset:60
	s_and_saveexec_b32 s12, s6
	s_cbranch_execz .LBB1003_73
; %bb.72:
	s_add_i32 s18, s15, 32
	s_mov_b32 s19, 0
	v_mov_b32_e32 v28, 1
	s_lshl_b64 s[18:19], s[18:19], 3
	s_delay_alu instid0(SALU_CYCLE_1)
	s_add_u32 s18, s8, s18
	s_addc_u32 s19, s9, s19
	s_waitcnt lgkmcnt(0)
	global_store_b64 v31, v[27:28], s[18:19]
.LBB1003_73:
	s_or_b32 exec_lo, exec_lo, s12
	v_xad_u32 v29, v43, -1, s15
	s_mov_b32 s13, 0
	s_mov_b32 s12, exec_lo
	s_delay_alu instid0(VALU_DEP_1) | instskip(NEXT) | instid1(VALU_DEP_1)
	v_add_nc_u32_e32 v30, 32, v29
	v_lshlrev_b64 v[30:31], 3, v[30:31]
	s_delay_alu instid0(VALU_DEP_1) | instskip(NEXT) | instid1(VALU_DEP_2)
	v_add_co_u32 v33, vcc_lo, s8, v30
	v_add_co_ci_u32_e32 v34, vcc_lo, s9, v31, vcc_lo
	global_load_b64 v[31:32], v[33:34], off glc
	s_waitcnt vmcnt(0)
	v_and_b32_e32 v28, 0xff, v32
	s_delay_alu instid0(VALU_DEP_1)
	v_cmpx_eq_u16_e32 0, v28
	s_cbranch_execz .LBB1003_79
; %bb.74:
	s_mov_b32 s18, 1
	.p2align	6
.LBB1003_75:                            ; =>This Loop Header: Depth=1
                                        ;     Child Loop BB1003_76 Depth 2
	s_delay_alu instid0(SALU_CYCLE_1)
	s_max_u32 s19, s18, 1
.LBB1003_76:                            ;   Parent Loop BB1003_75 Depth=1
                                        ; =>  This Inner Loop Header: Depth=2
	s_delay_alu instid0(SALU_CYCLE_1)
	s_add_i32 s19, s19, -1
	s_sleep 1
	s_cmp_eq_u32 s19, 0
	s_cbranch_scc0 .LBB1003_76
; %bb.77:                               ;   in Loop: Header=BB1003_75 Depth=1
	global_load_b64 v[31:32], v[33:34], off glc
	s_cmp_lt_u32 s18, 32
	s_cselect_b32 s19, -1, 0
	s_delay_alu instid0(SALU_CYCLE_1) | instskip(SKIP_3) | instid1(VALU_DEP_1)
	s_cmp_lg_u32 s19, 0
	s_addc_u32 s18, s18, 0
	s_waitcnt vmcnt(0)
	v_and_b32_e32 v28, 0xff, v32
	v_cmp_ne_u16_e32 vcc_lo, 0, v28
	s_or_b32 s13, vcc_lo, s13
	s_delay_alu instid0(SALU_CYCLE_1)
	s_and_not1_b32 exec_lo, exec_lo, s13
	s_cbranch_execnz .LBB1003_75
; %bb.78:
	s_or_b32 exec_lo, exec_lo, s13
.LBB1003_79:
	s_delay_alu instid0(SALU_CYCLE_1)
	s_or_b32 exec_lo, exec_lo, s12
	v_cmp_ne_u32_e32 vcc_lo, 31, v43
	v_lshlrev_b32_e64 v49, v43, -1
	v_add_nc_u32_e32 v51, 2, v43
	v_add_nc_u32_e32 v53, 4, v43
	;; [unrolled: 1-line block ×3, first 2 shown]
	v_add_co_ci_u32_e32 v28, vcc_lo, 0, v43, vcc_lo
	v_add_nc_u32_e32 v57, 16, v43
	s_delay_alu instid0(VALU_DEP_2)
	v_lshlrev_b32_e32 v48, 2, v28
	v_and_b32_e32 v28, 0xff, v32
	ds_bpermute_b32 v30, v48, v31
	v_cmp_eq_u16_e32 vcc_lo, 2, v28
	v_and_or_b32 v28, vcc_lo, v49, 0x80000000
	v_cmp_gt_u32_e32 vcc_lo, 30, v43
	s_delay_alu instid0(VALU_DEP_2) | instskip(SKIP_1) | instid1(VALU_DEP_2)
	v_ctz_i32_b32_e32 v28, v28
	v_cndmask_b32_e64 v33, 0, 1, vcc_lo
	v_cmp_lt_u32_e32 vcc_lo, v43, v28
	s_waitcnt lgkmcnt(0)
	s_delay_alu instid0(VALU_DEP_2) | instskip(NEXT) | instid1(VALU_DEP_1)
	v_dual_cndmask_b32 v30, 0, v30 :: v_dual_lshlrev_b32 v33, 1, v33
	v_add_lshl_u32 v50, v33, v43, 2
	v_cmp_gt_u32_e32 vcc_lo, 28, v43
	s_delay_alu instid0(VALU_DEP_3) | instskip(SKIP_4) | instid1(VALU_DEP_1)
	v_add_nc_u32_e32 v30, v30, v31
	v_cndmask_b32_e64 v33, 0, 1, vcc_lo
	v_cmp_le_u32_e32 vcc_lo, v51, v28
	ds_bpermute_b32 v31, v50, v30
	v_lshlrev_b32_e32 v33, 2, v33
	v_add_lshl_u32 v52, v33, v43, 2
	s_waitcnt lgkmcnt(0)
	v_cndmask_b32_e32 v31, 0, v31, vcc_lo
	v_cmp_gt_u32_e32 vcc_lo, 24, v43
	s_delay_alu instid0(VALU_DEP_2) | instskip(SKIP_4) | instid1(VALU_DEP_1)
	v_add_nc_u32_e32 v30, v30, v31
	v_cndmask_b32_e64 v33, 0, 1, vcc_lo
	v_cmp_le_u32_e32 vcc_lo, v53, v28
	ds_bpermute_b32 v31, v52, v30
	v_lshlrev_b32_e32 v33, 3, v33
	v_add_lshl_u32 v54, v33, v43, 2
	s_waitcnt lgkmcnt(0)
	v_cndmask_b32_e32 v31, 0, v31, vcc_lo
	v_cmp_gt_u32_e32 vcc_lo, 16, v43
	s_delay_alu instid0(VALU_DEP_2) | instskip(SKIP_4) | instid1(VALU_DEP_1)
	v_add_nc_u32_e32 v30, v30, v31
	v_cndmask_b32_e64 v33, 0, 1, vcc_lo
	v_cmp_le_u32_e32 vcc_lo, v55, v28
	ds_bpermute_b32 v31, v54, v30
	v_lshlrev_b32_e32 v33, 4, v33
	v_add_lshl_u32 v56, v33, v43, 2
	s_waitcnt lgkmcnt(0)
	v_cndmask_b32_e32 v31, 0, v31, vcc_lo
	v_cmp_le_u32_e32 vcc_lo, v57, v28
	s_delay_alu instid0(VALU_DEP_2) | instskip(SKIP_3) | instid1(VALU_DEP_1)
	v_add_nc_u32_e32 v30, v30, v31
	ds_bpermute_b32 v31, v56, v30
	s_waitcnt lgkmcnt(0)
	v_cndmask_b32_e32 v28, 0, v31, vcc_lo
	v_dual_mov_b32 v30, 0 :: v_dual_add_nc_u32 v31, v30, v28
	s_branch .LBB1003_81
.LBB1003_80:                            ;   in Loop: Header=BB1003_81 Depth=1
	s_or_b32 exec_lo, exec_lo, s12
	ds_bpermute_b32 v34, v48, v31
	v_and_b32_e32 v33, 0xff, v32
	v_subrev_nc_u32_e32 v29, 32, v29
	s_delay_alu instid0(VALU_DEP_2) | instskip(SKIP_1) | instid1(VALU_DEP_1)
	v_cmp_eq_u16_e32 vcc_lo, 2, v33
	v_and_or_b32 v33, vcc_lo, v49, 0x80000000
	v_ctz_i32_b32_e32 v33, v33
	s_delay_alu instid0(VALU_DEP_1) | instskip(SKIP_3) | instid1(VALU_DEP_2)
	v_cmp_lt_u32_e32 vcc_lo, v43, v33
	s_waitcnt lgkmcnt(0)
	v_cndmask_b32_e32 v34, 0, v34, vcc_lo
	v_cmp_le_u32_e32 vcc_lo, v51, v33
	v_add_nc_u32_e32 v31, v34, v31
	ds_bpermute_b32 v34, v50, v31
	s_waitcnt lgkmcnt(0)
	v_cndmask_b32_e32 v34, 0, v34, vcc_lo
	v_cmp_le_u32_e32 vcc_lo, v53, v33
	s_delay_alu instid0(VALU_DEP_2) | instskip(SKIP_4) | instid1(VALU_DEP_2)
	v_add_nc_u32_e32 v31, v31, v34
	ds_bpermute_b32 v34, v52, v31
	s_waitcnt lgkmcnt(0)
	v_cndmask_b32_e32 v34, 0, v34, vcc_lo
	v_cmp_le_u32_e32 vcc_lo, v55, v33
	v_add_nc_u32_e32 v31, v31, v34
	ds_bpermute_b32 v34, v54, v31
	s_waitcnt lgkmcnt(0)
	v_cndmask_b32_e32 v34, 0, v34, vcc_lo
	v_cmp_le_u32_e32 vcc_lo, v57, v33
	s_delay_alu instid0(VALU_DEP_2) | instskip(SKIP_3) | instid1(VALU_DEP_1)
	v_add_nc_u32_e32 v31, v31, v34
	ds_bpermute_b32 v34, v56, v31
	s_waitcnt lgkmcnt(0)
	v_cndmask_b32_e32 v33, 0, v34, vcc_lo
	v_add3_u32 v31, v33, v28, v31
.LBB1003_81:                            ; =>This Loop Header: Depth=1
                                        ;     Child Loop BB1003_84 Depth 2
                                        ;       Child Loop BB1003_85 Depth 3
	v_and_b32_e32 v28, 0xff, v32
	s_delay_alu instid0(VALU_DEP_1) | instskip(SKIP_2) | instid1(VALU_DEP_1)
	v_cmp_ne_u16_e32 vcc_lo, 2, v28
	v_cndmask_b32_e64 v28, 0, 1, vcc_lo
	;;#ASMSTART
	;;#ASMEND
	v_cmp_ne_u32_e32 vcc_lo, 0, v28
	v_mov_b32_e32 v28, v31
	s_cmp_lg_u32 vcc_lo, exec_lo
	s_cbranch_scc1 .LBB1003_88
; %bb.82:                               ;   in Loop: Header=BB1003_81 Depth=1
	v_lshlrev_b64 v[31:32], 3, v[29:30]
	s_mov_b32 s12, exec_lo
	s_delay_alu instid0(VALU_DEP_1) | instskip(NEXT) | instid1(VALU_DEP_2)
	v_add_co_u32 v33, vcc_lo, s8, v31
	v_add_co_ci_u32_e32 v34, vcc_lo, s9, v32, vcc_lo
	global_load_b64 v[31:32], v[33:34], off glc
	s_waitcnt vmcnt(0)
	v_and_b32_e32 v58, 0xff, v32
	s_delay_alu instid0(VALU_DEP_1)
	v_cmpx_eq_u16_e32 0, v58
	s_cbranch_execz .LBB1003_80
; %bb.83:                               ;   in Loop: Header=BB1003_81 Depth=1
	s_mov_b32 s18, 1
	s_mov_b32 s13, 0
	.p2align	6
.LBB1003_84:                            ;   Parent Loop BB1003_81 Depth=1
                                        ; =>  This Loop Header: Depth=2
                                        ;       Child Loop BB1003_85 Depth 3
	s_max_u32 s19, s18, 1
.LBB1003_85:                            ;   Parent Loop BB1003_81 Depth=1
                                        ;     Parent Loop BB1003_84 Depth=2
                                        ; =>    This Inner Loop Header: Depth=3
	s_delay_alu instid0(SALU_CYCLE_1)
	s_add_i32 s19, s19, -1
	s_sleep 1
	s_cmp_eq_u32 s19, 0
	s_cbranch_scc0 .LBB1003_85
; %bb.86:                               ;   in Loop: Header=BB1003_84 Depth=2
	global_load_b64 v[31:32], v[33:34], off glc
	s_cmp_lt_u32 s18, 32
	s_cselect_b32 s19, -1, 0
	s_delay_alu instid0(SALU_CYCLE_1) | instskip(SKIP_3) | instid1(VALU_DEP_1)
	s_cmp_lg_u32 s19, 0
	s_addc_u32 s18, s18, 0
	s_waitcnt vmcnt(0)
	v_and_b32_e32 v58, 0xff, v32
	v_cmp_ne_u16_e32 vcc_lo, 0, v58
	s_or_b32 s13, vcc_lo, s13
	s_delay_alu instid0(SALU_CYCLE_1)
	s_and_not1_b32 exec_lo, exec_lo, s13
	s_cbranch_execnz .LBB1003_84
; %bb.87:                               ;   in Loop: Header=BB1003_81 Depth=1
	s_or_b32 exec_lo, exec_lo, s13
	s_branch .LBB1003_80
.LBB1003_88:                            ;   in Loop: Header=BB1003_81 Depth=1
                                        ; implicit-def: $vgpr31
                                        ; implicit-def: $vgpr32
	s_cbranch_execz .LBB1003_81
; %bb.89:
	s_and_saveexec_b32 s12, s6
	s_cbranch_execz .LBB1003_91
; %bb.90:
	s_add_i32 s18, s15, 32
	s_mov_b32 s19, 0
	v_dual_mov_b32 v30, 2 :: v_dual_add_nc_u32 v29, v28, v27
	s_lshl_b64 s[18:19], s[18:19], 3
	v_mov_b32_e32 v31, 0
	s_add_u32 s18, s8, s18
	s_addc_u32 s19, s9, s19
	global_store_b64 v31, v[29:30], s[18:19]
	ds_store_b64 v31, v[27:28] offset:33792
.LBB1003_91:
	s_or_b32 exec_lo, exec_lo, s12
	v_cmp_eq_u32_e32 vcc_lo, 0, v0
	s_and_b32 exec_lo, exec_lo, vcc_lo
	s_cbranch_execz .LBB1003_93
; %bb.92:
	v_mov_b32_e32 v27, 0
	ds_store_b32 v27, v28 offset:60
.LBB1003_93:
	s_or_b32 exec_lo, exec_lo, s7
	v_mov_b32_e32 v27, 0
	s_waitcnt lgkmcnt(0)
	s_waitcnt_vscnt null, 0x0
	s_barrier
	buffer_gl0_inv
	v_cndmask_b32_e64 v29, v47, v46, s6
	ds_load_b32 v28, v27 offset:60
	v_cmp_ne_u32_e32 vcc_lo, 0, v0
	s_waitcnt lgkmcnt(0)
	s_barrier
	buffer_gl0_inv
	v_cndmask_b32_e32 v29, 0, v29, vcc_lo
	s_delay_alu instid0(VALU_DEP_1) | instskip(NEXT) | instid1(VALU_DEP_1)
	v_add_nc_u32_e32 v49, v28, v29
	v_add_nc_u32_e32 v48, v49, v36
	ds_load_b64 v[27:28], v27 offset:33792
	v_add_nc_u32_e32 v47, v48, v37
	s_delay_alu instid0(VALU_DEP_1) | instskip(NEXT) | instid1(VALU_DEP_1)
	v_add_nc_u32_e32 v46, v47, v38
	v_add_nc_u32_e32 v34, v46, v39
	s_delay_alu instid0(VALU_DEP_1) | instskip(NEXT) | instid1(VALU_DEP_1)
	v_add_nc_u32_e32 v33, v34, v40
	v_add_nc_u32_e32 v32, v33, v41
	s_delay_alu instid0(VALU_DEP_1)
	v_add_nc_u32_e32 v31, v32, v42
	v_lshrrev_b64 v[29:30], 24, v[25:26]
	s_branch .LBB1003_104
.LBB1003_94:
                                        ; implicit-def: $vgpr31
                                        ; implicit-def: $vgpr32
                                        ; implicit-def: $vgpr33
                                        ; implicit-def: $vgpr34
                                        ; implicit-def: $vgpr46
                                        ; implicit-def: $vgpr47
                                        ; implicit-def: $vgpr48
                                        ; implicit-def: $vgpr49
                                        ; implicit-def: $vgpr28
	v_lshrrev_b64 v[29:30], 24, v[25:26]
	s_and_b32 vcc_lo, exec_lo, s6
	s_cbranch_vccz .LBB1003_104
; %bb.95:
	s_waitcnt lgkmcnt(0)
	v_mov_b32_dpp v27, v45 row_shr:1 row_mask:0xf bank_mask:0xf
	s_delay_alu instid0(VALU_DEP_1) | instskip(NEXT) | instid1(VALU_DEP_1)
	v_cndmask_b32_e64 v27, v27, 0, s2
	v_add_nc_u32_e32 v27, v27, v45
	s_delay_alu instid0(VALU_DEP_1) | instskip(NEXT) | instid1(VALU_DEP_1)
	v_mov_b32_dpp v28, v27 row_shr:2 row_mask:0xf bank_mask:0xf
	v_cndmask_b32_e64 v28, 0, v28, s0
	s_delay_alu instid0(VALU_DEP_1) | instskip(NEXT) | instid1(VALU_DEP_1)
	v_add_nc_u32_e32 v27, v27, v28
	v_mov_b32_dpp v28, v27 row_shr:4 row_mask:0xf bank_mask:0xf
	s_delay_alu instid0(VALU_DEP_1) | instskip(NEXT) | instid1(VALU_DEP_1)
	v_cndmask_b32_e64 v28, 0, v28, s3
	v_add_nc_u32_e32 v27, v27, v28
	s_delay_alu instid0(VALU_DEP_1) | instskip(NEXT) | instid1(VALU_DEP_1)
	v_mov_b32_dpp v28, v27 row_shr:8 row_mask:0xf bank_mask:0xf
	v_cndmask_b32_e64 v28, 0, v28, s1
	s_delay_alu instid0(VALU_DEP_1) | instskip(SKIP_3) | instid1(VALU_DEP_1)
	v_add_nc_u32_e32 v27, v27, v28
	ds_swizzle_b32 v28, v27 offset:swizzle(BROADCAST,32,15)
	s_waitcnt lgkmcnt(0)
	v_cndmask_b32_e64 v28, v28, 0, s5
	v_add_nc_u32_e32 v27, v27, v28
	s_and_saveexec_b32 s5, s4
	s_cbranch_execz .LBB1003_97
; %bb.96:
	v_lshlrev_b32_e32 v28, 2, v44
	ds_store_b32 v28, v27
.LBB1003_97:
	s_or_b32 exec_lo, exec_lo, s5
	s_delay_alu instid0(SALU_CYCLE_1)
	s_mov_b32 s4, exec_lo
	s_waitcnt lgkmcnt(0)
	s_barrier
	buffer_gl0_inv
	v_cmpx_gt_u32_e32 16, v0
	s_cbranch_execz .LBB1003_99
; %bb.98:
	v_lshlrev_b32_e32 v28, 2, v0
	ds_load_b32 v30, v28
	s_waitcnt lgkmcnt(0)
	v_mov_b32_dpp v31, v30 row_shr:1 row_mask:0xf bank_mask:0xf
	s_delay_alu instid0(VALU_DEP_1) | instskip(NEXT) | instid1(VALU_DEP_1)
	v_cndmask_b32_e64 v31, v31, 0, s2
	v_add_nc_u32_e32 v30, v31, v30
	s_delay_alu instid0(VALU_DEP_1) | instskip(NEXT) | instid1(VALU_DEP_1)
	v_mov_b32_dpp v31, v30 row_shr:2 row_mask:0xf bank_mask:0xf
	v_cndmask_b32_e64 v31, 0, v31, s0
	s_delay_alu instid0(VALU_DEP_1) | instskip(NEXT) | instid1(VALU_DEP_1)
	v_add_nc_u32_e32 v30, v30, v31
	v_mov_b32_dpp v31, v30 row_shr:4 row_mask:0xf bank_mask:0xf
	s_delay_alu instid0(VALU_DEP_1) | instskip(NEXT) | instid1(VALU_DEP_1)
	v_cndmask_b32_e64 v31, 0, v31, s3
	v_add_nc_u32_e32 v30, v30, v31
	s_delay_alu instid0(VALU_DEP_1) | instskip(NEXT) | instid1(VALU_DEP_1)
	v_mov_b32_dpp v31, v30 row_shr:8 row_mask:0xf bank_mask:0xf
	v_cndmask_b32_e64 v31, 0, v31, s1
	s_delay_alu instid0(VALU_DEP_1)
	v_add_nc_u32_e32 v30, v30, v31
	ds_store_b32 v28, v30
.LBB1003_99:
	s_or_b32 exec_lo, exec_lo, s4
	v_mov_b32_e32 v28, 0
	v_mov_b32_e32 v30, 0
	s_mov_b32 s0, exec_lo
	s_waitcnt lgkmcnt(0)
	s_barrier
	buffer_gl0_inv
	v_cmpx_lt_u32_e32 31, v0
	s_cbranch_execz .LBB1003_101
; %bb.100:
	v_lshl_add_u32 v30, v44, 2, -4
	ds_load_b32 v30, v30
.LBB1003_101:
	s_or_b32 exec_lo, exec_lo, s0
	v_add_nc_u32_e32 v31, -1, v43
	s_waitcnt lgkmcnt(0)
	v_add_nc_u32_e32 v27, v30, v27
	s_delay_alu instid0(VALU_DEP_2) | instskip(SKIP_2) | instid1(VALU_DEP_2)
	v_cmp_gt_i32_e32 vcc_lo, 0, v31
	v_cndmask_b32_e32 v31, v31, v43, vcc_lo
	v_cmp_eq_u32_e32 vcc_lo, 0, v0
	v_lshlrev_b32_e32 v31, 2, v31
	ds_bpermute_b32 v31, v31, v27
	ds_load_b32 v27, v28 offset:60
	s_and_saveexec_b32 s0, vcc_lo
	s_cbranch_execz .LBB1003_103
; %bb.102:
	v_mov_b32_e32 v32, 0
	v_mov_b32_e32 v28, 2
	s_waitcnt lgkmcnt(0)
	global_store_b64 v32, v[27:28], s[8:9] offset:256
.LBB1003_103:
	s_or_b32 exec_lo, exec_lo, s0
	v_cmp_eq_u32_e64 s0, 0, v43
	s_waitcnt lgkmcnt(0)
	s_waitcnt_vscnt null, 0x0
	s_barrier
	buffer_gl0_inv
	v_cndmask_b32_e64 v28, v31, v30, s0
	s_delay_alu instid0(VALU_DEP_1) | instskip(SKIP_1) | instid1(VALU_DEP_2)
	v_cndmask_b32_e64 v49, v28, 0, vcc_lo
	v_mov_b32_e32 v28, 0
	v_add_nc_u32_e32 v48, v49, v36
	s_delay_alu instid0(VALU_DEP_1) | instskip(NEXT) | instid1(VALU_DEP_1)
	v_add_nc_u32_e32 v47, v48, v37
	v_add_nc_u32_e32 v46, v47, v38
	s_delay_alu instid0(VALU_DEP_1) | instskip(NEXT) | instid1(VALU_DEP_1)
	v_add_nc_u32_e32 v34, v46, v39
	v_add_nc_u32_e32 v33, v34, v40
	s_delay_alu instid0(VALU_DEP_1) | instskip(NEXT) | instid1(VALU_DEP_1)
	v_add_nc_u32_e32 v32, v33, v41
	v_add_nc_u32_e32 v31, v32, v42
.LBB1003_104:
	v_lshrrev_b32_e32 v38, 8, v25
	v_lshrrev_b32_e32 v37, 16, v25
	v_and_b32_e32 v25, 1, v25
	s_waitcnt lgkmcnt(0)
	v_cmp_gt_u32_e32 vcc_lo, 0x201, v27
	v_lshrrev_b32_e32 v36, 8, v26
	v_lshrrev_b32_e32 v30, 16, v26
	v_cmp_lt_u32_e64 s0, 0x200, v27
	v_cmp_eq_u32_e64 s1, 1, v25
	s_cbranch_vccnz .LBB1003_122
; %bb.105:
	s_delay_alu instid0(VALU_DEP_1)
	s_and_saveexec_b32 s2, s1
	s_cbranch_execz .LBB1003_107
; %bb.106:
	v_sub_nc_u32_e32 v39, v49, v28
	s_delay_alu instid0(VALU_DEP_1)
	v_lshlrev_b32_e32 v39, 3, v39
	ds_store_b64 v39, v[13:14]
.LBB1003_107:
	s_or_b32 exec_lo, exec_lo, s2
	v_and_b32_e32 v13, 1, v38
	s_mov_b32 s1, exec_lo
	s_delay_alu instid0(VALU_DEP_1)
	v_cmpx_eq_u32_e32 1, v13
	s_cbranch_execz .LBB1003_109
; %bb.108:
	v_sub_nc_u32_e32 v13, v48, v28
	s_delay_alu instid0(VALU_DEP_1)
	v_lshlrev_b32_e32 v13, 3, v13
	ds_store_b64 v13, v[15:16]
.LBB1003_109:
	s_or_b32 exec_lo, exec_lo, s1
	v_and_b32_e32 v13, 1, v37
	s_mov_b32 s1, exec_lo
	s_delay_alu instid0(VALU_DEP_1)
	v_cmpx_eq_u32_e32 1, v13
	;; [unrolled: 12-line block ×7, first 2 shown]
	s_cbranch_execz .LBB1003_121
; %bb.120:
	v_sub_nc_u32_e32 v1, v31, v28
	s_delay_alu instid0(VALU_DEP_1)
	v_lshlrev_b32_e32 v1, 3, v1
	ds_store_b64 v1, v[3:4]
.LBB1003_121:
	s_or_b32 exec_lo, exec_lo, s1
	s_waitcnt lgkmcnt(0)
	s_barrier
	buffer_gl0_inv
.LBB1003_122:
	s_delay_alu instid0(VALU_DEP_2)
	s_and_not1_b32 vcc_lo, exec_lo, s0
	s_barrier
	buffer_gl0_inv
	s_cbranch_vccnz .LBB1003_141
; %bb.123:
	s_mov_b32 s0, exec_lo
	v_cmpx_eq_u32_e32 1, v25
	s_cbranch_execz .LBB1003_125
; %bb.124:
	v_sub_nc_u32_e32 v1, v49, v28
	s_delay_alu instid0(VALU_DEP_1)
	v_lshlrev_b32_e32 v1, 2, v1
	ds_store_b32 v1, v23
.LBB1003_125:
	s_or_b32 exec_lo, exec_lo, s0
	v_and_b32_e32 v1, 1, v38
	s_mov_b32 s0, exec_lo
	s_delay_alu instid0(VALU_DEP_1)
	v_cmpx_eq_u32_e32 1, v1
	s_cbranch_execz .LBB1003_127
; %bb.126:
	v_sub_nc_u32_e32 v1, v48, v28
	s_delay_alu instid0(VALU_DEP_1)
	v_lshlrev_b32_e32 v1, 2, v1
	ds_store_b32 v1, v24
.LBB1003_127:
	s_or_b32 exec_lo, exec_lo, s0
	v_and_b32_e32 v1, 1, v37
	s_mov_b32 s0, exec_lo
	s_delay_alu instid0(VALU_DEP_1)
	;; [unrolled: 12-line block ×7, first 2 shown]
	v_cmpx_eq_u32_e32 1, v1
	s_cbranch_execz .LBB1003_139
; %bb.138:
	v_sub_nc_u32_e32 v1, v31, v28
	s_delay_alu instid0(VALU_DEP_1)
	v_lshlrev_b32_e32 v1, 2, v1
	ds_store_b32 v1, v18
.LBB1003_139:
	s_or_b32 exec_lo, exec_lo, s0
	s_waitcnt lgkmcnt(0)
	s_barrier
	buffer_gl0_inv
	v_cmp_eq_u32_e32 vcc_lo, 0, v0
	s_and_b32 s0, vcc_lo, s14
	s_delay_alu instid0(SALU_CYCLE_1)
	s_and_saveexec_b32 s1, s0
	s_cbranch_execnz .LBB1003_142
.LBB1003_140:
	s_endpgm
.LBB1003_141:
	v_cmp_eq_u32_e32 vcc_lo, 0, v0
	s_and_b32 s0, vcc_lo, s14
	s_delay_alu instid0(SALU_CYCLE_1)
	s_and_saveexec_b32 s1, s0
	s_cbranch_execz .LBB1003_140
.LBB1003_142:
	v_add_co_u32 v0, s0, s10, v27
	s_delay_alu instid0(VALU_DEP_1) | instskip(SKIP_1) | instid1(VALU_DEP_3)
	v_add_co_ci_u32_e64 v1, null, s11, 0, s0
	v_mov_b32_e32 v2, 0
	v_add_co_u32 v0, vcc_lo, v0, v28
	s_delay_alu instid0(VALU_DEP_3)
	v_add_co_ci_u32_e32 v1, vcc_lo, 0, v1, vcc_lo
	global_store_b64 v2, v[0:1], s[16:17]
	s_nop 0
	s_sendmsg sendmsg(MSG_DEALLOC_VGPRS)
	s_endpgm
	.section	.rodata,"a",@progbits
	.p2align	6, 0x0
	.amdhsa_kernel _ZN7rocprim17ROCPRIM_400000_NS6detail17trampoline_kernelINS0_14default_configENS1_25partition_config_selectorILNS1_17partition_subalgoE9ExjbEEZZNS1_14partition_implILS5_9ELb0ES3_jN6thrust23THRUST_200600_302600_NS6detail15normal_iteratorINS9_10device_ptrIxEEEENSB_INSC_IjEEEEPNS0_10empty_typeENS0_5tupleIJNS9_16discard_iteratorINS9_11use_defaultEEESH_EEENSJ_IJSM_SI_EEENS0_18inequality_wrapperINS9_8equal_toIxEEEEPmJSH_EEE10hipError_tPvRmT3_T4_T5_T6_T7_T9_mT8_P12ihipStream_tbDpT10_ENKUlT_T0_E_clISt17integral_constantIbLb1EES1C_IbLb0EEEEDaS18_S19_EUlS18_E_NS1_11comp_targetILNS1_3genE9ELNS1_11target_archE1100ELNS1_3gpuE3ELNS1_3repE0EEENS1_30default_config_static_selectorELNS0_4arch9wavefront6targetE0EEEvT1_
		.amdhsa_group_segment_fixed_size 33800
		.amdhsa_private_segment_fixed_size 0
		.amdhsa_kernarg_size 128
		.amdhsa_user_sgpr_count 15
		.amdhsa_user_sgpr_dispatch_ptr 0
		.amdhsa_user_sgpr_queue_ptr 0
		.amdhsa_user_sgpr_kernarg_segment_ptr 1
		.amdhsa_user_sgpr_dispatch_id 0
		.amdhsa_user_sgpr_private_segment_size 0
		.amdhsa_wavefront_size32 1
		.amdhsa_uses_dynamic_stack 0
		.amdhsa_enable_private_segment 0
		.amdhsa_system_sgpr_workgroup_id_x 1
		.amdhsa_system_sgpr_workgroup_id_y 0
		.amdhsa_system_sgpr_workgroup_id_z 0
		.amdhsa_system_sgpr_workgroup_info 0
		.amdhsa_system_vgpr_workitem_id 0
		.amdhsa_next_free_vgpr 59
		.amdhsa_next_free_sgpr 24
		.amdhsa_reserve_vcc 1
		.amdhsa_float_round_mode_32 0
		.amdhsa_float_round_mode_16_64 0
		.amdhsa_float_denorm_mode_32 3
		.amdhsa_float_denorm_mode_16_64 3
		.amdhsa_dx10_clamp 1
		.amdhsa_ieee_mode 1
		.amdhsa_fp16_overflow 0
		.amdhsa_workgroup_processor_mode 1
		.amdhsa_memory_ordered 1
		.amdhsa_forward_progress 0
		.amdhsa_shared_vgpr_count 0
		.amdhsa_exception_fp_ieee_invalid_op 0
		.amdhsa_exception_fp_denorm_src 0
		.amdhsa_exception_fp_ieee_div_zero 0
		.amdhsa_exception_fp_ieee_overflow 0
		.amdhsa_exception_fp_ieee_underflow 0
		.amdhsa_exception_fp_ieee_inexact 0
		.amdhsa_exception_int_div_zero 0
	.end_amdhsa_kernel
	.section	.text._ZN7rocprim17ROCPRIM_400000_NS6detail17trampoline_kernelINS0_14default_configENS1_25partition_config_selectorILNS1_17partition_subalgoE9ExjbEEZZNS1_14partition_implILS5_9ELb0ES3_jN6thrust23THRUST_200600_302600_NS6detail15normal_iteratorINS9_10device_ptrIxEEEENSB_INSC_IjEEEEPNS0_10empty_typeENS0_5tupleIJNS9_16discard_iteratorINS9_11use_defaultEEESH_EEENSJ_IJSM_SI_EEENS0_18inequality_wrapperINS9_8equal_toIxEEEEPmJSH_EEE10hipError_tPvRmT3_T4_T5_T6_T7_T9_mT8_P12ihipStream_tbDpT10_ENKUlT_T0_E_clISt17integral_constantIbLb1EES1C_IbLb0EEEEDaS18_S19_EUlS18_E_NS1_11comp_targetILNS1_3genE9ELNS1_11target_archE1100ELNS1_3gpuE3ELNS1_3repE0EEENS1_30default_config_static_selectorELNS0_4arch9wavefront6targetE0EEEvT1_,"axG",@progbits,_ZN7rocprim17ROCPRIM_400000_NS6detail17trampoline_kernelINS0_14default_configENS1_25partition_config_selectorILNS1_17partition_subalgoE9ExjbEEZZNS1_14partition_implILS5_9ELb0ES3_jN6thrust23THRUST_200600_302600_NS6detail15normal_iteratorINS9_10device_ptrIxEEEENSB_INSC_IjEEEEPNS0_10empty_typeENS0_5tupleIJNS9_16discard_iteratorINS9_11use_defaultEEESH_EEENSJ_IJSM_SI_EEENS0_18inequality_wrapperINS9_8equal_toIxEEEEPmJSH_EEE10hipError_tPvRmT3_T4_T5_T6_T7_T9_mT8_P12ihipStream_tbDpT10_ENKUlT_T0_E_clISt17integral_constantIbLb1EES1C_IbLb0EEEEDaS18_S19_EUlS18_E_NS1_11comp_targetILNS1_3genE9ELNS1_11target_archE1100ELNS1_3gpuE3ELNS1_3repE0EEENS1_30default_config_static_selectorELNS0_4arch9wavefront6targetE0EEEvT1_,comdat
.Lfunc_end1003:
	.size	_ZN7rocprim17ROCPRIM_400000_NS6detail17trampoline_kernelINS0_14default_configENS1_25partition_config_selectorILNS1_17partition_subalgoE9ExjbEEZZNS1_14partition_implILS5_9ELb0ES3_jN6thrust23THRUST_200600_302600_NS6detail15normal_iteratorINS9_10device_ptrIxEEEENSB_INSC_IjEEEEPNS0_10empty_typeENS0_5tupleIJNS9_16discard_iteratorINS9_11use_defaultEEESH_EEENSJ_IJSM_SI_EEENS0_18inequality_wrapperINS9_8equal_toIxEEEEPmJSH_EEE10hipError_tPvRmT3_T4_T5_T6_T7_T9_mT8_P12ihipStream_tbDpT10_ENKUlT_T0_E_clISt17integral_constantIbLb1EES1C_IbLb0EEEEDaS18_S19_EUlS18_E_NS1_11comp_targetILNS1_3genE9ELNS1_11target_archE1100ELNS1_3gpuE3ELNS1_3repE0EEENS1_30default_config_static_selectorELNS0_4arch9wavefront6targetE0EEEvT1_, .Lfunc_end1003-_ZN7rocprim17ROCPRIM_400000_NS6detail17trampoline_kernelINS0_14default_configENS1_25partition_config_selectorILNS1_17partition_subalgoE9ExjbEEZZNS1_14partition_implILS5_9ELb0ES3_jN6thrust23THRUST_200600_302600_NS6detail15normal_iteratorINS9_10device_ptrIxEEEENSB_INSC_IjEEEEPNS0_10empty_typeENS0_5tupleIJNS9_16discard_iteratorINS9_11use_defaultEEESH_EEENSJ_IJSM_SI_EEENS0_18inequality_wrapperINS9_8equal_toIxEEEEPmJSH_EEE10hipError_tPvRmT3_T4_T5_T6_T7_T9_mT8_P12ihipStream_tbDpT10_ENKUlT_T0_E_clISt17integral_constantIbLb1EES1C_IbLb0EEEEDaS18_S19_EUlS18_E_NS1_11comp_targetILNS1_3genE9ELNS1_11target_archE1100ELNS1_3gpuE3ELNS1_3repE0EEENS1_30default_config_static_selectorELNS0_4arch9wavefront6targetE0EEEvT1_
                                        ; -- End function
	.section	.AMDGPU.csdata,"",@progbits
; Kernel info:
; codeLenInByte = 7652
; NumSgprs: 26
; NumVgprs: 59
; ScratchSize: 0
; MemoryBound: 0
; FloatMode: 240
; IeeeMode: 1
; LDSByteSize: 33800 bytes/workgroup (compile time only)
; SGPRBlocks: 3
; VGPRBlocks: 7
; NumSGPRsForWavesPerEU: 26
; NumVGPRsForWavesPerEU: 59
; Occupancy: 12
; WaveLimiterHint : 1
; COMPUTE_PGM_RSRC2:SCRATCH_EN: 0
; COMPUTE_PGM_RSRC2:USER_SGPR: 15
; COMPUTE_PGM_RSRC2:TRAP_HANDLER: 0
; COMPUTE_PGM_RSRC2:TGID_X_EN: 1
; COMPUTE_PGM_RSRC2:TGID_Y_EN: 0
; COMPUTE_PGM_RSRC2:TGID_Z_EN: 0
; COMPUTE_PGM_RSRC2:TIDIG_COMP_CNT: 0
	.section	.text._ZN7rocprim17ROCPRIM_400000_NS6detail17trampoline_kernelINS0_14default_configENS1_25partition_config_selectorILNS1_17partition_subalgoE9ExjbEEZZNS1_14partition_implILS5_9ELb0ES3_jN6thrust23THRUST_200600_302600_NS6detail15normal_iteratorINS9_10device_ptrIxEEEENSB_INSC_IjEEEEPNS0_10empty_typeENS0_5tupleIJNS9_16discard_iteratorINS9_11use_defaultEEESH_EEENSJ_IJSM_SI_EEENS0_18inequality_wrapperINS9_8equal_toIxEEEEPmJSH_EEE10hipError_tPvRmT3_T4_T5_T6_T7_T9_mT8_P12ihipStream_tbDpT10_ENKUlT_T0_E_clISt17integral_constantIbLb1EES1C_IbLb0EEEEDaS18_S19_EUlS18_E_NS1_11comp_targetILNS1_3genE8ELNS1_11target_archE1030ELNS1_3gpuE2ELNS1_3repE0EEENS1_30default_config_static_selectorELNS0_4arch9wavefront6targetE0EEEvT1_,"axG",@progbits,_ZN7rocprim17ROCPRIM_400000_NS6detail17trampoline_kernelINS0_14default_configENS1_25partition_config_selectorILNS1_17partition_subalgoE9ExjbEEZZNS1_14partition_implILS5_9ELb0ES3_jN6thrust23THRUST_200600_302600_NS6detail15normal_iteratorINS9_10device_ptrIxEEEENSB_INSC_IjEEEEPNS0_10empty_typeENS0_5tupleIJNS9_16discard_iteratorINS9_11use_defaultEEESH_EEENSJ_IJSM_SI_EEENS0_18inequality_wrapperINS9_8equal_toIxEEEEPmJSH_EEE10hipError_tPvRmT3_T4_T5_T6_T7_T9_mT8_P12ihipStream_tbDpT10_ENKUlT_T0_E_clISt17integral_constantIbLb1EES1C_IbLb0EEEEDaS18_S19_EUlS18_E_NS1_11comp_targetILNS1_3genE8ELNS1_11target_archE1030ELNS1_3gpuE2ELNS1_3repE0EEENS1_30default_config_static_selectorELNS0_4arch9wavefront6targetE0EEEvT1_,comdat
	.protected	_ZN7rocprim17ROCPRIM_400000_NS6detail17trampoline_kernelINS0_14default_configENS1_25partition_config_selectorILNS1_17partition_subalgoE9ExjbEEZZNS1_14partition_implILS5_9ELb0ES3_jN6thrust23THRUST_200600_302600_NS6detail15normal_iteratorINS9_10device_ptrIxEEEENSB_INSC_IjEEEEPNS0_10empty_typeENS0_5tupleIJNS9_16discard_iteratorINS9_11use_defaultEEESH_EEENSJ_IJSM_SI_EEENS0_18inequality_wrapperINS9_8equal_toIxEEEEPmJSH_EEE10hipError_tPvRmT3_T4_T5_T6_T7_T9_mT8_P12ihipStream_tbDpT10_ENKUlT_T0_E_clISt17integral_constantIbLb1EES1C_IbLb0EEEEDaS18_S19_EUlS18_E_NS1_11comp_targetILNS1_3genE8ELNS1_11target_archE1030ELNS1_3gpuE2ELNS1_3repE0EEENS1_30default_config_static_selectorELNS0_4arch9wavefront6targetE0EEEvT1_ ; -- Begin function _ZN7rocprim17ROCPRIM_400000_NS6detail17trampoline_kernelINS0_14default_configENS1_25partition_config_selectorILNS1_17partition_subalgoE9ExjbEEZZNS1_14partition_implILS5_9ELb0ES3_jN6thrust23THRUST_200600_302600_NS6detail15normal_iteratorINS9_10device_ptrIxEEEENSB_INSC_IjEEEEPNS0_10empty_typeENS0_5tupleIJNS9_16discard_iteratorINS9_11use_defaultEEESH_EEENSJ_IJSM_SI_EEENS0_18inequality_wrapperINS9_8equal_toIxEEEEPmJSH_EEE10hipError_tPvRmT3_T4_T5_T6_T7_T9_mT8_P12ihipStream_tbDpT10_ENKUlT_T0_E_clISt17integral_constantIbLb1EES1C_IbLb0EEEEDaS18_S19_EUlS18_E_NS1_11comp_targetILNS1_3genE8ELNS1_11target_archE1030ELNS1_3gpuE2ELNS1_3repE0EEENS1_30default_config_static_selectorELNS0_4arch9wavefront6targetE0EEEvT1_
	.globl	_ZN7rocprim17ROCPRIM_400000_NS6detail17trampoline_kernelINS0_14default_configENS1_25partition_config_selectorILNS1_17partition_subalgoE9ExjbEEZZNS1_14partition_implILS5_9ELb0ES3_jN6thrust23THRUST_200600_302600_NS6detail15normal_iteratorINS9_10device_ptrIxEEEENSB_INSC_IjEEEEPNS0_10empty_typeENS0_5tupleIJNS9_16discard_iteratorINS9_11use_defaultEEESH_EEENSJ_IJSM_SI_EEENS0_18inequality_wrapperINS9_8equal_toIxEEEEPmJSH_EEE10hipError_tPvRmT3_T4_T5_T6_T7_T9_mT8_P12ihipStream_tbDpT10_ENKUlT_T0_E_clISt17integral_constantIbLb1EES1C_IbLb0EEEEDaS18_S19_EUlS18_E_NS1_11comp_targetILNS1_3genE8ELNS1_11target_archE1030ELNS1_3gpuE2ELNS1_3repE0EEENS1_30default_config_static_selectorELNS0_4arch9wavefront6targetE0EEEvT1_
	.p2align	8
	.type	_ZN7rocprim17ROCPRIM_400000_NS6detail17trampoline_kernelINS0_14default_configENS1_25partition_config_selectorILNS1_17partition_subalgoE9ExjbEEZZNS1_14partition_implILS5_9ELb0ES3_jN6thrust23THRUST_200600_302600_NS6detail15normal_iteratorINS9_10device_ptrIxEEEENSB_INSC_IjEEEEPNS0_10empty_typeENS0_5tupleIJNS9_16discard_iteratorINS9_11use_defaultEEESH_EEENSJ_IJSM_SI_EEENS0_18inequality_wrapperINS9_8equal_toIxEEEEPmJSH_EEE10hipError_tPvRmT3_T4_T5_T6_T7_T9_mT8_P12ihipStream_tbDpT10_ENKUlT_T0_E_clISt17integral_constantIbLb1EES1C_IbLb0EEEEDaS18_S19_EUlS18_E_NS1_11comp_targetILNS1_3genE8ELNS1_11target_archE1030ELNS1_3gpuE2ELNS1_3repE0EEENS1_30default_config_static_selectorELNS0_4arch9wavefront6targetE0EEEvT1_,@function
_ZN7rocprim17ROCPRIM_400000_NS6detail17trampoline_kernelINS0_14default_configENS1_25partition_config_selectorILNS1_17partition_subalgoE9ExjbEEZZNS1_14partition_implILS5_9ELb0ES3_jN6thrust23THRUST_200600_302600_NS6detail15normal_iteratorINS9_10device_ptrIxEEEENSB_INSC_IjEEEEPNS0_10empty_typeENS0_5tupleIJNS9_16discard_iteratorINS9_11use_defaultEEESH_EEENSJ_IJSM_SI_EEENS0_18inequality_wrapperINS9_8equal_toIxEEEEPmJSH_EEE10hipError_tPvRmT3_T4_T5_T6_T7_T9_mT8_P12ihipStream_tbDpT10_ENKUlT_T0_E_clISt17integral_constantIbLb1EES1C_IbLb0EEEEDaS18_S19_EUlS18_E_NS1_11comp_targetILNS1_3genE8ELNS1_11target_archE1030ELNS1_3gpuE2ELNS1_3repE0EEENS1_30default_config_static_selectorELNS0_4arch9wavefront6targetE0EEEvT1_: ; @_ZN7rocprim17ROCPRIM_400000_NS6detail17trampoline_kernelINS0_14default_configENS1_25partition_config_selectorILNS1_17partition_subalgoE9ExjbEEZZNS1_14partition_implILS5_9ELb0ES3_jN6thrust23THRUST_200600_302600_NS6detail15normal_iteratorINS9_10device_ptrIxEEEENSB_INSC_IjEEEEPNS0_10empty_typeENS0_5tupleIJNS9_16discard_iteratorINS9_11use_defaultEEESH_EEENSJ_IJSM_SI_EEENS0_18inequality_wrapperINS9_8equal_toIxEEEEPmJSH_EEE10hipError_tPvRmT3_T4_T5_T6_T7_T9_mT8_P12ihipStream_tbDpT10_ENKUlT_T0_E_clISt17integral_constantIbLb1EES1C_IbLb0EEEEDaS18_S19_EUlS18_E_NS1_11comp_targetILNS1_3genE8ELNS1_11target_archE1030ELNS1_3gpuE2ELNS1_3repE0EEENS1_30default_config_static_selectorELNS0_4arch9wavefront6targetE0EEEvT1_
; %bb.0:
	.section	.rodata,"a",@progbits
	.p2align	6, 0x0
	.amdhsa_kernel _ZN7rocprim17ROCPRIM_400000_NS6detail17trampoline_kernelINS0_14default_configENS1_25partition_config_selectorILNS1_17partition_subalgoE9ExjbEEZZNS1_14partition_implILS5_9ELb0ES3_jN6thrust23THRUST_200600_302600_NS6detail15normal_iteratorINS9_10device_ptrIxEEEENSB_INSC_IjEEEEPNS0_10empty_typeENS0_5tupleIJNS9_16discard_iteratorINS9_11use_defaultEEESH_EEENSJ_IJSM_SI_EEENS0_18inequality_wrapperINS9_8equal_toIxEEEEPmJSH_EEE10hipError_tPvRmT3_T4_T5_T6_T7_T9_mT8_P12ihipStream_tbDpT10_ENKUlT_T0_E_clISt17integral_constantIbLb1EES1C_IbLb0EEEEDaS18_S19_EUlS18_E_NS1_11comp_targetILNS1_3genE8ELNS1_11target_archE1030ELNS1_3gpuE2ELNS1_3repE0EEENS1_30default_config_static_selectorELNS0_4arch9wavefront6targetE0EEEvT1_
		.amdhsa_group_segment_fixed_size 0
		.amdhsa_private_segment_fixed_size 0
		.amdhsa_kernarg_size 128
		.amdhsa_user_sgpr_count 15
		.amdhsa_user_sgpr_dispatch_ptr 0
		.amdhsa_user_sgpr_queue_ptr 0
		.amdhsa_user_sgpr_kernarg_segment_ptr 1
		.amdhsa_user_sgpr_dispatch_id 0
		.amdhsa_user_sgpr_private_segment_size 0
		.amdhsa_wavefront_size32 1
		.amdhsa_uses_dynamic_stack 0
		.amdhsa_enable_private_segment 0
		.amdhsa_system_sgpr_workgroup_id_x 1
		.amdhsa_system_sgpr_workgroup_id_y 0
		.amdhsa_system_sgpr_workgroup_id_z 0
		.amdhsa_system_sgpr_workgroup_info 0
		.amdhsa_system_vgpr_workitem_id 0
		.amdhsa_next_free_vgpr 1
		.amdhsa_next_free_sgpr 1
		.amdhsa_reserve_vcc 0
		.amdhsa_float_round_mode_32 0
		.amdhsa_float_round_mode_16_64 0
		.amdhsa_float_denorm_mode_32 3
		.amdhsa_float_denorm_mode_16_64 3
		.amdhsa_dx10_clamp 1
		.amdhsa_ieee_mode 1
		.amdhsa_fp16_overflow 0
		.amdhsa_workgroup_processor_mode 1
		.amdhsa_memory_ordered 1
		.amdhsa_forward_progress 0
		.amdhsa_shared_vgpr_count 0
		.amdhsa_exception_fp_ieee_invalid_op 0
		.amdhsa_exception_fp_denorm_src 0
		.amdhsa_exception_fp_ieee_div_zero 0
		.amdhsa_exception_fp_ieee_overflow 0
		.amdhsa_exception_fp_ieee_underflow 0
		.amdhsa_exception_fp_ieee_inexact 0
		.amdhsa_exception_int_div_zero 0
	.end_amdhsa_kernel
	.section	.text._ZN7rocprim17ROCPRIM_400000_NS6detail17trampoline_kernelINS0_14default_configENS1_25partition_config_selectorILNS1_17partition_subalgoE9ExjbEEZZNS1_14partition_implILS5_9ELb0ES3_jN6thrust23THRUST_200600_302600_NS6detail15normal_iteratorINS9_10device_ptrIxEEEENSB_INSC_IjEEEEPNS0_10empty_typeENS0_5tupleIJNS9_16discard_iteratorINS9_11use_defaultEEESH_EEENSJ_IJSM_SI_EEENS0_18inequality_wrapperINS9_8equal_toIxEEEEPmJSH_EEE10hipError_tPvRmT3_T4_T5_T6_T7_T9_mT8_P12ihipStream_tbDpT10_ENKUlT_T0_E_clISt17integral_constantIbLb1EES1C_IbLb0EEEEDaS18_S19_EUlS18_E_NS1_11comp_targetILNS1_3genE8ELNS1_11target_archE1030ELNS1_3gpuE2ELNS1_3repE0EEENS1_30default_config_static_selectorELNS0_4arch9wavefront6targetE0EEEvT1_,"axG",@progbits,_ZN7rocprim17ROCPRIM_400000_NS6detail17trampoline_kernelINS0_14default_configENS1_25partition_config_selectorILNS1_17partition_subalgoE9ExjbEEZZNS1_14partition_implILS5_9ELb0ES3_jN6thrust23THRUST_200600_302600_NS6detail15normal_iteratorINS9_10device_ptrIxEEEENSB_INSC_IjEEEEPNS0_10empty_typeENS0_5tupleIJNS9_16discard_iteratorINS9_11use_defaultEEESH_EEENSJ_IJSM_SI_EEENS0_18inequality_wrapperINS9_8equal_toIxEEEEPmJSH_EEE10hipError_tPvRmT3_T4_T5_T6_T7_T9_mT8_P12ihipStream_tbDpT10_ENKUlT_T0_E_clISt17integral_constantIbLb1EES1C_IbLb0EEEEDaS18_S19_EUlS18_E_NS1_11comp_targetILNS1_3genE8ELNS1_11target_archE1030ELNS1_3gpuE2ELNS1_3repE0EEENS1_30default_config_static_selectorELNS0_4arch9wavefront6targetE0EEEvT1_,comdat
.Lfunc_end1004:
	.size	_ZN7rocprim17ROCPRIM_400000_NS6detail17trampoline_kernelINS0_14default_configENS1_25partition_config_selectorILNS1_17partition_subalgoE9ExjbEEZZNS1_14partition_implILS5_9ELb0ES3_jN6thrust23THRUST_200600_302600_NS6detail15normal_iteratorINS9_10device_ptrIxEEEENSB_INSC_IjEEEEPNS0_10empty_typeENS0_5tupleIJNS9_16discard_iteratorINS9_11use_defaultEEESH_EEENSJ_IJSM_SI_EEENS0_18inequality_wrapperINS9_8equal_toIxEEEEPmJSH_EEE10hipError_tPvRmT3_T4_T5_T6_T7_T9_mT8_P12ihipStream_tbDpT10_ENKUlT_T0_E_clISt17integral_constantIbLb1EES1C_IbLb0EEEEDaS18_S19_EUlS18_E_NS1_11comp_targetILNS1_3genE8ELNS1_11target_archE1030ELNS1_3gpuE2ELNS1_3repE0EEENS1_30default_config_static_selectorELNS0_4arch9wavefront6targetE0EEEvT1_, .Lfunc_end1004-_ZN7rocprim17ROCPRIM_400000_NS6detail17trampoline_kernelINS0_14default_configENS1_25partition_config_selectorILNS1_17partition_subalgoE9ExjbEEZZNS1_14partition_implILS5_9ELb0ES3_jN6thrust23THRUST_200600_302600_NS6detail15normal_iteratorINS9_10device_ptrIxEEEENSB_INSC_IjEEEEPNS0_10empty_typeENS0_5tupleIJNS9_16discard_iteratorINS9_11use_defaultEEESH_EEENSJ_IJSM_SI_EEENS0_18inequality_wrapperINS9_8equal_toIxEEEEPmJSH_EEE10hipError_tPvRmT3_T4_T5_T6_T7_T9_mT8_P12ihipStream_tbDpT10_ENKUlT_T0_E_clISt17integral_constantIbLb1EES1C_IbLb0EEEEDaS18_S19_EUlS18_E_NS1_11comp_targetILNS1_3genE8ELNS1_11target_archE1030ELNS1_3gpuE2ELNS1_3repE0EEENS1_30default_config_static_selectorELNS0_4arch9wavefront6targetE0EEEvT1_
                                        ; -- End function
	.section	.AMDGPU.csdata,"",@progbits
; Kernel info:
; codeLenInByte = 0
; NumSgprs: 0
; NumVgprs: 0
; ScratchSize: 0
; MemoryBound: 0
; FloatMode: 240
; IeeeMode: 1
; LDSByteSize: 0 bytes/workgroup (compile time only)
; SGPRBlocks: 0
; VGPRBlocks: 0
; NumSGPRsForWavesPerEU: 1
; NumVGPRsForWavesPerEU: 1
; Occupancy: 16
; WaveLimiterHint : 0
; COMPUTE_PGM_RSRC2:SCRATCH_EN: 0
; COMPUTE_PGM_RSRC2:USER_SGPR: 15
; COMPUTE_PGM_RSRC2:TRAP_HANDLER: 0
; COMPUTE_PGM_RSRC2:TGID_X_EN: 1
; COMPUTE_PGM_RSRC2:TGID_Y_EN: 0
; COMPUTE_PGM_RSRC2:TGID_Z_EN: 0
; COMPUTE_PGM_RSRC2:TIDIG_COMP_CNT: 0
	.section	.text._ZN7rocprim17ROCPRIM_400000_NS6detail17trampoline_kernelINS0_14default_configENS1_25partition_config_selectorILNS1_17partition_subalgoE9ExjbEEZZNS1_14partition_implILS5_9ELb0ES3_jN6thrust23THRUST_200600_302600_NS6detail15normal_iteratorINS9_10device_ptrIxEEEENSB_INSC_IjEEEEPNS0_10empty_typeENS0_5tupleIJNS9_16discard_iteratorINS9_11use_defaultEEESH_EEENSJ_IJSM_SI_EEENS0_18inequality_wrapperINS9_8equal_toIxEEEEPmJSH_EEE10hipError_tPvRmT3_T4_T5_T6_T7_T9_mT8_P12ihipStream_tbDpT10_ENKUlT_T0_E_clISt17integral_constantIbLb0EES1C_IbLb1EEEEDaS18_S19_EUlS18_E_NS1_11comp_targetILNS1_3genE0ELNS1_11target_archE4294967295ELNS1_3gpuE0ELNS1_3repE0EEENS1_30default_config_static_selectorELNS0_4arch9wavefront6targetE0EEEvT1_,"axG",@progbits,_ZN7rocprim17ROCPRIM_400000_NS6detail17trampoline_kernelINS0_14default_configENS1_25partition_config_selectorILNS1_17partition_subalgoE9ExjbEEZZNS1_14partition_implILS5_9ELb0ES3_jN6thrust23THRUST_200600_302600_NS6detail15normal_iteratorINS9_10device_ptrIxEEEENSB_INSC_IjEEEEPNS0_10empty_typeENS0_5tupleIJNS9_16discard_iteratorINS9_11use_defaultEEESH_EEENSJ_IJSM_SI_EEENS0_18inequality_wrapperINS9_8equal_toIxEEEEPmJSH_EEE10hipError_tPvRmT3_T4_T5_T6_T7_T9_mT8_P12ihipStream_tbDpT10_ENKUlT_T0_E_clISt17integral_constantIbLb0EES1C_IbLb1EEEEDaS18_S19_EUlS18_E_NS1_11comp_targetILNS1_3genE0ELNS1_11target_archE4294967295ELNS1_3gpuE0ELNS1_3repE0EEENS1_30default_config_static_selectorELNS0_4arch9wavefront6targetE0EEEvT1_,comdat
	.protected	_ZN7rocprim17ROCPRIM_400000_NS6detail17trampoline_kernelINS0_14default_configENS1_25partition_config_selectorILNS1_17partition_subalgoE9ExjbEEZZNS1_14partition_implILS5_9ELb0ES3_jN6thrust23THRUST_200600_302600_NS6detail15normal_iteratorINS9_10device_ptrIxEEEENSB_INSC_IjEEEEPNS0_10empty_typeENS0_5tupleIJNS9_16discard_iteratorINS9_11use_defaultEEESH_EEENSJ_IJSM_SI_EEENS0_18inequality_wrapperINS9_8equal_toIxEEEEPmJSH_EEE10hipError_tPvRmT3_T4_T5_T6_T7_T9_mT8_P12ihipStream_tbDpT10_ENKUlT_T0_E_clISt17integral_constantIbLb0EES1C_IbLb1EEEEDaS18_S19_EUlS18_E_NS1_11comp_targetILNS1_3genE0ELNS1_11target_archE4294967295ELNS1_3gpuE0ELNS1_3repE0EEENS1_30default_config_static_selectorELNS0_4arch9wavefront6targetE0EEEvT1_ ; -- Begin function _ZN7rocprim17ROCPRIM_400000_NS6detail17trampoline_kernelINS0_14default_configENS1_25partition_config_selectorILNS1_17partition_subalgoE9ExjbEEZZNS1_14partition_implILS5_9ELb0ES3_jN6thrust23THRUST_200600_302600_NS6detail15normal_iteratorINS9_10device_ptrIxEEEENSB_INSC_IjEEEEPNS0_10empty_typeENS0_5tupleIJNS9_16discard_iteratorINS9_11use_defaultEEESH_EEENSJ_IJSM_SI_EEENS0_18inequality_wrapperINS9_8equal_toIxEEEEPmJSH_EEE10hipError_tPvRmT3_T4_T5_T6_T7_T9_mT8_P12ihipStream_tbDpT10_ENKUlT_T0_E_clISt17integral_constantIbLb0EES1C_IbLb1EEEEDaS18_S19_EUlS18_E_NS1_11comp_targetILNS1_3genE0ELNS1_11target_archE4294967295ELNS1_3gpuE0ELNS1_3repE0EEENS1_30default_config_static_selectorELNS0_4arch9wavefront6targetE0EEEvT1_
	.globl	_ZN7rocprim17ROCPRIM_400000_NS6detail17trampoline_kernelINS0_14default_configENS1_25partition_config_selectorILNS1_17partition_subalgoE9ExjbEEZZNS1_14partition_implILS5_9ELb0ES3_jN6thrust23THRUST_200600_302600_NS6detail15normal_iteratorINS9_10device_ptrIxEEEENSB_INSC_IjEEEEPNS0_10empty_typeENS0_5tupleIJNS9_16discard_iteratorINS9_11use_defaultEEESH_EEENSJ_IJSM_SI_EEENS0_18inequality_wrapperINS9_8equal_toIxEEEEPmJSH_EEE10hipError_tPvRmT3_T4_T5_T6_T7_T9_mT8_P12ihipStream_tbDpT10_ENKUlT_T0_E_clISt17integral_constantIbLb0EES1C_IbLb1EEEEDaS18_S19_EUlS18_E_NS1_11comp_targetILNS1_3genE0ELNS1_11target_archE4294967295ELNS1_3gpuE0ELNS1_3repE0EEENS1_30default_config_static_selectorELNS0_4arch9wavefront6targetE0EEEvT1_
	.p2align	8
	.type	_ZN7rocprim17ROCPRIM_400000_NS6detail17trampoline_kernelINS0_14default_configENS1_25partition_config_selectorILNS1_17partition_subalgoE9ExjbEEZZNS1_14partition_implILS5_9ELb0ES3_jN6thrust23THRUST_200600_302600_NS6detail15normal_iteratorINS9_10device_ptrIxEEEENSB_INSC_IjEEEEPNS0_10empty_typeENS0_5tupleIJNS9_16discard_iteratorINS9_11use_defaultEEESH_EEENSJ_IJSM_SI_EEENS0_18inequality_wrapperINS9_8equal_toIxEEEEPmJSH_EEE10hipError_tPvRmT3_T4_T5_T6_T7_T9_mT8_P12ihipStream_tbDpT10_ENKUlT_T0_E_clISt17integral_constantIbLb0EES1C_IbLb1EEEEDaS18_S19_EUlS18_E_NS1_11comp_targetILNS1_3genE0ELNS1_11target_archE4294967295ELNS1_3gpuE0ELNS1_3repE0EEENS1_30default_config_static_selectorELNS0_4arch9wavefront6targetE0EEEvT1_,@function
_ZN7rocprim17ROCPRIM_400000_NS6detail17trampoline_kernelINS0_14default_configENS1_25partition_config_selectorILNS1_17partition_subalgoE9ExjbEEZZNS1_14partition_implILS5_9ELb0ES3_jN6thrust23THRUST_200600_302600_NS6detail15normal_iteratorINS9_10device_ptrIxEEEENSB_INSC_IjEEEEPNS0_10empty_typeENS0_5tupleIJNS9_16discard_iteratorINS9_11use_defaultEEESH_EEENSJ_IJSM_SI_EEENS0_18inequality_wrapperINS9_8equal_toIxEEEEPmJSH_EEE10hipError_tPvRmT3_T4_T5_T6_T7_T9_mT8_P12ihipStream_tbDpT10_ENKUlT_T0_E_clISt17integral_constantIbLb0EES1C_IbLb1EEEEDaS18_S19_EUlS18_E_NS1_11comp_targetILNS1_3genE0ELNS1_11target_archE4294967295ELNS1_3gpuE0ELNS1_3repE0EEENS1_30default_config_static_selectorELNS0_4arch9wavefront6targetE0EEEvT1_: ; @_ZN7rocprim17ROCPRIM_400000_NS6detail17trampoline_kernelINS0_14default_configENS1_25partition_config_selectorILNS1_17partition_subalgoE9ExjbEEZZNS1_14partition_implILS5_9ELb0ES3_jN6thrust23THRUST_200600_302600_NS6detail15normal_iteratorINS9_10device_ptrIxEEEENSB_INSC_IjEEEEPNS0_10empty_typeENS0_5tupleIJNS9_16discard_iteratorINS9_11use_defaultEEESH_EEENSJ_IJSM_SI_EEENS0_18inequality_wrapperINS9_8equal_toIxEEEEPmJSH_EEE10hipError_tPvRmT3_T4_T5_T6_T7_T9_mT8_P12ihipStream_tbDpT10_ENKUlT_T0_E_clISt17integral_constantIbLb0EES1C_IbLb1EEEEDaS18_S19_EUlS18_E_NS1_11comp_targetILNS1_3genE0ELNS1_11target_archE4294967295ELNS1_3gpuE0ELNS1_3repE0EEENS1_30default_config_static_selectorELNS0_4arch9wavefront6targetE0EEEvT1_
; %bb.0:
	.section	.rodata,"a",@progbits
	.p2align	6, 0x0
	.amdhsa_kernel _ZN7rocprim17ROCPRIM_400000_NS6detail17trampoline_kernelINS0_14default_configENS1_25partition_config_selectorILNS1_17partition_subalgoE9ExjbEEZZNS1_14partition_implILS5_9ELb0ES3_jN6thrust23THRUST_200600_302600_NS6detail15normal_iteratorINS9_10device_ptrIxEEEENSB_INSC_IjEEEEPNS0_10empty_typeENS0_5tupleIJNS9_16discard_iteratorINS9_11use_defaultEEESH_EEENSJ_IJSM_SI_EEENS0_18inequality_wrapperINS9_8equal_toIxEEEEPmJSH_EEE10hipError_tPvRmT3_T4_T5_T6_T7_T9_mT8_P12ihipStream_tbDpT10_ENKUlT_T0_E_clISt17integral_constantIbLb0EES1C_IbLb1EEEEDaS18_S19_EUlS18_E_NS1_11comp_targetILNS1_3genE0ELNS1_11target_archE4294967295ELNS1_3gpuE0ELNS1_3repE0EEENS1_30default_config_static_selectorELNS0_4arch9wavefront6targetE0EEEvT1_
		.amdhsa_group_segment_fixed_size 0
		.amdhsa_private_segment_fixed_size 0
		.amdhsa_kernarg_size 144
		.amdhsa_user_sgpr_count 15
		.amdhsa_user_sgpr_dispatch_ptr 0
		.amdhsa_user_sgpr_queue_ptr 0
		.amdhsa_user_sgpr_kernarg_segment_ptr 1
		.amdhsa_user_sgpr_dispatch_id 0
		.amdhsa_user_sgpr_private_segment_size 0
		.amdhsa_wavefront_size32 1
		.amdhsa_uses_dynamic_stack 0
		.amdhsa_enable_private_segment 0
		.amdhsa_system_sgpr_workgroup_id_x 1
		.amdhsa_system_sgpr_workgroup_id_y 0
		.amdhsa_system_sgpr_workgroup_id_z 0
		.amdhsa_system_sgpr_workgroup_info 0
		.amdhsa_system_vgpr_workitem_id 0
		.amdhsa_next_free_vgpr 1
		.amdhsa_next_free_sgpr 1
		.amdhsa_reserve_vcc 0
		.amdhsa_float_round_mode_32 0
		.amdhsa_float_round_mode_16_64 0
		.amdhsa_float_denorm_mode_32 3
		.amdhsa_float_denorm_mode_16_64 3
		.amdhsa_dx10_clamp 1
		.amdhsa_ieee_mode 1
		.amdhsa_fp16_overflow 0
		.amdhsa_workgroup_processor_mode 1
		.amdhsa_memory_ordered 1
		.amdhsa_forward_progress 0
		.amdhsa_shared_vgpr_count 0
		.amdhsa_exception_fp_ieee_invalid_op 0
		.amdhsa_exception_fp_denorm_src 0
		.amdhsa_exception_fp_ieee_div_zero 0
		.amdhsa_exception_fp_ieee_overflow 0
		.amdhsa_exception_fp_ieee_underflow 0
		.amdhsa_exception_fp_ieee_inexact 0
		.amdhsa_exception_int_div_zero 0
	.end_amdhsa_kernel
	.section	.text._ZN7rocprim17ROCPRIM_400000_NS6detail17trampoline_kernelINS0_14default_configENS1_25partition_config_selectorILNS1_17partition_subalgoE9ExjbEEZZNS1_14partition_implILS5_9ELb0ES3_jN6thrust23THRUST_200600_302600_NS6detail15normal_iteratorINS9_10device_ptrIxEEEENSB_INSC_IjEEEEPNS0_10empty_typeENS0_5tupleIJNS9_16discard_iteratorINS9_11use_defaultEEESH_EEENSJ_IJSM_SI_EEENS0_18inequality_wrapperINS9_8equal_toIxEEEEPmJSH_EEE10hipError_tPvRmT3_T4_T5_T6_T7_T9_mT8_P12ihipStream_tbDpT10_ENKUlT_T0_E_clISt17integral_constantIbLb0EES1C_IbLb1EEEEDaS18_S19_EUlS18_E_NS1_11comp_targetILNS1_3genE0ELNS1_11target_archE4294967295ELNS1_3gpuE0ELNS1_3repE0EEENS1_30default_config_static_selectorELNS0_4arch9wavefront6targetE0EEEvT1_,"axG",@progbits,_ZN7rocprim17ROCPRIM_400000_NS6detail17trampoline_kernelINS0_14default_configENS1_25partition_config_selectorILNS1_17partition_subalgoE9ExjbEEZZNS1_14partition_implILS5_9ELb0ES3_jN6thrust23THRUST_200600_302600_NS6detail15normal_iteratorINS9_10device_ptrIxEEEENSB_INSC_IjEEEEPNS0_10empty_typeENS0_5tupleIJNS9_16discard_iteratorINS9_11use_defaultEEESH_EEENSJ_IJSM_SI_EEENS0_18inequality_wrapperINS9_8equal_toIxEEEEPmJSH_EEE10hipError_tPvRmT3_T4_T5_T6_T7_T9_mT8_P12ihipStream_tbDpT10_ENKUlT_T0_E_clISt17integral_constantIbLb0EES1C_IbLb1EEEEDaS18_S19_EUlS18_E_NS1_11comp_targetILNS1_3genE0ELNS1_11target_archE4294967295ELNS1_3gpuE0ELNS1_3repE0EEENS1_30default_config_static_selectorELNS0_4arch9wavefront6targetE0EEEvT1_,comdat
.Lfunc_end1005:
	.size	_ZN7rocprim17ROCPRIM_400000_NS6detail17trampoline_kernelINS0_14default_configENS1_25partition_config_selectorILNS1_17partition_subalgoE9ExjbEEZZNS1_14partition_implILS5_9ELb0ES3_jN6thrust23THRUST_200600_302600_NS6detail15normal_iteratorINS9_10device_ptrIxEEEENSB_INSC_IjEEEEPNS0_10empty_typeENS0_5tupleIJNS9_16discard_iteratorINS9_11use_defaultEEESH_EEENSJ_IJSM_SI_EEENS0_18inequality_wrapperINS9_8equal_toIxEEEEPmJSH_EEE10hipError_tPvRmT3_T4_T5_T6_T7_T9_mT8_P12ihipStream_tbDpT10_ENKUlT_T0_E_clISt17integral_constantIbLb0EES1C_IbLb1EEEEDaS18_S19_EUlS18_E_NS1_11comp_targetILNS1_3genE0ELNS1_11target_archE4294967295ELNS1_3gpuE0ELNS1_3repE0EEENS1_30default_config_static_selectorELNS0_4arch9wavefront6targetE0EEEvT1_, .Lfunc_end1005-_ZN7rocprim17ROCPRIM_400000_NS6detail17trampoline_kernelINS0_14default_configENS1_25partition_config_selectorILNS1_17partition_subalgoE9ExjbEEZZNS1_14partition_implILS5_9ELb0ES3_jN6thrust23THRUST_200600_302600_NS6detail15normal_iteratorINS9_10device_ptrIxEEEENSB_INSC_IjEEEEPNS0_10empty_typeENS0_5tupleIJNS9_16discard_iteratorINS9_11use_defaultEEESH_EEENSJ_IJSM_SI_EEENS0_18inequality_wrapperINS9_8equal_toIxEEEEPmJSH_EEE10hipError_tPvRmT3_T4_T5_T6_T7_T9_mT8_P12ihipStream_tbDpT10_ENKUlT_T0_E_clISt17integral_constantIbLb0EES1C_IbLb1EEEEDaS18_S19_EUlS18_E_NS1_11comp_targetILNS1_3genE0ELNS1_11target_archE4294967295ELNS1_3gpuE0ELNS1_3repE0EEENS1_30default_config_static_selectorELNS0_4arch9wavefront6targetE0EEEvT1_
                                        ; -- End function
	.section	.AMDGPU.csdata,"",@progbits
; Kernel info:
; codeLenInByte = 0
; NumSgprs: 0
; NumVgprs: 0
; ScratchSize: 0
; MemoryBound: 0
; FloatMode: 240
; IeeeMode: 1
; LDSByteSize: 0 bytes/workgroup (compile time only)
; SGPRBlocks: 0
; VGPRBlocks: 0
; NumSGPRsForWavesPerEU: 1
; NumVGPRsForWavesPerEU: 1
; Occupancy: 16
; WaveLimiterHint : 0
; COMPUTE_PGM_RSRC2:SCRATCH_EN: 0
; COMPUTE_PGM_RSRC2:USER_SGPR: 15
; COMPUTE_PGM_RSRC2:TRAP_HANDLER: 0
; COMPUTE_PGM_RSRC2:TGID_X_EN: 1
; COMPUTE_PGM_RSRC2:TGID_Y_EN: 0
; COMPUTE_PGM_RSRC2:TGID_Z_EN: 0
; COMPUTE_PGM_RSRC2:TIDIG_COMP_CNT: 0
	.section	.text._ZN7rocprim17ROCPRIM_400000_NS6detail17trampoline_kernelINS0_14default_configENS1_25partition_config_selectorILNS1_17partition_subalgoE9ExjbEEZZNS1_14partition_implILS5_9ELb0ES3_jN6thrust23THRUST_200600_302600_NS6detail15normal_iteratorINS9_10device_ptrIxEEEENSB_INSC_IjEEEEPNS0_10empty_typeENS0_5tupleIJNS9_16discard_iteratorINS9_11use_defaultEEESH_EEENSJ_IJSM_SI_EEENS0_18inequality_wrapperINS9_8equal_toIxEEEEPmJSH_EEE10hipError_tPvRmT3_T4_T5_T6_T7_T9_mT8_P12ihipStream_tbDpT10_ENKUlT_T0_E_clISt17integral_constantIbLb0EES1C_IbLb1EEEEDaS18_S19_EUlS18_E_NS1_11comp_targetILNS1_3genE5ELNS1_11target_archE942ELNS1_3gpuE9ELNS1_3repE0EEENS1_30default_config_static_selectorELNS0_4arch9wavefront6targetE0EEEvT1_,"axG",@progbits,_ZN7rocprim17ROCPRIM_400000_NS6detail17trampoline_kernelINS0_14default_configENS1_25partition_config_selectorILNS1_17partition_subalgoE9ExjbEEZZNS1_14partition_implILS5_9ELb0ES3_jN6thrust23THRUST_200600_302600_NS6detail15normal_iteratorINS9_10device_ptrIxEEEENSB_INSC_IjEEEEPNS0_10empty_typeENS0_5tupleIJNS9_16discard_iteratorINS9_11use_defaultEEESH_EEENSJ_IJSM_SI_EEENS0_18inequality_wrapperINS9_8equal_toIxEEEEPmJSH_EEE10hipError_tPvRmT3_T4_T5_T6_T7_T9_mT8_P12ihipStream_tbDpT10_ENKUlT_T0_E_clISt17integral_constantIbLb0EES1C_IbLb1EEEEDaS18_S19_EUlS18_E_NS1_11comp_targetILNS1_3genE5ELNS1_11target_archE942ELNS1_3gpuE9ELNS1_3repE0EEENS1_30default_config_static_selectorELNS0_4arch9wavefront6targetE0EEEvT1_,comdat
	.protected	_ZN7rocprim17ROCPRIM_400000_NS6detail17trampoline_kernelINS0_14default_configENS1_25partition_config_selectorILNS1_17partition_subalgoE9ExjbEEZZNS1_14partition_implILS5_9ELb0ES3_jN6thrust23THRUST_200600_302600_NS6detail15normal_iteratorINS9_10device_ptrIxEEEENSB_INSC_IjEEEEPNS0_10empty_typeENS0_5tupleIJNS9_16discard_iteratorINS9_11use_defaultEEESH_EEENSJ_IJSM_SI_EEENS0_18inequality_wrapperINS9_8equal_toIxEEEEPmJSH_EEE10hipError_tPvRmT3_T4_T5_T6_T7_T9_mT8_P12ihipStream_tbDpT10_ENKUlT_T0_E_clISt17integral_constantIbLb0EES1C_IbLb1EEEEDaS18_S19_EUlS18_E_NS1_11comp_targetILNS1_3genE5ELNS1_11target_archE942ELNS1_3gpuE9ELNS1_3repE0EEENS1_30default_config_static_selectorELNS0_4arch9wavefront6targetE0EEEvT1_ ; -- Begin function _ZN7rocprim17ROCPRIM_400000_NS6detail17trampoline_kernelINS0_14default_configENS1_25partition_config_selectorILNS1_17partition_subalgoE9ExjbEEZZNS1_14partition_implILS5_9ELb0ES3_jN6thrust23THRUST_200600_302600_NS6detail15normal_iteratorINS9_10device_ptrIxEEEENSB_INSC_IjEEEEPNS0_10empty_typeENS0_5tupleIJNS9_16discard_iteratorINS9_11use_defaultEEESH_EEENSJ_IJSM_SI_EEENS0_18inequality_wrapperINS9_8equal_toIxEEEEPmJSH_EEE10hipError_tPvRmT3_T4_T5_T6_T7_T9_mT8_P12ihipStream_tbDpT10_ENKUlT_T0_E_clISt17integral_constantIbLb0EES1C_IbLb1EEEEDaS18_S19_EUlS18_E_NS1_11comp_targetILNS1_3genE5ELNS1_11target_archE942ELNS1_3gpuE9ELNS1_3repE0EEENS1_30default_config_static_selectorELNS0_4arch9wavefront6targetE0EEEvT1_
	.globl	_ZN7rocprim17ROCPRIM_400000_NS6detail17trampoline_kernelINS0_14default_configENS1_25partition_config_selectorILNS1_17partition_subalgoE9ExjbEEZZNS1_14partition_implILS5_9ELb0ES3_jN6thrust23THRUST_200600_302600_NS6detail15normal_iteratorINS9_10device_ptrIxEEEENSB_INSC_IjEEEEPNS0_10empty_typeENS0_5tupleIJNS9_16discard_iteratorINS9_11use_defaultEEESH_EEENSJ_IJSM_SI_EEENS0_18inequality_wrapperINS9_8equal_toIxEEEEPmJSH_EEE10hipError_tPvRmT3_T4_T5_T6_T7_T9_mT8_P12ihipStream_tbDpT10_ENKUlT_T0_E_clISt17integral_constantIbLb0EES1C_IbLb1EEEEDaS18_S19_EUlS18_E_NS1_11comp_targetILNS1_3genE5ELNS1_11target_archE942ELNS1_3gpuE9ELNS1_3repE0EEENS1_30default_config_static_selectorELNS0_4arch9wavefront6targetE0EEEvT1_
	.p2align	8
	.type	_ZN7rocprim17ROCPRIM_400000_NS6detail17trampoline_kernelINS0_14default_configENS1_25partition_config_selectorILNS1_17partition_subalgoE9ExjbEEZZNS1_14partition_implILS5_9ELb0ES3_jN6thrust23THRUST_200600_302600_NS6detail15normal_iteratorINS9_10device_ptrIxEEEENSB_INSC_IjEEEEPNS0_10empty_typeENS0_5tupleIJNS9_16discard_iteratorINS9_11use_defaultEEESH_EEENSJ_IJSM_SI_EEENS0_18inequality_wrapperINS9_8equal_toIxEEEEPmJSH_EEE10hipError_tPvRmT3_T4_T5_T6_T7_T9_mT8_P12ihipStream_tbDpT10_ENKUlT_T0_E_clISt17integral_constantIbLb0EES1C_IbLb1EEEEDaS18_S19_EUlS18_E_NS1_11comp_targetILNS1_3genE5ELNS1_11target_archE942ELNS1_3gpuE9ELNS1_3repE0EEENS1_30default_config_static_selectorELNS0_4arch9wavefront6targetE0EEEvT1_,@function
_ZN7rocprim17ROCPRIM_400000_NS6detail17trampoline_kernelINS0_14default_configENS1_25partition_config_selectorILNS1_17partition_subalgoE9ExjbEEZZNS1_14partition_implILS5_9ELb0ES3_jN6thrust23THRUST_200600_302600_NS6detail15normal_iteratorINS9_10device_ptrIxEEEENSB_INSC_IjEEEEPNS0_10empty_typeENS0_5tupleIJNS9_16discard_iteratorINS9_11use_defaultEEESH_EEENSJ_IJSM_SI_EEENS0_18inequality_wrapperINS9_8equal_toIxEEEEPmJSH_EEE10hipError_tPvRmT3_T4_T5_T6_T7_T9_mT8_P12ihipStream_tbDpT10_ENKUlT_T0_E_clISt17integral_constantIbLb0EES1C_IbLb1EEEEDaS18_S19_EUlS18_E_NS1_11comp_targetILNS1_3genE5ELNS1_11target_archE942ELNS1_3gpuE9ELNS1_3repE0EEENS1_30default_config_static_selectorELNS0_4arch9wavefront6targetE0EEEvT1_: ; @_ZN7rocprim17ROCPRIM_400000_NS6detail17trampoline_kernelINS0_14default_configENS1_25partition_config_selectorILNS1_17partition_subalgoE9ExjbEEZZNS1_14partition_implILS5_9ELb0ES3_jN6thrust23THRUST_200600_302600_NS6detail15normal_iteratorINS9_10device_ptrIxEEEENSB_INSC_IjEEEEPNS0_10empty_typeENS0_5tupleIJNS9_16discard_iteratorINS9_11use_defaultEEESH_EEENSJ_IJSM_SI_EEENS0_18inequality_wrapperINS9_8equal_toIxEEEEPmJSH_EEE10hipError_tPvRmT3_T4_T5_T6_T7_T9_mT8_P12ihipStream_tbDpT10_ENKUlT_T0_E_clISt17integral_constantIbLb0EES1C_IbLb1EEEEDaS18_S19_EUlS18_E_NS1_11comp_targetILNS1_3genE5ELNS1_11target_archE942ELNS1_3gpuE9ELNS1_3repE0EEENS1_30default_config_static_selectorELNS0_4arch9wavefront6targetE0EEEvT1_
; %bb.0:
	.section	.rodata,"a",@progbits
	.p2align	6, 0x0
	.amdhsa_kernel _ZN7rocprim17ROCPRIM_400000_NS6detail17trampoline_kernelINS0_14default_configENS1_25partition_config_selectorILNS1_17partition_subalgoE9ExjbEEZZNS1_14partition_implILS5_9ELb0ES3_jN6thrust23THRUST_200600_302600_NS6detail15normal_iteratorINS9_10device_ptrIxEEEENSB_INSC_IjEEEEPNS0_10empty_typeENS0_5tupleIJNS9_16discard_iteratorINS9_11use_defaultEEESH_EEENSJ_IJSM_SI_EEENS0_18inequality_wrapperINS9_8equal_toIxEEEEPmJSH_EEE10hipError_tPvRmT3_T4_T5_T6_T7_T9_mT8_P12ihipStream_tbDpT10_ENKUlT_T0_E_clISt17integral_constantIbLb0EES1C_IbLb1EEEEDaS18_S19_EUlS18_E_NS1_11comp_targetILNS1_3genE5ELNS1_11target_archE942ELNS1_3gpuE9ELNS1_3repE0EEENS1_30default_config_static_selectorELNS0_4arch9wavefront6targetE0EEEvT1_
		.amdhsa_group_segment_fixed_size 0
		.amdhsa_private_segment_fixed_size 0
		.amdhsa_kernarg_size 144
		.amdhsa_user_sgpr_count 15
		.amdhsa_user_sgpr_dispatch_ptr 0
		.amdhsa_user_sgpr_queue_ptr 0
		.amdhsa_user_sgpr_kernarg_segment_ptr 1
		.amdhsa_user_sgpr_dispatch_id 0
		.amdhsa_user_sgpr_private_segment_size 0
		.amdhsa_wavefront_size32 1
		.amdhsa_uses_dynamic_stack 0
		.amdhsa_enable_private_segment 0
		.amdhsa_system_sgpr_workgroup_id_x 1
		.amdhsa_system_sgpr_workgroup_id_y 0
		.amdhsa_system_sgpr_workgroup_id_z 0
		.amdhsa_system_sgpr_workgroup_info 0
		.amdhsa_system_vgpr_workitem_id 0
		.amdhsa_next_free_vgpr 1
		.amdhsa_next_free_sgpr 1
		.amdhsa_reserve_vcc 0
		.amdhsa_float_round_mode_32 0
		.amdhsa_float_round_mode_16_64 0
		.amdhsa_float_denorm_mode_32 3
		.amdhsa_float_denorm_mode_16_64 3
		.amdhsa_dx10_clamp 1
		.amdhsa_ieee_mode 1
		.amdhsa_fp16_overflow 0
		.amdhsa_workgroup_processor_mode 1
		.amdhsa_memory_ordered 1
		.amdhsa_forward_progress 0
		.amdhsa_shared_vgpr_count 0
		.amdhsa_exception_fp_ieee_invalid_op 0
		.amdhsa_exception_fp_denorm_src 0
		.amdhsa_exception_fp_ieee_div_zero 0
		.amdhsa_exception_fp_ieee_overflow 0
		.amdhsa_exception_fp_ieee_underflow 0
		.amdhsa_exception_fp_ieee_inexact 0
		.amdhsa_exception_int_div_zero 0
	.end_amdhsa_kernel
	.section	.text._ZN7rocprim17ROCPRIM_400000_NS6detail17trampoline_kernelINS0_14default_configENS1_25partition_config_selectorILNS1_17partition_subalgoE9ExjbEEZZNS1_14partition_implILS5_9ELb0ES3_jN6thrust23THRUST_200600_302600_NS6detail15normal_iteratorINS9_10device_ptrIxEEEENSB_INSC_IjEEEEPNS0_10empty_typeENS0_5tupleIJNS9_16discard_iteratorINS9_11use_defaultEEESH_EEENSJ_IJSM_SI_EEENS0_18inequality_wrapperINS9_8equal_toIxEEEEPmJSH_EEE10hipError_tPvRmT3_T4_T5_T6_T7_T9_mT8_P12ihipStream_tbDpT10_ENKUlT_T0_E_clISt17integral_constantIbLb0EES1C_IbLb1EEEEDaS18_S19_EUlS18_E_NS1_11comp_targetILNS1_3genE5ELNS1_11target_archE942ELNS1_3gpuE9ELNS1_3repE0EEENS1_30default_config_static_selectorELNS0_4arch9wavefront6targetE0EEEvT1_,"axG",@progbits,_ZN7rocprim17ROCPRIM_400000_NS6detail17trampoline_kernelINS0_14default_configENS1_25partition_config_selectorILNS1_17partition_subalgoE9ExjbEEZZNS1_14partition_implILS5_9ELb0ES3_jN6thrust23THRUST_200600_302600_NS6detail15normal_iteratorINS9_10device_ptrIxEEEENSB_INSC_IjEEEEPNS0_10empty_typeENS0_5tupleIJNS9_16discard_iteratorINS9_11use_defaultEEESH_EEENSJ_IJSM_SI_EEENS0_18inequality_wrapperINS9_8equal_toIxEEEEPmJSH_EEE10hipError_tPvRmT3_T4_T5_T6_T7_T9_mT8_P12ihipStream_tbDpT10_ENKUlT_T0_E_clISt17integral_constantIbLb0EES1C_IbLb1EEEEDaS18_S19_EUlS18_E_NS1_11comp_targetILNS1_3genE5ELNS1_11target_archE942ELNS1_3gpuE9ELNS1_3repE0EEENS1_30default_config_static_selectorELNS0_4arch9wavefront6targetE0EEEvT1_,comdat
.Lfunc_end1006:
	.size	_ZN7rocprim17ROCPRIM_400000_NS6detail17trampoline_kernelINS0_14default_configENS1_25partition_config_selectorILNS1_17partition_subalgoE9ExjbEEZZNS1_14partition_implILS5_9ELb0ES3_jN6thrust23THRUST_200600_302600_NS6detail15normal_iteratorINS9_10device_ptrIxEEEENSB_INSC_IjEEEEPNS0_10empty_typeENS0_5tupleIJNS9_16discard_iteratorINS9_11use_defaultEEESH_EEENSJ_IJSM_SI_EEENS0_18inequality_wrapperINS9_8equal_toIxEEEEPmJSH_EEE10hipError_tPvRmT3_T4_T5_T6_T7_T9_mT8_P12ihipStream_tbDpT10_ENKUlT_T0_E_clISt17integral_constantIbLb0EES1C_IbLb1EEEEDaS18_S19_EUlS18_E_NS1_11comp_targetILNS1_3genE5ELNS1_11target_archE942ELNS1_3gpuE9ELNS1_3repE0EEENS1_30default_config_static_selectorELNS0_4arch9wavefront6targetE0EEEvT1_, .Lfunc_end1006-_ZN7rocprim17ROCPRIM_400000_NS6detail17trampoline_kernelINS0_14default_configENS1_25partition_config_selectorILNS1_17partition_subalgoE9ExjbEEZZNS1_14partition_implILS5_9ELb0ES3_jN6thrust23THRUST_200600_302600_NS6detail15normal_iteratorINS9_10device_ptrIxEEEENSB_INSC_IjEEEEPNS0_10empty_typeENS0_5tupleIJNS9_16discard_iteratorINS9_11use_defaultEEESH_EEENSJ_IJSM_SI_EEENS0_18inequality_wrapperINS9_8equal_toIxEEEEPmJSH_EEE10hipError_tPvRmT3_T4_T5_T6_T7_T9_mT8_P12ihipStream_tbDpT10_ENKUlT_T0_E_clISt17integral_constantIbLb0EES1C_IbLb1EEEEDaS18_S19_EUlS18_E_NS1_11comp_targetILNS1_3genE5ELNS1_11target_archE942ELNS1_3gpuE9ELNS1_3repE0EEENS1_30default_config_static_selectorELNS0_4arch9wavefront6targetE0EEEvT1_
                                        ; -- End function
	.section	.AMDGPU.csdata,"",@progbits
; Kernel info:
; codeLenInByte = 0
; NumSgprs: 0
; NumVgprs: 0
; ScratchSize: 0
; MemoryBound: 0
; FloatMode: 240
; IeeeMode: 1
; LDSByteSize: 0 bytes/workgroup (compile time only)
; SGPRBlocks: 0
; VGPRBlocks: 0
; NumSGPRsForWavesPerEU: 1
; NumVGPRsForWavesPerEU: 1
; Occupancy: 16
; WaveLimiterHint : 0
; COMPUTE_PGM_RSRC2:SCRATCH_EN: 0
; COMPUTE_PGM_RSRC2:USER_SGPR: 15
; COMPUTE_PGM_RSRC2:TRAP_HANDLER: 0
; COMPUTE_PGM_RSRC2:TGID_X_EN: 1
; COMPUTE_PGM_RSRC2:TGID_Y_EN: 0
; COMPUTE_PGM_RSRC2:TGID_Z_EN: 0
; COMPUTE_PGM_RSRC2:TIDIG_COMP_CNT: 0
	.section	.text._ZN7rocprim17ROCPRIM_400000_NS6detail17trampoline_kernelINS0_14default_configENS1_25partition_config_selectorILNS1_17partition_subalgoE9ExjbEEZZNS1_14partition_implILS5_9ELb0ES3_jN6thrust23THRUST_200600_302600_NS6detail15normal_iteratorINS9_10device_ptrIxEEEENSB_INSC_IjEEEEPNS0_10empty_typeENS0_5tupleIJNS9_16discard_iteratorINS9_11use_defaultEEESH_EEENSJ_IJSM_SI_EEENS0_18inequality_wrapperINS9_8equal_toIxEEEEPmJSH_EEE10hipError_tPvRmT3_T4_T5_T6_T7_T9_mT8_P12ihipStream_tbDpT10_ENKUlT_T0_E_clISt17integral_constantIbLb0EES1C_IbLb1EEEEDaS18_S19_EUlS18_E_NS1_11comp_targetILNS1_3genE4ELNS1_11target_archE910ELNS1_3gpuE8ELNS1_3repE0EEENS1_30default_config_static_selectorELNS0_4arch9wavefront6targetE0EEEvT1_,"axG",@progbits,_ZN7rocprim17ROCPRIM_400000_NS6detail17trampoline_kernelINS0_14default_configENS1_25partition_config_selectorILNS1_17partition_subalgoE9ExjbEEZZNS1_14partition_implILS5_9ELb0ES3_jN6thrust23THRUST_200600_302600_NS6detail15normal_iteratorINS9_10device_ptrIxEEEENSB_INSC_IjEEEEPNS0_10empty_typeENS0_5tupleIJNS9_16discard_iteratorINS9_11use_defaultEEESH_EEENSJ_IJSM_SI_EEENS0_18inequality_wrapperINS9_8equal_toIxEEEEPmJSH_EEE10hipError_tPvRmT3_T4_T5_T6_T7_T9_mT8_P12ihipStream_tbDpT10_ENKUlT_T0_E_clISt17integral_constantIbLb0EES1C_IbLb1EEEEDaS18_S19_EUlS18_E_NS1_11comp_targetILNS1_3genE4ELNS1_11target_archE910ELNS1_3gpuE8ELNS1_3repE0EEENS1_30default_config_static_selectorELNS0_4arch9wavefront6targetE0EEEvT1_,comdat
	.protected	_ZN7rocprim17ROCPRIM_400000_NS6detail17trampoline_kernelINS0_14default_configENS1_25partition_config_selectorILNS1_17partition_subalgoE9ExjbEEZZNS1_14partition_implILS5_9ELb0ES3_jN6thrust23THRUST_200600_302600_NS6detail15normal_iteratorINS9_10device_ptrIxEEEENSB_INSC_IjEEEEPNS0_10empty_typeENS0_5tupleIJNS9_16discard_iteratorINS9_11use_defaultEEESH_EEENSJ_IJSM_SI_EEENS0_18inequality_wrapperINS9_8equal_toIxEEEEPmJSH_EEE10hipError_tPvRmT3_T4_T5_T6_T7_T9_mT8_P12ihipStream_tbDpT10_ENKUlT_T0_E_clISt17integral_constantIbLb0EES1C_IbLb1EEEEDaS18_S19_EUlS18_E_NS1_11comp_targetILNS1_3genE4ELNS1_11target_archE910ELNS1_3gpuE8ELNS1_3repE0EEENS1_30default_config_static_selectorELNS0_4arch9wavefront6targetE0EEEvT1_ ; -- Begin function _ZN7rocprim17ROCPRIM_400000_NS6detail17trampoline_kernelINS0_14default_configENS1_25partition_config_selectorILNS1_17partition_subalgoE9ExjbEEZZNS1_14partition_implILS5_9ELb0ES3_jN6thrust23THRUST_200600_302600_NS6detail15normal_iteratorINS9_10device_ptrIxEEEENSB_INSC_IjEEEEPNS0_10empty_typeENS0_5tupleIJNS9_16discard_iteratorINS9_11use_defaultEEESH_EEENSJ_IJSM_SI_EEENS0_18inequality_wrapperINS9_8equal_toIxEEEEPmJSH_EEE10hipError_tPvRmT3_T4_T5_T6_T7_T9_mT8_P12ihipStream_tbDpT10_ENKUlT_T0_E_clISt17integral_constantIbLb0EES1C_IbLb1EEEEDaS18_S19_EUlS18_E_NS1_11comp_targetILNS1_3genE4ELNS1_11target_archE910ELNS1_3gpuE8ELNS1_3repE0EEENS1_30default_config_static_selectorELNS0_4arch9wavefront6targetE0EEEvT1_
	.globl	_ZN7rocprim17ROCPRIM_400000_NS6detail17trampoline_kernelINS0_14default_configENS1_25partition_config_selectorILNS1_17partition_subalgoE9ExjbEEZZNS1_14partition_implILS5_9ELb0ES3_jN6thrust23THRUST_200600_302600_NS6detail15normal_iteratorINS9_10device_ptrIxEEEENSB_INSC_IjEEEEPNS0_10empty_typeENS0_5tupleIJNS9_16discard_iteratorINS9_11use_defaultEEESH_EEENSJ_IJSM_SI_EEENS0_18inequality_wrapperINS9_8equal_toIxEEEEPmJSH_EEE10hipError_tPvRmT3_T4_T5_T6_T7_T9_mT8_P12ihipStream_tbDpT10_ENKUlT_T0_E_clISt17integral_constantIbLb0EES1C_IbLb1EEEEDaS18_S19_EUlS18_E_NS1_11comp_targetILNS1_3genE4ELNS1_11target_archE910ELNS1_3gpuE8ELNS1_3repE0EEENS1_30default_config_static_selectorELNS0_4arch9wavefront6targetE0EEEvT1_
	.p2align	8
	.type	_ZN7rocprim17ROCPRIM_400000_NS6detail17trampoline_kernelINS0_14default_configENS1_25partition_config_selectorILNS1_17partition_subalgoE9ExjbEEZZNS1_14partition_implILS5_9ELb0ES3_jN6thrust23THRUST_200600_302600_NS6detail15normal_iteratorINS9_10device_ptrIxEEEENSB_INSC_IjEEEEPNS0_10empty_typeENS0_5tupleIJNS9_16discard_iteratorINS9_11use_defaultEEESH_EEENSJ_IJSM_SI_EEENS0_18inequality_wrapperINS9_8equal_toIxEEEEPmJSH_EEE10hipError_tPvRmT3_T4_T5_T6_T7_T9_mT8_P12ihipStream_tbDpT10_ENKUlT_T0_E_clISt17integral_constantIbLb0EES1C_IbLb1EEEEDaS18_S19_EUlS18_E_NS1_11comp_targetILNS1_3genE4ELNS1_11target_archE910ELNS1_3gpuE8ELNS1_3repE0EEENS1_30default_config_static_selectorELNS0_4arch9wavefront6targetE0EEEvT1_,@function
_ZN7rocprim17ROCPRIM_400000_NS6detail17trampoline_kernelINS0_14default_configENS1_25partition_config_selectorILNS1_17partition_subalgoE9ExjbEEZZNS1_14partition_implILS5_9ELb0ES3_jN6thrust23THRUST_200600_302600_NS6detail15normal_iteratorINS9_10device_ptrIxEEEENSB_INSC_IjEEEEPNS0_10empty_typeENS0_5tupleIJNS9_16discard_iteratorINS9_11use_defaultEEESH_EEENSJ_IJSM_SI_EEENS0_18inequality_wrapperINS9_8equal_toIxEEEEPmJSH_EEE10hipError_tPvRmT3_T4_T5_T6_T7_T9_mT8_P12ihipStream_tbDpT10_ENKUlT_T0_E_clISt17integral_constantIbLb0EES1C_IbLb1EEEEDaS18_S19_EUlS18_E_NS1_11comp_targetILNS1_3genE4ELNS1_11target_archE910ELNS1_3gpuE8ELNS1_3repE0EEENS1_30default_config_static_selectorELNS0_4arch9wavefront6targetE0EEEvT1_: ; @_ZN7rocprim17ROCPRIM_400000_NS6detail17trampoline_kernelINS0_14default_configENS1_25partition_config_selectorILNS1_17partition_subalgoE9ExjbEEZZNS1_14partition_implILS5_9ELb0ES3_jN6thrust23THRUST_200600_302600_NS6detail15normal_iteratorINS9_10device_ptrIxEEEENSB_INSC_IjEEEEPNS0_10empty_typeENS0_5tupleIJNS9_16discard_iteratorINS9_11use_defaultEEESH_EEENSJ_IJSM_SI_EEENS0_18inequality_wrapperINS9_8equal_toIxEEEEPmJSH_EEE10hipError_tPvRmT3_T4_T5_T6_T7_T9_mT8_P12ihipStream_tbDpT10_ENKUlT_T0_E_clISt17integral_constantIbLb0EES1C_IbLb1EEEEDaS18_S19_EUlS18_E_NS1_11comp_targetILNS1_3genE4ELNS1_11target_archE910ELNS1_3gpuE8ELNS1_3repE0EEENS1_30default_config_static_selectorELNS0_4arch9wavefront6targetE0EEEvT1_
; %bb.0:
	.section	.rodata,"a",@progbits
	.p2align	6, 0x0
	.amdhsa_kernel _ZN7rocprim17ROCPRIM_400000_NS6detail17trampoline_kernelINS0_14default_configENS1_25partition_config_selectorILNS1_17partition_subalgoE9ExjbEEZZNS1_14partition_implILS5_9ELb0ES3_jN6thrust23THRUST_200600_302600_NS6detail15normal_iteratorINS9_10device_ptrIxEEEENSB_INSC_IjEEEEPNS0_10empty_typeENS0_5tupleIJNS9_16discard_iteratorINS9_11use_defaultEEESH_EEENSJ_IJSM_SI_EEENS0_18inequality_wrapperINS9_8equal_toIxEEEEPmJSH_EEE10hipError_tPvRmT3_T4_T5_T6_T7_T9_mT8_P12ihipStream_tbDpT10_ENKUlT_T0_E_clISt17integral_constantIbLb0EES1C_IbLb1EEEEDaS18_S19_EUlS18_E_NS1_11comp_targetILNS1_3genE4ELNS1_11target_archE910ELNS1_3gpuE8ELNS1_3repE0EEENS1_30default_config_static_selectorELNS0_4arch9wavefront6targetE0EEEvT1_
		.amdhsa_group_segment_fixed_size 0
		.amdhsa_private_segment_fixed_size 0
		.amdhsa_kernarg_size 144
		.amdhsa_user_sgpr_count 15
		.amdhsa_user_sgpr_dispatch_ptr 0
		.amdhsa_user_sgpr_queue_ptr 0
		.amdhsa_user_sgpr_kernarg_segment_ptr 1
		.amdhsa_user_sgpr_dispatch_id 0
		.amdhsa_user_sgpr_private_segment_size 0
		.amdhsa_wavefront_size32 1
		.amdhsa_uses_dynamic_stack 0
		.amdhsa_enable_private_segment 0
		.amdhsa_system_sgpr_workgroup_id_x 1
		.amdhsa_system_sgpr_workgroup_id_y 0
		.amdhsa_system_sgpr_workgroup_id_z 0
		.amdhsa_system_sgpr_workgroup_info 0
		.amdhsa_system_vgpr_workitem_id 0
		.amdhsa_next_free_vgpr 1
		.amdhsa_next_free_sgpr 1
		.amdhsa_reserve_vcc 0
		.amdhsa_float_round_mode_32 0
		.amdhsa_float_round_mode_16_64 0
		.amdhsa_float_denorm_mode_32 3
		.amdhsa_float_denorm_mode_16_64 3
		.amdhsa_dx10_clamp 1
		.amdhsa_ieee_mode 1
		.amdhsa_fp16_overflow 0
		.amdhsa_workgroup_processor_mode 1
		.amdhsa_memory_ordered 1
		.amdhsa_forward_progress 0
		.amdhsa_shared_vgpr_count 0
		.amdhsa_exception_fp_ieee_invalid_op 0
		.amdhsa_exception_fp_denorm_src 0
		.amdhsa_exception_fp_ieee_div_zero 0
		.amdhsa_exception_fp_ieee_overflow 0
		.amdhsa_exception_fp_ieee_underflow 0
		.amdhsa_exception_fp_ieee_inexact 0
		.amdhsa_exception_int_div_zero 0
	.end_amdhsa_kernel
	.section	.text._ZN7rocprim17ROCPRIM_400000_NS6detail17trampoline_kernelINS0_14default_configENS1_25partition_config_selectorILNS1_17partition_subalgoE9ExjbEEZZNS1_14partition_implILS5_9ELb0ES3_jN6thrust23THRUST_200600_302600_NS6detail15normal_iteratorINS9_10device_ptrIxEEEENSB_INSC_IjEEEEPNS0_10empty_typeENS0_5tupleIJNS9_16discard_iteratorINS9_11use_defaultEEESH_EEENSJ_IJSM_SI_EEENS0_18inequality_wrapperINS9_8equal_toIxEEEEPmJSH_EEE10hipError_tPvRmT3_T4_T5_T6_T7_T9_mT8_P12ihipStream_tbDpT10_ENKUlT_T0_E_clISt17integral_constantIbLb0EES1C_IbLb1EEEEDaS18_S19_EUlS18_E_NS1_11comp_targetILNS1_3genE4ELNS1_11target_archE910ELNS1_3gpuE8ELNS1_3repE0EEENS1_30default_config_static_selectorELNS0_4arch9wavefront6targetE0EEEvT1_,"axG",@progbits,_ZN7rocprim17ROCPRIM_400000_NS6detail17trampoline_kernelINS0_14default_configENS1_25partition_config_selectorILNS1_17partition_subalgoE9ExjbEEZZNS1_14partition_implILS5_9ELb0ES3_jN6thrust23THRUST_200600_302600_NS6detail15normal_iteratorINS9_10device_ptrIxEEEENSB_INSC_IjEEEEPNS0_10empty_typeENS0_5tupleIJNS9_16discard_iteratorINS9_11use_defaultEEESH_EEENSJ_IJSM_SI_EEENS0_18inequality_wrapperINS9_8equal_toIxEEEEPmJSH_EEE10hipError_tPvRmT3_T4_T5_T6_T7_T9_mT8_P12ihipStream_tbDpT10_ENKUlT_T0_E_clISt17integral_constantIbLb0EES1C_IbLb1EEEEDaS18_S19_EUlS18_E_NS1_11comp_targetILNS1_3genE4ELNS1_11target_archE910ELNS1_3gpuE8ELNS1_3repE0EEENS1_30default_config_static_selectorELNS0_4arch9wavefront6targetE0EEEvT1_,comdat
.Lfunc_end1007:
	.size	_ZN7rocprim17ROCPRIM_400000_NS6detail17trampoline_kernelINS0_14default_configENS1_25partition_config_selectorILNS1_17partition_subalgoE9ExjbEEZZNS1_14partition_implILS5_9ELb0ES3_jN6thrust23THRUST_200600_302600_NS6detail15normal_iteratorINS9_10device_ptrIxEEEENSB_INSC_IjEEEEPNS0_10empty_typeENS0_5tupleIJNS9_16discard_iteratorINS9_11use_defaultEEESH_EEENSJ_IJSM_SI_EEENS0_18inequality_wrapperINS9_8equal_toIxEEEEPmJSH_EEE10hipError_tPvRmT3_T4_T5_T6_T7_T9_mT8_P12ihipStream_tbDpT10_ENKUlT_T0_E_clISt17integral_constantIbLb0EES1C_IbLb1EEEEDaS18_S19_EUlS18_E_NS1_11comp_targetILNS1_3genE4ELNS1_11target_archE910ELNS1_3gpuE8ELNS1_3repE0EEENS1_30default_config_static_selectorELNS0_4arch9wavefront6targetE0EEEvT1_, .Lfunc_end1007-_ZN7rocprim17ROCPRIM_400000_NS6detail17trampoline_kernelINS0_14default_configENS1_25partition_config_selectorILNS1_17partition_subalgoE9ExjbEEZZNS1_14partition_implILS5_9ELb0ES3_jN6thrust23THRUST_200600_302600_NS6detail15normal_iteratorINS9_10device_ptrIxEEEENSB_INSC_IjEEEEPNS0_10empty_typeENS0_5tupleIJNS9_16discard_iteratorINS9_11use_defaultEEESH_EEENSJ_IJSM_SI_EEENS0_18inequality_wrapperINS9_8equal_toIxEEEEPmJSH_EEE10hipError_tPvRmT3_T4_T5_T6_T7_T9_mT8_P12ihipStream_tbDpT10_ENKUlT_T0_E_clISt17integral_constantIbLb0EES1C_IbLb1EEEEDaS18_S19_EUlS18_E_NS1_11comp_targetILNS1_3genE4ELNS1_11target_archE910ELNS1_3gpuE8ELNS1_3repE0EEENS1_30default_config_static_selectorELNS0_4arch9wavefront6targetE0EEEvT1_
                                        ; -- End function
	.section	.AMDGPU.csdata,"",@progbits
; Kernel info:
; codeLenInByte = 0
; NumSgprs: 0
; NumVgprs: 0
; ScratchSize: 0
; MemoryBound: 0
; FloatMode: 240
; IeeeMode: 1
; LDSByteSize: 0 bytes/workgroup (compile time only)
; SGPRBlocks: 0
; VGPRBlocks: 0
; NumSGPRsForWavesPerEU: 1
; NumVGPRsForWavesPerEU: 1
; Occupancy: 15
; WaveLimiterHint : 0
; COMPUTE_PGM_RSRC2:SCRATCH_EN: 0
; COMPUTE_PGM_RSRC2:USER_SGPR: 15
; COMPUTE_PGM_RSRC2:TRAP_HANDLER: 0
; COMPUTE_PGM_RSRC2:TGID_X_EN: 1
; COMPUTE_PGM_RSRC2:TGID_Y_EN: 0
; COMPUTE_PGM_RSRC2:TGID_Z_EN: 0
; COMPUTE_PGM_RSRC2:TIDIG_COMP_CNT: 0
	.section	.text._ZN7rocprim17ROCPRIM_400000_NS6detail17trampoline_kernelINS0_14default_configENS1_25partition_config_selectorILNS1_17partition_subalgoE9ExjbEEZZNS1_14partition_implILS5_9ELb0ES3_jN6thrust23THRUST_200600_302600_NS6detail15normal_iteratorINS9_10device_ptrIxEEEENSB_INSC_IjEEEEPNS0_10empty_typeENS0_5tupleIJNS9_16discard_iteratorINS9_11use_defaultEEESH_EEENSJ_IJSM_SI_EEENS0_18inequality_wrapperINS9_8equal_toIxEEEEPmJSH_EEE10hipError_tPvRmT3_T4_T5_T6_T7_T9_mT8_P12ihipStream_tbDpT10_ENKUlT_T0_E_clISt17integral_constantIbLb0EES1C_IbLb1EEEEDaS18_S19_EUlS18_E_NS1_11comp_targetILNS1_3genE3ELNS1_11target_archE908ELNS1_3gpuE7ELNS1_3repE0EEENS1_30default_config_static_selectorELNS0_4arch9wavefront6targetE0EEEvT1_,"axG",@progbits,_ZN7rocprim17ROCPRIM_400000_NS6detail17trampoline_kernelINS0_14default_configENS1_25partition_config_selectorILNS1_17partition_subalgoE9ExjbEEZZNS1_14partition_implILS5_9ELb0ES3_jN6thrust23THRUST_200600_302600_NS6detail15normal_iteratorINS9_10device_ptrIxEEEENSB_INSC_IjEEEEPNS0_10empty_typeENS0_5tupleIJNS9_16discard_iteratorINS9_11use_defaultEEESH_EEENSJ_IJSM_SI_EEENS0_18inequality_wrapperINS9_8equal_toIxEEEEPmJSH_EEE10hipError_tPvRmT3_T4_T5_T6_T7_T9_mT8_P12ihipStream_tbDpT10_ENKUlT_T0_E_clISt17integral_constantIbLb0EES1C_IbLb1EEEEDaS18_S19_EUlS18_E_NS1_11comp_targetILNS1_3genE3ELNS1_11target_archE908ELNS1_3gpuE7ELNS1_3repE0EEENS1_30default_config_static_selectorELNS0_4arch9wavefront6targetE0EEEvT1_,comdat
	.protected	_ZN7rocprim17ROCPRIM_400000_NS6detail17trampoline_kernelINS0_14default_configENS1_25partition_config_selectorILNS1_17partition_subalgoE9ExjbEEZZNS1_14partition_implILS5_9ELb0ES3_jN6thrust23THRUST_200600_302600_NS6detail15normal_iteratorINS9_10device_ptrIxEEEENSB_INSC_IjEEEEPNS0_10empty_typeENS0_5tupleIJNS9_16discard_iteratorINS9_11use_defaultEEESH_EEENSJ_IJSM_SI_EEENS0_18inequality_wrapperINS9_8equal_toIxEEEEPmJSH_EEE10hipError_tPvRmT3_T4_T5_T6_T7_T9_mT8_P12ihipStream_tbDpT10_ENKUlT_T0_E_clISt17integral_constantIbLb0EES1C_IbLb1EEEEDaS18_S19_EUlS18_E_NS1_11comp_targetILNS1_3genE3ELNS1_11target_archE908ELNS1_3gpuE7ELNS1_3repE0EEENS1_30default_config_static_selectorELNS0_4arch9wavefront6targetE0EEEvT1_ ; -- Begin function _ZN7rocprim17ROCPRIM_400000_NS6detail17trampoline_kernelINS0_14default_configENS1_25partition_config_selectorILNS1_17partition_subalgoE9ExjbEEZZNS1_14partition_implILS5_9ELb0ES3_jN6thrust23THRUST_200600_302600_NS6detail15normal_iteratorINS9_10device_ptrIxEEEENSB_INSC_IjEEEEPNS0_10empty_typeENS0_5tupleIJNS9_16discard_iteratorINS9_11use_defaultEEESH_EEENSJ_IJSM_SI_EEENS0_18inequality_wrapperINS9_8equal_toIxEEEEPmJSH_EEE10hipError_tPvRmT3_T4_T5_T6_T7_T9_mT8_P12ihipStream_tbDpT10_ENKUlT_T0_E_clISt17integral_constantIbLb0EES1C_IbLb1EEEEDaS18_S19_EUlS18_E_NS1_11comp_targetILNS1_3genE3ELNS1_11target_archE908ELNS1_3gpuE7ELNS1_3repE0EEENS1_30default_config_static_selectorELNS0_4arch9wavefront6targetE0EEEvT1_
	.globl	_ZN7rocprim17ROCPRIM_400000_NS6detail17trampoline_kernelINS0_14default_configENS1_25partition_config_selectorILNS1_17partition_subalgoE9ExjbEEZZNS1_14partition_implILS5_9ELb0ES3_jN6thrust23THRUST_200600_302600_NS6detail15normal_iteratorINS9_10device_ptrIxEEEENSB_INSC_IjEEEEPNS0_10empty_typeENS0_5tupleIJNS9_16discard_iteratorINS9_11use_defaultEEESH_EEENSJ_IJSM_SI_EEENS0_18inequality_wrapperINS9_8equal_toIxEEEEPmJSH_EEE10hipError_tPvRmT3_T4_T5_T6_T7_T9_mT8_P12ihipStream_tbDpT10_ENKUlT_T0_E_clISt17integral_constantIbLb0EES1C_IbLb1EEEEDaS18_S19_EUlS18_E_NS1_11comp_targetILNS1_3genE3ELNS1_11target_archE908ELNS1_3gpuE7ELNS1_3repE0EEENS1_30default_config_static_selectorELNS0_4arch9wavefront6targetE0EEEvT1_
	.p2align	8
	.type	_ZN7rocprim17ROCPRIM_400000_NS6detail17trampoline_kernelINS0_14default_configENS1_25partition_config_selectorILNS1_17partition_subalgoE9ExjbEEZZNS1_14partition_implILS5_9ELb0ES3_jN6thrust23THRUST_200600_302600_NS6detail15normal_iteratorINS9_10device_ptrIxEEEENSB_INSC_IjEEEEPNS0_10empty_typeENS0_5tupleIJNS9_16discard_iteratorINS9_11use_defaultEEESH_EEENSJ_IJSM_SI_EEENS0_18inequality_wrapperINS9_8equal_toIxEEEEPmJSH_EEE10hipError_tPvRmT3_T4_T5_T6_T7_T9_mT8_P12ihipStream_tbDpT10_ENKUlT_T0_E_clISt17integral_constantIbLb0EES1C_IbLb1EEEEDaS18_S19_EUlS18_E_NS1_11comp_targetILNS1_3genE3ELNS1_11target_archE908ELNS1_3gpuE7ELNS1_3repE0EEENS1_30default_config_static_selectorELNS0_4arch9wavefront6targetE0EEEvT1_,@function
_ZN7rocprim17ROCPRIM_400000_NS6detail17trampoline_kernelINS0_14default_configENS1_25partition_config_selectorILNS1_17partition_subalgoE9ExjbEEZZNS1_14partition_implILS5_9ELb0ES3_jN6thrust23THRUST_200600_302600_NS6detail15normal_iteratorINS9_10device_ptrIxEEEENSB_INSC_IjEEEEPNS0_10empty_typeENS0_5tupleIJNS9_16discard_iteratorINS9_11use_defaultEEESH_EEENSJ_IJSM_SI_EEENS0_18inequality_wrapperINS9_8equal_toIxEEEEPmJSH_EEE10hipError_tPvRmT3_T4_T5_T6_T7_T9_mT8_P12ihipStream_tbDpT10_ENKUlT_T0_E_clISt17integral_constantIbLb0EES1C_IbLb1EEEEDaS18_S19_EUlS18_E_NS1_11comp_targetILNS1_3genE3ELNS1_11target_archE908ELNS1_3gpuE7ELNS1_3repE0EEENS1_30default_config_static_selectorELNS0_4arch9wavefront6targetE0EEEvT1_: ; @_ZN7rocprim17ROCPRIM_400000_NS6detail17trampoline_kernelINS0_14default_configENS1_25partition_config_selectorILNS1_17partition_subalgoE9ExjbEEZZNS1_14partition_implILS5_9ELb0ES3_jN6thrust23THRUST_200600_302600_NS6detail15normal_iteratorINS9_10device_ptrIxEEEENSB_INSC_IjEEEEPNS0_10empty_typeENS0_5tupleIJNS9_16discard_iteratorINS9_11use_defaultEEESH_EEENSJ_IJSM_SI_EEENS0_18inequality_wrapperINS9_8equal_toIxEEEEPmJSH_EEE10hipError_tPvRmT3_T4_T5_T6_T7_T9_mT8_P12ihipStream_tbDpT10_ENKUlT_T0_E_clISt17integral_constantIbLb0EES1C_IbLb1EEEEDaS18_S19_EUlS18_E_NS1_11comp_targetILNS1_3genE3ELNS1_11target_archE908ELNS1_3gpuE7ELNS1_3repE0EEENS1_30default_config_static_selectorELNS0_4arch9wavefront6targetE0EEEvT1_
; %bb.0:
	.section	.rodata,"a",@progbits
	.p2align	6, 0x0
	.amdhsa_kernel _ZN7rocprim17ROCPRIM_400000_NS6detail17trampoline_kernelINS0_14default_configENS1_25partition_config_selectorILNS1_17partition_subalgoE9ExjbEEZZNS1_14partition_implILS5_9ELb0ES3_jN6thrust23THRUST_200600_302600_NS6detail15normal_iteratorINS9_10device_ptrIxEEEENSB_INSC_IjEEEEPNS0_10empty_typeENS0_5tupleIJNS9_16discard_iteratorINS9_11use_defaultEEESH_EEENSJ_IJSM_SI_EEENS0_18inequality_wrapperINS9_8equal_toIxEEEEPmJSH_EEE10hipError_tPvRmT3_T4_T5_T6_T7_T9_mT8_P12ihipStream_tbDpT10_ENKUlT_T0_E_clISt17integral_constantIbLb0EES1C_IbLb1EEEEDaS18_S19_EUlS18_E_NS1_11comp_targetILNS1_3genE3ELNS1_11target_archE908ELNS1_3gpuE7ELNS1_3repE0EEENS1_30default_config_static_selectorELNS0_4arch9wavefront6targetE0EEEvT1_
		.amdhsa_group_segment_fixed_size 0
		.amdhsa_private_segment_fixed_size 0
		.amdhsa_kernarg_size 144
		.amdhsa_user_sgpr_count 15
		.amdhsa_user_sgpr_dispatch_ptr 0
		.amdhsa_user_sgpr_queue_ptr 0
		.amdhsa_user_sgpr_kernarg_segment_ptr 1
		.amdhsa_user_sgpr_dispatch_id 0
		.amdhsa_user_sgpr_private_segment_size 0
		.amdhsa_wavefront_size32 1
		.amdhsa_uses_dynamic_stack 0
		.amdhsa_enable_private_segment 0
		.amdhsa_system_sgpr_workgroup_id_x 1
		.amdhsa_system_sgpr_workgroup_id_y 0
		.amdhsa_system_sgpr_workgroup_id_z 0
		.amdhsa_system_sgpr_workgroup_info 0
		.amdhsa_system_vgpr_workitem_id 0
		.amdhsa_next_free_vgpr 1
		.amdhsa_next_free_sgpr 1
		.amdhsa_reserve_vcc 0
		.amdhsa_float_round_mode_32 0
		.amdhsa_float_round_mode_16_64 0
		.amdhsa_float_denorm_mode_32 3
		.amdhsa_float_denorm_mode_16_64 3
		.amdhsa_dx10_clamp 1
		.amdhsa_ieee_mode 1
		.amdhsa_fp16_overflow 0
		.amdhsa_workgroup_processor_mode 1
		.amdhsa_memory_ordered 1
		.amdhsa_forward_progress 0
		.amdhsa_shared_vgpr_count 0
		.amdhsa_exception_fp_ieee_invalid_op 0
		.amdhsa_exception_fp_denorm_src 0
		.amdhsa_exception_fp_ieee_div_zero 0
		.amdhsa_exception_fp_ieee_overflow 0
		.amdhsa_exception_fp_ieee_underflow 0
		.amdhsa_exception_fp_ieee_inexact 0
		.amdhsa_exception_int_div_zero 0
	.end_amdhsa_kernel
	.section	.text._ZN7rocprim17ROCPRIM_400000_NS6detail17trampoline_kernelINS0_14default_configENS1_25partition_config_selectorILNS1_17partition_subalgoE9ExjbEEZZNS1_14partition_implILS5_9ELb0ES3_jN6thrust23THRUST_200600_302600_NS6detail15normal_iteratorINS9_10device_ptrIxEEEENSB_INSC_IjEEEEPNS0_10empty_typeENS0_5tupleIJNS9_16discard_iteratorINS9_11use_defaultEEESH_EEENSJ_IJSM_SI_EEENS0_18inequality_wrapperINS9_8equal_toIxEEEEPmJSH_EEE10hipError_tPvRmT3_T4_T5_T6_T7_T9_mT8_P12ihipStream_tbDpT10_ENKUlT_T0_E_clISt17integral_constantIbLb0EES1C_IbLb1EEEEDaS18_S19_EUlS18_E_NS1_11comp_targetILNS1_3genE3ELNS1_11target_archE908ELNS1_3gpuE7ELNS1_3repE0EEENS1_30default_config_static_selectorELNS0_4arch9wavefront6targetE0EEEvT1_,"axG",@progbits,_ZN7rocprim17ROCPRIM_400000_NS6detail17trampoline_kernelINS0_14default_configENS1_25partition_config_selectorILNS1_17partition_subalgoE9ExjbEEZZNS1_14partition_implILS5_9ELb0ES3_jN6thrust23THRUST_200600_302600_NS6detail15normal_iteratorINS9_10device_ptrIxEEEENSB_INSC_IjEEEEPNS0_10empty_typeENS0_5tupleIJNS9_16discard_iteratorINS9_11use_defaultEEESH_EEENSJ_IJSM_SI_EEENS0_18inequality_wrapperINS9_8equal_toIxEEEEPmJSH_EEE10hipError_tPvRmT3_T4_T5_T6_T7_T9_mT8_P12ihipStream_tbDpT10_ENKUlT_T0_E_clISt17integral_constantIbLb0EES1C_IbLb1EEEEDaS18_S19_EUlS18_E_NS1_11comp_targetILNS1_3genE3ELNS1_11target_archE908ELNS1_3gpuE7ELNS1_3repE0EEENS1_30default_config_static_selectorELNS0_4arch9wavefront6targetE0EEEvT1_,comdat
.Lfunc_end1008:
	.size	_ZN7rocprim17ROCPRIM_400000_NS6detail17trampoline_kernelINS0_14default_configENS1_25partition_config_selectorILNS1_17partition_subalgoE9ExjbEEZZNS1_14partition_implILS5_9ELb0ES3_jN6thrust23THRUST_200600_302600_NS6detail15normal_iteratorINS9_10device_ptrIxEEEENSB_INSC_IjEEEEPNS0_10empty_typeENS0_5tupleIJNS9_16discard_iteratorINS9_11use_defaultEEESH_EEENSJ_IJSM_SI_EEENS0_18inequality_wrapperINS9_8equal_toIxEEEEPmJSH_EEE10hipError_tPvRmT3_T4_T5_T6_T7_T9_mT8_P12ihipStream_tbDpT10_ENKUlT_T0_E_clISt17integral_constantIbLb0EES1C_IbLb1EEEEDaS18_S19_EUlS18_E_NS1_11comp_targetILNS1_3genE3ELNS1_11target_archE908ELNS1_3gpuE7ELNS1_3repE0EEENS1_30default_config_static_selectorELNS0_4arch9wavefront6targetE0EEEvT1_, .Lfunc_end1008-_ZN7rocprim17ROCPRIM_400000_NS6detail17trampoline_kernelINS0_14default_configENS1_25partition_config_selectorILNS1_17partition_subalgoE9ExjbEEZZNS1_14partition_implILS5_9ELb0ES3_jN6thrust23THRUST_200600_302600_NS6detail15normal_iteratorINS9_10device_ptrIxEEEENSB_INSC_IjEEEEPNS0_10empty_typeENS0_5tupleIJNS9_16discard_iteratorINS9_11use_defaultEEESH_EEENSJ_IJSM_SI_EEENS0_18inequality_wrapperINS9_8equal_toIxEEEEPmJSH_EEE10hipError_tPvRmT3_T4_T5_T6_T7_T9_mT8_P12ihipStream_tbDpT10_ENKUlT_T0_E_clISt17integral_constantIbLb0EES1C_IbLb1EEEEDaS18_S19_EUlS18_E_NS1_11comp_targetILNS1_3genE3ELNS1_11target_archE908ELNS1_3gpuE7ELNS1_3repE0EEENS1_30default_config_static_selectorELNS0_4arch9wavefront6targetE0EEEvT1_
                                        ; -- End function
	.section	.AMDGPU.csdata,"",@progbits
; Kernel info:
; codeLenInByte = 0
; NumSgprs: 0
; NumVgprs: 0
; ScratchSize: 0
; MemoryBound: 0
; FloatMode: 240
; IeeeMode: 1
; LDSByteSize: 0 bytes/workgroup (compile time only)
; SGPRBlocks: 0
; VGPRBlocks: 0
; NumSGPRsForWavesPerEU: 1
; NumVGPRsForWavesPerEU: 1
; Occupancy: 16
; WaveLimiterHint : 0
; COMPUTE_PGM_RSRC2:SCRATCH_EN: 0
; COMPUTE_PGM_RSRC2:USER_SGPR: 15
; COMPUTE_PGM_RSRC2:TRAP_HANDLER: 0
; COMPUTE_PGM_RSRC2:TGID_X_EN: 1
; COMPUTE_PGM_RSRC2:TGID_Y_EN: 0
; COMPUTE_PGM_RSRC2:TGID_Z_EN: 0
; COMPUTE_PGM_RSRC2:TIDIG_COMP_CNT: 0
	.section	.text._ZN7rocprim17ROCPRIM_400000_NS6detail17trampoline_kernelINS0_14default_configENS1_25partition_config_selectorILNS1_17partition_subalgoE9ExjbEEZZNS1_14partition_implILS5_9ELb0ES3_jN6thrust23THRUST_200600_302600_NS6detail15normal_iteratorINS9_10device_ptrIxEEEENSB_INSC_IjEEEEPNS0_10empty_typeENS0_5tupleIJNS9_16discard_iteratorINS9_11use_defaultEEESH_EEENSJ_IJSM_SI_EEENS0_18inequality_wrapperINS9_8equal_toIxEEEEPmJSH_EEE10hipError_tPvRmT3_T4_T5_T6_T7_T9_mT8_P12ihipStream_tbDpT10_ENKUlT_T0_E_clISt17integral_constantIbLb0EES1C_IbLb1EEEEDaS18_S19_EUlS18_E_NS1_11comp_targetILNS1_3genE2ELNS1_11target_archE906ELNS1_3gpuE6ELNS1_3repE0EEENS1_30default_config_static_selectorELNS0_4arch9wavefront6targetE0EEEvT1_,"axG",@progbits,_ZN7rocprim17ROCPRIM_400000_NS6detail17trampoline_kernelINS0_14default_configENS1_25partition_config_selectorILNS1_17partition_subalgoE9ExjbEEZZNS1_14partition_implILS5_9ELb0ES3_jN6thrust23THRUST_200600_302600_NS6detail15normal_iteratorINS9_10device_ptrIxEEEENSB_INSC_IjEEEEPNS0_10empty_typeENS0_5tupleIJNS9_16discard_iteratorINS9_11use_defaultEEESH_EEENSJ_IJSM_SI_EEENS0_18inequality_wrapperINS9_8equal_toIxEEEEPmJSH_EEE10hipError_tPvRmT3_T4_T5_T6_T7_T9_mT8_P12ihipStream_tbDpT10_ENKUlT_T0_E_clISt17integral_constantIbLb0EES1C_IbLb1EEEEDaS18_S19_EUlS18_E_NS1_11comp_targetILNS1_3genE2ELNS1_11target_archE906ELNS1_3gpuE6ELNS1_3repE0EEENS1_30default_config_static_selectorELNS0_4arch9wavefront6targetE0EEEvT1_,comdat
	.protected	_ZN7rocprim17ROCPRIM_400000_NS6detail17trampoline_kernelINS0_14default_configENS1_25partition_config_selectorILNS1_17partition_subalgoE9ExjbEEZZNS1_14partition_implILS5_9ELb0ES3_jN6thrust23THRUST_200600_302600_NS6detail15normal_iteratorINS9_10device_ptrIxEEEENSB_INSC_IjEEEEPNS0_10empty_typeENS0_5tupleIJNS9_16discard_iteratorINS9_11use_defaultEEESH_EEENSJ_IJSM_SI_EEENS0_18inequality_wrapperINS9_8equal_toIxEEEEPmJSH_EEE10hipError_tPvRmT3_T4_T5_T6_T7_T9_mT8_P12ihipStream_tbDpT10_ENKUlT_T0_E_clISt17integral_constantIbLb0EES1C_IbLb1EEEEDaS18_S19_EUlS18_E_NS1_11comp_targetILNS1_3genE2ELNS1_11target_archE906ELNS1_3gpuE6ELNS1_3repE0EEENS1_30default_config_static_selectorELNS0_4arch9wavefront6targetE0EEEvT1_ ; -- Begin function _ZN7rocprim17ROCPRIM_400000_NS6detail17trampoline_kernelINS0_14default_configENS1_25partition_config_selectorILNS1_17partition_subalgoE9ExjbEEZZNS1_14partition_implILS5_9ELb0ES3_jN6thrust23THRUST_200600_302600_NS6detail15normal_iteratorINS9_10device_ptrIxEEEENSB_INSC_IjEEEEPNS0_10empty_typeENS0_5tupleIJNS9_16discard_iteratorINS9_11use_defaultEEESH_EEENSJ_IJSM_SI_EEENS0_18inequality_wrapperINS9_8equal_toIxEEEEPmJSH_EEE10hipError_tPvRmT3_T4_T5_T6_T7_T9_mT8_P12ihipStream_tbDpT10_ENKUlT_T0_E_clISt17integral_constantIbLb0EES1C_IbLb1EEEEDaS18_S19_EUlS18_E_NS1_11comp_targetILNS1_3genE2ELNS1_11target_archE906ELNS1_3gpuE6ELNS1_3repE0EEENS1_30default_config_static_selectorELNS0_4arch9wavefront6targetE0EEEvT1_
	.globl	_ZN7rocprim17ROCPRIM_400000_NS6detail17trampoline_kernelINS0_14default_configENS1_25partition_config_selectorILNS1_17partition_subalgoE9ExjbEEZZNS1_14partition_implILS5_9ELb0ES3_jN6thrust23THRUST_200600_302600_NS6detail15normal_iteratorINS9_10device_ptrIxEEEENSB_INSC_IjEEEEPNS0_10empty_typeENS0_5tupleIJNS9_16discard_iteratorINS9_11use_defaultEEESH_EEENSJ_IJSM_SI_EEENS0_18inequality_wrapperINS9_8equal_toIxEEEEPmJSH_EEE10hipError_tPvRmT3_T4_T5_T6_T7_T9_mT8_P12ihipStream_tbDpT10_ENKUlT_T0_E_clISt17integral_constantIbLb0EES1C_IbLb1EEEEDaS18_S19_EUlS18_E_NS1_11comp_targetILNS1_3genE2ELNS1_11target_archE906ELNS1_3gpuE6ELNS1_3repE0EEENS1_30default_config_static_selectorELNS0_4arch9wavefront6targetE0EEEvT1_
	.p2align	8
	.type	_ZN7rocprim17ROCPRIM_400000_NS6detail17trampoline_kernelINS0_14default_configENS1_25partition_config_selectorILNS1_17partition_subalgoE9ExjbEEZZNS1_14partition_implILS5_9ELb0ES3_jN6thrust23THRUST_200600_302600_NS6detail15normal_iteratorINS9_10device_ptrIxEEEENSB_INSC_IjEEEEPNS0_10empty_typeENS0_5tupleIJNS9_16discard_iteratorINS9_11use_defaultEEESH_EEENSJ_IJSM_SI_EEENS0_18inequality_wrapperINS9_8equal_toIxEEEEPmJSH_EEE10hipError_tPvRmT3_T4_T5_T6_T7_T9_mT8_P12ihipStream_tbDpT10_ENKUlT_T0_E_clISt17integral_constantIbLb0EES1C_IbLb1EEEEDaS18_S19_EUlS18_E_NS1_11comp_targetILNS1_3genE2ELNS1_11target_archE906ELNS1_3gpuE6ELNS1_3repE0EEENS1_30default_config_static_selectorELNS0_4arch9wavefront6targetE0EEEvT1_,@function
_ZN7rocprim17ROCPRIM_400000_NS6detail17trampoline_kernelINS0_14default_configENS1_25partition_config_selectorILNS1_17partition_subalgoE9ExjbEEZZNS1_14partition_implILS5_9ELb0ES3_jN6thrust23THRUST_200600_302600_NS6detail15normal_iteratorINS9_10device_ptrIxEEEENSB_INSC_IjEEEEPNS0_10empty_typeENS0_5tupleIJNS9_16discard_iteratorINS9_11use_defaultEEESH_EEENSJ_IJSM_SI_EEENS0_18inequality_wrapperINS9_8equal_toIxEEEEPmJSH_EEE10hipError_tPvRmT3_T4_T5_T6_T7_T9_mT8_P12ihipStream_tbDpT10_ENKUlT_T0_E_clISt17integral_constantIbLb0EES1C_IbLb1EEEEDaS18_S19_EUlS18_E_NS1_11comp_targetILNS1_3genE2ELNS1_11target_archE906ELNS1_3gpuE6ELNS1_3repE0EEENS1_30default_config_static_selectorELNS0_4arch9wavefront6targetE0EEEvT1_: ; @_ZN7rocprim17ROCPRIM_400000_NS6detail17trampoline_kernelINS0_14default_configENS1_25partition_config_selectorILNS1_17partition_subalgoE9ExjbEEZZNS1_14partition_implILS5_9ELb0ES3_jN6thrust23THRUST_200600_302600_NS6detail15normal_iteratorINS9_10device_ptrIxEEEENSB_INSC_IjEEEEPNS0_10empty_typeENS0_5tupleIJNS9_16discard_iteratorINS9_11use_defaultEEESH_EEENSJ_IJSM_SI_EEENS0_18inequality_wrapperINS9_8equal_toIxEEEEPmJSH_EEE10hipError_tPvRmT3_T4_T5_T6_T7_T9_mT8_P12ihipStream_tbDpT10_ENKUlT_T0_E_clISt17integral_constantIbLb0EES1C_IbLb1EEEEDaS18_S19_EUlS18_E_NS1_11comp_targetILNS1_3genE2ELNS1_11target_archE906ELNS1_3gpuE6ELNS1_3repE0EEENS1_30default_config_static_selectorELNS0_4arch9wavefront6targetE0EEEvT1_
; %bb.0:
	.section	.rodata,"a",@progbits
	.p2align	6, 0x0
	.amdhsa_kernel _ZN7rocprim17ROCPRIM_400000_NS6detail17trampoline_kernelINS0_14default_configENS1_25partition_config_selectorILNS1_17partition_subalgoE9ExjbEEZZNS1_14partition_implILS5_9ELb0ES3_jN6thrust23THRUST_200600_302600_NS6detail15normal_iteratorINS9_10device_ptrIxEEEENSB_INSC_IjEEEEPNS0_10empty_typeENS0_5tupleIJNS9_16discard_iteratorINS9_11use_defaultEEESH_EEENSJ_IJSM_SI_EEENS0_18inequality_wrapperINS9_8equal_toIxEEEEPmJSH_EEE10hipError_tPvRmT3_T4_T5_T6_T7_T9_mT8_P12ihipStream_tbDpT10_ENKUlT_T0_E_clISt17integral_constantIbLb0EES1C_IbLb1EEEEDaS18_S19_EUlS18_E_NS1_11comp_targetILNS1_3genE2ELNS1_11target_archE906ELNS1_3gpuE6ELNS1_3repE0EEENS1_30default_config_static_selectorELNS0_4arch9wavefront6targetE0EEEvT1_
		.amdhsa_group_segment_fixed_size 0
		.amdhsa_private_segment_fixed_size 0
		.amdhsa_kernarg_size 144
		.amdhsa_user_sgpr_count 15
		.amdhsa_user_sgpr_dispatch_ptr 0
		.amdhsa_user_sgpr_queue_ptr 0
		.amdhsa_user_sgpr_kernarg_segment_ptr 1
		.amdhsa_user_sgpr_dispatch_id 0
		.amdhsa_user_sgpr_private_segment_size 0
		.amdhsa_wavefront_size32 1
		.amdhsa_uses_dynamic_stack 0
		.amdhsa_enable_private_segment 0
		.amdhsa_system_sgpr_workgroup_id_x 1
		.amdhsa_system_sgpr_workgroup_id_y 0
		.amdhsa_system_sgpr_workgroup_id_z 0
		.amdhsa_system_sgpr_workgroup_info 0
		.amdhsa_system_vgpr_workitem_id 0
		.amdhsa_next_free_vgpr 1
		.amdhsa_next_free_sgpr 1
		.amdhsa_reserve_vcc 0
		.amdhsa_float_round_mode_32 0
		.amdhsa_float_round_mode_16_64 0
		.amdhsa_float_denorm_mode_32 3
		.amdhsa_float_denorm_mode_16_64 3
		.amdhsa_dx10_clamp 1
		.amdhsa_ieee_mode 1
		.amdhsa_fp16_overflow 0
		.amdhsa_workgroup_processor_mode 1
		.amdhsa_memory_ordered 1
		.amdhsa_forward_progress 0
		.amdhsa_shared_vgpr_count 0
		.amdhsa_exception_fp_ieee_invalid_op 0
		.amdhsa_exception_fp_denorm_src 0
		.amdhsa_exception_fp_ieee_div_zero 0
		.amdhsa_exception_fp_ieee_overflow 0
		.amdhsa_exception_fp_ieee_underflow 0
		.amdhsa_exception_fp_ieee_inexact 0
		.amdhsa_exception_int_div_zero 0
	.end_amdhsa_kernel
	.section	.text._ZN7rocprim17ROCPRIM_400000_NS6detail17trampoline_kernelINS0_14default_configENS1_25partition_config_selectorILNS1_17partition_subalgoE9ExjbEEZZNS1_14partition_implILS5_9ELb0ES3_jN6thrust23THRUST_200600_302600_NS6detail15normal_iteratorINS9_10device_ptrIxEEEENSB_INSC_IjEEEEPNS0_10empty_typeENS0_5tupleIJNS9_16discard_iteratorINS9_11use_defaultEEESH_EEENSJ_IJSM_SI_EEENS0_18inequality_wrapperINS9_8equal_toIxEEEEPmJSH_EEE10hipError_tPvRmT3_T4_T5_T6_T7_T9_mT8_P12ihipStream_tbDpT10_ENKUlT_T0_E_clISt17integral_constantIbLb0EES1C_IbLb1EEEEDaS18_S19_EUlS18_E_NS1_11comp_targetILNS1_3genE2ELNS1_11target_archE906ELNS1_3gpuE6ELNS1_3repE0EEENS1_30default_config_static_selectorELNS0_4arch9wavefront6targetE0EEEvT1_,"axG",@progbits,_ZN7rocprim17ROCPRIM_400000_NS6detail17trampoline_kernelINS0_14default_configENS1_25partition_config_selectorILNS1_17partition_subalgoE9ExjbEEZZNS1_14partition_implILS5_9ELb0ES3_jN6thrust23THRUST_200600_302600_NS6detail15normal_iteratorINS9_10device_ptrIxEEEENSB_INSC_IjEEEEPNS0_10empty_typeENS0_5tupleIJNS9_16discard_iteratorINS9_11use_defaultEEESH_EEENSJ_IJSM_SI_EEENS0_18inequality_wrapperINS9_8equal_toIxEEEEPmJSH_EEE10hipError_tPvRmT3_T4_T5_T6_T7_T9_mT8_P12ihipStream_tbDpT10_ENKUlT_T0_E_clISt17integral_constantIbLb0EES1C_IbLb1EEEEDaS18_S19_EUlS18_E_NS1_11comp_targetILNS1_3genE2ELNS1_11target_archE906ELNS1_3gpuE6ELNS1_3repE0EEENS1_30default_config_static_selectorELNS0_4arch9wavefront6targetE0EEEvT1_,comdat
.Lfunc_end1009:
	.size	_ZN7rocprim17ROCPRIM_400000_NS6detail17trampoline_kernelINS0_14default_configENS1_25partition_config_selectorILNS1_17partition_subalgoE9ExjbEEZZNS1_14partition_implILS5_9ELb0ES3_jN6thrust23THRUST_200600_302600_NS6detail15normal_iteratorINS9_10device_ptrIxEEEENSB_INSC_IjEEEEPNS0_10empty_typeENS0_5tupleIJNS9_16discard_iteratorINS9_11use_defaultEEESH_EEENSJ_IJSM_SI_EEENS0_18inequality_wrapperINS9_8equal_toIxEEEEPmJSH_EEE10hipError_tPvRmT3_T4_T5_T6_T7_T9_mT8_P12ihipStream_tbDpT10_ENKUlT_T0_E_clISt17integral_constantIbLb0EES1C_IbLb1EEEEDaS18_S19_EUlS18_E_NS1_11comp_targetILNS1_3genE2ELNS1_11target_archE906ELNS1_3gpuE6ELNS1_3repE0EEENS1_30default_config_static_selectorELNS0_4arch9wavefront6targetE0EEEvT1_, .Lfunc_end1009-_ZN7rocprim17ROCPRIM_400000_NS6detail17trampoline_kernelINS0_14default_configENS1_25partition_config_selectorILNS1_17partition_subalgoE9ExjbEEZZNS1_14partition_implILS5_9ELb0ES3_jN6thrust23THRUST_200600_302600_NS6detail15normal_iteratorINS9_10device_ptrIxEEEENSB_INSC_IjEEEEPNS0_10empty_typeENS0_5tupleIJNS9_16discard_iteratorINS9_11use_defaultEEESH_EEENSJ_IJSM_SI_EEENS0_18inequality_wrapperINS9_8equal_toIxEEEEPmJSH_EEE10hipError_tPvRmT3_T4_T5_T6_T7_T9_mT8_P12ihipStream_tbDpT10_ENKUlT_T0_E_clISt17integral_constantIbLb0EES1C_IbLb1EEEEDaS18_S19_EUlS18_E_NS1_11comp_targetILNS1_3genE2ELNS1_11target_archE906ELNS1_3gpuE6ELNS1_3repE0EEENS1_30default_config_static_selectorELNS0_4arch9wavefront6targetE0EEEvT1_
                                        ; -- End function
	.section	.AMDGPU.csdata,"",@progbits
; Kernel info:
; codeLenInByte = 0
; NumSgprs: 0
; NumVgprs: 0
; ScratchSize: 0
; MemoryBound: 0
; FloatMode: 240
; IeeeMode: 1
; LDSByteSize: 0 bytes/workgroup (compile time only)
; SGPRBlocks: 0
; VGPRBlocks: 0
; NumSGPRsForWavesPerEU: 1
; NumVGPRsForWavesPerEU: 1
; Occupancy: 16
; WaveLimiterHint : 0
; COMPUTE_PGM_RSRC2:SCRATCH_EN: 0
; COMPUTE_PGM_RSRC2:USER_SGPR: 15
; COMPUTE_PGM_RSRC2:TRAP_HANDLER: 0
; COMPUTE_PGM_RSRC2:TGID_X_EN: 1
; COMPUTE_PGM_RSRC2:TGID_Y_EN: 0
; COMPUTE_PGM_RSRC2:TGID_Z_EN: 0
; COMPUTE_PGM_RSRC2:TIDIG_COMP_CNT: 0
	.section	.text._ZN7rocprim17ROCPRIM_400000_NS6detail17trampoline_kernelINS0_14default_configENS1_25partition_config_selectorILNS1_17partition_subalgoE9ExjbEEZZNS1_14partition_implILS5_9ELb0ES3_jN6thrust23THRUST_200600_302600_NS6detail15normal_iteratorINS9_10device_ptrIxEEEENSB_INSC_IjEEEEPNS0_10empty_typeENS0_5tupleIJNS9_16discard_iteratorINS9_11use_defaultEEESH_EEENSJ_IJSM_SI_EEENS0_18inequality_wrapperINS9_8equal_toIxEEEEPmJSH_EEE10hipError_tPvRmT3_T4_T5_T6_T7_T9_mT8_P12ihipStream_tbDpT10_ENKUlT_T0_E_clISt17integral_constantIbLb0EES1C_IbLb1EEEEDaS18_S19_EUlS18_E_NS1_11comp_targetILNS1_3genE10ELNS1_11target_archE1200ELNS1_3gpuE4ELNS1_3repE0EEENS1_30default_config_static_selectorELNS0_4arch9wavefront6targetE0EEEvT1_,"axG",@progbits,_ZN7rocprim17ROCPRIM_400000_NS6detail17trampoline_kernelINS0_14default_configENS1_25partition_config_selectorILNS1_17partition_subalgoE9ExjbEEZZNS1_14partition_implILS5_9ELb0ES3_jN6thrust23THRUST_200600_302600_NS6detail15normal_iteratorINS9_10device_ptrIxEEEENSB_INSC_IjEEEEPNS0_10empty_typeENS0_5tupleIJNS9_16discard_iteratorINS9_11use_defaultEEESH_EEENSJ_IJSM_SI_EEENS0_18inequality_wrapperINS9_8equal_toIxEEEEPmJSH_EEE10hipError_tPvRmT3_T4_T5_T6_T7_T9_mT8_P12ihipStream_tbDpT10_ENKUlT_T0_E_clISt17integral_constantIbLb0EES1C_IbLb1EEEEDaS18_S19_EUlS18_E_NS1_11comp_targetILNS1_3genE10ELNS1_11target_archE1200ELNS1_3gpuE4ELNS1_3repE0EEENS1_30default_config_static_selectorELNS0_4arch9wavefront6targetE0EEEvT1_,comdat
	.protected	_ZN7rocprim17ROCPRIM_400000_NS6detail17trampoline_kernelINS0_14default_configENS1_25partition_config_selectorILNS1_17partition_subalgoE9ExjbEEZZNS1_14partition_implILS5_9ELb0ES3_jN6thrust23THRUST_200600_302600_NS6detail15normal_iteratorINS9_10device_ptrIxEEEENSB_INSC_IjEEEEPNS0_10empty_typeENS0_5tupleIJNS9_16discard_iteratorINS9_11use_defaultEEESH_EEENSJ_IJSM_SI_EEENS0_18inequality_wrapperINS9_8equal_toIxEEEEPmJSH_EEE10hipError_tPvRmT3_T4_T5_T6_T7_T9_mT8_P12ihipStream_tbDpT10_ENKUlT_T0_E_clISt17integral_constantIbLb0EES1C_IbLb1EEEEDaS18_S19_EUlS18_E_NS1_11comp_targetILNS1_3genE10ELNS1_11target_archE1200ELNS1_3gpuE4ELNS1_3repE0EEENS1_30default_config_static_selectorELNS0_4arch9wavefront6targetE0EEEvT1_ ; -- Begin function _ZN7rocprim17ROCPRIM_400000_NS6detail17trampoline_kernelINS0_14default_configENS1_25partition_config_selectorILNS1_17partition_subalgoE9ExjbEEZZNS1_14partition_implILS5_9ELb0ES3_jN6thrust23THRUST_200600_302600_NS6detail15normal_iteratorINS9_10device_ptrIxEEEENSB_INSC_IjEEEEPNS0_10empty_typeENS0_5tupleIJNS9_16discard_iteratorINS9_11use_defaultEEESH_EEENSJ_IJSM_SI_EEENS0_18inequality_wrapperINS9_8equal_toIxEEEEPmJSH_EEE10hipError_tPvRmT3_T4_T5_T6_T7_T9_mT8_P12ihipStream_tbDpT10_ENKUlT_T0_E_clISt17integral_constantIbLb0EES1C_IbLb1EEEEDaS18_S19_EUlS18_E_NS1_11comp_targetILNS1_3genE10ELNS1_11target_archE1200ELNS1_3gpuE4ELNS1_3repE0EEENS1_30default_config_static_selectorELNS0_4arch9wavefront6targetE0EEEvT1_
	.globl	_ZN7rocprim17ROCPRIM_400000_NS6detail17trampoline_kernelINS0_14default_configENS1_25partition_config_selectorILNS1_17partition_subalgoE9ExjbEEZZNS1_14partition_implILS5_9ELb0ES3_jN6thrust23THRUST_200600_302600_NS6detail15normal_iteratorINS9_10device_ptrIxEEEENSB_INSC_IjEEEEPNS0_10empty_typeENS0_5tupleIJNS9_16discard_iteratorINS9_11use_defaultEEESH_EEENSJ_IJSM_SI_EEENS0_18inequality_wrapperINS9_8equal_toIxEEEEPmJSH_EEE10hipError_tPvRmT3_T4_T5_T6_T7_T9_mT8_P12ihipStream_tbDpT10_ENKUlT_T0_E_clISt17integral_constantIbLb0EES1C_IbLb1EEEEDaS18_S19_EUlS18_E_NS1_11comp_targetILNS1_3genE10ELNS1_11target_archE1200ELNS1_3gpuE4ELNS1_3repE0EEENS1_30default_config_static_selectorELNS0_4arch9wavefront6targetE0EEEvT1_
	.p2align	8
	.type	_ZN7rocprim17ROCPRIM_400000_NS6detail17trampoline_kernelINS0_14default_configENS1_25partition_config_selectorILNS1_17partition_subalgoE9ExjbEEZZNS1_14partition_implILS5_9ELb0ES3_jN6thrust23THRUST_200600_302600_NS6detail15normal_iteratorINS9_10device_ptrIxEEEENSB_INSC_IjEEEEPNS0_10empty_typeENS0_5tupleIJNS9_16discard_iteratorINS9_11use_defaultEEESH_EEENSJ_IJSM_SI_EEENS0_18inequality_wrapperINS9_8equal_toIxEEEEPmJSH_EEE10hipError_tPvRmT3_T4_T5_T6_T7_T9_mT8_P12ihipStream_tbDpT10_ENKUlT_T0_E_clISt17integral_constantIbLb0EES1C_IbLb1EEEEDaS18_S19_EUlS18_E_NS1_11comp_targetILNS1_3genE10ELNS1_11target_archE1200ELNS1_3gpuE4ELNS1_3repE0EEENS1_30default_config_static_selectorELNS0_4arch9wavefront6targetE0EEEvT1_,@function
_ZN7rocprim17ROCPRIM_400000_NS6detail17trampoline_kernelINS0_14default_configENS1_25partition_config_selectorILNS1_17partition_subalgoE9ExjbEEZZNS1_14partition_implILS5_9ELb0ES3_jN6thrust23THRUST_200600_302600_NS6detail15normal_iteratorINS9_10device_ptrIxEEEENSB_INSC_IjEEEEPNS0_10empty_typeENS0_5tupleIJNS9_16discard_iteratorINS9_11use_defaultEEESH_EEENSJ_IJSM_SI_EEENS0_18inequality_wrapperINS9_8equal_toIxEEEEPmJSH_EEE10hipError_tPvRmT3_T4_T5_T6_T7_T9_mT8_P12ihipStream_tbDpT10_ENKUlT_T0_E_clISt17integral_constantIbLb0EES1C_IbLb1EEEEDaS18_S19_EUlS18_E_NS1_11comp_targetILNS1_3genE10ELNS1_11target_archE1200ELNS1_3gpuE4ELNS1_3repE0EEENS1_30default_config_static_selectorELNS0_4arch9wavefront6targetE0EEEvT1_: ; @_ZN7rocprim17ROCPRIM_400000_NS6detail17trampoline_kernelINS0_14default_configENS1_25partition_config_selectorILNS1_17partition_subalgoE9ExjbEEZZNS1_14partition_implILS5_9ELb0ES3_jN6thrust23THRUST_200600_302600_NS6detail15normal_iteratorINS9_10device_ptrIxEEEENSB_INSC_IjEEEEPNS0_10empty_typeENS0_5tupleIJNS9_16discard_iteratorINS9_11use_defaultEEESH_EEENSJ_IJSM_SI_EEENS0_18inequality_wrapperINS9_8equal_toIxEEEEPmJSH_EEE10hipError_tPvRmT3_T4_T5_T6_T7_T9_mT8_P12ihipStream_tbDpT10_ENKUlT_T0_E_clISt17integral_constantIbLb0EES1C_IbLb1EEEEDaS18_S19_EUlS18_E_NS1_11comp_targetILNS1_3genE10ELNS1_11target_archE1200ELNS1_3gpuE4ELNS1_3repE0EEENS1_30default_config_static_selectorELNS0_4arch9wavefront6targetE0EEEvT1_
; %bb.0:
	.section	.rodata,"a",@progbits
	.p2align	6, 0x0
	.amdhsa_kernel _ZN7rocprim17ROCPRIM_400000_NS6detail17trampoline_kernelINS0_14default_configENS1_25partition_config_selectorILNS1_17partition_subalgoE9ExjbEEZZNS1_14partition_implILS5_9ELb0ES3_jN6thrust23THRUST_200600_302600_NS6detail15normal_iteratorINS9_10device_ptrIxEEEENSB_INSC_IjEEEEPNS0_10empty_typeENS0_5tupleIJNS9_16discard_iteratorINS9_11use_defaultEEESH_EEENSJ_IJSM_SI_EEENS0_18inequality_wrapperINS9_8equal_toIxEEEEPmJSH_EEE10hipError_tPvRmT3_T4_T5_T6_T7_T9_mT8_P12ihipStream_tbDpT10_ENKUlT_T0_E_clISt17integral_constantIbLb0EES1C_IbLb1EEEEDaS18_S19_EUlS18_E_NS1_11comp_targetILNS1_3genE10ELNS1_11target_archE1200ELNS1_3gpuE4ELNS1_3repE0EEENS1_30default_config_static_selectorELNS0_4arch9wavefront6targetE0EEEvT1_
		.amdhsa_group_segment_fixed_size 0
		.amdhsa_private_segment_fixed_size 0
		.amdhsa_kernarg_size 144
		.amdhsa_user_sgpr_count 15
		.amdhsa_user_sgpr_dispatch_ptr 0
		.amdhsa_user_sgpr_queue_ptr 0
		.amdhsa_user_sgpr_kernarg_segment_ptr 1
		.amdhsa_user_sgpr_dispatch_id 0
		.amdhsa_user_sgpr_private_segment_size 0
		.amdhsa_wavefront_size32 1
		.amdhsa_uses_dynamic_stack 0
		.amdhsa_enable_private_segment 0
		.amdhsa_system_sgpr_workgroup_id_x 1
		.amdhsa_system_sgpr_workgroup_id_y 0
		.amdhsa_system_sgpr_workgroup_id_z 0
		.amdhsa_system_sgpr_workgroup_info 0
		.amdhsa_system_vgpr_workitem_id 0
		.amdhsa_next_free_vgpr 1
		.amdhsa_next_free_sgpr 1
		.amdhsa_reserve_vcc 0
		.amdhsa_float_round_mode_32 0
		.amdhsa_float_round_mode_16_64 0
		.amdhsa_float_denorm_mode_32 3
		.amdhsa_float_denorm_mode_16_64 3
		.amdhsa_dx10_clamp 1
		.amdhsa_ieee_mode 1
		.amdhsa_fp16_overflow 0
		.amdhsa_workgroup_processor_mode 1
		.amdhsa_memory_ordered 1
		.amdhsa_forward_progress 0
		.amdhsa_shared_vgpr_count 0
		.amdhsa_exception_fp_ieee_invalid_op 0
		.amdhsa_exception_fp_denorm_src 0
		.amdhsa_exception_fp_ieee_div_zero 0
		.amdhsa_exception_fp_ieee_overflow 0
		.amdhsa_exception_fp_ieee_underflow 0
		.amdhsa_exception_fp_ieee_inexact 0
		.amdhsa_exception_int_div_zero 0
	.end_amdhsa_kernel
	.section	.text._ZN7rocprim17ROCPRIM_400000_NS6detail17trampoline_kernelINS0_14default_configENS1_25partition_config_selectorILNS1_17partition_subalgoE9ExjbEEZZNS1_14partition_implILS5_9ELb0ES3_jN6thrust23THRUST_200600_302600_NS6detail15normal_iteratorINS9_10device_ptrIxEEEENSB_INSC_IjEEEEPNS0_10empty_typeENS0_5tupleIJNS9_16discard_iteratorINS9_11use_defaultEEESH_EEENSJ_IJSM_SI_EEENS0_18inequality_wrapperINS9_8equal_toIxEEEEPmJSH_EEE10hipError_tPvRmT3_T4_T5_T6_T7_T9_mT8_P12ihipStream_tbDpT10_ENKUlT_T0_E_clISt17integral_constantIbLb0EES1C_IbLb1EEEEDaS18_S19_EUlS18_E_NS1_11comp_targetILNS1_3genE10ELNS1_11target_archE1200ELNS1_3gpuE4ELNS1_3repE0EEENS1_30default_config_static_selectorELNS0_4arch9wavefront6targetE0EEEvT1_,"axG",@progbits,_ZN7rocprim17ROCPRIM_400000_NS6detail17trampoline_kernelINS0_14default_configENS1_25partition_config_selectorILNS1_17partition_subalgoE9ExjbEEZZNS1_14partition_implILS5_9ELb0ES3_jN6thrust23THRUST_200600_302600_NS6detail15normal_iteratorINS9_10device_ptrIxEEEENSB_INSC_IjEEEEPNS0_10empty_typeENS0_5tupleIJNS9_16discard_iteratorINS9_11use_defaultEEESH_EEENSJ_IJSM_SI_EEENS0_18inequality_wrapperINS9_8equal_toIxEEEEPmJSH_EEE10hipError_tPvRmT3_T4_T5_T6_T7_T9_mT8_P12ihipStream_tbDpT10_ENKUlT_T0_E_clISt17integral_constantIbLb0EES1C_IbLb1EEEEDaS18_S19_EUlS18_E_NS1_11comp_targetILNS1_3genE10ELNS1_11target_archE1200ELNS1_3gpuE4ELNS1_3repE0EEENS1_30default_config_static_selectorELNS0_4arch9wavefront6targetE0EEEvT1_,comdat
.Lfunc_end1010:
	.size	_ZN7rocprim17ROCPRIM_400000_NS6detail17trampoline_kernelINS0_14default_configENS1_25partition_config_selectorILNS1_17partition_subalgoE9ExjbEEZZNS1_14partition_implILS5_9ELb0ES3_jN6thrust23THRUST_200600_302600_NS6detail15normal_iteratorINS9_10device_ptrIxEEEENSB_INSC_IjEEEEPNS0_10empty_typeENS0_5tupleIJNS9_16discard_iteratorINS9_11use_defaultEEESH_EEENSJ_IJSM_SI_EEENS0_18inequality_wrapperINS9_8equal_toIxEEEEPmJSH_EEE10hipError_tPvRmT3_T4_T5_T6_T7_T9_mT8_P12ihipStream_tbDpT10_ENKUlT_T0_E_clISt17integral_constantIbLb0EES1C_IbLb1EEEEDaS18_S19_EUlS18_E_NS1_11comp_targetILNS1_3genE10ELNS1_11target_archE1200ELNS1_3gpuE4ELNS1_3repE0EEENS1_30default_config_static_selectorELNS0_4arch9wavefront6targetE0EEEvT1_, .Lfunc_end1010-_ZN7rocprim17ROCPRIM_400000_NS6detail17trampoline_kernelINS0_14default_configENS1_25partition_config_selectorILNS1_17partition_subalgoE9ExjbEEZZNS1_14partition_implILS5_9ELb0ES3_jN6thrust23THRUST_200600_302600_NS6detail15normal_iteratorINS9_10device_ptrIxEEEENSB_INSC_IjEEEEPNS0_10empty_typeENS0_5tupleIJNS9_16discard_iteratorINS9_11use_defaultEEESH_EEENSJ_IJSM_SI_EEENS0_18inequality_wrapperINS9_8equal_toIxEEEEPmJSH_EEE10hipError_tPvRmT3_T4_T5_T6_T7_T9_mT8_P12ihipStream_tbDpT10_ENKUlT_T0_E_clISt17integral_constantIbLb0EES1C_IbLb1EEEEDaS18_S19_EUlS18_E_NS1_11comp_targetILNS1_3genE10ELNS1_11target_archE1200ELNS1_3gpuE4ELNS1_3repE0EEENS1_30default_config_static_selectorELNS0_4arch9wavefront6targetE0EEEvT1_
                                        ; -- End function
	.section	.AMDGPU.csdata,"",@progbits
; Kernel info:
; codeLenInByte = 0
; NumSgprs: 0
; NumVgprs: 0
; ScratchSize: 0
; MemoryBound: 0
; FloatMode: 240
; IeeeMode: 1
; LDSByteSize: 0 bytes/workgroup (compile time only)
; SGPRBlocks: 0
; VGPRBlocks: 0
; NumSGPRsForWavesPerEU: 1
; NumVGPRsForWavesPerEU: 1
; Occupancy: 15
; WaveLimiterHint : 0
; COMPUTE_PGM_RSRC2:SCRATCH_EN: 0
; COMPUTE_PGM_RSRC2:USER_SGPR: 15
; COMPUTE_PGM_RSRC2:TRAP_HANDLER: 0
; COMPUTE_PGM_RSRC2:TGID_X_EN: 1
; COMPUTE_PGM_RSRC2:TGID_Y_EN: 0
; COMPUTE_PGM_RSRC2:TGID_Z_EN: 0
; COMPUTE_PGM_RSRC2:TIDIG_COMP_CNT: 0
	.section	.text._ZN7rocprim17ROCPRIM_400000_NS6detail17trampoline_kernelINS0_14default_configENS1_25partition_config_selectorILNS1_17partition_subalgoE9ExjbEEZZNS1_14partition_implILS5_9ELb0ES3_jN6thrust23THRUST_200600_302600_NS6detail15normal_iteratorINS9_10device_ptrIxEEEENSB_INSC_IjEEEEPNS0_10empty_typeENS0_5tupleIJNS9_16discard_iteratorINS9_11use_defaultEEESH_EEENSJ_IJSM_SI_EEENS0_18inequality_wrapperINS9_8equal_toIxEEEEPmJSH_EEE10hipError_tPvRmT3_T4_T5_T6_T7_T9_mT8_P12ihipStream_tbDpT10_ENKUlT_T0_E_clISt17integral_constantIbLb0EES1C_IbLb1EEEEDaS18_S19_EUlS18_E_NS1_11comp_targetILNS1_3genE9ELNS1_11target_archE1100ELNS1_3gpuE3ELNS1_3repE0EEENS1_30default_config_static_selectorELNS0_4arch9wavefront6targetE0EEEvT1_,"axG",@progbits,_ZN7rocprim17ROCPRIM_400000_NS6detail17trampoline_kernelINS0_14default_configENS1_25partition_config_selectorILNS1_17partition_subalgoE9ExjbEEZZNS1_14partition_implILS5_9ELb0ES3_jN6thrust23THRUST_200600_302600_NS6detail15normal_iteratorINS9_10device_ptrIxEEEENSB_INSC_IjEEEEPNS0_10empty_typeENS0_5tupleIJNS9_16discard_iteratorINS9_11use_defaultEEESH_EEENSJ_IJSM_SI_EEENS0_18inequality_wrapperINS9_8equal_toIxEEEEPmJSH_EEE10hipError_tPvRmT3_T4_T5_T6_T7_T9_mT8_P12ihipStream_tbDpT10_ENKUlT_T0_E_clISt17integral_constantIbLb0EES1C_IbLb1EEEEDaS18_S19_EUlS18_E_NS1_11comp_targetILNS1_3genE9ELNS1_11target_archE1100ELNS1_3gpuE3ELNS1_3repE0EEENS1_30default_config_static_selectorELNS0_4arch9wavefront6targetE0EEEvT1_,comdat
	.protected	_ZN7rocprim17ROCPRIM_400000_NS6detail17trampoline_kernelINS0_14default_configENS1_25partition_config_selectorILNS1_17partition_subalgoE9ExjbEEZZNS1_14partition_implILS5_9ELb0ES3_jN6thrust23THRUST_200600_302600_NS6detail15normal_iteratorINS9_10device_ptrIxEEEENSB_INSC_IjEEEEPNS0_10empty_typeENS0_5tupleIJNS9_16discard_iteratorINS9_11use_defaultEEESH_EEENSJ_IJSM_SI_EEENS0_18inequality_wrapperINS9_8equal_toIxEEEEPmJSH_EEE10hipError_tPvRmT3_T4_T5_T6_T7_T9_mT8_P12ihipStream_tbDpT10_ENKUlT_T0_E_clISt17integral_constantIbLb0EES1C_IbLb1EEEEDaS18_S19_EUlS18_E_NS1_11comp_targetILNS1_3genE9ELNS1_11target_archE1100ELNS1_3gpuE3ELNS1_3repE0EEENS1_30default_config_static_selectorELNS0_4arch9wavefront6targetE0EEEvT1_ ; -- Begin function _ZN7rocprim17ROCPRIM_400000_NS6detail17trampoline_kernelINS0_14default_configENS1_25partition_config_selectorILNS1_17partition_subalgoE9ExjbEEZZNS1_14partition_implILS5_9ELb0ES3_jN6thrust23THRUST_200600_302600_NS6detail15normal_iteratorINS9_10device_ptrIxEEEENSB_INSC_IjEEEEPNS0_10empty_typeENS0_5tupleIJNS9_16discard_iteratorINS9_11use_defaultEEESH_EEENSJ_IJSM_SI_EEENS0_18inequality_wrapperINS9_8equal_toIxEEEEPmJSH_EEE10hipError_tPvRmT3_T4_T5_T6_T7_T9_mT8_P12ihipStream_tbDpT10_ENKUlT_T0_E_clISt17integral_constantIbLb0EES1C_IbLb1EEEEDaS18_S19_EUlS18_E_NS1_11comp_targetILNS1_3genE9ELNS1_11target_archE1100ELNS1_3gpuE3ELNS1_3repE0EEENS1_30default_config_static_selectorELNS0_4arch9wavefront6targetE0EEEvT1_
	.globl	_ZN7rocprim17ROCPRIM_400000_NS6detail17trampoline_kernelINS0_14default_configENS1_25partition_config_selectorILNS1_17partition_subalgoE9ExjbEEZZNS1_14partition_implILS5_9ELb0ES3_jN6thrust23THRUST_200600_302600_NS6detail15normal_iteratorINS9_10device_ptrIxEEEENSB_INSC_IjEEEEPNS0_10empty_typeENS0_5tupleIJNS9_16discard_iteratorINS9_11use_defaultEEESH_EEENSJ_IJSM_SI_EEENS0_18inequality_wrapperINS9_8equal_toIxEEEEPmJSH_EEE10hipError_tPvRmT3_T4_T5_T6_T7_T9_mT8_P12ihipStream_tbDpT10_ENKUlT_T0_E_clISt17integral_constantIbLb0EES1C_IbLb1EEEEDaS18_S19_EUlS18_E_NS1_11comp_targetILNS1_3genE9ELNS1_11target_archE1100ELNS1_3gpuE3ELNS1_3repE0EEENS1_30default_config_static_selectorELNS0_4arch9wavefront6targetE0EEEvT1_
	.p2align	8
	.type	_ZN7rocprim17ROCPRIM_400000_NS6detail17trampoline_kernelINS0_14default_configENS1_25partition_config_selectorILNS1_17partition_subalgoE9ExjbEEZZNS1_14partition_implILS5_9ELb0ES3_jN6thrust23THRUST_200600_302600_NS6detail15normal_iteratorINS9_10device_ptrIxEEEENSB_INSC_IjEEEEPNS0_10empty_typeENS0_5tupleIJNS9_16discard_iteratorINS9_11use_defaultEEESH_EEENSJ_IJSM_SI_EEENS0_18inequality_wrapperINS9_8equal_toIxEEEEPmJSH_EEE10hipError_tPvRmT3_T4_T5_T6_T7_T9_mT8_P12ihipStream_tbDpT10_ENKUlT_T0_E_clISt17integral_constantIbLb0EES1C_IbLb1EEEEDaS18_S19_EUlS18_E_NS1_11comp_targetILNS1_3genE9ELNS1_11target_archE1100ELNS1_3gpuE3ELNS1_3repE0EEENS1_30default_config_static_selectorELNS0_4arch9wavefront6targetE0EEEvT1_,@function
_ZN7rocprim17ROCPRIM_400000_NS6detail17trampoline_kernelINS0_14default_configENS1_25partition_config_selectorILNS1_17partition_subalgoE9ExjbEEZZNS1_14partition_implILS5_9ELb0ES3_jN6thrust23THRUST_200600_302600_NS6detail15normal_iteratorINS9_10device_ptrIxEEEENSB_INSC_IjEEEEPNS0_10empty_typeENS0_5tupleIJNS9_16discard_iteratorINS9_11use_defaultEEESH_EEENSJ_IJSM_SI_EEENS0_18inequality_wrapperINS9_8equal_toIxEEEEPmJSH_EEE10hipError_tPvRmT3_T4_T5_T6_T7_T9_mT8_P12ihipStream_tbDpT10_ENKUlT_T0_E_clISt17integral_constantIbLb0EES1C_IbLb1EEEEDaS18_S19_EUlS18_E_NS1_11comp_targetILNS1_3genE9ELNS1_11target_archE1100ELNS1_3gpuE3ELNS1_3repE0EEENS1_30default_config_static_selectorELNS0_4arch9wavefront6targetE0EEEvT1_: ; @_ZN7rocprim17ROCPRIM_400000_NS6detail17trampoline_kernelINS0_14default_configENS1_25partition_config_selectorILNS1_17partition_subalgoE9ExjbEEZZNS1_14partition_implILS5_9ELb0ES3_jN6thrust23THRUST_200600_302600_NS6detail15normal_iteratorINS9_10device_ptrIxEEEENSB_INSC_IjEEEEPNS0_10empty_typeENS0_5tupleIJNS9_16discard_iteratorINS9_11use_defaultEEESH_EEENSJ_IJSM_SI_EEENS0_18inequality_wrapperINS9_8equal_toIxEEEEPmJSH_EEE10hipError_tPvRmT3_T4_T5_T6_T7_T9_mT8_P12ihipStream_tbDpT10_ENKUlT_T0_E_clISt17integral_constantIbLb0EES1C_IbLb1EEEEDaS18_S19_EUlS18_E_NS1_11comp_targetILNS1_3genE9ELNS1_11target_archE1100ELNS1_3gpuE3ELNS1_3repE0EEENS1_30default_config_static_selectorELNS0_4arch9wavefront6targetE0EEEvT1_
; %bb.0:
	s_clause 0x4
	s_load_b128 s[4:7], s[0:1], 0x8
	s_load_b64 s[8:9], s[0:1], 0x18
	s_load_b64 s[16:17], s[0:1], 0x60
	s_load_b128 s[12:15], s[0:1], 0x50
	s_load_b64 s[10:11], s[0:1], 0x70
	v_cmp_ne_u32_e64 s3, 0, v0
	v_cmp_eq_u32_e64 s2, 0, v0
	s_delay_alu instid0(VALU_DEP_1)
	s_and_saveexec_b32 s18, s2
	s_cbranch_execz .LBB1011_4
; %bb.1:
	s_mov_b32 s20, exec_lo
	s_mov_b32 s19, exec_lo
	v_mbcnt_lo_u32_b32 v1, s20, 0
                                        ; implicit-def: $vgpr2
	s_delay_alu instid0(VALU_DEP_1)
	v_cmpx_eq_u32_e32 0, v1
	s_cbranch_execz .LBB1011_3
; %bb.2:
	s_load_b64 s[22:23], s[0:1], 0x80
	s_bcnt1_i32_b32 s20, s20
	s_delay_alu instid0(SALU_CYCLE_1)
	v_dual_mov_b32 v2, 0 :: v_dual_mov_b32 v3, s20
	s_waitcnt lgkmcnt(0)
	global_atomic_add_u32 v2, v2, v3, s[22:23] glc
.LBB1011_3:
	s_or_b32 exec_lo, exec_lo, s19
	s_waitcnt vmcnt(0)
	v_readfirstlane_b32 s19, v2
	s_delay_alu instid0(VALU_DEP_1)
	v_dual_mov_b32 v2, 0 :: v_dual_add_nc_u32 v1, s19, v1
	ds_store_b32 v2, v1
.LBB1011_4:
	s_or_b32 exec_lo, exec_lo, s18
	v_mov_b32_e32 v1, 0
	s_waitcnt lgkmcnt(0)
	s_barrier
	buffer_gl0_inv
	s_load_b32 s0, s[0:1], 0x78
	ds_load_b32 v2, v1
	s_waitcnt lgkmcnt(0)
	s_barrier
	buffer_gl0_inv
	global_load_b64 v[17:18], v1, s[14:15]
	s_lshl_b64 s[18:19], s[6:7], 3
	v_lshlrev_b32_e32 v31, 3, v0
	s_add_u32 s20, s4, s18
	s_addc_u32 s21, s5, s19
	v_lshrrev_b32_e32 v26, 2, v0
	v_or_b32_e32 v25, 0x200, v0
	v_or_b32_e32 v24, 0x400, v0
	;; [unrolled: 1-line block ×7, first 2 shown]
	s_add_i32 s5, s0, -1
	v_readfirstlane_b32 s15, v2
	s_lshl_b32 s1, s5, 12
	s_lshl_b32 s0, s0, 12
	s_add_i32 s1, s6, s1
	s_delay_alu instid0(SALU_CYCLE_1)
	s_sub_i32 s18, s16, s1
	s_lshl_b32 s4, s15, 12
	s_add_u32 s0, s6, s0
	s_addc_u32 s1, s7, 0
	s_cmp_eq_u32 s15, s5
	v_cmp_ge_u64_e64 s0, s[0:1], s[16:17]
	s_cselect_b32 s14, -1, 0
	s_mov_b32 s5, 0
	s_delay_alu instid0(VALU_DEP_1)
	s_and_b32 s16, s0, s14
	s_lshl_b64 s[0:1], s[4:5], 3
	s_xor_b32 s17, s16, -1
	s_add_u32 s19, s20, s0
	s_addc_u32 s1, s21, s1
	s_and_b32 vcc_lo, exec_lo, s17
	s_mov_b32 s20, -1
	s_cbranch_vccz .LBB1011_6
; %bb.5:
	v_add_co_u32 v1, s0, s19, v31
	s_delay_alu instid0(VALU_DEP_1) | instskip(SKIP_1) | instid1(VALU_DEP_3)
	v_add_co_ci_u32_e64 v2, null, s1, 0, s0
	v_lshrrev_b32_e32 v28, 2, v25
	v_add_co_u32 v3, vcc_lo, 0x1000, v1
	s_delay_alu instid0(VALU_DEP_3)
	v_add_co_ci_u32_e32 v4, vcc_lo, 0, v2, vcc_lo
	v_add_co_u32 v5, vcc_lo, 0x2000, v1
	v_add_co_ci_u32_e32 v6, vcc_lo, 0, v2, vcc_lo
	v_add_co_u32 v7, vcc_lo, 0x3000, v1
	v_add_co_ci_u32_e32 v8, vcc_lo, 0, v2, vcc_lo
	v_add_co_u32 v9, vcc_lo, 0x4000, v1
	v_add_co_ci_u32_e32 v10, vcc_lo, 0, v2, vcc_lo
	v_add_co_u32 v11, vcc_lo, 0x5000, v1
	v_add_co_ci_u32_e32 v12, vcc_lo, 0, v2, vcc_lo
	v_add_co_u32 v13, vcc_lo, 0x6000, v1
	v_add_co_ci_u32_e32 v14, vcc_lo, 0, v2, vcc_lo
	v_add_co_u32 v15, vcc_lo, 0x7000, v1
	v_add_co_ci_u32_e32 v16, vcc_lo, 0, v2, vcc_lo
	s_clause 0x7
	flat_load_b64 v[1:2], v[1:2]
	flat_load_b64 v[3:4], v[3:4]
	;; [unrolled: 1-line block ×8, first 2 shown]
	v_lshrrev_b32_e32 v29, 2, v24
	v_lshrrev_b32_e32 v30, 2, v23
	;; [unrolled: 1-line block ×3, first 2 shown]
	v_and_b32_e32 v27, 0x78, v26
	v_lshrrev_b32_e32 v33, 2, v21
	v_lshrrev_b32_e32 v34, 2, v20
	;; [unrolled: 1-line block ×3, first 2 shown]
	v_and_b32_e32 v28, 0xf8, v28
	v_and_b32_e32 v29, 0x178, v29
	;; [unrolled: 1-line block ×4, first 2 shown]
	v_add_nc_u32_e32 v27, v27, v31
	v_and_b32_e32 v33, 0x2f8, v33
	v_and_b32_e32 v34, 0x378, v34
	;; [unrolled: 1-line block ×3, first 2 shown]
	v_add_nc_u32_e32 v28, v28, v31
	v_add_nc_u32_e32 v29, v29, v31
	;; [unrolled: 1-line block ×4, first 2 shown]
	s_mov_b32 s20, s5
	v_add_nc_u32_e32 v33, v33, v31
	v_add_nc_u32_e32 v34, v34, v31
	;; [unrolled: 1-line block ×3, first 2 shown]
	s_waitcnt vmcnt(7) lgkmcnt(7)
	ds_store_b64 v27, v[1:2]
	s_waitcnt vmcnt(6) lgkmcnt(7)
	ds_store_b64 v28, v[3:4] offset:4096
	s_waitcnt vmcnt(5) lgkmcnt(7)
	ds_store_b64 v29, v[5:6] offset:8192
	;; [unrolled: 2-line block ×7, first 2 shown]
	s_waitcnt lgkmcnt(0)
	s_barrier
.LBB1011_6:
	v_cmp_gt_u32_e64 s0, s18, v0
	s_and_not1_b32 vcc_lo, exec_lo, s20
	s_cbranch_vccnz .LBB1011_24
; %bb.7:
                                        ; implicit-def: $vgpr1_vgpr2_vgpr3_vgpr4_vgpr5_vgpr6_vgpr7_vgpr8_vgpr9_vgpr10_vgpr11_vgpr12_vgpr13_vgpr14_vgpr15_vgpr16
	s_delay_alu instid0(VALU_DEP_1)
	s_and_saveexec_b32 s20, s0
	s_cbranch_execz .LBB1011_15
; %bb.8:
	v_add_co_u32 v1, s0, s19, v31
	s_delay_alu instid0(VALU_DEP_1) | instskip(SKIP_2) | instid1(SALU_CYCLE_1)
	v_add_co_ci_u32_e64 v2, null, s1, 0, s0
	flat_load_b64 v[1:2], v[1:2]
	s_or_b32 exec_lo, exec_lo, s20
	s_mov_b32 s0, exec_lo
	v_cmpx_gt_u32_e64 s18, v25
	s_cbranch_execnz .LBB1011_16
.LBB1011_9:
	s_or_b32 exec_lo, exec_lo, s0
	s_delay_alu instid0(SALU_CYCLE_1)
	s_mov_b32 s0, exec_lo
	v_cmpx_gt_u32_e64 s18, v24
	s_cbranch_execz .LBB1011_17
.LBB1011_10:
	v_lshlrev_b32_e32 v5, 3, v24
	s_delay_alu instid0(VALU_DEP_1) | instskip(NEXT) | instid1(VALU_DEP_1)
	v_add_co_u32 v5, s20, s19, v5
	v_add_co_ci_u32_e64 v6, null, s1, 0, s20
	flat_load_b64 v[5:6], v[5:6]
	s_or_b32 exec_lo, exec_lo, s0
	s_delay_alu instid0(SALU_CYCLE_1)
	s_mov_b32 s0, exec_lo
	v_cmpx_gt_u32_e64 s18, v23
	s_cbranch_execnz .LBB1011_18
.LBB1011_11:
	s_or_b32 exec_lo, exec_lo, s0
	s_delay_alu instid0(SALU_CYCLE_1)
	s_mov_b32 s0, exec_lo
	v_cmpx_gt_u32_e64 s18, v22
	s_cbranch_execz .LBB1011_19
.LBB1011_12:
	v_lshlrev_b32_e32 v9, 3, v22
	s_delay_alu instid0(VALU_DEP_1) | instskip(NEXT) | instid1(VALU_DEP_1)
	v_add_co_u32 v9, s20, s19, v9
	v_add_co_ci_u32_e64 v10, null, s1, 0, s20
	flat_load_b64 v[9:10], v[9:10]
	s_or_b32 exec_lo, exec_lo, s0
	s_delay_alu instid0(SALU_CYCLE_1)
	s_mov_b32 s0, exec_lo
	v_cmpx_gt_u32_e64 s18, v21
	s_cbranch_execnz .LBB1011_20
.LBB1011_13:
	s_or_b32 exec_lo, exec_lo, s0
	s_delay_alu instid0(SALU_CYCLE_1)
	s_mov_b32 s0, exec_lo
	v_cmpx_gt_u32_e64 s18, v20
	s_cbranch_execz .LBB1011_21
.LBB1011_14:
	v_lshlrev_b32_e32 v13, 3, v20
	s_delay_alu instid0(VALU_DEP_1) | instskip(NEXT) | instid1(VALU_DEP_1)
	v_add_co_u32 v13, s20, s19, v13
	v_add_co_ci_u32_e64 v14, null, s1, 0, s20
	flat_load_b64 v[13:14], v[13:14]
	s_or_b32 exec_lo, exec_lo, s0
	s_delay_alu instid0(SALU_CYCLE_1)
	s_mov_b32 s0, exec_lo
	v_cmpx_gt_u32_e64 s18, v19
	s_cbranch_execnz .LBB1011_22
	s_branch .LBB1011_23
.LBB1011_15:
	s_or_b32 exec_lo, exec_lo, s20
	s_delay_alu instid0(SALU_CYCLE_1)
	s_mov_b32 s0, exec_lo
	v_cmpx_gt_u32_e64 s18, v25
	s_cbranch_execz .LBB1011_9
.LBB1011_16:
	v_lshlrev_b32_e32 v3, 3, v25
	s_delay_alu instid0(VALU_DEP_1) | instskip(NEXT) | instid1(VALU_DEP_1)
	v_add_co_u32 v3, s20, s19, v3
	v_add_co_ci_u32_e64 v4, null, s1, 0, s20
	flat_load_b64 v[3:4], v[3:4]
	s_or_b32 exec_lo, exec_lo, s0
	s_delay_alu instid0(SALU_CYCLE_1)
	s_mov_b32 s0, exec_lo
	v_cmpx_gt_u32_e64 s18, v24
	s_cbranch_execnz .LBB1011_10
.LBB1011_17:
	s_or_b32 exec_lo, exec_lo, s0
	s_delay_alu instid0(SALU_CYCLE_1)
	s_mov_b32 s0, exec_lo
	v_cmpx_gt_u32_e64 s18, v23
	s_cbranch_execz .LBB1011_11
.LBB1011_18:
	v_lshlrev_b32_e32 v7, 3, v23
	s_delay_alu instid0(VALU_DEP_1) | instskip(NEXT) | instid1(VALU_DEP_1)
	v_add_co_u32 v7, s20, s19, v7
	v_add_co_ci_u32_e64 v8, null, s1, 0, s20
	flat_load_b64 v[7:8], v[7:8]
	s_or_b32 exec_lo, exec_lo, s0
	s_delay_alu instid0(SALU_CYCLE_1)
	s_mov_b32 s0, exec_lo
	v_cmpx_gt_u32_e64 s18, v22
	s_cbranch_execnz .LBB1011_12
.LBB1011_19:
	s_or_b32 exec_lo, exec_lo, s0
	s_delay_alu instid0(SALU_CYCLE_1)
	s_mov_b32 s0, exec_lo
	v_cmpx_gt_u32_e64 s18, v21
	s_cbranch_execz .LBB1011_13
.LBB1011_20:
	v_lshlrev_b32_e32 v11, 3, v21
	s_delay_alu instid0(VALU_DEP_1) | instskip(NEXT) | instid1(VALU_DEP_1)
	v_add_co_u32 v11, s20, s19, v11
	v_add_co_ci_u32_e64 v12, null, s1, 0, s20
	flat_load_b64 v[11:12], v[11:12]
	s_or_b32 exec_lo, exec_lo, s0
	s_delay_alu instid0(SALU_CYCLE_1)
	s_mov_b32 s0, exec_lo
	v_cmpx_gt_u32_e64 s18, v20
	s_cbranch_execnz .LBB1011_14
.LBB1011_21:
	s_or_b32 exec_lo, exec_lo, s0
	s_delay_alu instid0(SALU_CYCLE_1)
	s_mov_b32 s0, exec_lo
	v_cmpx_gt_u32_e64 s18, v19
	s_cbranch_execz .LBB1011_23
.LBB1011_22:
	v_lshlrev_b32_e32 v15, 3, v19
	s_delay_alu instid0(VALU_DEP_1) | instskip(NEXT) | instid1(VALU_DEP_1)
	v_add_co_u32 v15, s20, s19, v15
	v_add_co_ci_u32_e64 v16, null, s1, 0, s20
	flat_load_b64 v[15:16], v[15:16]
.LBB1011_23:
	s_or_b32 exec_lo, exec_lo, s0
	v_lshrrev_b32_e32 v27, 2, v25
	v_lshrrev_b32_e32 v28, 2, v24
	v_lshrrev_b32_e32 v30, 2, v23
	v_lshrrev_b32_e32 v32, 2, v22
	v_and_b32_e32 v29, 0x78, v26
	v_lshrrev_b32_e32 v33, 2, v21
	v_lshrrev_b32_e32 v34, 2, v20
	v_lshrrev_b32_e32 v35, 2, v19
	v_and_b32_e32 v27, 0xf8, v27
	v_and_b32_e32 v28, 0x1f8, v28
	;; [unrolled: 1-line block ×4, first 2 shown]
	v_add_nc_u32_e32 v29, v29, v31
	v_and_b32_e32 v33, 0x3f8, v33
	v_and_b32_e32 v34, 0x3f8, v34
	;; [unrolled: 1-line block ×3, first 2 shown]
	v_add_nc_u32_e32 v27, v27, v31
	v_add_nc_u32_e32 v28, v28, v31
	;; [unrolled: 1-line block ×7, first 2 shown]
	s_waitcnt vmcnt(0) lgkmcnt(0)
	ds_store_b64 v29, v[1:2]
	ds_store_b64 v27, v[3:4] offset:4096
	ds_store_b64 v28, v[5:6] offset:8192
	;; [unrolled: 1-line block ×7, first 2 shown]
	s_waitcnt lgkmcnt(0)
	s_barrier
.LBB1011_24:
	v_add_nc_u32_e32 v26, v26, v31
	s_waitcnt vmcnt(0)
	buffer_gl0_inv
	s_lshl_b64 s[20:21], s[6:7], 2
	v_lshrrev_b32_e32 v28, 3, v0
	s_add_u32 s0, s8, s20
	v_lshlrev_b32_e32 v27, 3, v26
	s_addc_u32 s8, s9, s21
	s_lshl_b64 s[4:5], s[4:5], 2
	ds_load_2addr_b64 v[13:16], v27 offset1:1
	ds_load_2addr_b64 v[9:12], v27 offset0:2 offset1:3
	ds_load_2addr_b64 v[5:8], v27 offset0:4 offset1:5
	;; [unrolled: 1-line block ×3, first 2 shown]
	s_add_u32 s0, s0, s4
	s_addc_u32 s4, s8, s5
	s_and_b32 vcc_lo, exec_lo, s17
	s_mov_b32 s5, -1
	s_waitcnt lgkmcnt(0)
	s_barrier
	buffer_gl0_inv
	s_cbranch_vccz .LBB1011_26
; %bb.25:
	v_lshlrev_b32_e32 v38, 2, v0
	v_lshrrev_b32_e32 v40, 3, v25
	v_lshrrev_b32_e32 v41, 3, v24
	;; [unrolled: 1-line block ×4, first 2 shown]
	v_add_co_u32 v29, s5, s0, v38
	s_delay_alu instid0(VALU_DEP_1) | instskip(SKIP_1) | instid1(VALU_DEP_3)
	v_add_co_ci_u32_e64 v30, null, s4, 0, s5
	v_lshrrev_b32_e32 v44, 3, v21
	v_add_co_u32 v32, vcc_lo, 0x1000, v29
	s_delay_alu instid0(VALU_DEP_3)
	v_add_co_ci_u32_e32 v33, vcc_lo, 0, v30, vcc_lo
	v_add_co_u32 v34, vcc_lo, 0x2000, v29
	v_add_co_ci_u32_e32 v35, vcc_lo, 0, v30, vcc_lo
	v_add_co_u32 v36, vcc_lo, 0x3000, v29
	v_add_co_ci_u32_e32 v37, vcc_lo, 0, v30, vcc_lo
	s_clause 0x7
	flat_load_b32 v39, v[29:30]
	flat_load_b32 v29, v[29:30] offset:2048
	flat_load_b32 v30, v[32:33]
	flat_load_b32 v32, v[32:33] offset:2048
	;; [unrolled: 2-line block ×4, first 2 shown]
	v_and_b32_e32 v37, 60, v28
	v_lshrrev_b32_e32 v45, 3, v20
	v_lshrrev_b32_e32 v46, 3, v19
	v_and_b32_e32 v40, 0x7c, v40
	v_and_b32_e32 v41, 0xbc, v41
	;; [unrolled: 1-line block ×4, first 2 shown]
	v_add_nc_u32_e32 v37, v37, v38
	v_and_b32_e32 v44, 0x17c, v44
	v_and_b32_e32 v45, 0x1bc, v45
	;; [unrolled: 1-line block ×3, first 2 shown]
	v_add_nc_u32_e32 v40, v40, v38
	v_add_nc_u32_e32 v41, v41, v38
	;; [unrolled: 1-line block ×4, first 2 shown]
	s_mov_b32 s5, 0
	v_add_nc_u32_e32 v44, v44, v38
	v_add_nc_u32_e32 v45, v45, v38
	;; [unrolled: 1-line block ×3, first 2 shown]
	s_waitcnt vmcnt(7) lgkmcnt(7)
	ds_store_b32 v37, v39
	s_waitcnt vmcnt(6) lgkmcnt(7)
	ds_store_b32 v40, v29 offset:2048
	s_waitcnt vmcnt(5) lgkmcnt(7)
	ds_store_b32 v41, v30 offset:4096
	;; [unrolled: 2-line block ×7, first 2 shown]
	s_waitcnt lgkmcnt(0)
	s_barrier
.LBB1011_26:
	s_and_not1_b32 vcc_lo, exec_lo, s5
	s_cbranch_vccnz .LBB1011_44
; %bb.27:
	s_mov_b32 s5, exec_lo
                                        ; implicit-def: $vgpr29
	v_cmpx_gt_u32_e64 s18, v0
	s_cbranch_execz .LBB1011_29
; %bb.28:
	v_lshlrev_b32_e32 v29, 2, v0
	s_delay_alu instid0(VALU_DEP_1) | instskip(NEXT) | instid1(VALU_DEP_1)
	v_add_co_u32 v29, s8, s0, v29
	v_add_co_ci_u32_e64 v30, null, s4, 0, s8
	flat_load_b32 v29, v[29:30]
.LBB1011_29:
	s_or_b32 exec_lo, exec_lo, s5
	s_delay_alu instid0(SALU_CYCLE_1)
	s_mov_b32 s5, exec_lo
                                        ; implicit-def: $vgpr30
	v_cmpx_gt_u32_e64 s18, v25
	s_cbranch_execz .LBB1011_31
; %bb.30:
	v_lshlrev_b32_e32 v30, 2, v0
	s_delay_alu instid0(VALU_DEP_1) | instskip(NEXT) | instid1(VALU_DEP_1)
	v_add_co_u32 v32, s8, s0, v30
	v_add_co_ci_u32_e64 v33, null, s4, 0, s8
	flat_load_b32 v30, v[32:33] offset:2048
.LBB1011_31:
	s_or_b32 exec_lo, exec_lo, s5
	s_delay_alu instid0(SALU_CYCLE_1)
	s_mov_b32 s5, exec_lo
                                        ; implicit-def: $vgpr32
	v_cmpx_gt_u32_e64 s18, v24
	s_cbranch_execz .LBB1011_33
; %bb.32:
	v_lshlrev_b32_e32 v32, 2, v24
	s_delay_alu instid0(VALU_DEP_1) | instskip(NEXT) | instid1(VALU_DEP_1)
	v_add_co_u32 v32, s8, s0, v32
	v_add_co_ci_u32_e64 v33, null, s4, 0, s8
	flat_load_b32 v32, v[32:33]
.LBB1011_33:
	s_or_b32 exec_lo, exec_lo, s5
	s_delay_alu instid0(SALU_CYCLE_1)
	s_mov_b32 s5, exec_lo
                                        ; implicit-def: $vgpr33
	v_cmpx_gt_u32_e64 s18, v23
	s_cbranch_execz .LBB1011_35
; %bb.34:
	v_lshlrev_b32_e32 v33, 2, v23
	s_delay_alu instid0(VALU_DEP_1) | instskip(NEXT) | instid1(VALU_DEP_1)
	v_add_co_u32 v33, s8, s0, v33
	v_add_co_ci_u32_e64 v34, null, s4, 0, s8
	flat_load_b32 v33, v[33:34]
.LBB1011_35:
	s_or_b32 exec_lo, exec_lo, s5
	s_delay_alu instid0(SALU_CYCLE_1)
	s_mov_b32 s5, exec_lo
                                        ; implicit-def: $vgpr34
	v_cmpx_gt_u32_e64 s18, v22
	s_cbranch_execz .LBB1011_37
; %bb.36:
	v_lshlrev_b32_e32 v34, 2, v22
	s_delay_alu instid0(VALU_DEP_1) | instskip(NEXT) | instid1(VALU_DEP_1)
	v_add_co_u32 v34, s8, s0, v34
	v_add_co_ci_u32_e64 v35, null, s4, 0, s8
	flat_load_b32 v34, v[34:35]
.LBB1011_37:
	s_or_b32 exec_lo, exec_lo, s5
	s_delay_alu instid0(SALU_CYCLE_1)
	s_mov_b32 s5, exec_lo
                                        ; implicit-def: $vgpr35
	v_cmpx_gt_u32_e64 s18, v21
	s_cbranch_execz .LBB1011_39
; %bb.38:
	v_lshlrev_b32_e32 v35, 2, v21
	s_delay_alu instid0(VALU_DEP_1) | instskip(NEXT) | instid1(VALU_DEP_1)
	v_add_co_u32 v35, s8, s0, v35
	v_add_co_ci_u32_e64 v36, null, s4, 0, s8
	flat_load_b32 v35, v[35:36]
.LBB1011_39:
	s_or_b32 exec_lo, exec_lo, s5
	s_delay_alu instid0(SALU_CYCLE_1)
	s_mov_b32 s5, exec_lo
                                        ; implicit-def: $vgpr36
	v_cmpx_gt_u32_e64 s18, v20
	s_cbranch_execz .LBB1011_41
; %bb.40:
	v_lshlrev_b32_e32 v36, 2, v20
	s_delay_alu instid0(VALU_DEP_1) | instskip(NEXT) | instid1(VALU_DEP_1)
	v_add_co_u32 v36, s8, s0, v36
	v_add_co_ci_u32_e64 v37, null, s4, 0, s8
	flat_load_b32 v36, v[36:37]
.LBB1011_41:
	s_or_b32 exec_lo, exec_lo, s5
	s_delay_alu instid0(SALU_CYCLE_1)
	s_mov_b32 s5, exec_lo
                                        ; implicit-def: $vgpr37
	v_cmpx_gt_u32_e64 s18, v19
	s_cbranch_execz .LBB1011_43
; %bb.42:
	v_lshlrev_b32_e32 v37, 2, v19
	s_delay_alu instid0(VALU_DEP_1) | instskip(NEXT) | instid1(VALU_DEP_1)
	v_add_co_u32 v37, s0, s0, v37
	v_add_co_ci_u32_e64 v38, null, s4, 0, s0
	flat_load_b32 v37, v[37:38]
.LBB1011_43:
	s_or_b32 exec_lo, exec_lo, s5
	v_lshrrev_b32_e32 v25, 3, v25
	v_lshrrev_b32_e32 v24, 3, v24
	;; [unrolled: 1-line block ×4, first 2 shown]
	v_and_b32_e32 v28, 60, v28
	v_lshlrev_b32_e32 v38, 2, v0
	v_lshrrev_b32_e32 v21, 3, v21
	v_lshrrev_b32_e32 v20, 3, v20
	;; [unrolled: 1-line block ×3, first 2 shown]
	v_and_b32_e32 v25, 0x7c, v25
	v_and_b32_e32 v24, 0xfc, v24
	;; [unrolled: 1-line block ×4, first 2 shown]
	v_add_nc_u32_e32 v28, v28, v38
	v_and_b32_e32 v21, 0x1fc, v21
	v_and_b32_e32 v20, 0x1fc, v20
	;; [unrolled: 1-line block ×3, first 2 shown]
	v_add_nc_u32_e32 v25, v25, v38
	v_add_nc_u32_e32 v24, v24, v38
	v_add_nc_u32_e32 v23, v23, v38
	v_add_nc_u32_e32 v22, v22, v38
	v_add_nc_u32_e32 v21, v21, v38
	v_add_nc_u32_e32 v20, v20, v38
	v_add_nc_u32_e32 v19, v19, v38
	s_waitcnt vmcnt(0) lgkmcnt(0)
	ds_store_b32 v28, v29
	ds_store_b32 v25, v30 offset:2048
	ds_store_b32 v24, v32 offset:4096
	;; [unrolled: 1-line block ×7, first 2 shown]
	s_waitcnt lgkmcnt(0)
	s_barrier
.LBB1011_44:
	v_lshlrev_b32_e32 v19, 2, v26
	buffer_gl0_inv
	s_cmp_lg_u32 s15, 0
	s_mov_b32 s20, 0
	s_cselect_b32 s9, -1, 0
	v_sub_nc_u32_e32 v19, v27, v19
	s_cmp_lg_u64 s[6:7], 0
	ds_load_2addr_b32 v[25:26], v19 offset1:1
	ds_load_2addr_b32 v[23:24], v19 offset0:2 offset1:3
	ds_load_2addr_b32 v[21:22], v19 offset0:4 offset1:5
	;; [unrolled: 1-line block ×3, first 2 shown]
	s_cselect_b32 s0, -1, 0
	s_waitcnt lgkmcnt(0)
	s_or_b32 s0, s0, s9
	s_barrier
	s_and_b32 vcc_lo, exec_lo, s0
	buffer_gl0_inv
	s_cbranch_vccz .LBB1011_49
; %bb.45:
	v_add_co_u32 v27, s0, -8, s19
	s_delay_alu instid0(VALU_DEP_1)
	v_add_co_ci_u32_e64 v28, null, -1, s1, s0
	s_mov_b32 s1, -1
	s_and_b32 vcc_lo, exec_lo, s17
	flat_load_b64 v[29:30], v[27:28]
	ds_store_b64 v31, v[3:4]
	s_cbranch_vccz .LBB1011_50
; %bb.46:
	s_waitcnt vmcnt(0) lgkmcnt(1)
	v_dual_mov_b32 v27, v29 :: v_dual_mov_b32 v28, v30
	s_waitcnt lgkmcnt(0)
	s_barrier
	buffer_gl0_inv
	s_and_saveexec_b32 s0, s3
	s_cbranch_execz .LBB1011_48
; %bb.47:
	v_add_nc_u32_e32 v27, -8, v31
	ds_load_b64 v[27:28], v27
.LBB1011_48:
	s_or_b32 exec_lo, exec_lo, s0
	v_cmp_ne_u64_e32 vcc_lo, v[1:2], v[3:4]
	s_waitcnt lgkmcnt(0)
	v_cmp_ne_u64_e64 s0, v[27:28], v[13:14]
	v_cndmask_b32_e64 v32, 0, 1, vcc_lo
	v_cmp_ne_u64_e32 vcc_lo, v[7:8], v[1:2]
	s_delay_alu instid0(VALU_DEP_2) | instskip(SKIP_2) | instid1(VALU_DEP_2)
	v_lshlrev_b16 v32, 8, v32
	v_cndmask_b32_e64 v33, 0, 1, vcc_lo
	v_cmp_ne_u64_e32 vcc_lo, v[5:6], v[7:8]
	v_or_b32_e32 v32, v33, v32
	v_cndmask_b32_e64 v34, 0, 1, vcc_lo
	v_cmp_ne_u64_e32 vcc_lo, v[9:10], v[11:12]
	s_delay_alu instid0(VALU_DEP_3) | instskip(NEXT) | instid1(VALU_DEP_3)
	v_lshlrev_b32_e32 v32, 16, v32
	v_lshlrev_b16 v34, 8, v34
	v_cndmask_b32_e64 v35, 0, 1, vcc_lo
	v_cmp_ne_u64_e32 vcc_lo, v[11:12], v[5:6]
	s_delay_alu instid0(VALU_DEP_2) | instskip(SKIP_2) | instid1(VALU_DEP_2)
	v_lshlrev_b16 v35, 8, v35
	v_cndmask_b32_e64 v36, 0, 1, vcc_lo
	v_cmp_ne_u64_e32 vcc_lo, v[15:16], v[9:10]
	v_or_b32_e32 v34, v36, v34
	v_cndmask_b32_e64 v37, 0, 1, vcc_lo
	v_cmp_ne_u64_e32 vcc_lo, v[13:14], v[15:16]
	s_delay_alu instid0(VALU_DEP_3) | instskip(NEXT) | instid1(VALU_DEP_3)
	v_and_b32_e32 v34, 0xffff, v34
	v_or_b32_e32 v35, v37, v35
	v_cndmask_b32_e64 v38, 0, 1, vcc_lo
	s_delay_alu instid0(VALU_DEP_3) | instskip(NEXT) | instid1(VALU_DEP_3)
	v_or_b32_e32 v28, v34, v32
	v_lshlrev_b32_e32 v33, 16, v35
	s_delay_alu instid0(VALU_DEP_3) | instskip(NEXT) | instid1(VALU_DEP_1)
	v_lshlrev_b16 v37, 8, v38
	v_and_b32_e32 v35, 0xffff, v37
	s_delay_alu instid0(VALU_DEP_1)
	v_or_b32_e32 v27, v35, v33
	s_branch .LBB1011_54
.LBB1011_49:
                                        ; implicit-def: $sgpr0
                                        ; implicit-def: $vgpr28
	s_branch .LBB1011_55
.LBB1011_50:
                                        ; implicit-def: $sgpr0
                                        ; implicit-def: $vgpr28
	s_and_b32 vcc_lo, exec_lo, s1
	s_cbranch_vccz .LBB1011_54
; %bb.51:
	s_waitcnt vmcnt(0) lgkmcnt(0)
	s_barrier
	buffer_gl0_inv
	s_and_saveexec_b32 s0, s3
	s_cbranch_execz .LBB1011_53
; %bb.52:
	v_add_nc_u32_e32 v27, -8, v31
	ds_load_b64 v[29:30], v27
.LBB1011_53:
	s_or_b32 exec_lo, exec_lo, s0
	v_or_b32_e32 v27, 7, v31
	v_or_b32_e32 v28, 6, v31
	v_cmp_ne_u64_e32 vcc_lo, v[1:2], v[3:4]
	v_or_b32_e32 v32, 5, v31
	v_cmp_ne_u64_e64 s1, v[7:8], v[1:2]
	v_cmp_gt_u32_e64 s0, s18, v27
	v_cmp_gt_u32_e64 s4, s18, v28
	v_cmp_ne_u64_e64 s5, v[5:6], v[7:8]
	v_cmp_gt_u32_e64 s6, s18, v32
	v_or_b32_e32 v32, 3, v31
	s_and_b32 s0, s0, vcc_lo
	v_or_b32_e32 v33, 4, v31
	v_cndmask_b32_e64 v27, 0, 1, s0
	s_and_b32 s0, s4, s1
	v_cmp_ne_u64_e32 vcc_lo, v[9:10], v[11:12]
	v_cndmask_b32_e64 v28, 0, 1, s0
	s_and_b32 s0, s6, s5
	v_cmp_gt_u32_e64 s1, s18, v33
	v_cndmask_b32_e64 v34, 0, 1, s0
	v_cmp_gt_u32_e64 s0, s18, v32
	v_or_b32_e32 v32, 2, v31
	v_or_b32_e32 v33, 1, v31
	v_cmp_ne_u64_e64 s4, v[11:12], v[5:6]
	v_cmp_ne_u64_e64 s6, v[13:14], v[15:16]
	s_and_b32 s0, s0, vcc_lo
	v_cmp_ne_u64_e32 vcc_lo, v[15:16], v[9:10]
	v_cndmask_b32_e64 v35, 0, 1, s0
	v_cmp_gt_u32_e64 s0, s18, v32
	v_cmp_gt_u32_e64 s5, s18, v33
	s_and_b32 s1, s1, s4
	v_lshlrev_b16 v34, 8, v34
	v_cndmask_b32_e64 v32, 0, 1, s1
	s_and_b32 s0, s0, vcc_lo
	v_lshlrev_b16 v35, 8, v35
	v_cndmask_b32_e64 v33, 0, 1, s0
	s_and_b32 s0, s5, s6
	v_lshlrev_b16 v27, 8, v27
	v_cndmask_b32_e64 v36, 0, 1, s0
	v_or_b32_e32 v32, v32, v34
	v_or_b32_e32 v33, v33, v35
	s_waitcnt lgkmcnt(0)
	v_cmp_ne_u64_e32 vcc_lo, v[29:30], v[13:14]
	v_or_b32_e32 v27, v28, v27
	v_lshlrev_b16 v35, 8, v36
	v_and_b32_e32 v32, 0xffff, v32
	v_lshlrev_b32_e32 v28, 16, v33
	v_cmp_gt_u32_e64 s0, s18, v31
	v_lshlrev_b32_e32 v34, 16, v27
	v_and_b32_e32 v33, 0xffff, v35
	s_delay_alu instid0(VALU_DEP_3) | instskip(NEXT) | instid1(VALU_DEP_1)
	s_and_b32 s0, s0, vcc_lo
	v_or_b32_e32 v27, v33, v28
	s_delay_alu instid0(VALU_DEP_3)
	v_or_b32_e32 v28, v32, v34
.LBB1011_54:
	s_mov_b32 s20, -1
	s_cbranch_execnz .LBB1011_63
.LBB1011_55:
	v_cmp_ne_u64_e64 s1, v[1:2], v[3:4]
	v_cmp_ne_u64_e64 s4, v[7:8], v[1:2]
	;; [unrolled: 1-line block ×7, first 2 shown]
	s_and_b32 vcc_lo, exec_lo, s17
	ds_store_b64 v31, v[3:4]
	s_cbranch_vccz .LBB1011_59
; %bb.56:
	v_cndmask_b32_e64 v27, 0, 1, s1
	s_waitcnt vmcnt(0) lgkmcnt(2)
	v_cndmask_b32_e64 v29, 0, 1, s5
	v_cndmask_b32_e64 v32, 0, 1, s7
	;; [unrolled: 1-line block ×6, first 2 shown]
	v_lshlrev_b16 v29, 8, v29
	v_lshlrev_b16 v27, 8, v27
	;; [unrolled: 1-line block ×4, first 2 shown]
	s_waitcnt lgkmcnt(0)
	v_or_b32_e32 v29, v30, v29
	v_or_b32_e32 v27, v28, v27
	v_or_b32_e32 v28, v34, v32
	v_or_b32_e32 v30, 1, v33
	s_barrier
	v_and_b32_e32 v29, 0xffff, v29
	v_lshlrev_b32_e32 v27, 16, v27
	v_lshlrev_b32_e32 v32, 16, v28
	v_and_b32_e32 v30, 0xffff, v30
	buffer_gl0_inv
                                        ; implicit-def: $sgpr0
	v_or_b32_e32 v28, v29, v27
	v_or_b32_e32 v27, v30, v32
	s_and_saveexec_b32 s1, s3
	s_delay_alu instid0(SALU_CYCLE_1)
	s_xor_b32 s1, exec_lo, s1
	s_cbranch_execz .LBB1011_58
; %bb.57:
	v_add_nc_u32_e32 v29, -8, v31
	s_or_b32 s20, s20, exec_lo
	ds_load_b64 v[29:30], v29
	s_waitcnt lgkmcnt(0)
	v_cmp_ne_u64_e32 vcc_lo, v[29:30], v[13:14]
	s_and_b32 s0, vcc_lo, exec_lo
.LBB1011_58:
	s_or_b32 exec_lo, exec_lo, s1
	s_branch .LBB1011_63
.LBB1011_59:
                                        ; implicit-def: $sgpr0
                                        ; implicit-def: $vgpr28
	s_cbranch_execz .LBB1011_63
; %bb.60:
	v_or_b32_e32 v27, 7, v31
	v_or_b32_e32 v28, 6, v31
	v_cmp_ne_u64_e32 vcc_lo, v[1:2], v[3:4]
	v_cmp_ne_u64_e64 s0, v[7:8], v[1:2]
	s_waitcnt vmcnt(0) lgkmcnt(2)
	v_or_b32_e32 v29, 4, v31
	v_cmp_gt_u32_e64 s1, s18, v27
	v_or_b32_e32 v27, 5, v31
	v_cmp_gt_u32_e64 s5, s18, v28
	v_cmp_ne_u64_e64 s4, v[5:6], v[7:8]
	v_cmp_ne_u64_e64 s6, v[11:12], v[5:6]
	s_and_b32 s1, s1, vcc_lo
	v_cmp_gt_u32_e32 vcc_lo, s18, v27
	v_cndmask_b32_e64 v28, 0, 1, s1
	v_cmp_gt_u32_e64 s1, s18, v29
	s_and_b32 s0, s5, s0
	v_or_b32_e32 v30, 3, v31
	v_cndmask_b32_e64 v27, 0, 1, s0
	s_and_b32 s0, vcc_lo, s4
	v_or_b32_e32 v33, 1, v31
	v_cndmask_b32_e64 v29, 0, 1, s0
	s_and_b32 s0, s1, s6
	v_cmp_ne_u64_e32 vcc_lo, v[9:10], v[11:12]
	v_cndmask_b32_e64 v32, 0, 1, s0
	v_cmp_gt_u32_e64 s0, s18, v30
	v_cmp_ne_u64_e64 s1, v[13:14], v[15:16]
	v_or_b32_e32 v34, 2, v31
	v_cmp_gt_u32_e64 s4, s18, v33
	v_cmp_ne_u64_e64 s5, v[15:16], v[9:10]
	s_and_b32 s0, s0, vcc_lo
	v_lshlrev_b16 v29, 8, v29
	v_cmp_gt_u32_e64 s6, s18, v34
	v_cndmask_b32_e64 v30, 0, 1, s0
	s_and_b32 s0, s4, s1
	v_lshlrev_b16 v28, 8, v28
	v_cndmask_b32_e64 v33, 0, 1, s0
	s_and_b32 s0, s6, s5
	v_lshlrev_b16 v30, 8, v30
	v_cndmask_b32_e64 v34, 0, 1, s0
	v_or_b32_e32 v29, v32, v29
	v_lshlrev_b16 v33, 8, v33
	v_or_b32_e32 v27, v27, v28
	s_waitcnt lgkmcnt(0)
	v_or_b32_e32 v28, v34, v30
	v_and_b32_e32 v29, 0xffff, v29
	v_or_b32_e32 v30, 1, v33
	v_lshlrev_b32_e32 v27, 16, v27
	s_barrier
	v_lshlrev_b32_e32 v32, 16, v28
	buffer_gl0_inv
	v_and_b32_e32 v30, 0xffff, v30
	v_or_b32_e32 v28, v29, v27
                                        ; implicit-def: $sgpr0
	s_delay_alu instid0(VALU_DEP_2)
	v_or_b32_e32 v27, v30, v32
	s_and_saveexec_b32 s1, s3
	s_cbranch_execz .LBB1011_62
; %bb.61:
	v_add_nc_u32_e32 v29, -8, v31
	v_cmp_gt_u32_e64 s0, s18, v31
	s_or_b32 s20, s20, exec_lo
	ds_load_b64 v[29:30], v29
	s_waitcnt lgkmcnt(0)
	v_cmp_ne_u64_e32 vcc_lo, v[29:30], v[13:14]
	s_and_b32 s0, s0, vcc_lo
	s_delay_alu instid0(SALU_CYCLE_1)
	s_and_b32 s0, s0, exec_lo
.LBB1011_62:
	s_or_b32 exec_lo, exec_lo, s1
.LBB1011_63:
	s_and_saveexec_b32 s1, s20
	s_cbranch_execz .LBB1011_65
; %bb.64:
	s_waitcnt vmcnt(0) lgkmcnt(1)
	v_and_b32_e32 v29, 0xffffff00, v27
	v_cndmask_b32_e64 v30, 0, 1, s0
	s_delay_alu instid0(VALU_DEP_1) | instskip(NEXT) | instid1(VALU_DEP_1)
	v_or_b32_e32 v29, v30, v29
	v_and_b32_e32 v29, 0xffff, v29
	s_delay_alu instid0(VALU_DEP_1)
	v_and_or_b32 v27, 0xffff0000, v27, v29
.LBB1011_65:
	s_or_b32 exec_lo, exec_lo, s1
	s_delay_alu instid0(SALU_CYCLE_1)
	s_and_not1_b32 vcc_lo, exec_lo, s16
	s_cbranch_vccnz .LBB1011_67
; %bb.66:
	v_cmp_gt_u32_e32 vcc_lo, s18, v31
	s_waitcnt vmcnt(0) lgkmcnt(1)
	v_or_b32_e32 v30, 1, v31
	v_or_b32_e32 v33, 2, v31
	v_dual_cndmask_b32 v29, 0, v27 :: v_dual_and_b32 v32, 0xffffff00, v28
	s_delay_alu instid0(VALU_DEP_3) | instskip(SKIP_1) | instid1(VALU_DEP_4)
	v_cmp_gt_u32_e32 vcc_lo, s18, v30
	v_or_b32_e32 v30, 4, v31
	v_cmp_gt_u32_e64 s0, s18, v33
	v_or_b32_e32 v33, 3, v31
	v_and_b32_e32 v29, 0xff, v29
	s_delay_alu instid0(VALU_DEP_2) | instskip(NEXT) | instid1(VALU_DEP_2)
	v_cmp_gt_u32_e64 s1, s18, v33
	v_cndmask_b32_e32 v29, v29, v27, vcc_lo
	v_cmp_gt_u32_e32 vcc_lo, s18, v30
	v_cndmask_b32_e32 v30, v32, v28, vcc_lo
	v_or_b32_e32 v32, 5, v31
	s_delay_alu instid0(VALU_DEP_2) | instskip(SKIP_1) | instid1(VALU_DEP_1)
	v_and_b32_e32 v30, 0xffff00ff, v30
	v_and_b32_e32 v29, 0xffff, v29
	v_cndmask_b32_e64 v29, v29, v27, s0
	s_delay_alu instid0(VALU_DEP_4) | instskip(SKIP_2) | instid1(VALU_DEP_4)
	v_cmp_gt_u32_e64 s0, s18, v32
	v_or_b32_e32 v32, 6, v31
	v_or_b32_e32 v31, 7, v31
	v_and_b32_e32 v29, 0xffffff, v29
	s_delay_alu instid0(VALU_DEP_4) | instskip(NEXT) | instid1(VALU_DEP_2)
	v_cndmask_b32_e64 v30, v30, v28, s0
	v_cndmask_b32_e64 v29, v29, v27, s1
	s_delay_alu instid0(VALU_DEP_1) | instskip(SKIP_1) | instid1(VALU_DEP_2)
	v_dual_cndmask_b32 v29, v29, v27 :: v_dual_and_b32 v30, 0xff00ffff, v30
	v_cmp_gt_u32_e32 vcc_lo, s18, v32
	v_cndmask_b32_e64 v29, v29, v27, s0
	s_delay_alu instid0(VALU_DEP_1) | instskip(NEXT) | instid1(VALU_DEP_1)
	v_dual_cndmask_b32 v30, v30, v28 :: v_dual_cndmask_b32 v29, v29, v27
	v_and_b32_e32 v30, 0xffffff, v30
	v_cmp_gt_u32_e32 vcc_lo, s18, v31
	s_delay_alu instid0(VALU_DEP_2)
	v_dual_cndmask_b32 v28, v30, v28 :: v_dual_cndmask_b32 v27, v29, v27
.LBB1011_67:
	s_delay_alu instid0(VALU_DEP_1) | instskip(SKIP_1) | instid1(VALU_DEP_2)
	v_and_b32_e32 v38, 0xff, v27
	s_waitcnt vmcnt(0) lgkmcnt(1)
	v_alignbit_b32 v29, v28, v27, 24
	v_bfe_u32 v39, v27, 8, 8
	v_bfe_u32 v40, v27, 16, 8
	v_and_b32_e32 v42, 0xff, v28
	v_bfe_u32 v43, v28, 8, 8
	v_and_b32_e32 v41, 0xff, v29
	v_add_nc_u32_e32 v29, v39, v38
	v_mbcnt_lo_u32_b32 v45, -1, 0
	v_bfe_u32 v44, v28, 16, 8
	v_lshrrev_b32_e32 v37, 24, v28
	v_lshrrev_b32_e32 v46, 5, v0
	v_add3_u32 v29, v29, v40, v41
	v_and_b32_e32 v30, 15, v45
	v_and_b32_e32 v31, 16, v45
	s_and_b32 vcc_lo, exec_lo, s9
	s_mov_b32 s7, -1
	v_add3_u32 v29, v29, v42, v43
	v_cmp_eq_u32_e64 s3, 0, v30
	v_cmp_lt_u32_e64 s0, 1, v30
	v_cmp_lt_u32_e64 s4, 3, v30
	;; [unrolled: 1-line block ×3, first 2 shown]
	v_add3_u32 v47, v29, v44, v37
	v_or_b32_e32 v29, 31, v0
	v_cmp_eq_u32_e64 s6, 0, v31
	s_waitcnt lgkmcnt(0)
	s_barrier
	buffer_gl0_inv
	v_cmp_eq_u32_e64 s5, v29, v0
	s_cbranch_vccz .LBB1011_93
; %bb.68:
	v_mov_b32_dpp v29, v47 row_shr:1 row_mask:0xf bank_mask:0xf
	s_delay_alu instid0(VALU_DEP_1) | instskip(NEXT) | instid1(VALU_DEP_1)
	v_cndmask_b32_e64 v29, v29, 0, s3
	v_add_nc_u32_e32 v29, v29, v47
	s_delay_alu instid0(VALU_DEP_1) | instskip(NEXT) | instid1(VALU_DEP_1)
	v_mov_b32_dpp v30, v29 row_shr:2 row_mask:0xf bank_mask:0xf
	v_cndmask_b32_e64 v30, 0, v30, s0
	s_delay_alu instid0(VALU_DEP_1) | instskip(NEXT) | instid1(VALU_DEP_1)
	v_add_nc_u32_e32 v29, v29, v30
	v_mov_b32_dpp v30, v29 row_shr:4 row_mask:0xf bank_mask:0xf
	s_delay_alu instid0(VALU_DEP_1) | instskip(NEXT) | instid1(VALU_DEP_1)
	v_cndmask_b32_e64 v30, 0, v30, s4
	v_add_nc_u32_e32 v29, v29, v30
	s_delay_alu instid0(VALU_DEP_1) | instskip(NEXT) | instid1(VALU_DEP_1)
	v_mov_b32_dpp v30, v29 row_shr:8 row_mask:0xf bank_mask:0xf
	v_cndmask_b32_e64 v30, 0, v30, s1
	s_delay_alu instid0(VALU_DEP_1) | instskip(SKIP_3) | instid1(VALU_DEP_1)
	v_add_nc_u32_e32 v29, v29, v30
	ds_swizzle_b32 v30, v29 offset:swizzle(BROADCAST,32,15)
	s_waitcnt lgkmcnt(0)
	v_cndmask_b32_e64 v30, v30, 0, s6
	v_add_nc_u32_e32 v29, v29, v30
	s_and_saveexec_b32 s7, s5
	s_cbranch_execz .LBB1011_70
; %bb.69:
	v_lshlrev_b32_e32 v30, 2, v46
	ds_store_b32 v30, v29
.LBB1011_70:
	s_or_b32 exec_lo, exec_lo, s7
	s_delay_alu instid0(SALU_CYCLE_1)
	s_mov_b32 s7, exec_lo
	s_waitcnt lgkmcnt(0)
	s_barrier
	buffer_gl0_inv
	v_cmpx_gt_u32_e32 16, v0
	s_cbranch_execz .LBB1011_72
; %bb.71:
	v_lshlrev_b32_e32 v30, 2, v0
	ds_load_b32 v31, v30
	s_waitcnt lgkmcnt(0)
	v_mov_b32_dpp v32, v31 row_shr:1 row_mask:0xf bank_mask:0xf
	s_delay_alu instid0(VALU_DEP_1) | instskip(NEXT) | instid1(VALU_DEP_1)
	v_cndmask_b32_e64 v32, v32, 0, s3
	v_add_nc_u32_e32 v31, v32, v31
	s_delay_alu instid0(VALU_DEP_1) | instskip(NEXT) | instid1(VALU_DEP_1)
	v_mov_b32_dpp v32, v31 row_shr:2 row_mask:0xf bank_mask:0xf
	v_cndmask_b32_e64 v32, 0, v32, s0
	s_delay_alu instid0(VALU_DEP_1) | instskip(NEXT) | instid1(VALU_DEP_1)
	v_add_nc_u32_e32 v31, v31, v32
	v_mov_b32_dpp v32, v31 row_shr:4 row_mask:0xf bank_mask:0xf
	s_delay_alu instid0(VALU_DEP_1) | instskip(NEXT) | instid1(VALU_DEP_1)
	v_cndmask_b32_e64 v32, 0, v32, s4
	v_add_nc_u32_e32 v31, v31, v32
	s_delay_alu instid0(VALU_DEP_1) | instskip(NEXT) | instid1(VALU_DEP_1)
	v_mov_b32_dpp v32, v31 row_shr:8 row_mask:0xf bank_mask:0xf
	v_cndmask_b32_e64 v32, 0, v32, s1
	s_delay_alu instid0(VALU_DEP_1)
	v_add_nc_u32_e32 v31, v31, v32
	ds_store_b32 v30, v31
.LBB1011_72:
	s_or_b32 exec_lo, exec_lo, s7
	v_cmp_gt_u32_e32 vcc_lo, 32, v0
	s_mov_b32 s8, exec_lo
	s_waitcnt lgkmcnt(0)
	s_barrier
	buffer_gl0_inv
                                        ; implicit-def: $vgpr48
	v_cmpx_lt_u32_e32 31, v0
	s_cbranch_execz .LBB1011_74
; %bb.73:
	v_lshl_add_u32 v30, v46, 2, -4
	ds_load_b32 v48, v30
	s_waitcnt lgkmcnt(0)
	v_add_nc_u32_e32 v29, v48, v29
.LBB1011_74:
	s_or_b32 exec_lo, exec_lo, s8
	v_add_nc_u32_e32 v30, -1, v45
	s_delay_alu instid0(VALU_DEP_1) | instskip(NEXT) | instid1(VALU_DEP_1)
	v_cmp_gt_i32_e64 s7, 0, v30
	v_cndmask_b32_e64 v30, v30, v45, s7
	v_cmp_eq_u32_e64 s7, 0, v45
	s_delay_alu instid0(VALU_DEP_2)
	v_lshlrev_b32_e32 v30, 2, v30
	ds_bpermute_b32 v49, v30, v29
	s_and_saveexec_b32 s8, vcc_lo
	s_cbranch_execz .LBB1011_92
; %bb.75:
	v_mov_b32_e32 v33, 0
	ds_load_b32 v29, v33 offset:60
	s_and_saveexec_b32 s9, s7
	s_cbranch_execz .LBB1011_77
; %bb.76:
	s_add_i32 s16, s15, 32
	s_mov_b32 s17, 0
	v_mov_b32_e32 v30, 1
	s_lshl_b64 s[16:17], s[16:17], 3
	s_delay_alu instid0(SALU_CYCLE_1)
	s_add_u32 s16, s10, s16
	s_addc_u32 s17, s11, s17
	s_waitcnt lgkmcnt(0)
	global_store_b64 v33, v[29:30], s[16:17]
.LBB1011_77:
	s_or_b32 exec_lo, exec_lo, s9
	v_xad_u32 v31, v45, -1, s15
	s_mov_b32 s16, 0
	s_mov_b32 s9, exec_lo
	s_delay_alu instid0(VALU_DEP_1) | instskip(NEXT) | instid1(VALU_DEP_1)
	v_add_nc_u32_e32 v32, 32, v31
	v_lshlrev_b64 v[32:33], 3, v[32:33]
	s_delay_alu instid0(VALU_DEP_1) | instskip(NEXT) | instid1(VALU_DEP_2)
	v_add_co_u32 v35, vcc_lo, s10, v32
	v_add_co_ci_u32_e32 v36, vcc_lo, s11, v33, vcc_lo
	global_load_b64 v[33:34], v[35:36], off glc
	s_waitcnt vmcnt(0)
	v_and_b32_e32 v30, 0xff, v34
	s_delay_alu instid0(VALU_DEP_1)
	v_cmpx_eq_u16_e32 0, v30
	s_cbranch_execz .LBB1011_80
.LBB1011_78:                            ; =>This Inner Loop Header: Depth=1
	global_load_b64 v[33:34], v[35:36], off glc
	s_waitcnt vmcnt(0)
	v_and_b32_e32 v30, 0xff, v34
	s_delay_alu instid0(VALU_DEP_1) | instskip(SKIP_1) | instid1(SALU_CYCLE_1)
	v_cmp_ne_u16_e32 vcc_lo, 0, v30
	s_or_b32 s16, vcc_lo, s16
	s_and_not1_b32 exec_lo, exec_lo, s16
	s_cbranch_execnz .LBB1011_78
; %bb.79:
	s_or_b32 exec_lo, exec_lo, s16
.LBB1011_80:
	s_delay_alu instid0(SALU_CYCLE_1)
	s_or_b32 exec_lo, exec_lo, s9
	v_cmp_ne_u32_e32 vcc_lo, 31, v45
	v_lshlrev_b32_e64 v51, v45, -1
	v_add_nc_u32_e32 v53, 2, v45
	v_add_nc_u32_e32 v55, 4, v45
	;; [unrolled: 1-line block ×3, first 2 shown]
	v_add_co_ci_u32_e32 v30, vcc_lo, 0, v45, vcc_lo
	v_add_nc_u32_e32 v59, 16, v45
	s_delay_alu instid0(VALU_DEP_2)
	v_lshlrev_b32_e32 v50, 2, v30
	v_and_b32_e32 v30, 0xff, v34
	ds_bpermute_b32 v32, v50, v33
	v_cmp_eq_u16_e32 vcc_lo, 2, v30
	v_and_or_b32 v30, vcc_lo, v51, 0x80000000
	v_cmp_gt_u32_e32 vcc_lo, 30, v45
	s_delay_alu instid0(VALU_DEP_2) | instskip(SKIP_1) | instid1(VALU_DEP_2)
	v_ctz_i32_b32_e32 v30, v30
	v_cndmask_b32_e64 v35, 0, 1, vcc_lo
	v_cmp_lt_u32_e32 vcc_lo, v45, v30
	s_waitcnt lgkmcnt(0)
	s_delay_alu instid0(VALU_DEP_2) | instskip(NEXT) | instid1(VALU_DEP_1)
	v_dual_cndmask_b32 v32, 0, v32 :: v_dual_lshlrev_b32 v35, 1, v35
	v_add_lshl_u32 v52, v35, v45, 2
	v_cmp_gt_u32_e32 vcc_lo, 28, v45
	s_delay_alu instid0(VALU_DEP_3) | instskip(SKIP_4) | instid1(VALU_DEP_1)
	v_add_nc_u32_e32 v32, v32, v33
	v_cndmask_b32_e64 v35, 0, 1, vcc_lo
	v_cmp_le_u32_e32 vcc_lo, v53, v30
	ds_bpermute_b32 v33, v52, v32
	v_lshlrev_b32_e32 v35, 2, v35
	v_add_lshl_u32 v54, v35, v45, 2
	s_waitcnt lgkmcnt(0)
	v_cndmask_b32_e32 v33, 0, v33, vcc_lo
	v_cmp_gt_u32_e32 vcc_lo, 24, v45
	s_delay_alu instid0(VALU_DEP_2) | instskip(SKIP_4) | instid1(VALU_DEP_1)
	v_add_nc_u32_e32 v32, v32, v33
	v_cndmask_b32_e64 v35, 0, 1, vcc_lo
	v_cmp_le_u32_e32 vcc_lo, v55, v30
	ds_bpermute_b32 v33, v54, v32
	v_lshlrev_b32_e32 v35, 3, v35
	v_add_lshl_u32 v56, v35, v45, 2
	s_waitcnt lgkmcnt(0)
	v_cndmask_b32_e32 v33, 0, v33, vcc_lo
	v_cmp_gt_u32_e32 vcc_lo, 16, v45
	s_delay_alu instid0(VALU_DEP_2) | instskip(SKIP_4) | instid1(VALU_DEP_1)
	v_add_nc_u32_e32 v32, v32, v33
	v_cndmask_b32_e64 v35, 0, 1, vcc_lo
	v_cmp_le_u32_e32 vcc_lo, v57, v30
	ds_bpermute_b32 v33, v56, v32
	v_lshlrev_b32_e32 v35, 4, v35
	v_add_lshl_u32 v58, v35, v45, 2
	s_waitcnt lgkmcnt(0)
	v_cndmask_b32_e32 v33, 0, v33, vcc_lo
	v_cmp_le_u32_e32 vcc_lo, v59, v30
	s_delay_alu instid0(VALU_DEP_2) | instskip(SKIP_3) | instid1(VALU_DEP_1)
	v_add_nc_u32_e32 v32, v32, v33
	ds_bpermute_b32 v33, v58, v32
	s_waitcnt lgkmcnt(0)
	v_cndmask_b32_e32 v30, 0, v33, vcc_lo
	v_dual_mov_b32 v32, 0 :: v_dual_add_nc_u32 v33, v32, v30
	s_branch .LBB1011_82
.LBB1011_81:                            ;   in Loop: Header=BB1011_82 Depth=1
	s_or_b32 exec_lo, exec_lo, s9
	ds_bpermute_b32 v36, v50, v33
	v_and_b32_e32 v35, 0xff, v34
	v_subrev_nc_u32_e32 v31, 32, v31
	s_delay_alu instid0(VALU_DEP_2) | instskip(SKIP_1) | instid1(VALU_DEP_1)
	v_cmp_eq_u16_e32 vcc_lo, 2, v35
	v_and_or_b32 v35, vcc_lo, v51, 0x80000000
	v_ctz_i32_b32_e32 v35, v35
	s_delay_alu instid0(VALU_DEP_1) | instskip(SKIP_3) | instid1(VALU_DEP_2)
	v_cmp_lt_u32_e32 vcc_lo, v45, v35
	s_waitcnt lgkmcnt(0)
	v_cndmask_b32_e32 v36, 0, v36, vcc_lo
	v_cmp_le_u32_e32 vcc_lo, v53, v35
	v_add_nc_u32_e32 v33, v36, v33
	ds_bpermute_b32 v36, v52, v33
	s_waitcnt lgkmcnt(0)
	v_cndmask_b32_e32 v36, 0, v36, vcc_lo
	v_cmp_le_u32_e32 vcc_lo, v55, v35
	s_delay_alu instid0(VALU_DEP_2) | instskip(SKIP_4) | instid1(VALU_DEP_2)
	v_add_nc_u32_e32 v33, v33, v36
	ds_bpermute_b32 v36, v54, v33
	s_waitcnt lgkmcnt(0)
	v_cndmask_b32_e32 v36, 0, v36, vcc_lo
	v_cmp_le_u32_e32 vcc_lo, v57, v35
	v_add_nc_u32_e32 v33, v33, v36
	ds_bpermute_b32 v36, v56, v33
	s_waitcnt lgkmcnt(0)
	v_cndmask_b32_e32 v36, 0, v36, vcc_lo
	v_cmp_le_u32_e32 vcc_lo, v59, v35
	s_delay_alu instid0(VALU_DEP_2) | instskip(SKIP_3) | instid1(VALU_DEP_1)
	v_add_nc_u32_e32 v33, v33, v36
	ds_bpermute_b32 v36, v58, v33
	s_waitcnt lgkmcnt(0)
	v_cndmask_b32_e32 v35, 0, v36, vcc_lo
	v_add3_u32 v33, v35, v30, v33
.LBB1011_82:                            ; =>This Loop Header: Depth=1
                                        ;     Child Loop BB1011_85 Depth 2
	v_and_b32_e32 v30, 0xff, v34
	s_delay_alu instid0(VALU_DEP_1) | instskip(SKIP_2) | instid1(VALU_DEP_1)
	v_cmp_ne_u16_e32 vcc_lo, 2, v30
	v_cndmask_b32_e64 v30, 0, 1, vcc_lo
	;;#ASMSTART
	;;#ASMEND
	v_cmp_ne_u32_e32 vcc_lo, 0, v30
	v_mov_b32_e32 v30, v33
	s_cmp_lg_u32 vcc_lo, exec_lo
	s_cbranch_scc1 .LBB1011_87
; %bb.83:                               ;   in Loop: Header=BB1011_82 Depth=1
	v_lshlrev_b64 v[33:34], 3, v[31:32]
	s_mov_b32 s9, exec_lo
	s_delay_alu instid0(VALU_DEP_1) | instskip(NEXT) | instid1(VALU_DEP_2)
	v_add_co_u32 v35, vcc_lo, s10, v33
	v_add_co_ci_u32_e32 v36, vcc_lo, s11, v34, vcc_lo
	global_load_b64 v[33:34], v[35:36], off glc
	s_waitcnt vmcnt(0)
	v_and_b32_e32 v60, 0xff, v34
	s_delay_alu instid0(VALU_DEP_1)
	v_cmpx_eq_u16_e32 0, v60
	s_cbranch_execz .LBB1011_81
; %bb.84:                               ;   in Loop: Header=BB1011_82 Depth=1
	s_mov_b32 s16, 0
.LBB1011_85:                            ;   Parent Loop BB1011_82 Depth=1
                                        ; =>  This Inner Loop Header: Depth=2
	global_load_b64 v[33:34], v[35:36], off glc
	s_waitcnt vmcnt(0)
	v_and_b32_e32 v60, 0xff, v34
	s_delay_alu instid0(VALU_DEP_1) | instskip(SKIP_1) | instid1(SALU_CYCLE_1)
	v_cmp_ne_u16_e32 vcc_lo, 0, v60
	s_or_b32 s16, vcc_lo, s16
	s_and_not1_b32 exec_lo, exec_lo, s16
	s_cbranch_execnz .LBB1011_85
; %bb.86:                               ;   in Loop: Header=BB1011_82 Depth=1
	s_or_b32 exec_lo, exec_lo, s16
	s_branch .LBB1011_81
.LBB1011_87:                            ;   in Loop: Header=BB1011_82 Depth=1
                                        ; implicit-def: $vgpr33
                                        ; implicit-def: $vgpr34
	s_cbranch_execz .LBB1011_82
; %bb.88:
	s_and_saveexec_b32 s9, s7
	s_cbranch_execz .LBB1011_90
; %bb.89:
	s_add_i32 s16, s15, 32
	s_mov_b32 s17, 0
	v_dual_mov_b32 v32, 2 :: v_dual_add_nc_u32 v31, v30, v29
	s_lshl_b64 s[16:17], s[16:17], 3
	v_mov_b32_e32 v33, 0
	s_add_u32 s16, s10, s16
	s_addc_u32 s17, s11, s17
	global_store_b64 v33, v[31:32], s[16:17]
	ds_store_b64 v33, v[29:30] offset:33792
.LBB1011_90:
	s_or_b32 exec_lo, exec_lo, s9
	s_delay_alu instid0(SALU_CYCLE_1)
	s_and_b32 exec_lo, exec_lo, s2
	s_cbranch_execz .LBB1011_92
; %bb.91:
	v_mov_b32_e32 v29, 0
	ds_store_b32 v29, v30 offset:60
.LBB1011_92:
	s_or_b32 exec_lo, exec_lo, s8
	v_mov_b32_e32 v29, 0
	s_waitcnt lgkmcnt(0)
	s_waitcnt_vscnt null, 0x0
	s_barrier
	buffer_gl0_inv
	v_cndmask_b32_e64 v31, v49, v48, s7
	ds_load_b32 v30, v29 offset:60
	s_waitcnt lgkmcnt(0)
	s_barrier
	buffer_gl0_inv
	v_cndmask_b32_e64 v31, v31, 0, s2
	s_delay_alu instid0(VALU_DEP_1) | instskip(NEXT) | instid1(VALU_DEP_1)
	v_add_nc_u32_e32 v51, v30, v31
	v_add_nc_u32_e32 v50, v51, v38
	ds_load_b64 v[29:30], v29 offset:33792
	v_add_nc_u32_e32 v49, v50, v39
	s_delay_alu instid0(VALU_DEP_1) | instskip(NEXT) | instid1(VALU_DEP_1)
	v_add_nc_u32_e32 v48, v49, v40
	v_add_nc_u32_e32 v36, v48, v41
	s_delay_alu instid0(VALU_DEP_1) | instskip(NEXT) | instid1(VALU_DEP_1)
	v_add_nc_u32_e32 v35, v36, v42
	v_add_nc_u32_e32 v34, v35, v43
	s_delay_alu instid0(VALU_DEP_1)
	v_add_nc_u32_e32 v33, v34, v44
	v_lshrrev_b64 v[31:32], 24, v[27:28]
	s_branch .LBB1011_103
.LBB1011_93:
                                        ; implicit-def: $vgpr33
                                        ; implicit-def: $vgpr34
                                        ; implicit-def: $vgpr35
                                        ; implicit-def: $vgpr36
                                        ; implicit-def: $vgpr48
                                        ; implicit-def: $vgpr49
                                        ; implicit-def: $vgpr50
                                        ; implicit-def: $vgpr51
                                        ; implicit-def: $vgpr30
	v_lshrrev_b64 v[31:32], 24, v[27:28]
	s_and_b32 vcc_lo, exec_lo, s7
	s_cbranch_vccz .LBB1011_103
; %bb.94:
	s_waitcnt lgkmcnt(0)
	v_mov_b32_dpp v29, v47 row_shr:1 row_mask:0xf bank_mask:0xf
	s_delay_alu instid0(VALU_DEP_1) | instskip(NEXT) | instid1(VALU_DEP_1)
	v_cndmask_b32_e64 v29, v29, 0, s3
	v_add_nc_u32_e32 v29, v29, v47
	s_delay_alu instid0(VALU_DEP_1) | instskip(NEXT) | instid1(VALU_DEP_1)
	v_mov_b32_dpp v30, v29 row_shr:2 row_mask:0xf bank_mask:0xf
	v_cndmask_b32_e64 v30, 0, v30, s0
	s_delay_alu instid0(VALU_DEP_1) | instskip(NEXT) | instid1(VALU_DEP_1)
	v_add_nc_u32_e32 v29, v29, v30
	v_mov_b32_dpp v30, v29 row_shr:4 row_mask:0xf bank_mask:0xf
	s_delay_alu instid0(VALU_DEP_1) | instskip(NEXT) | instid1(VALU_DEP_1)
	v_cndmask_b32_e64 v30, 0, v30, s4
	v_add_nc_u32_e32 v29, v29, v30
	s_delay_alu instid0(VALU_DEP_1) | instskip(NEXT) | instid1(VALU_DEP_1)
	v_mov_b32_dpp v30, v29 row_shr:8 row_mask:0xf bank_mask:0xf
	v_cndmask_b32_e64 v30, 0, v30, s1
	s_delay_alu instid0(VALU_DEP_1) | instskip(SKIP_3) | instid1(VALU_DEP_1)
	v_add_nc_u32_e32 v29, v29, v30
	ds_swizzle_b32 v30, v29 offset:swizzle(BROADCAST,32,15)
	s_waitcnt lgkmcnt(0)
	v_cndmask_b32_e64 v30, v30, 0, s6
	v_add_nc_u32_e32 v29, v29, v30
	s_and_saveexec_b32 s6, s5
	s_cbranch_execz .LBB1011_96
; %bb.95:
	v_lshlrev_b32_e32 v30, 2, v46
	ds_store_b32 v30, v29
.LBB1011_96:
	s_or_b32 exec_lo, exec_lo, s6
	s_delay_alu instid0(SALU_CYCLE_1)
	s_mov_b32 s5, exec_lo
	s_waitcnt lgkmcnt(0)
	s_barrier
	buffer_gl0_inv
	v_cmpx_gt_u32_e32 16, v0
	s_cbranch_execz .LBB1011_98
; %bb.97:
	v_lshlrev_b32_e32 v30, 2, v0
	ds_load_b32 v32, v30
	s_waitcnt lgkmcnt(0)
	v_mov_b32_dpp v33, v32 row_shr:1 row_mask:0xf bank_mask:0xf
	s_delay_alu instid0(VALU_DEP_1) | instskip(NEXT) | instid1(VALU_DEP_1)
	v_cndmask_b32_e64 v33, v33, 0, s3
	v_add_nc_u32_e32 v32, v33, v32
	s_delay_alu instid0(VALU_DEP_1) | instskip(NEXT) | instid1(VALU_DEP_1)
	v_mov_b32_dpp v33, v32 row_shr:2 row_mask:0xf bank_mask:0xf
	v_cndmask_b32_e64 v33, 0, v33, s0
	s_delay_alu instid0(VALU_DEP_1) | instskip(NEXT) | instid1(VALU_DEP_1)
	v_add_nc_u32_e32 v32, v32, v33
	v_mov_b32_dpp v33, v32 row_shr:4 row_mask:0xf bank_mask:0xf
	s_delay_alu instid0(VALU_DEP_1) | instskip(NEXT) | instid1(VALU_DEP_1)
	v_cndmask_b32_e64 v33, 0, v33, s4
	v_add_nc_u32_e32 v32, v32, v33
	s_delay_alu instid0(VALU_DEP_1) | instskip(NEXT) | instid1(VALU_DEP_1)
	v_mov_b32_dpp v33, v32 row_shr:8 row_mask:0xf bank_mask:0xf
	v_cndmask_b32_e64 v33, 0, v33, s1
	s_delay_alu instid0(VALU_DEP_1)
	v_add_nc_u32_e32 v32, v32, v33
	ds_store_b32 v30, v32
.LBB1011_98:
	s_or_b32 exec_lo, exec_lo, s5
	v_cmp_lt_u32_e32 vcc_lo, 31, v0
	v_mov_b32_e32 v30, 0
	v_mov_b32_e32 v0, 0
	s_waitcnt lgkmcnt(0)
	s_barrier
	buffer_gl0_inv
	s_and_saveexec_b32 s0, vcc_lo
	s_cbranch_execz .LBB1011_100
; %bb.99:
	v_lshl_add_u32 v0, v46, 2, -4
	ds_load_b32 v0, v0
.LBB1011_100:
	s_or_b32 exec_lo, exec_lo, s0
	v_add_nc_u32_e32 v32, -1, v45
	s_waitcnt lgkmcnt(0)
	v_add_nc_u32_e32 v29, v0, v29
	s_delay_alu instid0(VALU_DEP_2) | instskip(SKIP_1) | instid1(VALU_DEP_1)
	v_cmp_gt_i32_e32 vcc_lo, 0, v32
	v_cndmask_b32_e32 v32, v32, v45, vcc_lo
	v_lshlrev_b32_e32 v32, 2, v32
	ds_bpermute_b32 v32, v32, v29
	ds_load_b32 v29, v30 offset:60
	s_and_saveexec_b32 s0, s2
	s_cbranch_execz .LBB1011_102
; %bb.101:
	v_dual_mov_b32 v33, 0 :: v_dual_mov_b32 v30, 2
	s_waitcnt lgkmcnt(0)
	global_store_b64 v33, v[29:30], s[10:11] offset:256
.LBB1011_102:
	s_or_b32 exec_lo, exec_lo, s0
	v_cmp_eq_u32_e32 vcc_lo, 0, v45
	s_waitcnt lgkmcnt(0)
	s_waitcnt_vscnt null, 0x0
	s_barrier
	buffer_gl0_inv
	v_mov_b32_e32 v30, 0
	v_cndmask_b32_e32 v0, v32, v0, vcc_lo
	s_delay_alu instid0(VALU_DEP_1) | instskip(NEXT) | instid1(VALU_DEP_1)
	v_cndmask_b32_e64 v51, v0, 0, s2
	v_add_nc_u32_e32 v50, v51, v38
	s_delay_alu instid0(VALU_DEP_1) | instskip(NEXT) | instid1(VALU_DEP_1)
	v_add_nc_u32_e32 v49, v50, v39
	v_add_nc_u32_e32 v48, v49, v40
	s_delay_alu instid0(VALU_DEP_1) | instskip(NEXT) | instid1(VALU_DEP_1)
	v_add_nc_u32_e32 v36, v48, v41
	;; [unrolled: 3-line block ×3, first 2 shown]
	v_add_nc_u32_e32 v33, v34, v44
.LBB1011_103:
	v_lshrrev_b32_e32 v39, 8, v27
	v_lshrrev_b32_e32 v38, 16, v27
	v_and_b32_e32 v27, 1, v27
	s_waitcnt lgkmcnt(0)
	v_cmp_gt_u32_e32 vcc_lo, 0x201, v29
	v_lshrrev_b32_e32 v32, 8, v28
	v_lshrrev_b32_e32 v0, 16, v28
	v_cmp_lt_u32_e64 s0, 0x200, v29
	v_cmp_eq_u32_e64 s1, 1, v27
	s_cbranch_vccnz .LBB1011_121
; %bb.104:
	s_delay_alu instid0(VALU_DEP_1)
	s_and_saveexec_b32 s3, s1
	s_cbranch_execz .LBB1011_106
; %bb.105:
	v_sub_nc_u32_e32 v40, v51, v30
	s_delay_alu instid0(VALU_DEP_1)
	v_lshlrev_b32_e32 v40, 3, v40
	ds_store_b64 v40, v[13:14]
.LBB1011_106:
	s_or_b32 exec_lo, exec_lo, s3
	v_and_b32_e32 v13, 1, v39
	s_mov_b32 s1, exec_lo
	s_delay_alu instid0(VALU_DEP_1)
	v_cmpx_eq_u32_e32 1, v13
	s_cbranch_execz .LBB1011_108
; %bb.107:
	v_sub_nc_u32_e32 v13, v50, v30
	s_delay_alu instid0(VALU_DEP_1)
	v_lshlrev_b32_e32 v13, 3, v13
	ds_store_b64 v13, v[15:16]
.LBB1011_108:
	s_or_b32 exec_lo, exec_lo, s1
	v_and_b32_e32 v13, 1, v38
	s_mov_b32 s1, exec_lo
	s_delay_alu instid0(VALU_DEP_1)
	v_cmpx_eq_u32_e32 1, v13
	;; [unrolled: 12-line block ×7, first 2 shown]
	s_cbranch_execz .LBB1011_120
; %bb.119:
	v_sub_nc_u32_e32 v1, v33, v30
	s_delay_alu instid0(VALU_DEP_1)
	v_lshlrev_b32_e32 v1, 3, v1
	ds_store_b64 v1, v[3:4]
.LBB1011_120:
	s_or_b32 exec_lo, exec_lo, s1
	s_waitcnt lgkmcnt(0)
	s_barrier
	buffer_gl0_inv
.LBB1011_121:
	s_delay_alu instid0(VALU_DEP_2)
	s_and_not1_b32 vcc_lo, exec_lo, s0
	s_barrier
	buffer_gl0_inv
	s_cbranch_vccnz .LBB1011_140
; %bb.122:
	s_mov_b32 s0, exec_lo
	v_cmpx_eq_u32_e32 1, v27
	s_cbranch_execz .LBB1011_124
; %bb.123:
	v_sub_nc_u32_e32 v1, v51, v30
	s_delay_alu instid0(VALU_DEP_1)
	v_lshlrev_b32_e32 v1, 2, v1
	ds_store_b32 v1, v25
.LBB1011_124:
	s_or_b32 exec_lo, exec_lo, s0
	v_and_b32_e32 v1, 1, v39
	s_mov_b32 s0, exec_lo
	s_delay_alu instid0(VALU_DEP_1)
	v_cmpx_eq_u32_e32 1, v1
	s_cbranch_execz .LBB1011_126
; %bb.125:
	v_sub_nc_u32_e32 v1, v50, v30
	s_delay_alu instid0(VALU_DEP_1)
	v_lshlrev_b32_e32 v1, 2, v1
	ds_store_b32 v1, v26
.LBB1011_126:
	s_or_b32 exec_lo, exec_lo, s0
	v_and_b32_e32 v1, 1, v38
	s_mov_b32 s0, exec_lo
	s_delay_alu instid0(VALU_DEP_1)
	;; [unrolled: 12-line block ×7, first 2 shown]
	v_cmpx_eq_u32_e32 1, v0
	s_cbranch_execz .LBB1011_138
; %bb.137:
	v_sub_nc_u32_e32 v0, v33, v30
	s_delay_alu instid0(VALU_DEP_1)
	v_lshlrev_b32_e32 v0, 2, v0
	ds_store_b32 v0, v20
.LBB1011_138:
	s_or_b32 exec_lo, exec_lo, s0
	s_waitcnt lgkmcnt(0)
	s_barrier
	buffer_gl0_inv
	s_and_b32 s0, s2, s14
	s_delay_alu instid0(SALU_CYCLE_1)
	s_and_saveexec_b32 s1, s0
	s_cbranch_execnz .LBB1011_141
.LBB1011_139:
	s_endpgm
.LBB1011_140:
	s_and_b32 s0, s2, s14
	s_delay_alu instid0(SALU_CYCLE_1)
	s_and_saveexec_b32 s1, s0
	s_cbranch_execz .LBB1011_139
.LBB1011_141:
	v_add_co_u32 v0, vcc_lo, v17, v29
	v_add_co_ci_u32_e32 v1, vcc_lo, 0, v18, vcc_lo
	v_mov_b32_e32 v2, 0
	s_delay_alu instid0(VALU_DEP_3) | instskip(NEXT) | instid1(VALU_DEP_3)
	v_add_co_u32 v0, vcc_lo, v0, v30
	v_add_co_ci_u32_e32 v1, vcc_lo, 0, v1, vcc_lo
	global_store_b64 v2, v[0:1], s[12:13]
	s_nop 0
	s_sendmsg sendmsg(MSG_DEALLOC_VGPRS)
	s_endpgm
	.section	.rodata,"a",@progbits
	.p2align	6, 0x0
	.amdhsa_kernel _ZN7rocprim17ROCPRIM_400000_NS6detail17trampoline_kernelINS0_14default_configENS1_25partition_config_selectorILNS1_17partition_subalgoE9ExjbEEZZNS1_14partition_implILS5_9ELb0ES3_jN6thrust23THRUST_200600_302600_NS6detail15normal_iteratorINS9_10device_ptrIxEEEENSB_INSC_IjEEEEPNS0_10empty_typeENS0_5tupleIJNS9_16discard_iteratorINS9_11use_defaultEEESH_EEENSJ_IJSM_SI_EEENS0_18inequality_wrapperINS9_8equal_toIxEEEEPmJSH_EEE10hipError_tPvRmT3_T4_T5_T6_T7_T9_mT8_P12ihipStream_tbDpT10_ENKUlT_T0_E_clISt17integral_constantIbLb0EES1C_IbLb1EEEEDaS18_S19_EUlS18_E_NS1_11comp_targetILNS1_3genE9ELNS1_11target_archE1100ELNS1_3gpuE3ELNS1_3repE0EEENS1_30default_config_static_selectorELNS0_4arch9wavefront6targetE0EEEvT1_
		.amdhsa_group_segment_fixed_size 33800
		.amdhsa_private_segment_fixed_size 0
		.amdhsa_kernarg_size 144
		.amdhsa_user_sgpr_count 15
		.amdhsa_user_sgpr_dispatch_ptr 0
		.amdhsa_user_sgpr_queue_ptr 0
		.amdhsa_user_sgpr_kernarg_segment_ptr 1
		.amdhsa_user_sgpr_dispatch_id 0
		.amdhsa_user_sgpr_private_segment_size 0
		.amdhsa_wavefront_size32 1
		.amdhsa_uses_dynamic_stack 0
		.amdhsa_enable_private_segment 0
		.amdhsa_system_sgpr_workgroup_id_x 1
		.amdhsa_system_sgpr_workgroup_id_y 0
		.amdhsa_system_sgpr_workgroup_id_z 0
		.amdhsa_system_sgpr_workgroup_info 0
		.amdhsa_system_vgpr_workitem_id 0
		.amdhsa_next_free_vgpr 61
		.amdhsa_next_free_sgpr 24
		.amdhsa_reserve_vcc 1
		.amdhsa_float_round_mode_32 0
		.amdhsa_float_round_mode_16_64 0
		.amdhsa_float_denorm_mode_32 3
		.amdhsa_float_denorm_mode_16_64 3
		.amdhsa_dx10_clamp 1
		.amdhsa_ieee_mode 1
		.amdhsa_fp16_overflow 0
		.amdhsa_workgroup_processor_mode 1
		.amdhsa_memory_ordered 1
		.amdhsa_forward_progress 0
		.amdhsa_shared_vgpr_count 0
		.amdhsa_exception_fp_ieee_invalid_op 0
		.amdhsa_exception_fp_denorm_src 0
		.amdhsa_exception_fp_ieee_div_zero 0
		.amdhsa_exception_fp_ieee_overflow 0
		.amdhsa_exception_fp_ieee_underflow 0
		.amdhsa_exception_fp_ieee_inexact 0
		.amdhsa_exception_int_div_zero 0
	.end_amdhsa_kernel
	.section	.text._ZN7rocprim17ROCPRIM_400000_NS6detail17trampoline_kernelINS0_14default_configENS1_25partition_config_selectorILNS1_17partition_subalgoE9ExjbEEZZNS1_14partition_implILS5_9ELb0ES3_jN6thrust23THRUST_200600_302600_NS6detail15normal_iteratorINS9_10device_ptrIxEEEENSB_INSC_IjEEEEPNS0_10empty_typeENS0_5tupleIJNS9_16discard_iteratorINS9_11use_defaultEEESH_EEENSJ_IJSM_SI_EEENS0_18inequality_wrapperINS9_8equal_toIxEEEEPmJSH_EEE10hipError_tPvRmT3_T4_T5_T6_T7_T9_mT8_P12ihipStream_tbDpT10_ENKUlT_T0_E_clISt17integral_constantIbLb0EES1C_IbLb1EEEEDaS18_S19_EUlS18_E_NS1_11comp_targetILNS1_3genE9ELNS1_11target_archE1100ELNS1_3gpuE3ELNS1_3repE0EEENS1_30default_config_static_selectorELNS0_4arch9wavefront6targetE0EEEvT1_,"axG",@progbits,_ZN7rocprim17ROCPRIM_400000_NS6detail17trampoline_kernelINS0_14default_configENS1_25partition_config_selectorILNS1_17partition_subalgoE9ExjbEEZZNS1_14partition_implILS5_9ELb0ES3_jN6thrust23THRUST_200600_302600_NS6detail15normal_iteratorINS9_10device_ptrIxEEEENSB_INSC_IjEEEEPNS0_10empty_typeENS0_5tupleIJNS9_16discard_iteratorINS9_11use_defaultEEESH_EEENSJ_IJSM_SI_EEENS0_18inequality_wrapperINS9_8equal_toIxEEEEPmJSH_EEE10hipError_tPvRmT3_T4_T5_T6_T7_T9_mT8_P12ihipStream_tbDpT10_ENKUlT_T0_E_clISt17integral_constantIbLb0EES1C_IbLb1EEEEDaS18_S19_EUlS18_E_NS1_11comp_targetILNS1_3genE9ELNS1_11target_archE1100ELNS1_3gpuE3ELNS1_3repE0EEENS1_30default_config_static_selectorELNS0_4arch9wavefront6targetE0EEEvT1_,comdat
.Lfunc_end1011:
	.size	_ZN7rocprim17ROCPRIM_400000_NS6detail17trampoline_kernelINS0_14default_configENS1_25partition_config_selectorILNS1_17partition_subalgoE9ExjbEEZZNS1_14partition_implILS5_9ELb0ES3_jN6thrust23THRUST_200600_302600_NS6detail15normal_iteratorINS9_10device_ptrIxEEEENSB_INSC_IjEEEEPNS0_10empty_typeENS0_5tupleIJNS9_16discard_iteratorINS9_11use_defaultEEESH_EEENSJ_IJSM_SI_EEENS0_18inequality_wrapperINS9_8equal_toIxEEEEPmJSH_EEE10hipError_tPvRmT3_T4_T5_T6_T7_T9_mT8_P12ihipStream_tbDpT10_ENKUlT_T0_E_clISt17integral_constantIbLb0EES1C_IbLb1EEEEDaS18_S19_EUlS18_E_NS1_11comp_targetILNS1_3genE9ELNS1_11target_archE1100ELNS1_3gpuE3ELNS1_3repE0EEENS1_30default_config_static_selectorELNS0_4arch9wavefront6targetE0EEEvT1_, .Lfunc_end1011-_ZN7rocprim17ROCPRIM_400000_NS6detail17trampoline_kernelINS0_14default_configENS1_25partition_config_selectorILNS1_17partition_subalgoE9ExjbEEZZNS1_14partition_implILS5_9ELb0ES3_jN6thrust23THRUST_200600_302600_NS6detail15normal_iteratorINS9_10device_ptrIxEEEENSB_INSC_IjEEEEPNS0_10empty_typeENS0_5tupleIJNS9_16discard_iteratorINS9_11use_defaultEEESH_EEENSJ_IJSM_SI_EEENS0_18inequality_wrapperINS9_8equal_toIxEEEEPmJSH_EEE10hipError_tPvRmT3_T4_T5_T6_T7_T9_mT8_P12ihipStream_tbDpT10_ENKUlT_T0_E_clISt17integral_constantIbLb0EES1C_IbLb1EEEEDaS18_S19_EUlS18_E_NS1_11comp_targetILNS1_3genE9ELNS1_11target_archE1100ELNS1_3gpuE3ELNS1_3repE0EEENS1_30default_config_static_selectorELNS0_4arch9wavefront6targetE0EEEvT1_
                                        ; -- End function
	.section	.AMDGPU.csdata,"",@progbits
; Kernel info:
; codeLenInByte = 7668
; NumSgprs: 26
; NumVgprs: 61
; ScratchSize: 0
; MemoryBound: 0
; FloatMode: 240
; IeeeMode: 1
; LDSByteSize: 33800 bytes/workgroup (compile time only)
; SGPRBlocks: 3
; VGPRBlocks: 7
; NumSGPRsForWavesPerEU: 26
; NumVGPRsForWavesPerEU: 61
; Occupancy: 12
; WaveLimiterHint : 1
; COMPUTE_PGM_RSRC2:SCRATCH_EN: 0
; COMPUTE_PGM_RSRC2:USER_SGPR: 15
; COMPUTE_PGM_RSRC2:TRAP_HANDLER: 0
; COMPUTE_PGM_RSRC2:TGID_X_EN: 1
; COMPUTE_PGM_RSRC2:TGID_Y_EN: 0
; COMPUTE_PGM_RSRC2:TGID_Z_EN: 0
; COMPUTE_PGM_RSRC2:TIDIG_COMP_CNT: 0
	.section	.text._ZN7rocprim17ROCPRIM_400000_NS6detail17trampoline_kernelINS0_14default_configENS1_25partition_config_selectorILNS1_17partition_subalgoE9ExjbEEZZNS1_14partition_implILS5_9ELb0ES3_jN6thrust23THRUST_200600_302600_NS6detail15normal_iteratorINS9_10device_ptrIxEEEENSB_INSC_IjEEEEPNS0_10empty_typeENS0_5tupleIJNS9_16discard_iteratorINS9_11use_defaultEEESH_EEENSJ_IJSM_SI_EEENS0_18inequality_wrapperINS9_8equal_toIxEEEEPmJSH_EEE10hipError_tPvRmT3_T4_T5_T6_T7_T9_mT8_P12ihipStream_tbDpT10_ENKUlT_T0_E_clISt17integral_constantIbLb0EES1C_IbLb1EEEEDaS18_S19_EUlS18_E_NS1_11comp_targetILNS1_3genE8ELNS1_11target_archE1030ELNS1_3gpuE2ELNS1_3repE0EEENS1_30default_config_static_selectorELNS0_4arch9wavefront6targetE0EEEvT1_,"axG",@progbits,_ZN7rocprim17ROCPRIM_400000_NS6detail17trampoline_kernelINS0_14default_configENS1_25partition_config_selectorILNS1_17partition_subalgoE9ExjbEEZZNS1_14partition_implILS5_9ELb0ES3_jN6thrust23THRUST_200600_302600_NS6detail15normal_iteratorINS9_10device_ptrIxEEEENSB_INSC_IjEEEEPNS0_10empty_typeENS0_5tupleIJNS9_16discard_iteratorINS9_11use_defaultEEESH_EEENSJ_IJSM_SI_EEENS0_18inequality_wrapperINS9_8equal_toIxEEEEPmJSH_EEE10hipError_tPvRmT3_T4_T5_T6_T7_T9_mT8_P12ihipStream_tbDpT10_ENKUlT_T0_E_clISt17integral_constantIbLb0EES1C_IbLb1EEEEDaS18_S19_EUlS18_E_NS1_11comp_targetILNS1_3genE8ELNS1_11target_archE1030ELNS1_3gpuE2ELNS1_3repE0EEENS1_30default_config_static_selectorELNS0_4arch9wavefront6targetE0EEEvT1_,comdat
	.protected	_ZN7rocprim17ROCPRIM_400000_NS6detail17trampoline_kernelINS0_14default_configENS1_25partition_config_selectorILNS1_17partition_subalgoE9ExjbEEZZNS1_14partition_implILS5_9ELb0ES3_jN6thrust23THRUST_200600_302600_NS6detail15normal_iteratorINS9_10device_ptrIxEEEENSB_INSC_IjEEEEPNS0_10empty_typeENS0_5tupleIJNS9_16discard_iteratorINS9_11use_defaultEEESH_EEENSJ_IJSM_SI_EEENS0_18inequality_wrapperINS9_8equal_toIxEEEEPmJSH_EEE10hipError_tPvRmT3_T4_T5_T6_T7_T9_mT8_P12ihipStream_tbDpT10_ENKUlT_T0_E_clISt17integral_constantIbLb0EES1C_IbLb1EEEEDaS18_S19_EUlS18_E_NS1_11comp_targetILNS1_3genE8ELNS1_11target_archE1030ELNS1_3gpuE2ELNS1_3repE0EEENS1_30default_config_static_selectorELNS0_4arch9wavefront6targetE0EEEvT1_ ; -- Begin function _ZN7rocprim17ROCPRIM_400000_NS6detail17trampoline_kernelINS0_14default_configENS1_25partition_config_selectorILNS1_17partition_subalgoE9ExjbEEZZNS1_14partition_implILS5_9ELb0ES3_jN6thrust23THRUST_200600_302600_NS6detail15normal_iteratorINS9_10device_ptrIxEEEENSB_INSC_IjEEEEPNS0_10empty_typeENS0_5tupleIJNS9_16discard_iteratorINS9_11use_defaultEEESH_EEENSJ_IJSM_SI_EEENS0_18inequality_wrapperINS9_8equal_toIxEEEEPmJSH_EEE10hipError_tPvRmT3_T4_T5_T6_T7_T9_mT8_P12ihipStream_tbDpT10_ENKUlT_T0_E_clISt17integral_constantIbLb0EES1C_IbLb1EEEEDaS18_S19_EUlS18_E_NS1_11comp_targetILNS1_3genE8ELNS1_11target_archE1030ELNS1_3gpuE2ELNS1_3repE0EEENS1_30default_config_static_selectorELNS0_4arch9wavefront6targetE0EEEvT1_
	.globl	_ZN7rocprim17ROCPRIM_400000_NS6detail17trampoline_kernelINS0_14default_configENS1_25partition_config_selectorILNS1_17partition_subalgoE9ExjbEEZZNS1_14partition_implILS5_9ELb0ES3_jN6thrust23THRUST_200600_302600_NS6detail15normal_iteratorINS9_10device_ptrIxEEEENSB_INSC_IjEEEEPNS0_10empty_typeENS0_5tupleIJNS9_16discard_iteratorINS9_11use_defaultEEESH_EEENSJ_IJSM_SI_EEENS0_18inequality_wrapperINS9_8equal_toIxEEEEPmJSH_EEE10hipError_tPvRmT3_T4_T5_T6_T7_T9_mT8_P12ihipStream_tbDpT10_ENKUlT_T0_E_clISt17integral_constantIbLb0EES1C_IbLb1EEEEDaS18_S19_EUlS18_E_NS1_11comp_targetILNS1_3genE8ELNS1_11target_archE1030ELNS1_3gpuE2ELNS1_3repE0EEENS1_30default_config_static_selectorELNS0_4arch9wavefront6targetE0EEEvT1_
	.p2align	8
	.type	_ZN7rocprim17ROCPRIM_400000_NS6detail17trampoline_kernelINS0_14default_configENS1_25partition_config_selectorILNS1_17partition_subalgoE9ExjbEEZZNS1_14partition_implILS5_9ELb0ES3_jN6thrust23THRUST_200600_302600_NS6detail15normal_iteratorINS9_10device_ptrIxEEEENSB_INSC_IjEEEEPNS0_10empty_typeENS0_5tupleIJNS9_16discard_iteratorINS9_11use_defaultEEESH_EEENSJ_IJSM_SI_EEENS0_18inequality_wrapperINS9_8equal_toIxEEEEPmJSH_EEE10hipError_tPvRmT3_T4_T5_T6_T7_T9_mT8_P12ihipStream_tbDpT10_ENKUlT_T0_E_clISt17integral_constantIbLb0EES1C_IbLb1EEEEDaS18_S19_EUlS18_E_NS1_11comp_targetILNS1_3genE8ELNS1_11target_archE1030ELNS1_3gpuE2ELNS1_3repE0EEENS1_30default_config_static_selectorELNS0_4arch9wavefront6targetE0EEEvT1_,@function
_ZN7rocprim17ROCPRIM_400000_NS6detail17trampoline_kernelINS0_14default_configENS1_25partition_config_selectorILNS1_17partition_subalgoE9ExjbEEZZNS1_14partition_implILS5_9ELb0ES3_jN6thrust23THRUST_200600_302600_NS6detail15normal_iteratorINS9_10device_ptrIxEEEENSB_INSC_IjEEEEPNS0_10empty_typeENS0_5tupleIJNS9_16discard_iteratorINS9_11use_defaultEEESH_EEENSJ_IJSM_SI_EEENS0_18inequality_wrapperINS9_8equal_toIxEEEEPmJSH_EEE10hipError_tPvRmT3_T4_T5_T6_T7_T9_mT8_P12ihipStream_tbDpT10_ENKUlT_T0_E_clISt17integral_constantIbLb0EES1C_IbLb1EEEEDaS18_S19_EUlS18_E_NS1_11comp_targetILNS1_3genE8ELNS1_11target_archE1030ELNS1_3gpuE2ELNS1_3repE0EEENS1_30default_config_static_selectorELNS0_4arch9wavefront6targetE0EEEvT1_: ; @_ZN7rocprim17ROCPRIM_400000_NS6detail17trampoline_kernelINS0_14default_configENS1_25partition_config_selectorILNS1_17partition_subalgoE9ExjbEEZZNS1_14partition_implILS5_9ELb0ES3_jN6thrust23THRUST_200600_302600_NS6detail15normal_iteratorINS9_10device_ptrIxEEEENSB_INSC_IjEEEEPNS0_10empty_typeENS0_5tupleIJNS9_16discard_iteratorINS9_11use_defaultEEESH_EEENSJ_IJSM_SI_EEENS0_18inequality_wrapperINS9_8equal_toIxEEEEPmJSH_EEE10hipError_tPvRmT3_T4_T5_T6_T7_T9_mT8_P12ihipStream_tbDpT10_ENKUlT_T0_E_clISt17integral_constantIbLb0EES1C_IbLb1EEEEDaS18_S19_EUlS18_E_NS1_11comp_targetILNS1_3genE8ELNS1_11target_archE1030ELNS1_3gpuE2ELNS1_3repE0EEENS1_30default_config_static_selectorELNS0_4arch9wavefront6targetE0EEEvT1_
; %bb.0:
	.section	.rodata,"a",@progbits
	.p2align	6, 0x0
	.amdhsa_kernel _ZN7rocprim17ROCPRIM_400000_NS6detail17trampoline_kernelINS0_14default_configENS1_25partition_config_selectorILNS1_17partition_subalgoE9ExjbEEZZNS1_14partition_implILS5_9ELb0ES3_jN6thrust23THRUST_200600_302600_NS6detail15normal_iteratorINS9_10device_ptrIxEEEENSB_INSC_IjEEEEPNS0_10empty_typeENS0_5tupleIJNS9_16discard_iteratorINS9_11use_defaultEEESH_EEENSJ_IJSM_SI_EEENS0_18inequality_wrapperINS9_8equal_toIxEEEEPmJSH_EEE10hipError_tPvRmT3_T4_T5_T6_T7_T9_mT8_P12ihipStream_tbDpT10_ENKUlT_T0_E_clISt17integral_constantIbLb0EES1C_IbLb1EEEEDaS18_S19_EUlS18_E_NS1_11comp_targetILNS1_3genE8ELNS1_11target_archE1030ELNS1_3gpuE2ELNS1_3repE0EEENS1_30default_config_static_selectorELNS0_4arch9wavefront6targetE0EEEvT1_
		.amdhsa_group_segment_fixed_size 0
		.amdhsa_private_segment_fixed_size 0
		.amdhsa_kernarg_size 144
		.amdhsa_user_sgpr_count 15
		.amdhsa_user_sgpr_dispatch_ptr 0
		.amdhsa_user_sgpr_queue_ptr 0
		.amdhsa_user_sgpr_kernarg_segment_ptr 1
		.amdhsa_user_sgpr_dispatch_id 0
		.amdhsa_user_sgpr_private_segment_size 0
		.amdhsa_wavefront_size32 1
		.amdhsa_uses_dynamic_stack 0
		.amdhsa_enable_private_segment 0
		.amdhsa_system_sgpr_workgroup_id_x 1
		.amdhsa_system_sgpr_workgroup_id_y 0
		.amdhsa_system_sgpr_workgroup_id_z 0
		.amdhsa_system_sgpr_workgroup_info 0
		.amdhsa_system_vgpr_workitem_id 0
		.amdhsa_next_free_vgpr 1
		.amdhsa_next_free_sgpr 1
		.amdhsa_reserve_vcc 0
		.amdhsa_float_round_mode_32 0
		.amdhsa_float_round_mode_16_64 0
		.amdhsa_float_denorm_mode_32 3
		.amdhsa_float_denorm_mode_16_64 3
		.amdhsa_dx10_clamp 1
		.amdhsa_ieee_mode 1
		.amdhsa_fp16_overflow 0
		.amdhsa_workgroup_processor_mode 1
		.amdhsa_memory_ordered 1
		.amdhsa_forward_progress 0
		.amdhsa_shared_vgpr_count 0
		.amdhsa_exception_fp_ieee_invalid_op 0
		.amdhsa_exception_fp_denorm_src 0
		.amdhsa_exception_fp_ieee_div_zero 0
		.amdhsa_exception_fp_ieee_overflow 0
		.amdhsa_exception_fp_ieee_underflow 0
		.amdhsa_exception_fp_ieee_inexact 0
		.amdhsa_exception_int_div_zero 0
	.end_amdhsa_kernel
	.section	.text._ZN7rocprim17ROCPRIM_400000_NS6detail17trampoline_kernelINS0_14default_configENS1_25partition_config_selectorILNS1_17partition_subalgoE9ExjbEEZZNS1_14partition_implILS5_9ELb0ES3_jN6thrust23THRUST_200600_302600_NS6detail15normal_iteratorINS9_10device_ptrIxEEEENSB_INSC_IjEEEEPNS0_10empty_typeENS0_5tupleIJNS9_16discard_iteratorINS9_11use_defaultEEESH_EEENSJ_IJSM_SI_EEENS0_18inequality_wrapperINS9_8equal_toIxEEEEPmJSH_EEE10hipError_tPvRmT3_T4_T5_T6_T7_T9_mT8_P12ihipStream_tbDpT10_ENKUlT_T0_E_clISt17integral_constantIbLb0EES1C_IbLb1EEEEDaS18_S19_EUlS18_E_NS1_11comp_targetILNS1_3genE8ELNS1_11target_archE1030ELNS1_3gpuE2ELNS1_3repE0EEENS1_30default_config_static_selectorELNS0_4arch9wavefront6targetE0EEEvT1_,"axG",@progbits,_ZN7rocprim17ROCPRIM_400000_NS6detail17trampoline_kernelINS0_14default_configENS1_25partition_config_selectorILNS1_17partition_subalgoE9ExjbEEZZNS1_14partition_implILS5_9ELb0ES3_jN6thrust23THRUST_200600_302600_NS6detail15normal_iteratorINS9_10device_ptrIxEEEENSB_INSC_IjEEEEPNS0_10empty_typeENS0_5tupleIJNS9_16discard_iteratorINS9_11use_defaultEEESH_EEENSJ_IJSM_SI_EEENS0_18inequality_wrapperINS9_8equal_toIxEEEEPmJSH_EEE10hipError_tPvRmT3_T4_T5_T6_T7_T9_mT8_P12ihipStream_tbDpT10_ENKUlT_T0_E_clISt17integral_constantIbLb0EES1C_IbLb1EEEEDaS18_S19_EUlS18_E_NS1_11comp_targetILNS1_3genE8ELNS1_11target_archE1030ELNS1_3gpuE2ELNS1_3repE0EEENS1_30default_config_static_selectorELNS0_4arch9wavefront6targetE0EEEvT1_,comdat
.Lfunc_end1012:
	.size	_ZN7rocprim17ROCPRIM_400000_NS6detail17trampoline_kernelINS0_14default_configENS1_25partition_config_selectorILNS1_17partition_subalgoE9ExjbEEZZNS1_14partition_implILS5_9ELb0ES3_jN6thrust23THRUST_200600_302600_NS6detail15normal_iteratorINS9_10device_ptrIxEEEENSB_INSC_IjEEEEPNS0_10empty_typeENS0_5tupleIJNS9_16discard_iteratorINS9_11use_defaultEEESH_EEENSJ_IJSM_SI_EEENS0_18inequality_wrapperINS9_8equal_toIxEEEEPmJSH_EEE10hipError_tPvRmT3_T4_T5_T6_T7_T9_mT8_P12ihipStream_tbDpT10_ENKUlT_T0_E_clISt17integral_constantIbLb0EES1C_IbLb1EEEEDaS18_S19_EUlS18_E_NS1_11comp_targetILNS1_3genE8ELNS1_11target_archE1030ELNS1_3gpuE2ELNS1_3repE0EEENS1_30default_config_static_selectorELNS0_4arch9wavefront6targetE0EEEvT1_, .Lfunc_end1012-_ZN7rocprim17ROCPRIM_400000_NS6detail17trampoline_kernelINS0_14default_configENS1_25partition_config_selectorILNS1_17partition_subalgoE9ExjbEEZZNS1_14partition_implILS5_9ELb0ES3_jN6thrust23THRUST_200600_302600_NS6detail15normal_iteratorINS9_10device_ptrIxEEEENSB_INSC_IjEEEEPNS0_10empty_typeENS0_5tupleIJNS9_16discard_iteratorINS9_11use_defaultEEESH_EEENSJ_IJSM_SI_EEENS0_18inequality_wrapperINS9_8equal_toIxEEEEPmJSH_EEE10hipError_tPvRmT3_T4_T5_T6_T7_T9_mT8_P12ihipStream_tbDpT10_ENKUlT_T0_E_clISt17integral_constantIbLb0EES1C_IbLb1EEEEDaS18_S19_EUlS18_E_NS1_11comp_targetILNS1_3genE8ELNS1_11target_archE1030ELNS1_3gpuE2ELNS1_3repE0EEENS1_30default_config_static_selectorELNS0_4arch9wavefront6targetE0EEEvT1_
                                        ; -- End function
	.section	.AMDGPU.csdata,"",@progbits
; Kernel info:
; codeLenInByte = 0
; NumSgprs: 0
; NumVgprs: 0
; ScratchSize: 0
; MemoryBound: 0
; FloatMode: 240
; IeeeMode: 1
; LDSByteSize: 0 bytes/workgroup (compile time only)
; SGPRBlocks: 0
; VGPRBlocks: 0
; NumSGPRsForWavesPerEU: 1
; NumVGPRsForWavesPerEU: 1
; Occupancy: 16
; WaveLimiterHint : 0
; COMPUTE_PGM_RSRC2:SCRATCH_EN: 0
; COMPUTE_PGM_RSRC2:USER_SGPR: 15
; COMPUTE_PGM_RSRC2:TRAP_HANDLER: 0
; COMPUTE_PGM_RSRC2:TGID_X_EN: 1
; COMPUTE_PGM_RSRC2:TGID_Y_EN: 0
; COMPUTE_PGM_RSRC2:TGID_Z_EN: 0
; COMPUTE_PGM_RSRC2:TIDIG_COMP_CNT: 0
	.section	.text._ZN7rocprim17ROCPRIM_400000_NS6detail17trampoline_kernelINS0_14default_configENS1_25partition_config_selectorILNS1_17partition_subalgoE9ExjbEEZZNS1_14partition_implILS5_9ELb0ES3_jN6thrust23THRUST_200600_302600_NS6detail15normal_iteratorINS9_10device_ptrIxEEEENSB_INSC_IjEEEEPNS0_10empty_typeENS0_5tupleIJSE_SH_EEENSJ_IJNS9_16discard_iteratorINS9_11use_defaultEEESI_EEENS0_18inequality_wrapperINS9_8equal_toIxEEEEPmJSH_EEE10hipError_tPvRmT3_T4_T5_T6_T7_T9_mT8_P12ihipStream_tbDpT10_ENKUlT_T0_E_clISt17integral_constantIbLb0EES1D_EEDaS18_S19_EUlS18_E_NS1_11comp_targetILNS1_3genE0ELNS1_11target_archE4294967295ELNS1_3gpuE0ELNS1_3repE0EEENS1_30default_config_static_selectorELNS0_4arch9wavefront6targetE0EEEvT1_,"axG",@progbits,_ZN7rocprim17ROCPRIM_400000_NS6detail17trampoline_kernelINS0_14default_configENS1_25partition_config_selectorILNS1_17partition_subalgoE9ExjbEEZZNS1_14partition_implILS5_9ELb0ES3_jN6thrust23THRUST_200600_302600_NS6detail15normal_iteratorINS9_10device_ptrIxEEEENSB_INSC_IjEEEEPNS0_10empty_typeENS0_5tupleIJSE_SH_EEENSJ_IJNS9_16discard_iteratorINS9_11use_defaultEEESI_EEENS0_18inequality_wrapperINS9_8equal_toIxEEEEPmJSH_EEE10hipError_tPvRmT3_T4_T5_T6_T7_T9_mT8_P12ihipStream_tbDpT10_ENKUlT_T0_E_clISt17integral_constantIbLb0EES1D_EEDaS18_S19_EUlS18_E_NS1_11comp_targetILNS1_3genE0ELNS1_11target_archE4294967295ELNS1_3gpuE0ELNS1_3repE0EEENS1_30default_config_static_selectorELNS0_4arch9wavefront6targetE0EEEvT1_,comdat
	.protected	_ZN7rocprim17ROCPRIM_400000_NS6detail17trampoline_kernelINS0_14default_configENS1_25partition_config_selectorILNS1_17partition_subalgoE9ExjbEEZZNS1_14partition_implILS5_9ELb0ES3_jN6thrust23THRUST_200600_302600_NS6detail15normal_iteratorINS9_10device_ptrIxEEEENSB_INSC_IjEEEEPNS0_10empty_typeENS0_5tupleIJSE_SH_EEENSJ_IJNS9_16discard_iteratorINS9_11use_defaultEEESI_EEENS0_18inequality_wrapperINS9_8equal_toIxEEEEPmJSH_EEE10hipError_tPvRmT3_T4_T5_T6_T7_T9_mT8_P12ihipStream_tbDpT10_ENKUlT_T0_E_clISt17integral_constantIbLb0EES1D_EEDaS18_S19_EUlS18_E_NS1_11comp_targetILNS1_3genE0ELNS1_11target_archE4294967295ELNS1_3gpuE0ELNS1_3repE0EEENS1_30default_config_static_selectorELNS0_4arch9wavefront6targetE0EEEvT1_ ; -- Begin function _ZN7rocprim17ROCPRIM_400000_NS6detail17trampoline_kernelINS0_14default_configENS1_25partition_config_selectorILNS1_17partition_subalgoE9ExjbEEZZNS1_14partition_implILS5_9ELb0ES3_jN6thrust23THRUST_200600_302600_NS6detail15normal_iteratorINS9_10device_ptrIxEEEENSB_INSC_IjEEEEPNS0_10empty_typeENS0_5tupleIJSE_SH_EEENSJ_IJNS9_16discard_iteratorINS9_11use_defaultEEESI_EEENS0_18inequality_wrapperINS9_8equal_toIxEEEEPmJSH_EEE10hipError_tPvRmT3_T4_T5_T6_T7_T9_mT8_P12ihipStream_tbDpT10_ENKUlT_T0_E_clISt17integral_constantIbLb0EES1D_EEDaS18_S19_EUlS18_E_NS1_11comp_targetILNS1_3genE0ELNS1_11target_archE4294967295ELNS1_3gpuE0ELNS1_3repE0EEENS1_30default_config_static_selectorELNS0_4arch9wavefront6targetE0EEEvT1_
	.globl	_ZN7rocprim17ROCPRIM_400000_NS6detail17trampoline_kernelINS0_14default_configENS1_25partition_config_selectorILNS1_17partition_subalgoE9ExjbEEZZNS1_14partition_implILS5_9ELb0ES3_jN6thrust23THRUST_200600_302600_NS6detail15normal_iteratorINS9_10device_ptrIxEEEENSB_INSC_IjEEEEPNS0_10empty_typeENS0_5tupleIJSE_SH_EEENSJ_IJNS9_16discard_iteratorINS9_11use_defaultEEESI_EEENS0_18inequality_wrapperINS9_8equal_toIxEEEEPmJSH_EEE10hipError_tPvRmT3_T4_T5_T6_T7_T9_mT8_P12ihipStream_tbDpT10_ENKUlT_T0_E_clISt17integral_constantIbLb0EES1D_EEDaS18_S19_EUlS18_E_NS1_11comp_targetILNS1_3genE0ELNS1_11target_archE4294967295ELNS1_3gpuE0ELNS1_3repE0EEENS1_30default_config_static_selectorELNS0_4arch9wavefront6targetE0EEEvT1_
	.p2align	8
	.type	_ZN7rocprim17ROCPRIM_400000_NS6detail17trampoline_kernelINS0_14default_configENS1_25partition_config_selectorILNS1_17partition_subalgoE9ExjbEEZZNS1_14partition_implILS5_9ELb0ES3_jN6thrust23THRUST_200600_302600_NS6detail15normal_iteratorINS9_10device_ptrIxEEEENSB_INSC_IjEEEEPNS0_10empty_typeENS0_5tupleIJSE_SH_EEENSJ_IJNS9_16discard_iteratorINS9_11use_defaultEEESI_EEENS0_18inequality_wrapperINS9_8equal_toIxEEEEPmJSH_EEE10hipError_tPvRmT3_T4_T5_T6_T7_T9_mT8_P12ihipStream_tbDpT10_ENKUlT_T0_E_clISt17integral_constantIbLb0EES1D_EEDaS18_S19_EUlS18_E_NS1_11comp_targetILNS1_3genE0ELNS1_11target_archE4294967295ELNS1_3gpuE0ELNS1_3repE0EEENS1_30default_config_static_selectorELNS0_4arch9wavefront6targetE0EEEvT1_,@function
_ZN7rocprim17ROCPRIM_400000_NS6detail17trampoline_kernelINS0_14default_configENS1_25partition_config_selectorILNS1_17partition_subalgoE9ExjbEEZZNS1_14partition_implILS5_9ELb0ES3_jN6thrust23THRUST_200600_302600_NS6detail15normal_iteratorINS9_10device_ptrIxEEEENSB_INSC_IjEEEEPNS0_10empty_typeENS0_5tupleIJSE_SH_EEENSJ_IJNS9_16discard_iteratorINS9_11use_defaultEEESI_EEENS0_18inequality_wrapperINS9_8equal_toIxEEEEPmJSH_EEE10hipError_tPvRmT3_T4_T5_T6_T7_T9_mT8_P12ihipStream_tbDpT10_ENKUlT_T0_E_clISt17integral_constantIbLb0EES1D_EEDaS18_S19_EUlS18_E_NS1_11comp_targetILNS1_3genE0ELNS1_11target_archE4294967295ELNS1_3gpuE0ELNS1_3repE0EEENS1_30default_config_static_selectorELNS0_4arch9wavefront6targetE0EEEvT1_: ; @_ZN7rocprim17ROCPRIM_400000_NS6detail17trampoline_kernelINS0_14default_configENS1_25partition_config_selectorILNS1_17partition_subalgoE9ExjbEEZZNS1_14partition_implILS5_9ELb0ES3_jN6thrust23THRUST_200600_302600_NS6detail15normal_iteratorINS9_10device_ptrIxEEEENSB_INSC_IjEEEEPNS0_10empty_typeENS0_5tupleIJSE_SH_EEENSJ_IJNS9_16discard_iteratorINS9_11use_defaultEEESI_EEENS0_18inequality_wrapperINS9_8equal_toIxEEEEPmJSH_EEE10hipError_tPvRmT3_T4_T5_T6_T7_T9_mT8_P12ihipStream_tbDpT10_ENKUlT_T0_E_clISt17integral_constantIbLb0EES1D_EEDaS18_S19_EUlS18_E_NS1_11comp_targetILNS1_3genE0ELNS1_11target_archE4294967295ELNS1_3gpuE0ELNS1_3repE0EEENS1_30default_config_static_selectorELNS0_4arch9wavefront6targetE0EEEvT1_
; %bb.0:
	.section	.rodata,"a",@progbits
	.p2align	6, 0x0
	.amdhsa_kernel _ZN7rocprim17ROCPRIM_400000_NS6detail17trampoline_kernelINS0_14default_configENS1_25partition_config_selectorILNS1_17partition_subalgoE9ExjbEEZZNS1_14partition_implILS5_9ELb0ES3_jN6thrust23THRUST_200600_302600_NS6detail15normal_iteratorINS9_10device_ptrIxEEEENSB_INSC_IjEEEEPNS0_10empty_typeENS0_5tupleIJSE_SH_EEENSJ_IJNS9_16discard_iteratorINS9_11use_defaultEEESI_EEENS0_18inequality_wrapperINS9_8equal_toIxEEEEPmJSH_EEE10hipError_tPvRmT3_T4_T5_T6_T7_T9_mT8_P12ihipStream_tbDpT10_ENKUlT_T0_E_clISt17integral_constantIbLb0EES1D_EEDaS18_S19_EUlS18_E_NS1_11comp_targetILNS1_3genE0ELNS1_11target_archE4294967295ELNS1_3gpuE0ELNS1_3repE0EEENS1_30default_config_static_selectorELNS0_4arch9wavefront6targetE0EEEvT1_
		.amdhsa_group_segment_fixed_size 0
		.amdhsa_private_segment_fixed_size 0
		.amdhsa_kernarg_size 120
		.amdhsa_user_sgpr_count 15
		.amdhsa_user_sgpr_dispatch_ptr 0
		.amdhsa_user_sgpr_queue_ptr 0
		.amdhsa_user_sgpr_kernarg_segment_ptr 1
		.amdhsa_user_sgpr_dispatch_id 0
		.amdhsa_user_sgpr_private_segment_size 0
		.amdhsa_wavefront_size32 1
		.amdhsa_uses_dynamic_stack 0
		.amdhsa_enable_private_segment 0
		.amdhsa_system_sgpr_workgroup_id_x 1
		.amdhsa_system_sgpr_workgroup_id_y 0
		.amdhsa_system_sgpr_workgroup_id_z 0
		.amdhsa_system_sgpr_workgroup_info 0
		.amdhsa_system_vgpr_workitem_id 0
		.amdhsa_next_free_vgpr 1
		.amdhsa_next_free_sgpr 1
		.amdhsa_reserve_vcc 0
		.amdhsa_float_round_mode_32 0
		.amdhsa_float_round_mode_16_64 0
		.amdhsa_float_denorm_mode_32 3
		.amdhsa_float_denorm_mode_16_64 3
		.amdhsa_dx10_clamp 1
		.amdhsa_ieee_mode 1
		.amdhsa_fp16_overflow 0
		.amdhsa_workgroup_processor_mode 1
		.amdhsa_memory_ordered 1
		.amdhsa_forward_progress 0
		.amdhsa_shared_vgpr_count 0
		.amdhsa_exception_fp_ieee_invalid_op 0
		.amdhsa_exception_fp_denorm_src 0
		.amdhsa_exception_fp_ieee_div_zero 0
		.amdhsa_exception_fp_ieee_overflow 0
		.amdhsa_exception_fp_ieee_underflow 0
		.amdhsa_exception_fp_ieee_inexact 0
		.amdhsa_exception_int_div_zero 0
	.end_amdhsa_kernel
	.section	.text._ZN7rocprim17ROCPRIM_400000_NS6detail17trampoline_kernelINS0_14default_configENS1_25partition_config_selectorILNS1_17partition_subalgoE9ExjbEEZZNS1_14partition_implILS5_9ELb0ES3_jN6thrust23THRUST_200600_302600_NS6detail15normal_iteratorINS9_10device_ptrIxEEEENSB_INSC_IjEEEEPNS0_10empty_typeENS0_5tupleIJSE_SH_EEENSJ_IJNS9_16discard_iteratorINS9_11use_defaultEEESI_EEENS0_18inequality_wrapperINS9_8equal_toIxEEEEPmJSH_EEE10hipError_tPvRmT3_T4_T5_T6_T7_T9_mT8_P12ihipStream_tbDpT10_ENKUlT_T0_E_clISt17integral_constantIbLb0EES1D_EEDaS18_S19_EUlS18_E_NS1_11comp_targetILNS1_3genE0ELNS1_11target_archE4294967295ELNS1_3gpuE0ELNS1_3repE0EEENS1_30default_config_static_selectorELNS0_4arch9wavefront6targetE0EEEvT1_,"axG",@progbits,_ZN7rocprim17ROCPRIM_400000_NS6detail17trampoline_kernelINS0_14default_configENS1_25partition_config_selectorILNS1_17partition_subalgoE9ExjbEEZZNS1_14partition_implILS5_9ELb0ES3_jN6thrust23THRUST_200600_302600_NS6detail15normal_iteratorINS9_10device_ptrIxEEEENSB_INSC_IjEEEEPNS0_10empty_typeENS0_5tupleIJSE_SH_EEENSJ_IJNS9_16discard_iteratorINS9_11use_defaultEEESI_EEENS0_18inequality_wrapperINS9_8equal_toIxEEEEPmJSH_EEE10hipError_tPvRmT3_T4_T5_T6_T7_T9_mT8_P12ihipStream_tbDpT10_ENKUlT_T0_E_clISt17integral_constantIbLb0EES1D_EEDaS18_S19_EUlS18_E_NS1_11comp_targetILNS1_3genE0ELNS1_11target_archE4294967295ELNS1_3gpuE0ELNS1_3repE0EEENS1_30default_config_static_selectorELNS0_4arch9wavefront6targetE0EEEvT1_,comdat
.Lfunc_end1013:
	.size	_ZN7rocprim17ROCPRIM_400000_NS6detail17trampoline_kernelINS0_14default_configENS1_25partition_config_selectorILNS1_17partition_subalgoE9ExjbEEZZNS1_14partition_implILS5_9ELb0ES3_jN6thrust23THRUST_200600_302600_NS6detail15normal_iteratorINS9_10device_ptrIxEEEENSB_INSC_IjEEEEPNS0_10empty_typeENS0_5tupleIJSE_SH_EEENSJ_IJNS9_16discard_iteratorINS9_11use_defaultEEESI_EEENS0_18inequality_wrapperINS9_8equal_toIxEEEEPmJSH_EEE10hipError_tPvRmT3_T4_T5_T6_T7_T9_mT8_P12ihipStream_tbDpT10_ENKUlT_T0_E_clISt17integral_constantIbLb0EES1D_EEDaS18_S19_EUlS18_E_NS1_11comp_targetILNS1_3genE0ELNS1_11target_archE4294967295ELNS1_3gpuE0ELNS1_3repE0EEENS1_30default_config_static_selectorELNS0_4arch9wavefront6targetE0EEEvT1_, .Lfunc_end1013-_ZN7rocprim17ROCPRIM_400000_NS6detail17trampoline_kernelINS0_14default_configENS1_25partition_config_selectorILNS1_17partition_subalgoE9ExjbEEZZNS1_14partition_implILS5_9ELb0ES3_jN6thrust23THRUST_200600_302600_NS6detail15normal_iteratorINS9_10device_ptrIxEEEENSB_INSC_IjEEEEPNS0_10empty_typeENS0_5tupleIJSE_SH_EEENSJ_IJNS9_16discard_iteratorINS9_11use_defaultEEESI_EEENS0_18inequality_wrapperINS9_8equal_toIxEEEEPmJSH_EEE10hipError_tPvRmT3_T4_T5_T6_T7_T9_mT8_P12ihipStream_tbDpT10_ENKUlT_T0_E_clISt17integral_constantIbLb0EES1D_EEDaS18_S19_EUlS18_E_NS1_11comp_targetILNS1_3genE0ELNS1_11target_archE4294967295ELNS1_3gpuE0ELNS1_3repE0EEENS1_30default_config_static_selectorELNS0_4arch9wavefront6targetE0EEEvT1_
                                        ; -- End function
	.section	.AMDGPU.csdata,"",@progbits
; Kernel info:
; codeLenInByte = 0
; NumSgprs: 0
; NumVgprs: 0
; ScratchSize: 0
; MemoryBound: 0
; FloatMode: 240
; IeeeMode: 1
; LDSByteSize: 0 bytes/workgroup (compile time only)
; SGPRBlocks: 0
; VGPRBlocks: 0
; NumSGPRsForWavesPerEU: 1
; NumVGPRsForWavesPerEU: 1
; Occupancy: 16
; WaveLimiterHint : 0
; COMPUTE_PGM_RSRC2:SCRATCH_EN: 0
; COMPUTE_PGM_RSRC2:USER_SGPR: 15
; COMPUTE_PGM_RSRC2:TRAP_HANDLER: 0
; COMPUTE_PGM_RSRC2:TGID_X_EN: 1
; COMPUTE_PGM_RSRC2:TGID_Y_EN: 0
; COMPUTE_PGM_RSRC2:TGID_Z_EN: 0
; COMPUTE_PGM_RSRC2:TIDIG_COMP_CNT: 0
	.section	.text._ZN7rocprim17ROCPRIM_400000_NS6detail17trampoline_kernelINS0_14default_configENS1_25partition_config_selectorILNS1_17partition_subalgoE9ExjbEEZZNS1_14partition_implILS5_9ELb0ES3_jN6thrust23THRUST_200600_302600_NS6detail15normal_iteratorINS9_10device_ptrIxEEEENSB_INSC_IjEEEEPNS0_10empty_typeENS0_5tupleIJSE_SH_EEENSJ_IJNS9_16discard_iteratorINS9_11use_defaultEEESI_EEENS0_18inequality_wrapperINS9_8equal_toIxEEEEPmJSH_EEE10hipError_tPvRmT3_T4_T5_T6_T7_T9_mT8_P12ihipStream_tbDpT10_ENKUlT_T0_E_clISt17integral_constantIbLb0EES1D_EEDaS18_S19_EUlS18_E_NS1_11comp_targetILNS1_3genE5ELNS1_11target_archE942ELNS1_3gpuE9ELNS1_3repE0EEENS1_30default_config_static_selectorELNS0_4arch9wavefront6targetE0EEEvT1_,"axG",@progbits,_ZN7rocprim17ROCPRIM_400000_NS6detail17trampoline_kernelINS0_14default_configENS1_25partition_config_selectorILNS1_17partition_subalgoE9ExjbEEZZNS1_14partition_implILS5_9ELb0ES3_jN6thrust23THRUST_200600_302600_NS6detail15normal_iteratorINS9_10device_ptrIxEEEENSB_INSC_IjEEEEPNS0_10empty_typeENS0_5tupleIJSE_SH_EEENSJ_IJNS9_16discard_iteratorINS9_11use_defaultEEESI_EEENS0_18inequality_wrapperINS9_8equal_toIxEEEEPmJSH_EEE10hipError_tPvRmT3_T4_T5_T6_T7_T9_mT8_P12ihipStream_tbDpT10_ENKUlT_T0_E_clISt17integral_constantIbLb0EES1D_EEDaS18_S19_EUlS18_E_NS1_11comp_targetILNS1_3genE5ELNS1_11target_archE942ELNS1_3gpuE9ELNS1_3repE0EEENS1_30default_config_static_selectorELNS0_4arch9wavefront6targetE0EEEvT1_,comdat
	.protected	_ZN7rocprim17ROCPRIM_400000_NS6detail17trampoline_kernelINS0_14default_configENS1_25partition_config_selectorILNS1_17partition_subalgoE9ExjbEEZZNS1_14partition_implILS5_9ELb0ES3_jN6thrust23THRUST_200600_302600_NS6detail15normal_iteratorINS9_10device_ptrIxEEEENSB_INSC_IjEEEEPNS0_10empty_typeENS0_5tupleIJSE_SH_EEENSJ_IJNS9_16discard_iteratorINS9_11use_defaultEEESI_EEENS0_18inequality_wrapperINS9_8equal_toIxEEEEPmJSH_EEE10hipError_tPvRmT3_T4_T5_T6_T7_T9_mT8_P12ihipStream_tbDpT10_ENKUlT_T0_E_clISt17integral_constantIbLb0EES1D_EEDaS18_S19_EUlS18_E_NS1_11comp_targetILNS1_3genE5ELNS1_11target_archE942ELNS1_3gpuE9ELNS1_3repE0EEENS1_30default_config_static_selectorELNS0_4arch9wavefront6targetE0EEEvT1_ ; -- Begin function _ZN7rocprim17ROCPRIM_400000_NS6detail17trampoline_kernelINS0_14default_configENS1_25partition_config_selectorILNS1_17partition_subalgoE9ExjbEEZZNS1_14partition_implILS5_9ELb0ES3_jN6thrust23THRUST_200600_302600_NS6detail15normal_iteratorINS9_10device_ptrIxEEEENSB_INSC_IjEEEEPNS0_10empty_typeENS0_5tupleIJSE_SH_EEENSJ_IJNS9_16discard_iteratorINS9_11use_defaultEEESI_EEENS0_18inequality_wrapperINS9_8equal_toIxEEEEPmJSH_EEE10hipError_tPvRmT3_T4_T5_T6_T7_T9_mT8_P12ihipStream_tbDpT10_ENKUlT_T0_E_clISt17integral_constantIbLb0EES1D_EEDaS18_S19_EUlS18_E_NS1_11comp_targetILNS1_3genE5ELNS1_11target_archE942ELNS1_3gpuE9ELNS1_3repE0EEENS1_30default_config_static_selectorELNS0_4arch9wavefront6targetE0EEEvT1_
	.globl	_ZN7rocprim17ROCPRIM_400000_NS6detail17trampoline_kernelINS0_14default_configENS1_25partition_config_selectorILNS1_17partition_subalgoE9ExjbEEZZNS1_14partition_implILS5_9ELb0ES3_jN6thrust23THRUST_200600_302600_NS6detail15normal_iteratorINS9_10device_ptrIxEEEENSB_INSC_IjEEEEPNS0_10empty_typeENS0_5tupleIJSE_SH_EEENSJ_IJNS9_16discard_iteratorINS9_11use_defaultEEESI_EEENS0_18inequality_wrapperINS9_8equal_toIxEEEEPmJSH_EEE10hipError_tPvRmT3_T4_T5_T6_T7_T9_mT8_P12ihipStream_tbDpT10_ENKUlT_T0_E_clISt17integral_constantIbLb0EES1D_EEDaS18_S19_EUlS18_E_NS1_11comp_targetILNS1_3genE5ELNS1_11target_archE942ELNS1_3gpuE9ELNS1_3repE0EEENS1_30default_config_static_selectorELNS0_4arch9wavefront6targetE0EEEvT1_
	.p2align	8
	.type	_ZN7rocprim17ROCPRIM_400000_NS6detail17trampoline_kernelINS0_14default_configENS1_25partition_config_selectorILNS1_17partition_subalgoE9ExjbEEZZNS1_14partition_implILS5_9ELb0ES3_jN6thrust23THRUST_200600_302600_NS6detail15normal_iteratorINS9_10device_ptrIxEEEENSB_INSC_IjEEEEPNS0_10empty_typeENS0_5tupleIJSE_SH_EEENSJ_IJNS9_16discard_iteratorINS9_11use_defaultEEESI_EEENS0_18inequality_wrapperINS9_8equal_toIxEEEEPmJSH_EEE10hipError_tPvRmT3_T4_T5_T6_T7_T9_mT8_P12ihipStream_tbDpT10_ENKUlT_T0_E_clISt17integral_constantIbLb0EES1D_EEDaS18_S19_EUlS18_E_NS1_11comp_targetILNS1_3genE5ELNS1_11target_archE942ELNS1_3gpuE9ELNS1_3repE0EEENS1_30default_config_static_selectorELNS0_4arch9wavefront6targetE0EEEvT1_,@function
_ZN7rocprim17ROCPRIM_400000_NS6detail17trampoline_kernelINS0_14default_configENS1_25partition_config_selectorILNS1_17partition_subalgoE9ExjbEEZZNS1_14partition_implILS5_9ELb0ES3_jN6thrust23THRUST_200600_302600_NS6detail15normal_iteratorINS9_10device_ptrIxEEEENSB_INSC_IjEEEEPNS0_10empty_typeENS0_5tupleIJSE_SH_EEENSJ_IJNS9_16discard_iteratorINS9_11use_defaultEEESI_EEENS0_18inequality_wrapperINS9_8equal_toIxEEEEPmJSH_EEE10hipError_tPvRmT3_T4_T5_T6_T7_T9_mT8_P12ihipStream_tbDpT10_ENKUlT_T0_E_clISt17integral_constantIbLb0EES1D_EEDaS18_S19_EUlS18_E_NS1_11comp_targetILNS1_3genE5ELNS1_11target_archE942ELNS1_3gpuE9ELNS1_3repE0EEENS1_30default_config_static_selectorELNS0_4arch9wavefront6targetE0EEEvT1_: ; @_ZN7rocprim17ROCPRIM_400000_NS6detail17trampoline_kernelINS0_14default_configENS1_25partition_config_selectorILNS1_17partition_subalgoE9ExjbEEZZNS1_14partition_implILS5_9ELb0ES3_jN6thrust23THRUST_200600_302600_NS6detail15normal_iteratorINS9_10device_ptrIxEEEENSB_INSC_IjEEEEPNS0_10empty_typeENS0_5tupleIJSE_SH_EEENSJ_IJNS9_16discard_iteratorINS9_11use_defaultEEESI_EEENS0_18inequality_wrapperINS9_8equal_toIxEEEEPmJSH_EEE10hipError_tPvRmT3_T4_T5_T6_T7_T9_mT8_P12ihipStream_tbDpT10_ENKUlT_T0_E_clISt17integral_constantIbLb0EES1D_EEDaS18_S19_EUlS18_E_NS1_11comp_targetILNS1_3genE5ELNS1_11target_archE942ELNS1_3gpuE9ELNS1_3repE0EEENS1_30default_config_static_selectorELNS0_4arch9wavefront6targetE0EEEvT1_
; %bb.0:
	.section	.rodata,"a",@progbits
	.p2align	6, 0x0
	.amdhsa_kernel _ZN7rocprim17ROCPRIM_400000_NS6detail17trampoline_kernelINS0_14default_configENS1_25partition_config_selectorILNS1_17partition_subalgoE9ExjbEEZZNS1_14partition_implILS5_9ELb0ES3_jN6thrust23THRUST_200600_302600_NS6detail15normal_iteratorINS9_10device_ptrIxEEEENSB_INSC_IjEEEEPNS0_10empty_typeENS0_5tupleIJSE_SH_EEENSJ_IJNS9_16discard_iteratorINS9_11use_defaultEEESI_EEENS0_18inequality_wrapperINS9_8equal_toIxEEEEPmJSH_EEE10hipError_tPvRmT3_T4_T5_T6_T7_T9_mT8_P12ihipStream_tbDpT10_ENKUlT_T0_E_clISt17integral_constantIbLb0EES1D_EEDaS18_S19_EUlS18_E_NS1_11comp_targetILNS1_3genE5ELNS1_11target_archE942ELNS1_3gpuE9ELNS1_3repE0EEENS1_30default_config_static_selectorELNS0_4arch9wavefront6targetE0EEEvT1_
		.amdhsa_group_segment_fixed_size 0
		.amdhsa_private_segment_fixed_size 0
		.amdhsa_kernarg_size 120
		.amdhsa_user_sgpr_count 15
		.amdhsa_user_sgpr_dispatch_ptr 0
		.amdhsa_user_sgpr_queue_ptr 0
		.amdhsa_user_sgpr_kernarg_segment_ptr 1
		.amdhsa_user_sgpr_dispatch_id 0
		.amdhsa_user_sgpr_private_segment_size 0
		.amdhsa_wavefront_size32 1
		.amdhsa_uses_dynamic_stack 0
		.amdhsa_enable_private_segment 0
		.amdhsa_system_sgpr_workgroup_id_x 1
		.amdhsa_system_sgpr_workgroup_id_y 0
		.amdhsa_system_sgpr_workgroup_id_z 0
		.amdhsa_system_sgpr_workgroup_info 0
		.amdhsa_system_vgpr_workitem_id 0
		.amdhsa_next_free_vgpr 1
		.amdhsa_next_free_sgpr 1
		.amdhsa_reserve_vcc 0
		.amdhsa_float_round_mode_32 0
		.amdhsa_float_round_mode_16_64 0
		.amdhsa_float_denorm_mode_32 3
		.amdhsa_float_denorm_mode_16_64 3
		.amdhsa_dx10_clamp 1
		.amdhsa_ieee_mode 1
		.amdhsa_fp16_overflow 0
		.amdhsa_workgroup_processor_mode 1
		.amdhsa_memory_ordered 1
		.amdhsa_forward_progress 0
		.amdhsa_shared_vgpr_count 0
		.amdhsa_exception_fp_ieee_invalid_op 0
		.amdhsa_exception_fp_denorm_src 0
		.amdhsa_exception_fp_ieee_div_zero 0
		.amdhsa_exception_fp_ieee_overflow 0
		.amdhsa_exception_fp_ieee_underflow 0
		.amdhsa_exception_fp_ieee_inexact 0
		.amdhsa_exception_int_div_zero 0
	.end_amdhsa_kernel
	.section	.text._ZN7rocprim17ROCPRIM_400000_NS6detail17trampoline_kernelINS0_14default_configENS1_25partition_config_selectorILNS1_17partition_subalgoE9ExjbEEZZNS1_14partition_implILS5_9ELb0ES3_jN6thrust23THRUST_200600_302600_NS6detail15normal_iteratorINS9_10device_ptrIxEEEENSB_INSC_IjEEEEPNS0_10empty_typeENS0_5tupleIJSE_SH_EEENSJ_IJNS9_16discard_iteratorINS9_11use_defaultEEESI_EEENS0_18inequality_wrapperINS9_8equal_toIxEEEEPmJSH_EEE10hipError_tPvRmT3_T4_T5_T6_T7_T9_mT8_P12ihipStream_tbDpT10_ENKUlT_T0_E_clISt17integral_constantIbLb0EES1D_EEDaS18_S19_EUlS18_E_NS1_11comp_targetILNS1_3genE5ELNS1_11target_archE942ELNS1_3gpuE9ELNS1_3repE0EEENS1_30default_config_static_selectorELNS0_4arch9wavefront6targetE0EEEvT1_,"axG",@progbits,_ZN7rocprim17ROCPRIM_400000_NS6detail17trampoline_kernelINS0_14default_configENS1_25partition_config_selectorILNS1_17partition_subalgoE9ExjbEEZZNS1_14partition_implILS5_9ELb0ES3_jN6thrust23THRUST_200600_302600_NS6detail15normal_iteratorINS9_10device_ptrIxEEEENSB_INSC_IjEEEEPNS0_10empty_typeENS0_5tupleIJSE_SH_EEENSJ_IJNS9_16discard_iteratorINS9_11use_defaultEEESI_EEENS0_18inequality_wrapperINS9_8equal_toIxEEEEPmJSH_EEE10hipError_tPvRmT3_T4_T5_T6_T7_T9_mT8_P12ihipStream_tbDpT10_ENKUlT_T0_E_clISt17integral_constantIbLb0EES1D_EEDaS18_S19_EUlS18_E_NS1_11comp_targetILNS1_3genE5ELNS1_11target_archE942ELNS1_3gpuE9ELNS1_3repE0EEENS1_30default_config_static_selectorELNS0_4arch9wavefront6targetE0EEEvT1_,comdat
.Lfunc_end1014:
	.size	_ZN7rocprim17ROCPRIM_400000_NS6detail17trampoline_kernelINS0_14default_configENS1_25partition_config_selectorILNS1_17partition_subalgoE9ExjbEEZZNS1_14partition_implILS5_9ELb0ES3_jN6thrust23THRUST_200600_302600_NS6detail15normal_iteratorINS9_10device_ptrIxEEEENSB_INSC_IjEEEEPNS0_10empty_typeENS0_5tupleIJSE_SH_EEENSJ_IJNS9_16discard_iteratorINS9_11use_defaultEEESI_EEENS0_18inequality_wrapperINS9_8equal_toIxEEEEPmJSH_EEE10hipError_tPvRmT3_T4_T5_T6_T7_T9_mT8_P12ihipStream_tbDpT10_ENKUlT_T0_E_clISt17integral_constantIbLb0EES1D_EEDaS18_S19_EUlS18_E_NS1_11comp_targetILNS1_3genE5ELNS1_11target_archE942ELNS1_3gpuE9ELNS1_3repE0EEENS1_30default_config_static_selectorELNS0_4arch9wavefront6targetE0EEEvT1_, .Lfunc_end1014-_ZN7rocprim17ROCPRIM_400000_NS6detail17trampoline_kernelINS0_14default_configENS1_25partition_config_selectorILNS1_17partition_subalgoE9ExjbEEZZNS1_14partition_implILS5_9ELb0ES3_jN6thrust23THRUST_200600_302600_NS6detail15normal_iteratorINS9_10device_ptrIxEEEENSB_INSC_IjEEEEPNS0_10empty_typeENS0_5tupleIJSE_SH_EEENSJ_IJNS9_16discard_iteratorINS9_11use_defaultEEESI_EEENS0_18inequality_wrapperINS9_8equal_toIxEEEEPmJSH_EEE10hipError_tPvRmT3_T4_T5_T6_T7_T9_mT8_P12ihipStream_tbDpT10_ENKUlT_T0_E_clISt17integral_constantIbLb0EES1D_EEDaS18_S19_EUlS18_E_NS1_11comp_targetILNS1_3genE5ELNS1_11target_archE942ELNS1_3gpuE9ELNS1_3repE0EEENS1_30default_config_static_selectorELNS0_4arch9wavefront6targetE0EEEvT1_
                                        ; -- End function
	.section	.AMDGPU.csdata,"",@progbits
; Kernel info:
; codeLenInByte = 0
; NumSgprs: 0
; NumVgprs: 0
; ScratchSize: 0
; MemoryBound: 0
; FloatMode: 240
; IeeeMode: 1
; LDSByteSize: 0 bytes/workgroup (compile time only)
; SGPRBlocks: 0
; VGPRBlocks: 0
; NumSGPRsForWavesPerEU: 1
; NumVGPRsForWavesPerEU: 1
; Occupancy: 16
; WaveLimiterHint : 0
; COMPUTE_PGM_RSRC2:SCRATCH_EN: 0
; COMPUTE_PGM_RSRC2:USER_SGPR: 15
; COMPUTE_PGM_RSRC2:TRAP_HANDLER: 0
; COMPUTE_PGM_RSRC2:TGID_X_EN: 1
; COMPUTE_PGM_RSRC2:TGID_Y_EN: 0
; COMPUTE_PGM_RSRC2:TGID_Z_EN: 0
; COMPUTE_PGM_RSRC2:TIDIG_COMP_CNT: 0
	.section	.text._ZN7rocprim17ROCPRIM_400000_NS6detail17trampoline_kernelINS0_14default_configENS1_25partition_config_selectorILNS1_17partition_subalgoE9ExjbEEZZNS1_14partition_implILS5_9ELb0ES3_jN6thrust23THRUST_200600_302600_NS6detail15normal_iteratorINS9_10device_ptrIxEEEENSB_INSC_IjEEEEPNS0_10empty_typeENS0_5tupleIJSE_SH_EEENSJ_IJNS9_16discard_iteratorINS9_11use_defaultEEESI_EEENS0_18inequality_wrapperINS9_8equal_toIxEEEEPmJSH_EEE10hipError_tPvRmT3_T4_T5_T6_T7_T9_mT8_P12ihipStream_tbDpT10_ENKUlT_T0_E_clISt17integral_constantIbLb0EES1D_EEDaS18_S19_EUlS18_E_NS1_11comp_targetILNS1_3genE4ELNS1_11target_archE910ELNS1_3gpuE8ELNS1_3repE0EEENS1_30default_config_static_selectorELNS0_4arch9wavefront6targetE0EEEvT1_,"axG",@progbits,_ZN7rocprim17ROCPRIM_400000_NS6detail17trampoline_kernelINS0_14default_configENS1_25partition_config_selectorILNS1_17partition_subalgoE9ExjbEEZZNS1_14partition_implILS5_9ELb0ES3_jN6thrust23THRUST_200600_302600_NS6detail15normal_iteratorINS9_10device_ptrIxEEEENSB_INSC_IjEEEEPNS0_10empty_typeENS0_5tupleIJSE_SH_EEENSJ_IJNS9_16discard_iteratorINS9_11use_defaultEEESI_EEENS0_18inequality_wrapperINS9_8equal_toIxEEEEPmJSH_EEE10hipError_tPvRmT3_T4_T5_T6_T7_T9_mT8_P12ihipStream_tbDpT10_ENKUlT_T0_E_clISt17integral_constantIbLb0EES1D_EEDaS18_S19_EUlS18_E_NS1_11comp_targetILNS1_3genE4ELNS1_11target_archE910ELNS1_3gpuE8ELNS1_3repE0EEENS1_30default_config_static_selectorELNS0_4arch9wavefront6targetE0EEEvT1_,comdat
	.protected	_ZN7rocprim17ROCPRIM_400000_NS6detail17trampoline_kernelINS0_14default_configENS1_25partition_config_selectorILNS1_17partition_subalgoE9ExjbEEZZNS1_14partition_implILS5_9ELb0ES3_jN6thrust23THRUST_200600_302600_NS6detail15normal_iteratorINS9_10device_ptrIxEEEENSB_INSC_IjEEEEPNS0_10empty_typeENS0_5tupleIJSE_SH_EEENSJ_IJNS9_16discard_iteratorINS9_11use_defaultEEESI_EEENS0_18inequality_wrapperINS9_8equal_toIxEEEEPmJSH_EEE10hipError_tPvRmT3_T4_T5_T6_T7_T9_mT8_P12ihipStream_tbDpT10_ENKUlT_T0_E_clISt17integral_constantIbLb0EES1D_EEDaS18_S19_EUlS18_E_NS1_11comp_targetILNS1_3genE4ELNS1_11target_archE910ELNS1_3gpuE8ELNS1_3repE0EEENS1_30default_config_static_selectorELNS0_4arch9wavefront6targetE0EEEvT1_ ; -- Begin function _ZN7rocprim17ROCPRIM_400000_NS6detail17trampoline_kernelINS0_14default_configENS1_25partition_config_selectorILNS1_17partition_subalgoE9ExjbEEZZNS1_14partition_implILS5_9ELb0ES3_jN6thrust23THRUST_200600_302600_NS6detail15normal_iteratorINS9_10device_ptrIxEEEENSB_INSC_IjEEEEPNS0_10empty_typeENS0_5tupleIJSE_SH_EEENSJ_IJNS9_16discard_iteratorINS9_11use_defaultEEESI_EEENS0_18inequality_wrapperINS9_8equal_toIxEEEEPmJSH_EEE10hipError_tPvRmT3_T4_T5_T6_T7_T9_mT8_P12ihipStream_tbDpT10_ENKUlT_T0_E_clISt17integral_constantIbLb0EES1D_EEDaS18_S19_EUlS18_E_NS1_11comp_targetILNS1_3genE4ELNS1_11target_archE910ELNS1_3gpuE8ELNS1_3repE0EEENS1_30default_config_static_selectorELNS0_4arch9wavefront6targetE0EEEvT1_
	.globl	_ZN7rocprim17ROCPRIM_400000_NS6detail17trampoline_kernelINS0_14default_configENS1_25partition_config_selectorILNS1_17partition_subalgoE9ExjbEEZZNS1_14partition_implILS5_9ELb0ES3_jN6thrust23THRUST_200600_302600_NS6detail15normal_iteratorINS9_10device_ptrIxEEEENSB_INSC_IjEEEEPNS0_10empty_typeENS0_5tupleIJSE_SH_EEENSJ_IJNS9_16discard_iteratorINS9_11use_defaultEEESI_EEENS0_18inequality_wrapperINS9_8equal_toIxEEEEPmJSH_EEE10hipError_tPvRmT3_T4_T5_T6_T7_T9_mT8_P12ihipStream_tbDpT10_ENKUlT_T0_E_clISt17integral_constantIbLb0EES1D_EEDaS18_S19_EUlS18_E_NS1_11comp_targetILNS1_3genE4ELNS1_11target_archE910ELNS1_3gpuE8ELNS1_3repE0EEENS1_30default_config_static_selectorELNS0_4arch9wavefront6targetE0EEEvT1_
	.p2align	8
	.type	_ZN7rocprim17ROCPRIM_400000_NS6detail17trampoline_kernelINS0_14default_configENS1_25partition_config_selectorILNS1_17partition_subalgoE9ExjbEEZZNS1_14partition_implILS5_9ELb0ES3_jN6thrust23THRUST_200600_302600_NS6detail15normal_iteratorINS9_10device_ptrIxEEEENSB_INSC_IjEEEEPNS0_10empty_typeENS0_5tupleIJSE_SH_EEENSJ_IJNS9_16discard_iteratorINS9_11use_defaultEEESI_EEENS0_18inequality_wrapperINS9_8equal_toIxEEEEPmJSH_EEE10hipError_tPvRmT3_T4_T5_T6_T7_T9_mT8_P12ihipStream_tbDpT10_ENKUlT_T0_E_clISt17integral_constantIbLb0EES1D_EEDaS18_S19_EUlS18_E_NS1_11comp_targetILNS1_3genE4ELNS1_11target_archE910ELNS1_3gpuE8ELNS1_3repE0EEENS1_30default_config_static_selectorELNS0_4arch9wavefront6targetE0EEEvT1_,@function
_ZN7rocprim17ROCPRIM_400000_NS6detail17trampoline_kernelINS0_14default_configENS1_25partition_config_selectorILNS1_17partition_subalgoE9ExjbEEZZNS1_14partition_implILS5_9ELb0ES3_jN6thrust23THRUST_200600_302600_NS6detail15normal_iteratorINS9_10device_ptrIxEEEENSB_INSC_IjEEEEPNS0_10empty_typeENS0_5tupleIJSE_SH_EEENSJ_IJNS9_16discard_iteratorINS9_11use_defaultEEESI_EEENS0_18inequality_wrapperINS9_8equal_toIxEEEEPmJSH_EEE10hipError_tPvRmT3_T4_T5_T6_T7_T9_mT8_P12ihipStream_tbDpT10_ENKUlT_T0_E_clISt17integral_constantIbLb0EES1D_EEDaS18_S19_EUlS18_E_NS1_11comp_targetILNS1_3genE4ELNS1_11target_archE910ELNS1_3gpuE8ELNS1_3repE0EEENS1_30default_config_static_selectorELNS0_4arch9wavefront6targetE0EEEvT1_: ; @_ZN7rocprim17ROCPRIM_400000_NS6detail17trampoline_kernelINS0_14default_configENS1_25partition_config_selectorILNS1_17partition_subalgoE9ExjbEEZZNS1_14partition_implILS5_9ELb0ES3_jN6thrust23THRUST_200600_302600_NS6detail15normal_iteratorINS9_10device_ptrIxEEEENSB_INSC_IjEEEEPNS0_10empty_typeENS0_5tupleIJSE_SH_EEENSJ_IJNS9_16discard_iteratorINS9_11use_defaultEEESI_EEENS0_18inequality_wrapperINS9_8equal_toIxEEEEPmJSH_EEE10hipError_tPvRmT3_T4_T5_T6_T7_T9_mT8_P12ihipStream_tbDpT10_ENKUlT_T0_E_clISt17integral_constantIbLb0EES1D_EEDaS18_S19_EUlS18_E_NS1_11comp_targetILNS1_3genE4ELNS1_11target_archE910ELNS1_3gpuE8ELNS1_3repE0EEENS1_30default_config_static_selectorELNS0_4arch9wavefront6targetE0EEEvT1_
; %bb.0:
	.section	.rodata,"a",@progbits
	.p2align	6, 0x0
	.amdhsa_kernel _ZN7rocprim17ROCPRIM_400000_NS6detail17trampoline_kernelINS0_14default_configENS1_25partition_config_selectorILNS1_17partition_subalgoE9ExjbEEZZNS1_14partition_implILS5_9ELb0ES3_jN6thrust23THRUST_200600_302600_NS6detail15normal_iteratorINS9_10device_ptrIxEEEENSB_INSC_IjEEEEPNS0_10empty_typeENS0_5tupleIJSE_SH_EEENSJ_IJNS9_16discard_iteratorINS9_11use_defaultEEESI_EEENS0_18inequality_wrapperINS9_8equal_toIxEEEEPmJSH_EEE10hipError_tPvRmT3_T4_T5_T6_T7_T9_mT8_P12ihipStream_tbDpT10_ENKUlT_T0_E_clISt17integral_constantIbLb0EES1D_EEDaS18_S19_EUlS18_E_NS1_11comp_targetILNS1_3genE4ELNS1_11target_archE910ELNS1_3gpuE8ELNS1_3repE0EEENS1_30default_config_static_selectorELNS0_4arch9wavefront6targetE0EEEvT1_
		.amdhsa_group_segment_fixed_size 0
		.amdhsa_private_segment_fixed_size 0
		.amdhsa_kernarg_size 120
		.amdhsa_user_sgpr_count 15
		.amdhsa_user_sgpr_dispatch_ptr 0
		.amdhsa_user_sgpr_queue_ptr 0
		.amdhsa_user_sgpr_kernarg_segment_ptr 1
		.amdhsa_user_sgpr_dispatch_id 0
		.amdhsa_user_sgpr_private_segment_size 0
		.amdhsa_wavefront_size32 1
		.amdhsa_uses_dynamic_stack 0
		.amdhsa_enable_private_segment 0
		.amdhsa_system_sgpr_workgroup_id_x 1
		.amdhsa_system_sgpr_workgroup_id_y 0
		.amdhsa_system_sgpr_workgroup_id_z 0
		.amdhsa_system_sgpr_workgroup_info 0
		.amdhsa_system_vgpr_workitem_id 0
		.amdhsa_next_free_vgpr 1
		.amdhsa_next_free_sgpr 1
		.amdhsa_reserve_vcc 0
		.amdhsa_float_round_mode_32 0
		.amdhsa_float_round_mode_16_64 0
		.amdhsa_float_denorm_mode_32 3
		.amdhsa_float_denorm_mode_16_64 3
		.amdhsa_dx10_clamp 1
		.amdhsa_ieee_mode 1
		.amdhsa_fp16_overflow 0
		.amdhsa_workgroup_processor_mode 1
		.amdhsa_memory_ordered 1
		.amdhsa_forward_progress 0
		.amdhsa_shared_vgpr_count 0
		.amdhsa_exception_fp_ieee_invalid_op 0
		.amdhsa_exception_fp_denorm_src 0
		.amdhsa_exception_fp_ieee_div_zero 0
		.amdhsa_exception_fp_ieee_overflow 0
		.amdhsa_exception_fp_ieee_underflow 0
		.amdhsa_exception_fp_ieee_inexact 0
		.amdhsa_exception_int_div_zero 0
	.end_amdhsa_kernel
	.section	.text._ZN7rocprim17ROCPRIM_400000_NS6detail17trampoline_kernelINS0_14default_configENS1_25partition_config_selectorILNS1_17partition_subalgoE9ExjbEEZZNS1_14partition_implILS5_9ELb0ES3_jN6thrust23THRUST_200600_302600_NS6detail15normal_iteratorINS9_10device_ptrIxEEEENSB_INSC_IjEEEEPNS0_10empty_typeENS0_5tupleIJSE_SH_EEENSJ_IJNS9_16discard_iteratorINS9_11use_defaultEEESI_EEENS0_18inequality_wrapperINS9_8equal_toIxEEEEPmJSH_EEE10hipError_tPvRmT3_T4_T5_T6_T7_T9_mT8_P12ihipStream_tbDpT10_ENKUlT_T0_E_clISt17integral_constantIbLb0EES1D_EEDaS18_S19_EUlS18_E_NS1_11comp_targetILNS1_3genE4ELNS1_11target_archE910ELNS1_3gpuE8ELNS1_3repE0EEENS1_30default_config_static_selectorELNS0_4arch9wavefront6targetE0EEEvT1_,"axG",@progbits,_ZN7rocprim17ROCPRIM_400000_NS6detail17trampoline_kernelINS0_14default_configENS1_25partition_config_selectorILNS1_17partition_subalgoE9ExjbEEZZNS1_14partition_implILS5_9ELb0ES3_jN6thrust23THRUST_200600_302600_NS6detail15normal_iteratorINS9_10device_ptrIxEEEENSB_INSC_IjEEEEPNS0_10empty_typeENS0_5tupleIJSE_SH_EEENSJ_IJNS9_16discard_iteratorINS9_11use_defaultEEESI_EEENS0_18inequality_wrapperINS9_8equal_toIxEEEEPmJSH_EEE10hipError_tPvRmT3_T4_T5_T6_T7_T9_mT8_P12ihipStream_tbDpT10_ENKUlT_T0_E_clISt17integral_constantIbLb0EES1D_EEDaS18_S19_EUlS18_E_NS1_11comp_targetILNS1_3genE4ELNS1_11target_archE910ELNS1_3gpuE8ELNS1_3repE0EEENS1_30default_config_static_selectorELNS0_4arch9wavefront6targetE0EEEvT1_,comdat
.Lfunc_end1015:
	.size	_ZN7rocprim17ROCPRIM_400000_NS6detail17trampoline_kernelINS0_14default_configENS1_25partition_config_selectorILNS1_17partition_subalgoE9ExjbEEZZNS1_14partition_implILS5_9ELb0ES3_jN6thrust23THRUST_200600_302600_NS6detail15normal_iteratorINS9_10device_ptrIxEEEENSB_INSC_IjEEEEPNS0_10empty_typeENS0_5tupleIJSE_SH_EEENSJ_IJNS9_16discard_iteratorINS9_11use_defaultEEESI_EEENS0_18inequality_wrapperINS9_8equal_toIxEEEEPmJSH_EEE10hipError_tPvRmT3_T4_T5_T6_T7_T9_mT8_P12ihipStream_tbDpT10_ENKUlT_T0_E_clISt17integral_constantIbLb0EES1D_EEDaS18_S19_EUlS18_E_NS1_11comp_targetILNS1_3genE4ELNS1_11target_archE910ELNS1_3gpuE8ELNS1_3repE0EEENS1_30default_config_static_selectorELNS0_4arch9wavefront6targetE0EEEvT1_, .Lfunc_end1015-_ZN7rocprim17ROCPRIM_400000_NS6detail17trampoline_kernelINS0_14default_configENS1_25partition_config_selectorILNS1_17partition_subalgoE9ExjbEEZZNS1_14partition_implILS5_9ELb0ES3_jN6thrust23THRUST_200600_302600_NS6detail15normal_iteratorINS9_10device_ptrIxEEEENSB_INSC_IjEEEEPNS0_10empty_typeENS0_5tupleIJSE_SH_EEENSJ_IJNS9_16discard_iteratorINS9_11use_defaultEEESI_EEENS0_18inequality_wrapperINS9_8equal_toIxEEEEPmJSH_EEE10hipError_tPvRmT3_T4_T5_T6_T7_T9_mT8_P12ihipStream_tbDpT10_ENKUlT_T0_E_clISt17integral_constantIbLb0EES1D_EEDaS18_S19_EUlS18_E_NS1_11comp_targetILNS1_3genE4ELNS1_11target_archE910ELNS1_3gpuE8ELNS1_3repE0EEENS1_30default_config_static_selectorELNS0_4arch9wavefront6targetE0EEEvT1_
                                        ; -- End function
	.section	.AMDGPU.csdata,"",@progbits
; Kernel info:
; codeLenInByte = 0
; NumSgprs: 0
; NumVgprs: 0
; ScratchSize: 0
; MemoryBound: 0
; FloatMode: 240
; IeeeMode: 1
; LDSByteSize: 0 bytes/workgroup (compile time only)
; SGPRBlocks: 0
; VGPRBlocks: 0
; NumSGPRsForWavesPerEU: 1
; NumVGPRsForWavesPerEU: 1
; Occupancy: 15
; WaveLimiterHint : 0
; COMPUTE_PGM_RSRC2:SCRATCH_EN: 0
; COMPUTE_PGM_RSRC2:USER_SGPR: 15
; COMPUTE_PGM_RSRC2:TRAP_HANDLER: 0
; COMPUTE_PGM_RSRC2:TGID_X_EN: 1
; COMPUTE_PGM_RSRC2:TGID_Y_EN: 0
; COMPUTE_PGM_RSRC2:TGID_Z_EN: 0
; COMPUTE_PGM_RSRC2:TIDIG_COMP_CNT: 0
	.section	.text._ZN7rocprim17ROCPRIM_400000_NS6detail17trampoline_kernelINS0_14default_configENS1_25partition_config_selectorILNS1_17partition_subalgoE9ExjbEEZZNS1_14partition_implILS5_9ELb0ES3_jN6thrust23THRUST_200600_302600_NS6detail15normal_iteratorINS9_10device_ptrIxEEEENSB_INSC_IjEEEEPNS0_10empty_typeENS0_5tupleIJSE_SH_EEENSJ_IJNS9_16discard_iteratorINS9_11use_defaultEEESI_EEENS0_18inequality_wrapperINS9_8equal_toIxEEEEPmJSH_EEE10hipError_tPvRmT3_T4_T5_T6_T7_T9_mT8_P12ihipStream_tbDpT10_ENKUlT_T0_E_clISt17integral_constantIbLb0EES1D_EEDaS18_S19_EUlS18_E_NS1_11comp_targetILNS1_3genE3ELNS1_11target_archE908ELNS1_3gpuE7ELNS1_3repE0EEENS1_30default_config_static_selectorELNS0_4arch9wavefront6targetE0EEEvT1_,"axG",@progbits,_ZN7rocprim17ROCPRIM_400000_NS6detail17trampoline_kernelINS0_14default_configENS1_25partition_config_selectorILNS1_17partition_subalgoE9ExjbEEZZNS1_14partition_implILS5_9ELb0ES3_jN6thrust23THRUST_200600_302600_NS6detail15normal_iteratorINS9_10device_ptrIxEEEENSB_INSC_IjEEEEPNS0_10empty_typeENS0_5tupleIJSE_SH_EEENSJ_IJNS9_16discard_iteratorINS9_11use_defaultEEESI_EEENS0_18inequality_wrapperINS9_8equal_toIxEEEEPmJSH_EEE10hipError_tPvRmT3_T4_T5_T6_T7_T9_mT8_P12ihipStream_tbDpT10_ENKUlT_T0_E_clISt17integral_constantIbLb0EES1D_EEDaS18_S19_EUlS18_E_NS1_11comp_targetILNS1_3genE3ELNS1_11target_archE908ELNS1_3gpuE7ELNS1_3repE0EEENS1_30default_config_static_selectorELNS0_4arch9wavefront6targetE0EEEvT1_,comdat
	.protected	_ZN7rocprim17ROCPRIM_400000_NS6detail17trampoline_kernelINS0_14default_configENS1_25partition_config_selectorILNS1_17partition_subalgoE9ExjbEEZZNS1_14partition_implILS5_9ELb0ES3_jN6thrust23THRUST_200600_302600_NS6detail15normal_iteratorINS9_10device_ptrIxEEEENSB_INSC_IjEEEEPNS0_10empty_typeENS0_5tupleIJSE_SH_EEENSJ_IJNS9_16discard_iteratorINS9_11use_defaultEEESI_EEENS0_18inequality_wrapperINS9_8equal_toIxEEEEPmJSH_EEE10hipError_tPvRmT3_T4_T5_T6_T7_T9_mT8_P12ihipStream_tbDpT10_ENKUlT_T0_E_clISt17integral_constantIbLb0EES1D_EEDaS18_S19_EUlS18_E_NS1_11comp_targetILNS1_3genE3ELNS1_11target_archE908ELNS1_3gpuE7ELNS1_3repE0EEENS1_30default_config_static_selectorELNS0_4arch9wavefront6targetE0EEEvT1_ ; -- Begin function _ZN7rocprim17ROCPRIM_400000_NS6detail17trampoline_kernelINS0_14default_configENS1_25partition_config_selectorILNS1_17partition_subalgoE9ExjbEEZZNS1_14partition_implILS5_9ELb0ES3_jN6thrust23THRUST_200600_302600_NS6detail15normal_iteratorINS9_10device_ptrIxEEEENSB_INSC_IjEEEEPNS0_10empty_typeENS0_5tupleIJSE_SH_EEENSJ_IJNS9_16discard_iteratorINS9_11use_defaultEEESI_EEENS0_18inequality_wrapperINS9_8equal_toIxEEEEPmJSH_EEE10hipError_tPvRmT3_T4_T5_T6_T7_T9_mT8_P12ihipStream_tbDpT10_ENKUlT_T0_E_clISt17integral_constantIbLb0EES1D_EEDaS18_S19_EUlS18_E_NS1_11comp_targetILNS1_3genE3ELNS1_11target_archE908ELNS1_3gpuE7ELNS1_3repE0EEENS1_30default_config_static_selectorELNS0_4arch9wavefront6targetE0EEEvT1_
	.globl	_ZN7rocprim17ROCPRIM_400000_NS6detail17trampoline_kernelINS0_14default_configENS1_25partition_config_selectorILNS1_17partition_subalgoE9ExjbEEZZNS1_14partition_implILS5_9ELb0ES3_jN6thrust23THRUST_200600_302600_NS6detail15normal_iteratorINS9_10device_ptrIxEEEENSB_INSC_IjEEEEPNS0_10empty_typeENS0_5tupleIJSE_SH_EEENSJ_IJNS9_16discard_iteratorINS9_11use_defaultEEESI_EEENS0_18inequality_wrapperINS9_8equal_toIxEEEEPmJSH_EEE10hipError_tPvRmT3_T4_T5_T6_T7_T9_mT8_P12ihipStream_tbDpT10_ENKUlT_T0_E_clISt17integral_constantIbLb0EES1D_EEDaS18_S19_EUlS18_E_NS1_11comp_targetILNS1_3genE3ELNS1_11target_archE908ELNS1_3gpuE7ELNS1_3repE0EEENS1_30default_config_static_selectorELNS0_4arch9wavefront6targetE0EEEvT1_
	.p2align	8
	.type	_ZN7rocprim17ROCPRIM_400000_NS6detail17trampoline_kernelINS0_14default_configENS1_25partition_config_selectorILNS1_17partition_subalgoE9ExjbEEZZNS1_14partition_implILS5_9ELb0ES3_jN6thrust23THRUST_200600_302600_NS6detail15normal_iteratorINS9_10device_ptrIxEEEENSB_INSC_IjEEEEPNS0_10empty_typeENS0_5tupleIJSE_SH_EEENSJ_IJNS9_16discard_iteratorINS9_11use_defaultEEESI_EEENS0_18inequality_wrapperINS9_8equal_toIxEEEEPmJSH_EEE10hipError_tPvRmT3_T4_T5_T6_T7_T9_mT8_P12ihipStream_tbDpT10_ENKUlT_T0_E_clISt17integral_constantIbLb0EES1D_EEDaS18_S19_EUlS18_E_NS1_11comp_targetILNS1_3genE3ELNS1_11target_archE908ELNS1_3gpuE7ELNS1_3repE0EEENS1_30default_config_static_selectorELNS0_4arch9wavefront6targetE0EEEvT1_,@function
_ZN7rocprim17ROCPRIM_400000_NS6detail17trampoline_kernelINS0_14default_configENS1_25partition_config_selectorILNS1_17partition_subalgoE9ExjbEEZZNS1_14partition_implILS5_9ELb0ES3_jN6thrust23THRUST_200600_302600_NS6detail15normal_iteratorINS9_10device_ptrIxEEEENSB_INSC_IjEEEEPNS0_10empty_typeENS0_5tupleIJSE_SH_EEENSJ_IJNS9_16discard_iteratorINS9_11use_defaultEEESI_EEENS0_18inequality_wrapperINS9_8equal_toIxEEEEPmJSH_EEE10hipError_tPvRmT3_T4_T5_T6_T7_T9_mT8_P12ihipStream_tbDpT10_ENKUlT_T0_E_clISt17integral_constantIbLb0EES1D_EEDaS18_S19_EUlS18_E_NS1_11comp_targetILNS1_3genE3ELNS1_11target_archE908ELNS1_3gpuE7ELNS1_3repE0EEENS1_30default_config_static_selectorELNS0_4arch9wavefront6targetE0EEEvT1_: ; @_ZN7rocprim17ROCPRIM_400000_NS6detail17trampoline_kernelINS0_14default_configENS1_25partition_config_selectorILNS1_17partition_subalgoE9ExjbEEZZNS1_14partition_implILS5_9ELb0ES3_jN6thrust23THRUST_200600_302600_NS6detail15normal_iteratorINS9_10device_ptrIxEEEENSB_INSC_IjEEEEPNS0_10empty_typeENS0_5tupleIJSE_SH_EEENSJ_IJNS9_16discard_iteratorINS9_11use_defaultEEESI_EEENS0_18inequality_wrapperINS9_8equal_toIxEEEEPmJSH_EEE10hipError_tPvRmT3_T4_T5_T6_T7_T9_mT8_P12ihipStream_tbDpT10_ENKUlT_T0_E_clISt17integral_constantIbLb0EES1D_EEDaS18_S19_EUlS18_E_NS1_11comp_targetILNS1_3genE3ELNS1_11target_archE908ELNS1_3gpuE7ELNS1_3repE0EEENS1_30default_config_static_selectorELNS0_4arch9wavefront6targetE0EEEvT1_
; %bb.0:
	.section	.rodata,"a",@progbits
	.p2align	6, 0x0
	.amdhsa_kernel _ZN7rocprim17ROCPRIM_400000_NS6detail17trampoline_kernelINS0_14default_configENS1_25partition_config_selectorILNS1_17partition_subalgoE9ExjbEEZZNS1_14partition_implILS5_9ELb0ES3_jN6thrust23THRUST_200600_302600_NS6detail15normal_iteratorINS9_10device_ptrIxEEEENSB_INSC_IjEEEEPNS0_10empty_typeENS0_5tupleIJSE_SH_EEENSJ_IJNS9_16discard_iteratorINS9_11use_defaultEEESI_EEENS0_18inequality_wrapperINS9_8equal_toIxEEEEPmJSH_EEE10hipError_tPvRmT3_T4_T5_T6_T7_T9_mT8_P12ihipStream_tbDpT10_ENKUlT_T0_E_clISt17integral_constantIbLb0EES1D_EEDaS18_S19_EUlS18_E_NS1_11comp_targetILNS1_3genE3ELNS1_11target_archE908ELNS1_3gpuE7ELNS1_3repE0EEENS1_30default_config_static_selectorELNS0_4arch9wavefront6targetE0EEEvT1_
		.amdhsa_group_segment_fixed_size 0
		.amdhsa_private_segment_fixed_size 0
		.amdhsa_kernarg_size 120
		.amdhsa_user_sgpr_count 15
		.amdhsa_user_sgpr_dispatch_ptr 0
		.amdhsa_user_sgpr_queue_ptr 0
		.amdhsa_user_sgpr_kernarg_segment_ptr 1
		.amdhsa_user_sgpr_dispatch_id 0
		.amdhsa_user_sgpr_private_segment_size 0
		.amdhsa_wavefront_size32 1
		.amdhsa_uses_dynamic_stack 0
		.amdhsa_enable_private_segment 0
		.amdhsa_system_sgpr_workgroup_id_x 1
		.amdhsa_system_sgpr_workgroup_id_y 0
		.amdhsa_system_sgpr_workgroup_id_z 0
		.amdhsa_system_sgpr_workgroup_info 0
		.amdhsa_system_vgpr_workitem_id 0
		.amdhsa_next_free_vgpr 1
		.amdhsa_next_free_sgpr 1
		.amdhsa_reserve_vcc 0
		.amdhsa_float_round_mode_32 0
		.amdhsa_float_round_mode_16_64 0
		.amdhsa_float_denorm_mode_32 3
		.amdhsa_float_denorm_mode_16_64 3
		.amdhsa_dx10_clamp 1
		.amdhsa_ieee_mode 1
		.amdhsa_fp16_overflow 0
		.amdhsa_workgroup_processor_mode 1
		.amdhsa_memory_ordered 1
		.amdhsa_forward_progress 0
		.amdhsa_shared_vgpr_count 0
		.amdhsa_exception_fp_ieee_invalid_op 0
		.amdhsa_exception_fp_denorm_src 0
		.amdhsa_exception_fp_ieee_div_zero 0
		.amdhsa_exception_fp_ieee_overflow 0
		.amdhsa_exception_fp_ieee_underflow 0
		.amdhsa_exception_fp_ieee_inexact 0
		.amdhsa_exception_int_div_zero 0
	.end_amdhsa_kernel
	.section	.text._ZN7rocprim17ROCPRIM_400000_NS6detail17trampoline_kernelINS0_14default_configENS1_25partition_config_selectorILNS1_17partition_subalgoE9ExjbEEZZNS1_14partition_implILS5_9ELb0ES3_jN6thrust23THRUST_200600_302600_NS6detail15normal_iteratorINS9_10device_ptrIxEEEENSB_INSC_IjEEEEPNS0_10empty_typeENS0_5tupleIJSE_SH_EEENSJ_IJNS9_16discard_iteratorINS9_11use_defaultEEESI_EEENS0_18inequality_wrapperINS9_8equal_toIxEEEEPmJSH_EEE10hipError_tPvRmT3_T4_T5_T6_T7_T9_mT8_P12ihipStream_tbDpT10_ENKUlT_T0_E_clISt17integral_constantIbLb0EES1D_EEDaS18_S19_EUlS18_E_NS1_11comp_targetILNS1_3genE3ELNS1_11target_archE908ELNS1_3gpuE7ELNS1_3repE0EEENS1_30default_config_static_selectorELNS0_4arch9wavefront6targetE0EEEvT1_,"axG",@progbits,_ZN7rocprim17ROCPRIM_400000_NS6detail17trampoline_kernelINS0_14default_configENS1_25partition_config_selectorILNS1_17partition_subalgoE9ExjbEEZZNS1_14partition_implILS5_9ELb0ES3_jN6thrust23THRUST_200600_302600_NS6detail15normal_iteratorINS9_10device_ptrIxEEEENSB_INSC_IjEEEEPNS0_10empty_typeENS0_5tupleIJSE_SH_EEENSJ_IJNS9_16discard_iteratorINS9_11use_defaultEEESI_EEENS0_18inequality_wrapperINS9_8equal_toIxEEEEPmJSH_EEE10hipError_tPvRmT3_T4_T5_T6_T7_T9_mT8_P12ihipStream_tbDpT10_ENKUlT_T0_E_clISt17integral_constantIbLb0EES1D_EEDaS18_S19_EUlS18_E_NS1_11comp_targetILNS1_3genE3ELNS1_11target_archE908ELNS1_3gpuE7ELNS1_3repE0EEENS1_30default_config_static_selectorELNS0_4arch9wavefront6targetE0EEEvT1_,comdat
.Lfunc_end1016:
	.size	_ZN7rocprim17ROCPRIM_400000_NS6detail17trampoline_kernelINS0_14default_configENS1_25partition_config_selectorILNS1_17partition_subalgoE9ExjbEEZZNS1_14partition_implILS5_9ELb0ES3_jN6thrust23THRUST_200600_302600_NS6detail15normal_iteratorINS9_10device_ptrIxEEEENSB_INSC_IjEEEEPNS0_10empty_typeENS0_5tupleIJSE_SH_EEENSJ_IJNS9_16discard_iteratorINS9_11use_defaultEEESI_EEENS0_18inequality_wrapperINS9_8equal_toIxEEEEPmJSH_EEE10hipError_tPvRmT3_T4_T5_T6_T7_T9_mT8_P12ihipStream_tbDpT10_ENKUlT_T0_E_clISt17integral_constantIbLb0EES1D_EEDaS18_S19_EUlS18_E_NS1_11comp_targetILNS1_3genE3ELNS1_11target_archE908ELNS1_3gpuE7ELNS1_3repE0EEENS1_30default_config_static_selectorELNS0_4arch9wavefront6targetE0EEEvT1_, .Lfunc_end1016-_ZN7rocprim17ROCPRIM_400000_NS6detail17trampoline_kernelINS0_14default_configENS1_25partition_config_selectorILNS1_17partition_subalgoE9ExjbEEZZNS1_14partition_implILS5_9ELb0ES3_jN6thrust23THRUST_200600_302600_NS6detail15normal_iteratorINS9_10device_ptrIxEEEENSB_INSC_IjEEEEPNS0_10empty_typeENS0_5tupleIJSE_SH_EEENSJ_IJNS9_16discard_iteratorINS9_11use_defaultEEESI_EEENS0_18inequality_wrapperINS9_8equal_toIxEEEEPmJSH_EEE10hipError_tPvRmT3_T4_T5_T6_T7_T9_mT8_P12ihipStream_tbDpT10_ENKUlT_T0_E_clISt17integral_constantIbLb0EES1D_EEDaS18_S19_EUlS18_E_NS1_11comp_targetILNS1_3genE3ELNS1_11target_archE908ELNS1_3gpuE7ELNS1_3repE0EEENS1_30default_config_static_selectorELNS0_4arch9wavefront6targetE0EEEvT1_
                                        ; -- End function
	.section	.AMDGPU.csdata,"",@progbits
; Kernel info:
; codeLenInByte = 0
; NumSgprs: 0
; NumVgprs: 0
; ScratchSize: 0
; MemoryBound: 0
; FloatMode: 240
; IeeeMode: 1
; LDSByteSize: 0 bytes/workgroup (compile time only)
; SGPRBlocks: 0
; VGPRBlocks: 0
; NumSGPRsForWavesPerEU: 1
; NumVGPRsForWavesPerEU: 1
; Occupancy: 16
; WaveLimiterHint : 0
; COMPUTE_PGM_RSRC2:SCRATCH_EN: 0
; COMPUTE_PGM_RSRC2:USER_SGPR: 15
; COMPUTE_PGM_RSRC2:TRAP_HANDLER: 0
; COMPUTE_PGM_RSRC2:TGID_X_EN: 1
; COMPUTE_PGM_RSRC2:TGID_Y_EN: 0
; COMPUTE_PGM_RSRC2:TGID_Z_EN: 0
; COMPUTE_PGM_RSRC2:TIDIG_COMP_CNT: 0
	.section	.text._ZN7rocprim17ROCPRIM_400000_NS6detail17trampoline_kernelINS0_14default_configENS1_25partition_config_selectorILNS1_17partition_subalgoE9ExjbEEZZNS1_14partition_implILS5_9ELb0ES3_jN6thrust23THRUST_200600_302600_NS6detail15normal_iteratorINS9_10device_ptrIxEEEENSB_INSC_IjEEEEPNS0_10empty_typeENS0_5tupleIJSE_SH_EEENSJ_IJNS9_16discard_iteratorINS9_11use_defaultEEESI_EEENS0_18inequality_wrapperINS9_8equal_toIxEEEEPmJSH_EEE10hipError_tPvRmT3_T4_T5_T6_T7_T9_mT8_P12ihipStream_tbDpT10_ENKUlT_T0_E_clISt17integral_constantIbLb0EES1D_EEDaS18_S19_EUlS18_E_NS1_11comp_targetILNS1_3genE2ELNS1_11target_archE906ELNS1_3gpuE6ELNS1_3repE0EEENS1_30default_config_static_selectorELNS0_4arch9wavefront6targetE0EEEvT1_,"axG",@progbits,_ZN7rocprim17ROCPRIM_400000_NS6detail17trampoline_kernelINS0_14default_configENS1_25partition_config_selectorILNS1_17partition_subalgoE9ExjbEEZZNS1_14partition_implILS5_9ELb0ES3_jN6thrust23THRUST_200600_302600_NS6detail15normal_iteratorINS9_10device_ptrIxEEEENSB_INSC_IjEEEEPNS0_10empty_typeENS0_5tupleIJSE_SH_EEENSJ_IJNS9_16discard_iteratorINS9_11use_defaultEEESI_EEENS0_18inequality_wrapperINS9_8equal_toIxEEEEPmJSH_EEE10hipError_tPvRmT3_T4_T5_T6_T7_T9_mT8_P12ihipStream_tbDpT10_ENKUlT_T0_E_clISt17integral_constantIbLb0EES1D_EEDaS18_S19_EUlS18_E_NS1_11comp_targetILNS1_3genE2ELNS1_11target_archE906ELNS1_3gpuE6ELNS1_3repE0EEENS1_30default_config_static_selectorELNS0_4arch9wavefront6targetE0EEEvT1_,comdat
	.protected	_ZN7rocprim17ROCPRIM_400000_NS6detail17trampoline_kernelINS0_14default_configENS1_25partition_config_selectorILNS1_17partition_subalgoE9ExjbEEZZNS1_14partition_implILS5_9ELb0ES3_jN6thrust23THRUST_200600_302600_NS6detail15normal_iteratorINS9_10device_ptrIxEEEENSB_INSC_IjEEEEPNS0_10empty_typeENS0_5tupleIJSE_SH_EEENSJ_IJNS9_16discard_iteratorINS9_11use_defaultEEESI_EEENS0_18inequality_wrapperINS9_8equal_toIxEEEEPmJSH_EEE10hipError_tPvRmT3_T4_T5_T6_T7_T9_mT8_P12ihipStream_tbDpT10_ENKUlT_T0_E_clISt17integral_constantIbLb0EES1D_EEDaS18_S19_EUlS18_E_NS1_11comp_targetILNS1_3genE2ELNS1_11target_archE906ELNS1_3gpuE6ELNS1_3repE0EEENS1_30default_config_static_selectorELNS0_4arch9wavefront6targetE0EEEvT1_ ; -- Begin function _ZN7rocprim17ROCPRIM_400000_NS6detail17trampoline_kernelINS0_14default_configENS1_25partition_config_selectorILNS1_17partition_subalgoE9ExjbEEZZNS1_14partition_implILS5_9ELb0ES3_jN6thrust23THRUST_200600_302600_NS6detail15normal_iteratorINS9_10device_ptrIxEEEENSB_INSC_IjEEEEPNS0_10empty_typeENS0_5tupleIJSE_SH_EEENSJ_IJNS9_16discard_iteratorINS9_11use_defaultEEESI_EEENS0_18inequality_wrapperINS9_8equal_toIxEEEEPmJSH_EEE10hipError_tPvRmT3_T4_T5_T6_T7_T9_mT8_P12ihipStream_tbDpT10_ENKUlT_T0_E_clISt17integral_constantIbLb0EES1D_EEDaS18_S19_EUlS18_E_NS1_11comp_targetILNS1_3genE2ELNS1_11target_archE906ELNS1_3gpuE6ELNS1_3repE0EEENS1_30default_config_static_selectorELNS0_4arch9wavefront6targetE0EEEvT1_
	.globl	_ZN7rocprim17ROCPRIM_400000_NS6detail17trampoline_kernelINS0_14default_configENS1_25partition_config_selectorILNS1_17partition_subalgoE9ExjbEEZZNS1_14partition_implILS5_9ELb0ES3_jN6thrust23THRUST_200600_302600_NS6detail15normal_iteratorINS9_10device_ptrIxEEEENSB_INSC_IjEEEEPNS0_10empty_typeENS0_5tupleIJSE_SH_EEENSJ_IJNS9_16discard_iteratorINS9_11use_defaultEEESI_EEENS0_18inequality_wrapperINS9_8equal_toIxEEEEPmJSH_EEE10hipError_tPvRmT3_T4_T5_T6_T7_T9_mT8_P12ihipStream_tbDpT10_ENKUlT_T0_E_clISt17integral_constantIbLb0EES1D_EEDaS18_S19_EUlS18_E_NS1_11comp_targetILNS1_3genE2ELNS1_11target_archE906ELNS1_3gpuE6ELNS1_3repE0EEENS1_30default_config_static_selectorELNS0_4arch9wavefront6targetE0EEEvT1_
	.p2align	8
	.type	_ZN7rocprim17ROCPRIM_400000_NS6detail17trampoline_kernelINS0_14default_configENS1_25partition_config_selectorILNS1_17partition_subalgoE9ExjbEEZZNS1_14partition_implILS5_9ELb0ES3_jN6thrust23THRUST_200600_302600_NS6detail15normal_iteratorINS9_10device_ptrIxEEEENSB_INSC_IjEEEEPNS0_10empty_typeENS0_5tupleIJSE_SH_EEENSJ_IJNS9_16discard_iteratorINS9_11use_defaultEEESI_EEENS0_18inequality_wrapperINS9_8equal_toIxEEEEPmJSH_EEE10hipError_tPvRmT3_T4_T5_T6_T7_T9_mT8_P12ihipStream_tbDpT10_ENKUlT_T0_E_clISt17integral_constantIbLb0EES1D_EEDaS18_S19_EUlS18_E_NS1_11comp_targetILNS1_3genE2ELNS1_11target_archE906ELNS1_3gpuE6ELNS1_3repE0EEENS1_30default_config_static_selectorELNS0_4arch9wavefront6targetE0EEEvT1_,@function
_ZN7rocprim17ROCPRIM_400000_NS6detail17trampoline_kernelINS0_14default_configENS1_25partition_config_selectorILNS1_17partition_subalgoE9ExjbEEZZNS1_14partition_implILS5_9ELb0ES3_jN6thrust23THRUST_200600_302600_NS6detail15normal_iteratorINS9_10device_ptrIxEEEENSB_INSC_IjEEEEPNS0_10empty_typeENS0_5tupleIJSE_SH_EEENSJ_IJNS9_16discard_iteratorINS9_11use_defaultEEESI_EEENS0_18inequality_wrapperINS9_8equal_toIxEEEEPmJSH_EEE10hipError_tPvRmT3_T4_T5_T6_T7_T9_mT8_P12ihipStream_tbDpT10_ENKUlT_T0_E_clISt17integral_constantIbLb0EES1D_EEDaS18_S19_EUlS18_E_NS1_11comp_targetILNS1_3genE2ELNS1_11target_archE906ELNS1_3gpuE6ELNS1_3repE0EEENS1_30default_config_static_selectorELNS0_4arch9wavefront6targetE0EEEvT1_: ; @_ZN7rocprim17ROCPRIM_400000_NS6detail17trampoline_kernelINS0_14default_configENS1_25partition_config_selectorILNS1_17partition_subalgoE9ExjbEEZZNS1_14partition_implILS5_9ELb0ES3_jN6thrust23THRUST_200600_302600_NS6detail15normal_iteratorINS9_10device_ptrIxEEEENSB_INSC_IjEEEEPNS0_10empty_typeENS0_5tupleIJSE_SH_EEENSJ_IJNS9_16discard_iteratorINS9_11use_defaultEEESI_EEENS0_18inequality_wrapperINS9_8equal_toIxEEEEPmJSH_EEE10hipError_tPvRmT3_T4_T5_T6_T7_T9_mT8_P12ihipStream_tbDpT10_ENKUlT_T0_E_clISt17integral_constantIbLb0EES1D_EEDaS18_S19_EUlS18_E_NS1_11comp_targetILNS1_3genE2ELNS1_11target_archE906ELNS1_3gpuE6ELNS1_3repE0EEENS1_30default_config_static_selectorELNS0_4arch9wavefront6targetE0EEEvT1_
; %bb.0:
	.section	.rodata,"a",@progbits
	.p2align	6, 0x0
	.amdhsa_kernel _ZN7rocprim17ROCPRIM_400000_NS6detail17trampoline_kernelINS0_14default_configENS1_25partition_config_selectorILNS1_17partition_subalgoE9ExjbEEZZNS1_14partition_implILS5_9ELb0ES3_jN6thrust23THRUST_200600_302600_NS6detail15normal_iteratorINS9_10device_ptrIxEEEENSB_INSC_IjEEEEPNS0_10empty_typeENS0_5tupleIJSE_SH_EEENSJ_IJNS9_16discard_iteratorINS9_11use_defaultEEESI_EEENS0_18inequality_wrapperINS9_8equal_toIxEEEEPmJSH_EEE10hipError_tPvRmT3_T4_T5_T6_T7_T9_mT8_P12ihipStream_tbDpT10_ENKUlT_T0_E_clISt17integral_constantIbLb0EES1D_EEDaS18_S19_EUlS18_E_NS1_11comp_targetILNS1_3genE2ELNS1_11target_archE906ELNS1_3gpuE6ELNS1_3repE0EEENS1_30default_config_static_selectorELNS0_4arch9wavefront6targetE0EEEvT1_
		.amdhsa_group_segment_fixed_size 0
		.amdhsa_private_segment_fixed_size 0
		.amdhsa_kernarg_size 120
		.amdhsa_user_sgpr_count 15
		.amdhsa_user_sgpr_dispatch_ptr 0
		.amdhsa_user_sgpr_queue_ptr 0
		.amdhsa_user_sgpr_kernarg_segment_ptr 1
		.amdhsa_user_sgpr_dispatch_id 0
		.amdhsa_user_sgpr_private_segment_size 0
		.amdhsa_wavefront_size32 1
		.amdhsa_uses_dynamic_stack 0
		.amdhsa_enable_private_segment 0
		.amdhsa_system_sgpr_workgroup_id_x 1
		.amdhsa_system_sgpr_workgroup_id_y 0
		.amdhsa_system_sgpr_workgroup_id_z 0
		.amdhsa_system_sgpr_workgroup_info 0
		.amdhsa_system_vgpr_workitem_id 0
		.amdhsa_next_free_vgpr 1
		.amdhsa_next_free_sgpr 1
		.amdhsa_reserve_vcc 0
		.amdhsa_float_round_mode_32 0
		.amdhsa_float_round_mode_16_64 0
		.amdhsa_float_denorm_mode_32 3
		.amdhsa_float_denorm_mode_16_64 3
		.amdhsa_dx10_clamp 1
		.amdhsa_ieee_mode 1
		.amdhsa_fp16_overflow 0
		.amdhsa_workgroup_processor_mode 1
		.amdhsa_memory_ordered 1
		.amdhsa_forward_progress 0
		.amdhsa_shared_vgpr_count 0
		.amdhsa_exception_fp_ieee_invalid_op 0
		.amdhsa_exception_fp_denorm_src 0
		.amdhsa_exception_fp_ieee_div_zero 0
		.amdhsa_exception_fp_ieee_overflow 0
		.amdhsa_exception_fp_ieee_underflow 0
		.amdhsa_exception_fp_ieee_inexact 0
		.amdhsa_exception_int_div_zero 0
	.end_amdhsa_kernel
	.section	.text._ZN7rocprim17ROCPRIM_400000_NS6detail17trampoline_kernelINS0_14default_configENS1_25partition_config_selectorILNS1_17partition_subalgoE9ExjbEEZZNS1_14partition_implILS5_9ELb0ES3_jN6thrust23THRUST_200600_302600_NS6detail15normal_iteratorINS9_10device_ptrIxEEEENSB_INSC_IjEEEEPNS0_10empty_typeENS0_5tupleIJSE_SH_EEENSJ_IJNS9_16discard_iteratorINS9_11use_defaultEEESI_EEENS0_18inequality_wrapperINS9_8equal_toIxEEEEPmJSH_EEE10hipError_tPvRmT3_T4_T5_T6_T7_T9_mT8_P12ihipStream_tbDpT10_ENKUlT_T0_E_clISt17integral_constantIbLb0EES1D_EEDaS18_S19_EUlS18_E_NS1_11comp_targetILNS1_3genE2ELNS1_11target_archE906ELNS1_3gpuE6ELNS1_3repE0EEENS1_30default_config_static_selectorELNS0_4arch9wavefront6targetE0EEEvT1_,"axG",@progbits,_ZN7rocprim17ROCPRIM_400000_NS6detail17trampoline_kernelINS0_14default_configENS1_25partition_config_selectorILNS1_17partition_subalgoE9ExjbEEZZNS1_14partition_implILS5_9ELb0ES3_jN6thrust23THRUST_200600_302600_NS6detail15normal_iteratorINS9_10device_ptrIxEEEENSB_INSC_IjEEEEPNS0_10empty_typeENS0_5tupleIJSE_SH_EEENSJ_IJNS9_16discard_iteratorINS9_11use_defaultEEESI_EEENS0_18inequality_wrapperINS9_8equal_toIxEEEEPmJSH_EEE10hipError_tPvRmT3_T4_T5_T6_T7_T9_mT8_P12ihipStream_tbDpT10_ENKUlT_T0_E_clISt17integral_constantIbLb0EES1D_EEDaS18_S19_EUlS18_E_NS1_11comp_targetILNS1_3genE2ELNS1_11target_archE906ELNS1_3gpuE6ELNS1_3repE0EEENS1_30default_config_static_selectorELNS0_4arch9wavefront6targetE0EEEvT1_,comdat
.Lfunc_end1017:
	.size	_ZN7rocprim17ROCPRIM_400000_NS6detail17trampoline_kernelINS0_14default_configENS1_25partition_config_selectorILNS1_17partition_subalgoE9ExjbEEZZNS1_14partition_implILS5_9ELb0ES3_jN6thrust23THRUST_200600_302600_NS6detail15normal_iteratorINS9_10device_ptrIxEEEENSB_INSC_IjEEEEPNS0_10empty_typeENS0_5tupleIJSE_SH_EEENSJ_IJNS9_16discard_iteratorINS9_11use_defaultEEESI_EEENS0_18inequality_wrapperINS9_8equal_toIxEEEEPmJSH_EEE10hipError_tPvRmT3_T4_T5_T6_T7_T9_mT8_P12ihipStream_tbDpT10_ENKUlT_T0_E_clISt17integral_constantIbLb0EES1D_EEDaS18_S19_EUlS18_E_NS1_11comp_targetILNS1_3genE2ELNS1_11target_archE906ELNS1_3gpuE6ELNS1_3repE0EEENS1_30default_config_static_selectorELNS0_4arch9wavefront6targetE0EEEvT1_, .Lfunc_end1017-_ZN7rocprim17ROCPRIM_400000_NS6detail17trampoline_kernelINS0_14default_configENS1_25partition_config_selectorILNS1_17partition_subalgoE9ExjbEEZZNS1_14partition_implILS5_9ELb0ES3_jN6thrust23THRUST_200600_302600_NS6detail15normal_iteratorINS9_10device_ptrIxEEEENSB_INSC_IjEEEEPNS0_10empty_typeENS0_5tupleIJSE_SH_EEENSJ_IJNS9_16discard_iteratorINS9_11use_defaultEEESI_EEENS0_18inequality_wrapperINS9_8equal_toIxEEEEPmJSH_EEE10hipError_tPvRmT3_T4_T5_T6_T7_T9_mT8_P12ihipStream_tbDpT10_ENKUlT_T0_E_clISt17integral_constantIbLb0EES1D_EEDaS18_S19_EUlS18_E_NS1_11comp_targetILNS1_3genE2ELNS1_11target_archE906ELNS1_3gpuE6ELNS1_3repE0EEENS1_30default_config_static_selectorELNS0_4arch9wavefront6targetE0EEEvT1_
                                        ; -- End function
	.section	.AMDGPU.csdata,"",@progbits
; Kernel info:
; codeLenInByte = 0
; NumSgprs: 0
; NumVgprs: 0
; ScratchSize: 0
; MemoryBound: 0
; FloatMode: 240
; IeeeMode: 1
; LDSByteSize: 0 bytes/workgroup (compile time only)
; SGPRBlocks: 0
; VGPRBlocks: 0
; NumSGPRsForWavesPerEU: 1
; NumVGPRsForWavesPerEU: 1
; Occupancy: 16
; WaveLimiterHint : 0
; COMPUTE_PGM_RSRC2:SCRATCH_EN: 0
; COMPUTE_PGM_RSRC2:USER_SGPR: 15
; COMPUTE_PGM_RSRC2:TRAP_HANDLER: 0
; COMPUTE_PGM_RSRC2:TGID_X_EN: 1
; COMPUTE_PGM_RSRC2:TGID_Y_EN: 0
; COMPUTE_PGM_RSRC2:TGID_Z_EN: 0
; COMPUTE_PGM_RSRC2:TIDIG_COMP_CNT: 0
	.section	.text._ZN7rocprim17ROCPRIM_400000_NS6detail17trampoline_kernelINS0_14default_configENS1_25partition_config_selectorILNS1_17partition_subalgoE9ExjbEEZZNS1_14partition_implILS5_9ELb0ES3_jN6thrust23THRUST_200600_302600_NS6detail15normal_iteratorINS9_10device_ptrIxEEEENSB_INSC_IjEEEEPNS0_10empty_typeENS0_5tupleIJSE_SH_EEENSJ_IJNS9_16discard_iteratorINS9_11use_defaultEEESI_EEENS0_18inequality_wrapperINS9_8equal_toIxEEEEPmJSH_EEE10hipError_tPvRmT3_T4_T5_T6_T7_T9_mT8_P12ihipStream_tbDpT10_ENKUlT_T0_E_clISt17integral_constantIbLb0EES1D_EEDaS18_S19_EUlS18_E_NS1_11comp_targetILNS1_3genE10ELNS1_11target_archE1200ELNS1_3gpuE4ELNS1_3repE0EEENS1_30default_config_static_selectorELNS0_4arch9wavefront6targetE0EEEvT1_,"axG",@progbits,_ZN7rocprim17ROCPRIM_400000_NS6detail17trampoline_kernelINS0_14default_configENS1_25partition_config_selectorILNS1_17partition_subalgoE9ExjbEEZZNS1_14partition_implILS5_9ELb0ES3_jN6thrust23THRUST_200600_302600_NS6detail15normal_iteratorINS9_10device_ptrIxEEEENSB_INSC_IjEEEEPNS0_10empty_typeENS0_5tupleIJSE_SH_EEENSJ_IJNS9_16discard_iteratorINS9_11use_defaultEEESI_EEENS0_18inequality_wrapperINS9_8equal_toIxEEEEPmJSH_EEE10hipError_tPvRmT3_T4_T5_T6_T7_T9_mT8_P12ihipStream_tbDpT10_ENKUlT_T0_E_clISt17integral_constantIbLb0EES1D_EEDaS18_S19_EUlS18_E_NS1_11comp_targetILNS1_3genE10ELNS1_11target_archE1200ELNS1_3gpuE4ELNS1_3repE0EEENS1_30default_config_static_selectorELNS0_4arch9wavefront6targetE0EEEvT1_,comdat
	.protected	_ZN7rocprim17ROCPRIM_400000_NS6detail17trampoline_kernelINS0_14default_configENS1_25partition_config_selectorILNS1_17partition_subalgoE9ExjbEEZZNS1_14partition_implILS5_9ELb0ES3_jN6thrust23THRUST_200600_302600_NS6detail15normal_iteratorINS9_10device_ptrIxEEEENSB_INSC_IjEEEEPNS0_10empty_typeENS0_5tupleIJSE_SH_EEENSJ_IJNS9_16discard_iteratorINS9_11use_defaultEEESI_EEENS0_18inequality_wrapperINS9_8equal_toIxEEEEPmJSH_EEE10hipError_tPvRmT3_T4_T5_T6_T7_T9_mT8_P12ihipStream_tbDpT10_ENKUlT_T0_E_clISt17integral_constantIbLb0EES1D_EEDaS18_S19_EUlS18_E_NS1_11comp_targetILNS1_3genE10ELNS1_11target_archE1200ELNS1_3gpuE4ELNS1_3repE0EEENS1_30default_config_static_selectorELNS0_4arch9wavefront6targetE0EEEvT1_ ; -- Begin function _ZN7rocprim17ROCPRIM_400000_NS6detail17trampoline_kernelINS0_14default_configENS1_25partition_config_selectorILNS1_17partition_subalgoE9ExjbEEZZNS1_14partition_implILS5_9ELb0ES3_jN6thrust23THRUST_200600_302600_NS6detail15normal_iteratorINS9_10device_ptrIxEEEENSB_INSC_IjEEEEPNS0_10empty_typeENS0_5tupleIJSE_SH_EEENSJ_IJNS9_16discard_iteratorINS9_11use_defaultEEESI_EEENS0_18inequality_wrapperINS9_8equal_toIxEEEEPmJSH_EEE10hipError_tPvRmT3_T4_T5_T6_T7_T9_mT8_P12ihipStream_tbDpT10_ENKUlT_T0_E_clISt17integral_constantIbLb0EES1D_EEDaS18_S19_EUlS18_E_NS1_11comp_targetILNS1_3genE10ELNS1_11target_archE1200ELNS1_3gpuE4ELNS1_3repE0EEENS1_30default_config_static_selectorELNS0_4arch9wavefront6targetE0EEEvT1_
	.globl	_ZN7rocprim17ROCPRIM_400000_NS6detail17trampoline_kernelINS0_14default_configENS1_25partition_config_selectorILNS1_17partition_subalgoE9ExjbEEZZNS1_14partition_implILS5_9ELb0ES3_jN6thrust23THRUST_200600_302600_NS6detail15normal_iteratorINS9_10device_ptrIxEEEENSB_INSC_IjEEEEPNS0_10empty_typeENS0_5tupleIJSE_SH_EEENSJ_IJNS9_16discard_iteratorINS9_11use_defaultEEESI_EEENS0_18inequality_wrapperINS9_8equal_toIxEEEEPmJSH_EEE10hipError_tPvRmT3_T4_T5_T6_T7_T9_mT8_P12ihipStream_tbDpT10_ENKUlT_T0_E_clISt17integral_constantIbLb0EES1D_EEDaS18_S19_EUlS18_E_NS1_11comp_targetILNS1_3genE10ELNS1_11target_archE1200ELNS1_3gpuE4ELNS1_3repE0EEENS1_30default_config_static_selectorELNS0_4arch9wavefront6targetE0EEEvT1_
	.p2align	8
	.type	_ZN7rocprim17ROCPRIM_400000_NS6detail17trampoline_kernelINS0_14default_configENS1_25partition_config_selectorILNS1_17partition_subalgoE9ExjbEEZZNS1_14partition_implILS5_9ELb0ES3_jN6thrust23THRUST_200600_302600_NS6detail15normal_iteratorINS9_10device_ptrIxEEEENSB_INSC_IjEEEEPNS0_10empty_typeENS0_5tupleIJSE_SH_EEENSJ_IJNS9_16discard_iteratorINS9_11use_defaultEEESI_EEENS0_18inequality_wrapperINS9_8equal_toIxEEEEPmJSH_EEE10hipError_tPvRmT3_T4_T5_T6_T7_T9_mT8_P12ihipStream_tbDpT10_ENKUlT_T0_E_clISt17integral_constantIbLb0EES1D_EEDaS18_S19_EUlS18_E_NS1_11comp_targetILNS1_3genE10ELNS1_11target_archE1200ELNS1_3gpuE4ELNS1_3repE0EEENS1_30default_config_static_selectorELNS0_4arch9wavefront6targetE0EEEvT1_,@function
_ZN7rocprim17ROCPRIM_400000_NS6detail17trampoline_kernelINS0_14default_configENS1_25partition_config_selectorILNS1_17partition_subalgoE9ExjbEEZZNS1_14partition_implILS5_9ELb0ES3_jN6thrust23THRUST_200600_302600_NS6detail15normal_iteratorINS9_10device_ptrIxEEEENSB_INSC_IjEEEEPNS0_10empty_typeENS0_5tupleIJSE_SH_EEENSJ_IJNS9_16discard_iteratorINS9_11use_defaultEEESI_EEENS0_18inequality_wrapperINS9_8equal_toIxEEEEPmJSH_EEE10hipError_tPvRmT3_T4_T5_T6_T7_T9_mT8_P12ihipStream_tbDpT10_ENKUlT_T0_E_clISt17integral_constantIbLb0EES1D_EEDaS18_S19_EUlS18_E_NS1_11comp_targetILNS1_3genE10ELNS1_11target_archE1200ELNS1_3gpuE4ELNS1_3repE0EEENS1_30default_config_static_selectorELNS0_4arch9wavefront6targetE0EEEvT1_: ; @_ZN7rocprim17ROCPRIM_400000_NS6detail17trampoline_kernelINS0_14default_configENS1_25partition_config_selectorILNS1_17partition_subalgoE9ExjbEEZZNS1_14partition_implILS5_9ELb0ES3_jN6thrust23THRUST_200600_302600_NS6detail15normal_iteratorINS9_10device_ptrIxEEEENSB_INSC_IjEEEEPNS0_10empty_typeENS0_5tupleIJSE_SH_EEENSJ_IJNS9_16discard_iteratorINS9_11use_defaultEEESI_EEENS0_18inequality_wrapperINS9_8equal_toIxEEEEPmJSH_EEE10hipError_tPvRmT3_T4_T5_T6_T7_T9_mT8_P12ihipStream_tbDpT10_ENKUlT_T0_E_clISt17integral_constantIbLb0EES1D_EEDaS18_S19_EUlS18_E_NS1_11comp_targetILNS1_3genE10ELNS1_11target_archE1200ELNS1_3gpuE4ELNS1_3repE0EEENS1_30default_config_static_selectorELNS0_4arch9wavefront6targetE0EEEvT1_
; %bb.0:
	.section	.rodata,"a",@progbits
	.p2align	6, 0x0
	.amdhsa_kernel _ZN7rocprim17ROCPRIM_400000_NS6detail17trampoline_kernelINS0_14default_configENS1_25partition_config_selectorILNS1_17partition_subalgoE9ExjbEEZZNS1_14partition_implILS5_9ELb0ES3_jN6thrust23THRUST_200600_302600_NS6detail15normal_iteratorINS9_10device_ptrIxEEEENSB_INSC_IjEEEEPNS0_10empty_typeENS0_5tupleIJSE_SH_EEENSJ_IJNS9_16discard_iteratorINS9_11use_defaultEEESI_EEENS0_18inequality_wrapperINS9_8equal_toIxEEEEPmJSH_EEE10hipError_tPvRmT3_T4_T5_T6_T7_T9_mT8_P12ihipStream_tbDpT10_ENKUlT_T0_E_clISt17integral_constantIbLb0EES1D_EEDaS18_S19_EUlS18_E_NS1_11comp_targetILNS1_3genE10ELNS1_11target_archE1200ELNS1_3gpuE4ELNS1_3repE0EEENS1_30default_config_static_selectorELNS0_4arch9wavefront6targetE0EEEvT1_
		.amdhsa_group_segment_fixed_size 0
		.amdhsa_private_segment_fixed_size 0
		.amdhsa_kernarg_size 120
		.amdhsa_user_sgpr_count 15
		.amdhsa_user_sgpr_dispatch_ptr 0
		.amdhsa_user_sgpr_queue_ptr 0
		.amdhsa_user_sgpr_kernarg_segment_ptr 1
		.amdhsa_user_sgpr_dispatch_id 0
		.amdhsa_user_sgpr_private_segment_size 0
		.amdhsa_wavefront_size32 1
		.amdhsa_uses_dynamic_stack 0
		.amdhsa_enable_private_segment 0
		.amdhsa_system_sgpr_workgroup_id_x 1
		.amdhsa_system_sgpr_workgroup_id_y 0
		.amdhsa_system_sgpr_workgroup_id_z 0
		.amdhsa_system_sgpr_workgroup_info 0
		.amdhsa_system_vgpr_workitem_id 0
		.amdhsa_next_free_vgpr 1
		.amdhsa_next_free_sgpr 1
		.amdhsa_reserve_vcc 0
		.amdhsa_float_round_mode_32 0
		.amdhsa_float_round_mode_16_64 0
		.amdhsa_float_denorm_mode_32 3
		.amdhsa_float_denorm_mode_16_64 3
		.amdhsa_dx10_clamp 1
		.amdhsa_ieee_mode 1
		.amdhsa_fp16_overflow 0
		.amdhsa_workgroup_processor_mode 1
		.amdhsa_memory_ordered 1
		.amdhsa_forward_progress 0
		.amdhsa_shared_vgpr_count 0
		.amdhsa_exception_fp_ieee_invalid_op 0
		.amdhsa_exception_fp_denorm_src 0
		.amdhsa_exception_fp_ieee_div_zero 0
		.amdhsa_exception_fp_ieee_overflow 0
		.amdhsa_exception_fp_ieee_underflow 0
		.amdhsa_exception_fp_ieee_inexact 0
		.amdhsa_exception_int_div_zero 0
	.end_amdhsa_kernel
	.section	.text._ZN7rocprim17ROCPRIM_400000_NS6detail17trampoline_kernelINS0_14default_configENS1_25partition_config_selectorILNS1_17partition_subalgoE9ExjbEEZZNS1_14partition_implILS5_9ELb0ES3_jN6thrust23THRUST_200600_302600_NS6detail15normal_iteratorINS9_10device_ptrIxEEEENSB_INSC_IjEEEEPNS0_10empty_typeENS0_5tupleIJSE_SH_EEENSJ_IJNS9_16discard_iteratorINS9_11use_defaultEEESI_EEENS0_18inequality_wrapperINS9_8equal_toIxEEEEPmJSH_EEE10hipError_tPvRmT3_T4_T5_T6_T7_T9_mT8_P12ihipStream_tbDpT10_ENKUlT_T0_E_clISt17integral_constantIbLb0EES1D_EEDaS18_S19_EUlS18_E_NS1_11comp_targetILNS1_3genE10ELNS1_11target_archE1200ELNS1_3gpuE4ELNS1_3repE0EEENS1_30default_config_static_selectorELNS0_4arch9wavefront6targetE0EEEvT1_,"axG",@progbits,_ZN7rocprim17ROCPRIM_400000_NS6detail17trampoline_kernelINS0_14default_configENS1_25partition_config_selectorILNS1_17partition_subalgoE9ExjbEEZZNS1_14partition_implILS5_9ELb0ES3_jN6thrust23THRUST_200600_302600_NS6detail15normal_iteratorINS9_10device_ptrIxEEEENSB_INSC_IjEEEEPNS0_10empty_typeENS0_5tupleIJSE_SH_EEENSJ_IJNS9_16discard_iteratorINS9_11use_defaultEEESI_EEENS0_18inequality_wrapperINS9_8equal_toIxEEEEPmJSH_EEE10hipError_tPvRmT3_T4_T5_T6_T7_T9_mT8_P12ihipStream_tbDpT10_ENKUlT_T0_E_clISt17integral_constantIbLb0EES1D_EEDaS18_S19_EUlS18_E_NS1_11comp_targetILNS1_3genE10ELNS1_11target_archE1200ELNS1_3gpuE4ELNS1_3repE0EEENS1_30default_config_static_selectorELNS0_4arch9wavefront6targetE0EEEvT1_,comdat
.Lfunc_end1018:
	.size	_ZN7rocprim17ROCPRIM_400000_NS6detail17trampoline_kernelINS0_14default_configENS1_25partition_config_selectorILNS1_17partition_subalgoE9ExjbEEZZNS1_14partition_implILS5_9ELb0ES3_jN6thrust23THRUST_200600_302600_NS6detail15normal_iteratorINS9_10device_ptrIxEEEENSB_INSC_IjEEEEPNS0_10empty_typeENS0_5tupleIJSE_SH_EEENSJ_IJNS9_16discard_iteratorINS9_11use_defaultEEESI_EEENS0_18inequality_wrapperINS9_8equal_toIxEEEEPmJSH_EEE10hipError_tPvRmT3_T4_T5_T6_T7_T9_mT8_P12ihipStream_tbDpT10_ENKUlT_T0_E_clISt17integral_constantIbLb0EES1D_EEDaS18_S19_EUlS18_E_NS1_11comp_targetILNS1_3genE10ELNS1_11target_archE1200ELNS1_3gpuE4ELNS1_3repE0EEENS1_30default_config_static_selectorELNS0_4arch9wavefront6targetE0EEEvT1_, .Lfunc_end1018-_ZN7rocprim17ROCPRIM_400000_NS6detail17trampoline_kernelINS0_14default_configENS1_25partition_config_selectorILNS1_17partition_subalgoE9ExjbEEZZNS1_14partition_implILS5_9ELb0ES3_jN6thrust23THRUST_200600_302600_NS6detail15normal_iteratorINS9_10device_ptrIxEEEENSB_INSC_IjEEEEPNS0_10empty_typeENS0_5tupleIJSE_SH_EEENSJ_IJNS9_16discard_iteratorINS9_11use_defaultEEESI_EEENS0_18inequality_wrapperINS9_8equal_toIxEEEEPmJSH_EEE10hipError_tPvRmT3_T4_T5_T6_T7_T9_mT8_P12ihipStream_tbDpT10_ENKUlT_T0_E_clISt17integral_constantIbLb0EES1D_EEDaS18_S19_EUlS18_E_NS1_11comp_targetILNS1_3genE10ELNS1_11target_archE1200ELNS1_3gpuE4ELNS1_3repE0EEENS1_30default_config_static_selectorELNS0_4arch9wavefront6targetE0EEEvT1_
                                        ; -- End function
	.section	.AMDGPU.csdata,"",@progbits
; Kernel info:
; codeLenInByte = 0
; NumSgprs: 0
; NumVgprs: 0
; ScratchSize: 0
; MemoryBound: 0
; FloatMode: 240
; IeeeMode: 1
; LDSByteSize: 0 bytes/workgroup (compile time only)
; SGPRBlocks: 0
; VGPRBlocks: 0
; NumSGPRsForWavesPerEU: 1
; NumVGPRsForWavesPerEU: 1
; Occupancy: 15
; WaveLimiterHint : 0
; COMPUTE_PGM_RSRC2:SCRATCH_EN: 0
; COMPUTE_PGM_RSRC2:USER_SGPR: 15
; COMPUTE_PGM_RSRC2:TRAP_HANDLER: 0
; COMPUTE_PGM_RSRC2:TGID_X_EN: 1
; COMPUTE_PGM_RSRC2:TGID_Y_EN: 0
; COMPUTE_PGM_RSRC2:TGID_Z_EN: 0
; COMPUTE_PGM_RSRC2:TIDIG_COMP_CNT: 0
	.section	.text._ZN7rocprim17ROCPRIM_400000_NS6detail17trampoline_kernelINS0_14default_configENS1_25partition_config_selectorILNS1_17partition_subalgoE9ExjbEEZZNS1_14partition_implILS5_9ELb0ES3_jN6thrust23THRUST_200600_302600_NS6detail15normal_iteratorINS9_10device_ptrIxEEEENSB_INSC_IjEEEEPNS0_10empty_typeENS0_5tupleIJSE_SH_EEENSJ_IJNS9_16discard_iteratorINS9_11use_defaultEEESI_EEENS0_18inequality_wrapperINS9_8equal_toIxEEEEPmJSH_EEE10hipError_tPvRmT3_T4_T5_T6_T7_T9_mT8_P12ihipStream_tbDpT10_ENKUlT_T0_E_clISt17integral_constantIbLb0EES1D_EEDaS18_S19_EUlS18_E_NS1_11comp_targetILNS1_3genE9ELNS1_11target_archE1100ELNS1_3gpuE3ELNS1_3repE0EEENS1_30default_config_static_selectorELNS0_4arch9wavefront6targetE0EEEvT1_,"axG",@progbits,_ZN7rocprim17ROCPRIM_400000_NS6detail17trampoline_kernelINS0_14default_configENS1_25partition_config_selectorILNS1_17partition_subalgoE9ExjbEEZZNS1_14partition_implILS5_9ELb0ES3_jN6thrust23THRUST_200600_302600_NS6detail15normal_iteratorINS9_10device_ptrIxEEEENSB_INSC_IjEEEEPNS0_10empty_typeENS0_5tupleIJSE_SH_EEENSJ_IJNS9_16discard_iteratorINS9_11use_defaultEEESI_EEENS0_18inequality_wrapperINS9_8equal_toIxEEEEPmJSH_EEE10hipError_tPvRmT3_T4_T5_T6_T7_T9_mT8_P12ihipStream_tbDpT10_ENKUlT_T0_E_clISt17integral_constantIbLb0EES1D_EEDaS18_S19_EUlS18_E_NS1_11comp_targetILNS1_3genE9ELNS1_11target_archE1100ELNS1_3gpuE3ELNS1_3repE0EEENS1_30default_config_static_selectorELNS0_4arch9wavefront6targetE0EEEvT1_,comdat
	.protected	_ZN7rocprim17ROCPRIM_400000_NS6detail17trampoline_kernelINS0_14default_configENS1_25partition_config_selectorILNS1_17partition_subalgoE9ExjbEEZZNS1_14partition_implILS5_9ELb0ES3_jN6thrust23THRUST_200600_302600_NS6detail15normal_iteratorINS9_10device_ptrIxEEEENSB_INSC_IjEEEEPNS0_10empty_typeENS0_5tupleIJSE_SH_EEENSJ_IJNS9_16discard_iteratorINS9_11use_defaultEEESI_EEENS0_18inequality_wrapperINS9_8equal_toIxEEEEPmJSH_EEE10hipError_tPvRmT3_T4_T5_T6_T7_T9_mT8_P12ihipStream_tbDpT10_ENKUlT_T0_E_clISt17integral_constantIbLb0EES1D_EEDaS18_S19_EUlS18_E_NS1_11comp_targetILNS1_3genE9ELNS1_11target_archE1100ELNS1_3gpuE3ELNS1_3repE0EEENS1_30default_config_static_selectorELNS0_4arch9wavefront6targetE0EEEvT1_ ; -- Begin function _ZN7rocprim17ROCPRIM_400000_NS6detail17trampoline_kernelINS0_14default_configENS1_25partition_config_selectorILNS1_17partition_subalgoE9ExjbEEZZNS1_14partition_implILS5_9ELb0ES3_jN6thrust23THRUST_200600_302600_NS6detail15normal_iteratorINS9_10device_ptrIxEEEENSB_INSC_IjEEEEPNS0_10empty_typeENS0_5tupleIJSE_SH_EEENSJ_IJNS9_16discard_iteratorINS9_11use_defaultEEESI_EEENS0_18inequality_wrapperINS9_8equal_toIxEEEEPmJSH_EEE10hipError_tPvRmT3_T4_T5_T6_T7_T9_mT8_P12ihipStream_tbDpT10_ENKUlT_T0_E_clISt17integral_constantIbLb0EES1D_EEDaS18_S19_EUlS18_E_NS1_11comp_targetILNS1_3genE9ELNS1_11target_archE1100ELNS1_3gpuE3ELNS1_3repE0EEENS1_30default_config_static_selectorELNS0_4arch9wavefront6targetE0EEEvT1_
	.globl	_ZN7rocprim17ROCPRIM_400000_NS6detail17trampoline_kernelINS0_14default_configENS1_25partition_config_selectorILNS1_17partition_subalgoE9ExjbEEZZNS1_14partition_implILS5_9ELb0ES3_jN6thrust23THRUST_200600_302600_NS6detail15normal_iteratorINS9_10device_ptrIxEEEENSB_INSC_IjEEEEPNS0_10empty_typeENS0_5tupleIJSE_SH_EEENSJ_IJNS9_16discard_iteratorINS9_11use_defaultEEESI_EEENS0_18inequality_wrapperINS9_8equal_toIxEEEEPmJSH_EEE10hipError_tPvRmT3_T4_T5_T6_T7_T9_mT8_P12ihipStream_tbDpT10_ENKUlT_T0_E_clISt17integral_constantIbLb0EES1D_EEDaS18_S19_EUlS18_E_NS1_11comp_targetILNS1_3genE9ELNS1_11target_archE1100ELNS1_3gpuE3ELNS1_3repE0EEENS1_30default_config_static_selectorELNS0_4arch9wavefront6targetE0EEEvT1_
	.p2align	8
	.type	_ZN7rocprim17ROCPRIM_400000_NS6detail17trampoline_kernelINS0_14default_configENS1_25partition_config_selectorILNS1_17partition_subalgoE9ExjbEEZZNS1_14partition_implILS5_9ELb0ES3_jN6thrust23THRUST_200600_302600_NS6detail15normal_iteratorINS9_10device_ptrIxEEEENSB_INSC_IjEEEEPNS0_10empty_typeENS0_5tupleIJSE_SH_EEENSJ_IJNS9_16discard_iteratorINS9_11use_defaultEEESI_EEENS0_18inequality_wrapperINS9_8equal_toIxEEEEPmJSH_EEE10hipError_tPvRmT3_T4_T5_T6_T7_T9_mT8_P12ihipStream_tbDpT10_ENKUlT_T0_E_clISt17integral_constantIbLb0EES1D_EEDaS18_S19_EUlS18_E_NS1_11comp_targetILNS1_3genE9ELNS1_11target_archE1100ELNS1_3gpuE3ELNS1_3repE0EEENS1_30default_config_static_selectorELNS0_4arch9wavefront6targetE0EEEvT1_,@function
_ZN7rocprim17ROCPRIM_400000_NS6detail17trampoline_kernelINS0_14default_configENS1_25partition_config_selectorILNS1_17partition_subalgoE9ExjbEEZZNS1_14partition_implILS5_9ELb0ES3_jN6thrust23THRUST_200600_302600_NS6detail15normal_iteratorINS9_10device_ptrIxEEEENSB_INSC_IjEEEEPNS0_10empty_typeENS0_5tupleIJSE_SH_EEENSJ_IJNS9_16discard_iteratorINS9_11use_defaultEEESI_EEENS0_18inequality_wrapperINS9_8equal_toIxEEEEPmJSH_EEE10hipError_tPvRmT3_T4_T5_T6_T7_T9_mT8_P12ihipStream_tbDpT10_ENKUlT_T0_E_clISt17integral_constantIbLb0EES1D_EEDaS18_S19_EUlS18_E_NS1_11comp_targetILNS1_3genE9ELNS1_11target_archE1100ELNS1_3gpuE3ELNS1_3repE0EEENS1_30default_config_static_selectorELNS0_4arch9wavefront6targetE0EEEvT1_: ; @_ZN7rocprim17ROCPRIM_400000_NS6detail17trampoline_kernelINS0_14default_configENS1_25partition_config_selectorILNS1_17partition_subalgoE9ExjbEEZZNS1_14partition_implILS5_9ELb0ES3_jN6thrust23THRUST_200600_302600_NS6detail15normal_iteratorINS9_10device_ptrIxEEEENSB_INSC_IjEEEEPNS0_10empty_typeENS0_5tupleIJSE_SH_EEENSJ_IJNS9_16discard_iteratorINS9_11use_defaultEEESI_EEENS0_18inequality_wrapperINS9_8equal_toIxEEEEPmJSH_EEE10hipError_tPvRmT3_T4_T5_T6_T7_T9_mT8_P12ihipStream_tbDpT10_ENKUlT_T0_E_clISt17integral_constantIbLb0EES1D_EEDaS18_S19_EUlS18_E_NS1_11comp_targetILNS1_3genE9ELNS1_11target_archE1100ELNS1_3gpuE3ELNS1_3repE0EEENS1_30default_config_static_selectorELNS0_4arch9wavefront6targetE0EEEvT1_
; %bb.0:
	s_clause 0x4
	s_load_b128 s[4:7], s[0:1], 0x8
	s_load_b32 s14, s[0:1], 0x70
	s_load_b128 s[16:19], s[0:1], 0x48
	s_load_b64 s[2:3], s[0:1], 0x58
	s_load_b64 s[12:13], s[0:1], 0x18
	s_mov_b32 s9, 0
	v_lshlrev_b32_e32 v47, 3, v0
	v_lshrrev_b32_e32 v24, 2, v0
	v_or_b32_e32 v21, 0x200, v0
	v_or_b32_e32 v20, 0x400, v0
	;; [unrolled: 1-line block ×7, first 2 shown]
	s_waitcnt lgkmcnt(0)
	s_lshl_b64 s[10:11], s[6:7], 3
	s_delay_alu instid0(SALU_CYCLE_1)
	s_add_u32 s21, s4, s10
	s_addc_u32 s22, s5, s11
	s_add_i32 s20, s14, -1
	s_load_b64 s[10:11], s[18:19], 0x0
	s_lshl_b32 s4, s20, 12
	s_lshl_b32 s5, s14, 12
	s_add_i32 s4, s6, s4
	s_lshl_b32 s8, s15, 12
	s_sub_i32 s19, s2, s4
	s_add_u32 s4, s6, s5
	s_addc_u32 s5, s7, 0
	s_cmp_eq_u32 s15, s20
	v_cmp_ge_u64_e64 s2, s[4:5], s[2:3]
	s_cselect_b32 s14, -1, 0
	s_mov_b32 s5, -1
	s_delay_alu instid0(VALU_DEP_1)
	s_and_b32 s20, s14, s2
	s_lshl_b64 s[2:3], s[8:9], 3
	s_xor_b32 s18, s20, -1
	s_add_u32 s4, s21, s2
	s_addc_u32 s3, s22, s3
	s_and_b32 vcc_lo, exec_lo, s18
	s_cbranch_vccz .LBB1019_2
; %bb.1:
	v_add_co_u32 v1, s2, s4, v47
	s_delay_alu instid0(VALU_DEP_1) | instskip(SKIP_1) | instid1(VALU_DEP_3)
	v_add_co_ci_u32_e64 v2, null, s3, 0, s2
	v_lshrrev_b32_e32 v26, 2, v21
	v_add_co_u32 v3, vcc_lo, 0x1000, v1
	s_delay_alu instid0(VALU_DEP_3)
	v_add_co_ci_u32_e32 v4, vcc_lo, 0, v2, vcc_lo
	v_add_co_u32 v5, vcc_lo, 0x2000, v1
	v_add_co_ci_u32_e32 v6, vcc_lo, 0, v2, vcc_lo
	v_add_co_u32 v7, vcc_lo, 0x3000, v1
	;; [unrolled: 2-line block ×6, first 2 shown]
	v_add_co_ci_u32_e32 v16, vcc_lo, 0, v2, vcc_lo
	s_clause 0x7
	flat_load_b64 v[1:2], v[1:2]
	flat_load_b64 v[3:4], v[3:4]
	;; [unrolled: 1-line block ×8, first 2 shown]
	v_lshrrev_b32_e32 v27, 2, v20
	v_lshrrev_b32_e32 v28, 2, v23
	;; [unrolled: 1-line block ×3, first 2 shown]
	v_and_b32_e32 v25, 0x78, v24
	v_lshrrev_b32_e32 v30, 2, v18
	v_lshrrev_b32_e32 v31, 2, v17
	;; [unrolled: 1-line block ×3, first 2 shown]
	v_and_b32_e32 v26, 0xf8, v26
	v_and_b32_e32 v27, 0x178, v27
	;; [unrolled: 1-line block ×4, first 2 shown]
	v_add_nc_u32_e32 v25, v25, v47
	v_and_b32_e32 v30, 0x2f8, v30
	v_and_b32_e32 v31, 0x378, v31
	;; [unrolled: 1-line block ×3, first 2 shown]
	v_add_nc_u32_e32 v26, v26, v47
	v_add_nc_u32_e32 v27, v27, v47
	;; [unrolled: 1-line block ×4, first 2 shown]
	s_mov_b32 s5, s9
	v_add_nc_u32_e32 v30, v30, v47
	v_add_nc_u32_e32 v31, v31, v47
	;; [unrolled: 1-line block ×3, first 2 shown]
	s_waitcnt vmcnt(7) lgkmcnt(0)
	ds_store_b64 v25, v[1:2]
	s_waitcnt vmcnt(6)
	ds_store_b64 v26, v[3:4] offset:4096
	s_waitcnt vmcnt(5)
	ds_store_b64 v27, v[5:6] offset:8192
	s_waitcnt vmcnt(4)
	ds_store_b64 v28, v[7:8] offset:12288
	s_waitcnt vmcnt(3)
	ds_store_b64 v29, v[9:10] offset:16384
	s_waitcnt vmcnt(2)
	ds_store_b64 v30, v[11:12] offset:20480
	s_waitcnt vmcnt(1)
	ds_store_b64 v31, v[13:14] offset:24576
	s_waitcnt vmcnt(0)
	ds_store_b64 v32, v[15:16] offset:28672
	s_waitcnt lgkmcnt(0)
	s_barrier
.LBB1019_2:
	v_cmp_gt_u32_e64 s2, s19, v0
	s_and_not1_b32 vcc_lo, exec_lo, s5
	s_cbranch_vccnz .LBB1019_20
; %bb.3:
                                        ; implicit-def: $vgpr1_vgpr2_vgpr3_vgpr4_vgpr5_vgpr6_vgpr7_vgpr8_vgpr9_vgpr10_vgpr11_vgpr12_vgpr13_vgpr14_vgpr15_vgpr16
	s_delay_alu instid0(VALU_DEP_1)
	s_and_saveexec_b32 s5, s2
	s_cbranch_execz .LBB1019_11
; %bb.4:
	v_add_co_u32 v1, s2, s4, v47
	s_delay_alu instid0(VALU_DEP_1) | instskip(SKIP_2) | instid1(SALU_CYCLE_1)
	v_add_co_ci_u32_e64 v2, null, s3, 0, s2
	flat_load_b64 v[1:2], v[1:2]
	s_or_b32 exec_lo, exec_lo, s5
	s_mov_b32 s2, exec_lo
	v_cmpx_gt_u32_e64 s19, v21
	s_cbranch_execnz .LBB1019_12
.LBB1019_5:
	s_or_b32 exec_lo, exec_lo, s2
	s_delay_alu instid0(SALU_CYCLE_1)
	s_mov_b32 s2, exec_lo
	v_cmpx_gt_u32_e64 s19, v20
	s_cbranch_execz .LBB1019_13
.LBB1019_6:
	v_lshlrev_b32_e32 v5, 3, v20
	s_delay_alu instid0(VALU_DEP_1) | instskip(NEXT) | instid1(VALU_DEP_1)
	v_add_co_u32 v5, s5, s4, v5
	v_add_co_ci_u32_e64 v6, null, s3, 0, s5
	flat_load_b64 v[5:6], v[5:6]
	s_or_b32 exec_lo, exec_lo, s2
	s_delay_alu instid0(SALU_CYCLE_1)
	s_mov_b32 s2, exec_lo
	v_cmpx_gt_u32_e64 s19, v23
	s_cbranch_execnz .LBB1019_14
.LBB1019_7:
	s_or_b32 exec_lo, exec_lo, s2
	s_delay_alu instid0(SALU_CYCLE_1)
	s_mov_b32 s2, exec_lo
	v_cmpx_gt_u32_e64 s19, v22
	s_cbranch_execz .LBB1019_15
.LBB1019_8:
	v_lshlrev_b32_e32 v9, 3, v22
	s_delay_alu instid0(VALU_DEP_1) | instskip(NEXT) | instid1(VALU_DEP_1)
	v_add_co_u32 v9, s5, s4, v9
	v_add_co_ci_u32_e64 v10, null, s3, 0, s5
	flat_load_b64 v[9:10], v[9:10]
	s_or_b32 exec_lo, exec_lo, s2
	s_delay_alu instid0(SALU_CYCLE_1)
	s_mov_b32 s2, exec_lo
	v_cmpx_gt_u32_e64 s19, v18
	s_cbranch_execnz .LBB1019_16
.LBB1019_9:
	s_or_b32 exec_lo, exec_lo, s2
	s_delay_alu instid0(SALU_CYCLE_1)
	s_mov_b32 s2, exec_lo
	v_cmpx_gt_u32_e64 s19, v17
	s_cbranch_execz .LBB1019_17
.LBB1019_10:
	v_lshlrev_b32_e32 v13, 3, v17
	s_delay_alu instid0(VALU_DEP_1) | instskip(NEXT) | instid1(VALU_DEP_1)
	v_add_co_u32 v13, s5, s4, v13
	v_add_co_ci_u32_e64 v14, null, s3, 0, s5
	flat_load_b64 v[13:14], v[13:14]
	s_or_b32 exec_lo, exec_lo, s2
	s_delay_alu instid0(SALU_CYCLE_1)
	s_mov_b32 s2, exec_lo
	v_cmpx_gt_u32_e64 s19, v19
	s_cbranch_execnz .LBB1019_18
	s_branch .LBB1019_19
.LBB1019_11:
	s_or_b32 exec_lo, exec_lo, s5
	s_delay_alu instid0(SALU_CYCLE_1)
	s_mov_b32 s2, exec_lo
	v_cmpx_gt_u32_e64 s19, v21
	s_cbranch_execz .LBB1019_5
.LBB1019_12:
	v_lshlrev_b32_e32 v3, 3, v21
	s_delay_alu instid0(VALU_DEP_1) | instskip(NEXT) | instid1(VALU_DEP_1)
	v_add_co_u32 v3, s5, s4, v3
	v_add_co_ci_u32_e64 v4, null, s3, 0, s5
	flat_load_b64 v[3:4], v[3:4]
	s_or_b32 exec_lo, exec_lo, s2
	s_delay_alu instid0(SALU_CYCLE_1)
	s_mov_b32 s2, exec_lo
	v_cmpx_gt_u32_e64 s19, v20
	s_cbranch_execnz .LBB1019_6
.LBB1019_13:
	s_or_b32 exec_lo, exec_lo, s2
	s_delay_alu instid0(SALU_CYCLE_1)
	s_mov_b32 s2, exec_lo
	v_cmpx_gt_u32_e64 s19, v23
	s_cbranch_execz .LBB1019_7
.LBB1019_14:
	v_lshlrev_b32_e32 v7, 3, v23
	s_delay_alu instid0(VALU_DEP_1) | instskip(NEXT) | instid1(VALU_DEP_1)
	v_add_co_u32 v7, s5, s4, v7
	v_add_co_ci_u32_e64 v8, null, s3, 0, s5
	flat_load_b64 v[7:8], v[7:8]
	s_or_b32 exec_lo, exec_lo, s2
	s_delay_alu instid0(SALU_CYCLE_1)
	s_mov_b32 s2, exec_lo
	v_cmpx_gt_u32_e64 s19, v22
	s_cbranch_execnz .LBB1019_8
.LBB1019_15:
	s_or_b32 exec_lo, exec_lo, s2
	s_delay_alu instid0(SALU_CYCLE_1)
	s_mov_b32 s2, exec_lo
	v_cmpx_gt_u32_e64 s19, v18
	s_cbranch_execz .LBB1019_9
.LBB1019_16:
	v_lshlrev_b32_e32 v11, 3, v18
	s_delay_alu instid0(VALU_DEP_1) | instskip(NEXT) | instid1(VALU_DEP_1)
	v_add_co_u32 v11, s5, s4, v11
	v_add_co_ci_u32_e64 v12, null, s3, 0, s5
	flat_load_b64 v[11:12], v[11:12]
	s_or_b32 exec_lo, exec_lo, s2
	s_delay_alu instid0(SALU_CYCLE_1)
	s_mov_b32 s2, exec_lo
	v_cmpx_gt_u32_e64 s19, v17
	s_cbranch_execnz .LBB1019_10
.LBB1019_17:
	s_or_b32 exec_lo, exec_lo, s2
	s_delay_alu instid0(SALU_CYCLE_1)
	s_mov_b32 s2, exec_lo
	v_cmpx_gt_u32_e64 s19, v19
	s_cbranch_execz .LBB1019_19
.LBB1019_18:
	v_lshlrev_b32_e32 v15, 3, v19
	s_delay_alu instid0(VALU_DEP_1) | instskip(NEXT) | instid1(VALU_DEP_1)
	v_add_co_u32 v15, s5, s4, v15
	v_add_co_ci_u32_e64 v16, null, s3, 0, s5
	flat_load_b64 v[15:16], v[15:16]
.LBB1019_19:
	s_or_b32 exec_lo, exec_lo, s2
	v_lshrrev_b32_e32 v25, 2, v21
	v_lshrrev_b32_e32 v26, 2, v20
	;; [unrolled: 1-line block ×4, first 2 shown]
	v_and_b32_e32 v27, 0x78, v24
	v_lshrrev_b32_e32 v30, 2, v18
	v_lshrrev_b32_e32 v31, 2, v17
	;; [unrolled: 1-line block ×3, first 2 shown]
	v_and_b32_e32 v25, 0xf8, v25
	v_and_b32_e32 v26, 0x1f8, v26
	;; [unrolled: 1-line block ×4, first 2 shown]
	v_add_nc_u32_e32 v27, v27, v47
	v_and_b32_e32 v30, 0x3f8, v30
	v_and_b32_e32 v31, 0x3f8, v31
	;; [unrolled: 1-line block ×3, first 2 shown]
	v_add_nc_u32_e32 v25, v25, v47
	v_add_nc_u32_e32 v26, v26, v47
	;; [unrolled: 1-line block ×7, first 2 shown]
	s_waitcnt vmcnt(0) lgkmcnt(0)
	ds_store_b64 v27, v[1:2]
	ds_store_b64 v25, v[3:4] offset:4096
	ds_store_b64 v26, v[5:6] offset:8192
	;; [unrolled: 1-line block ×7, first 2 shown]
	s_waitcnt lgkmcnt(0)
	s_barrier
.LBB1019_20:
	v_add_nc_u32_e32 v24, v24, v47
	s_waitcnt lgkmcnt(0)
	buffer_gl0_inv
	s_lshl_b64 s[22:23], s[6:7], 2
	v_lshrrev_b32_e32 v26, 3, v0
	s_add_u32 s2, s12, s22
	v_lshlrev_b32_e32 v25, 3, v24
	s_addc_u32 s5, s13, s23
	s_lshl_b64 s[8:9], s[8:9], 2
	ds_load_2addr_b64 v[13:16], v25 offset1:1
	ds_load_2addr_b64 v[9:12], v25 offset0:2 offset1:3
	ds_load_2addr_b64 v[5:8], v25 offset0:4 offset1:5
	;; [unrolled: 1-line block ×3, first 2 shown]
	s_add_u32 s2, s2, s8
	s_addc_u32 s5, s5, s9
	s_and_b32 vcc_lo, exec_lo, s18
	s_mov_b32 s8, -1
	s_waitcnt lgkmcnt(0)
	s_barrier
	buffer_gl0_inv
	s_cbranch_vccz .LBB1019_22
; %bb.21:
	v_lshlrev_b32_e32 v35, 2, v0
	v_lshrrev_b32_e32 v37, 3, v21
	v_lshrrev_b32_e32 v38, 3, v20
	;; [unrolled: 1-line block ×4, first 2 shown]
	v_add_co_u32 v27, s8, s2, v35
	s_delay_alu instid0(VALU_DEP_1) | instskip(SKIP_1) | instid1(VALU_DEP_3)
	v_add_co_ci_u32_e64 v28, null, s5, 0, s8
	v_lshrrev_b32_e32 v41, 3, v18
	v_add_co_u32 v29, vcc_lo, 0x1000, v27
	s_delay_alu instid0(VALU_DEP_3)
	v_add_co_ci_u32_e32 v30, vcc_lo, 0, v28, vcc_lo
	v_add_co_u32 v31, vcc_lo, 0x2000, v27
	v_add_co_ci_u32_e32 v32, vcc_lo, 0, v28, vcc_lo
	v_add_co_u32 v33, vcc_lo, 0x3000, v27
	v_add_co_ci_u32_e32 v34, vcc_lo, 0, v28, vcc_lo
	s_clause 0x7
	flat_load_b32 v36, v[27:28]
	flat_load_b32 v27, v[27:28] offset:2048
	flat_load_b32 v28, v[29:30]
	flat_load_b32 v29, v[29:30] offset:2048
	;; [unrolled: 2-line block ×4, first 2 shown]
	v_and_b32_e32 v34, 60, v26
	v_lshrrev_b32_e32 v42, 3, v17
	v_lshrrev_b32_e32 v43, 3, v19
	v_and_b32_e32 v37, 0x7c, v37
	v_and_b32_e32 v38, 0xbc, v38
	;; [unrolled: 1-line block ×4, first 2 shown]
	v_add_nc_u32_e32 v34, v34, v35
	v_and_b32_e32 v41, 0x17c, v41
	v_and_b32_e32 v42, 0x1bc, v42
	;; [unrolled: 1-line block ×3, first 2 shown]
	v_add_nc_u32_e32 v37, v37, v35
	v_add_nc_u32_e32 v38, v38, v35
	;; [unrolled: 1-line block ×4, first 2 shown]
	s_mov_b32 s8, 0
	v_add_nc_u32_e32 v41, v41, v35
	v_add_nc_u32_e32 v42, v42, v35
	;; [unrolled: 1-line block ×3, first 2 shown]
	s_waitcnt vmcnt(7) lgkmcnt(7)
	ds_store_b32 v34, v36
	s_waitcnt vmcnt(6) lgkmcnt(7)
	ds_store_b32 v37, v27 offset:2048
	s_waitcnt vmcnt(5) lgkmcnt(7)
	ds_store_b32 v38, v28 offset:4096
	;; [unrolled: 2-line block ×7, first 2 shown]
	s_waitcnt lgkmcnt(0)
	s_barrier
.LBB1019_22:
	s_and_not1_b32 vcc_lo, exec_lo, s8
	s_cbranch_vccnz .LBB1019_40
; %bb.23:
	s_mov_b32 s8, exec_lo
                                        ; implicit-def: $vgpr27
	v_cmpx_gt_u32_e64 s19, v0
	s_cbranch_execz .LBB1019_25
; %bb.24:
	v_lshlrev_b32_e32 v27, 2, v0
	s_delay_alu instid0(VALU_DEP_1) | instskip(NEXT) | instid1(VALU_DEP_1)
	v_add_co_u32 v27, s9, s2, v27
	v_add_co_ci_u32_e64 v28, null, s5, 0, s9
	flat_load_b32 v27, v[27:28]
.LBB1019_25:
	s_or_b32 exec_lo, exec_lo, s8
	s_delay_alu instid0(SALU_CYCLE_1)
	s_mov_b32 s8, exec_lo
                                        ; implicit-def: $vgpr28
	v_cmpx_gt_u32_e64 s19, v21
	s_cbranch_execz .LBB1019_27
; %bb.26:
	v_lshlrev_b32_e32 v28, 2, v0
	s_delay_alu instid0(VALU_DEP_1) | instskip(NEXT) | instid1(VALU_DEP_1)
	v_add_co_u32 v28, s9, s2, v28
	v_add_co_ci_u32_e64 v29, null, s5, 0, s9
	flat_load_b32 v28, v[28:29] offset:2048
.LBB1019_27:
	s_or_b32 exec_lo, exec_lo, s8
	s_delay_alu instid0(SALU_CYCLE_1)
	s_mov_b32 s8, exec_lo
                                        ; implicit-def: $vgpr29
	v_cmpx_gt_u32_e64 s19, v20
	s_cbranch_execz .LBB1019_29
; %bb.28:
	v_lshlrev_b32_e32 v29, 2, v20
	s_delay_alu instid0(VALU_DEP_1) | instskip(NEXT) | instid1(VALU_DEP_1)
	v_add_co_u32 v29, s9, s2, v29
	v_add_co_ci_u32_e64 v30, null, s5, 0, s9
	flat_load_b32 v29, v[29:30]
.LBB1019_29:
	s_or_b32 exec_lo, exec_lo, s8
	s_delay_alu instid0(SALU_CYCLE_1)
	s_mov_b32 s8, exec_lo
                                        ; implicit-def: $vgpr30
	v_cmpx_gt_u32_e64 s19, v23
	s_cbranch_execz .LBB1019_31
; %bb.30:
	v_lshlrev_b32_e32 v30, 2, v23
	s_delay_alu instid0(VALU_DEP_1) | instskip(NEXT) | instid1(VALU_DEP_1)
	v_add_co_u32 v30, s9, s2, v30
	v_add_co_ci_u32_e64 v31, null, s5, 0, s9
	flat_load_b32 v30, v[30:31]
.LBB1019_31:
	s_or_b32 exec_lo, exec_lo, s8
	s_delay_alu instid0(SALU_CYCLE_1)
	s_mov_b32 s8, exec_lo
                                        ; implicit-def: $vgpr31
	v_cmpx_gt_u32_e64 s19, v22
	s_cbranch_execz .LBB1019_33
; %bb.32:
	v_lshlrev_b32_e32 v31, 2, v22
	s_delay_alu instid0(VALU_DEP_1) | instskip(NEXT) | instid1(VALU_DEP_1)
	v_add_co_u32 v31, s9, s2, v31
	v_add_co_ci_u32_e64 v32, null, s5, 0, s9
	flat_load_b32 v31, v[31:32]
.LBB1019_33:
	s_or_b32 exec_lo, exec_lo, s8
	s_delay_alu instid0(SALU_CYCLE_1)
	s_mov_b32 s8, exec_lo
                                        ; implicit-def: $vgpr32
	v_cmpx_gt_u32_e64 s19, v18
	s_cbranch_execz .LBB1019_35
; %bb.34:
	v_lshlrev_b32_e32 v32, 2, v18
	s_delay_alu instid0(VALU_DEP_1) | instskip(NEXT) | instid1(VALU_DEP_1)
	v_add_co_u32 v32, s9, s2, v32
	v_add_co_ci_u32_e64 v33, null, s5, 0, s9
	flat_load_b32 v32, v[32:33]
.LBB1019_35:
	s_or_b32 exec_lo, exec_lo, s8
	s_delay_alu instid0(SALU_CYCLE_1)
	s_mov_b32 s8, exec_lo
                                        ; implicit-def: $vgpr33
	v_cmpx_gt_u32_e64 s19, v17
	s_cbranch_execz .LBB1019_37
; %bb.36:
	v_lshlrev_b32_e32 v33, 2, v17
	s_delay_alu instid0(VALU_DEP_1) | instskip(NEXT) | instid1(VALU_DEP_1)
	v_add_co_u32 v33, s9, s2, v33
	v_add_co_ci_u32_e64 v34, null, s5, 0, s9
	flat_load_b32 v33, v[33:34]
.LBB1019_37:
	s_or_b32 exec_lo, exec_lo, s8
	s_delay_alu instid0(SALU_CYCLE_1)
	s_mov_b32 s8, exec_lo
                                        ; implicit-def: $vgpr34
	v_cmpx_gt_u32_e64 s19, v19
	s_cbranch_execz .LBB1019_39
; %bb.38:
	v_lshlrev_b32_e32 v34, 2, v19
	s_delay_alu instid0(VALU_DEP_1) | instskip(NEXT) | instid1(VALU_DEP_1)
	v_add_co_u32 v34, s2, s2, v34
	v_add_co_ci_u32_e64 v35, null, s5, 0, s2
	flat_load_b32 v34, v[34:35]
.LBB1019_39:
	s_or_b32 exec_lo, exec_lo, s8
	v_lshrrev_b32_e32 v21, 3, v21
	v_lshrrev_b32_e32 v20, 3, v20
	;; [unrolled: 1-line block ×4, first 2 shown]
	v_and_b32_e32 v26, 60, v26
	v_lshlrev_b32_e32 v35, 2, v0
	v_lshrrev_b32_e32 v18, 3, v18
	v_lshrrev_b32_e32 v17, 3, v17
	;; [unrolled: 1-line block ×3, first 2 shown]
	v_and_b32_e32 v21, 0x7c, v21
	v_and_b32_e32 v20, 0xfc, v20
	;; [unrolled: 1-line block ×4, first 2 shown]
	v_add_nc_u32_e32 v26, v26, v35
	v_and_b32_e32 v18, 0x1fc, v18
	v_and_b32_e32 v17, 0x1fc, v17
	;; [unrolled: 1-line block ×3, first 2 shown]
	v_add_nc_u32_e32 v21, v21, v35
	v_add_nc_u32_e32 v20, v20, v35
	;; [unrolled: 1-line block ×7, first 2 shown]
	s_waitcnt vmcnt(0) lgkmcnt(0)
	ds_store_b32 v26, v27
	ds_store_b32 v21, v28 offset:2048
	ds_store_b32 v20, v29 offset:4096
	;; [unrolled: 1-line block ×7, first 2 shown]
	s_waitcnt lgkmcnt(0)
	s_barrier
.LBB1019_40:
	v_lshlrev_b32_e32 v17, 2, v24
	buffer_gl0_inv
	s_cmp_lg_u32 s15, 0
	s_mov_b32 s12, 0
	s_cselect_b32 s9, -1, 0
	v_sub_nc_u32_e32 v17, v25, v17
	s_cmp_lg_u64 s[6:7], 0
	ds_load_2addr_b32 v[23:24], v17 offset1:1
	ds_load_2addr_b32 v[21:22], v17 offset0:2 offset1:3
	ds_load_2addr_b32 v[19:20], v17 offset0:4 offset1:5
	;; [unrolled: 1-line block ×3, first 2 shown]
	s_cselect_b32 s2, -1, 0
	s_waitcnt lgkmcnt(0)
	s_or_b32 s2, s9, s2
	s_barrier
	s_and_b32 vcc_lo, exec_lo, s2
	buffer_gl0_inv
	s_cbranch_vccz .LBB1019_45
; %bb.41:
	v_add_co_u32 v25, s2, -8, s4
	s_delay_alu instid0(VALU_DEP_1)
	v_add_co_ci_u32_e64 v26, null, -1, s3, s2
	s_mov_b32 s3, -1
	s_and_b32 vcc_lo, exec_lo, s18
	flat_load_b64 v[27:28], v[25:26]
	ds_store_b64 v47, v[3:4]
	s_cbranch_vccz .LBB1019_46
; %bb.42:
	s_waitcnt vmcnt(0) lgkmcnt(1)
	v_dual_mov_b32 v25, v27 :: v_dual_mov_b32 v26, v28
	s_mov_b32 s3, 0
	s_mov_b32 s2, exec_lo
	s_waitcnt lgkmcnt(0)
	s_barrier
	buffer_gl0_inv
	v_cmpx_ne_u32_e32 0, v0
	s_cbranch_execz .LBB1019_44
; %bb.43:
	v_add_nc_u32_e32 v25, -8, v47
	ds_load_b64 v[25:26], v25
.LBB1019_44:
	s_or_b32 exec_lo, exec_lo, s2
	v_cmp_ne_u64_e32 vcc_lo, v[1:2], v[3:4]
	s_waitcnt lgkmcnt(0)
	v_cmp_ne_u64_e64 s2, v[25:26], v[13:14]
	v_cndmask_b32_e64 v29, 0, 1, vcc_lo
	v_cmp_ne_u64_e32 vcc_lo, v[7:8], v[1:2]
	s_delay_alu instid0(VALU_DEP_2) | instskip(SKIP_2) | instid1(VALU_DEP_2)
	v_lshlrev_b16 v29, 8, v29
	v_cndmask_b32_e64 v30, 0, 1, vcc_lo
	v_cmp_ne_u64_e32 vcc_lo, v[5:6], v[7:8]
	v_or_b32_e32 v29, v30, v29
	v_cndmask_b32_e64 v31, 0, 1, vcc_lo
	v_cmp_ne_u64_e32 vcc_lo, v[9:10], v[11:12]
	s_delay_alu instid0(VALU_DEP_3) | instskip(NEXT) | instid1(VALU_DEP_3)
	v_lshlrev_b32_e32 v29, 16, v29
	v_lshlrev_b16 v31, 8, v31
	v_cndmask_b32_e64 v32, 0, 1, vcc_lo
	v_cmp_ne_u64_e32 vcc_lo, v[11:12], v[5:6]
	s_delay_alu instid0(VALU_DEP_2) | instskip(SKIP_2) | instid1(VALU_DEP_2)
	v_lshlrev_b16 v32, 8, v32
	v_cndmask_b32_e64 v33, 0, 1, vcc_lo
	v_cmp_ne_u64_e32 vcc_lo, v[15:16], v[9:10]
	v_or_b32_e32 v31, v33, v31
	v_cndmask_b32_e64 v34, 0, 1, vcc_lo
	v_cmp_ne_u64_e32 vcc_lo, v[13:14], v[15:16]
	s_delay_alu instid0(VALU_DEP_3) | instskip(NEXT) | instid1(VALU_DEP_3)
	v_and_b32_e32 v31, 0xffff, v31
	v_or_b32_e32 v32, v34, v32
	v_cndmask_b32_e64 v35, 0, 1, vcc_lo
	s_delay_alu instid0(VALU_DEP_3) | instskip(NEXT) | instid1(VALU_DEP_3)
	v_or_b32_e32 v26, v31, v29
	v_lshlrev_b32_e32 v30, 16, v32
	s_delay_alu instid0(VALU_DEP_3) | instskip(NEXT) | instid1(VALU_DEP_1)
	v_lshlrev_b16 v34, 8, v35
	v_and_b32_e32 v32, 0xffff, v34
	s_delay_alu instid0(VALU_DEP_1)
	v_or_b32_e32 v25, v32, v30
	s_and_b32 vcc_lo, exec_lo, s3
	s_cbranch_vccnz .LBB1019_47
	s_branch .LBB1019_50
.LBB1019_45:
                                        ; implicit-def: $sgpr2
                                        ; implicit-def: $vgpr26
	s_branch .LBB1019_51
.LBB1019_46:
                                        ; implicit-def: $sgpr2
                                        ; implicit-def: $vgpr26
	s_and_b32 vcc_lo, exec_lo, s3
	s_cbranch_vccz .LBB1019_50
.LBB1019_47:
	s_mov_b32 s2, exec_lo
	s_waitcnt vmcnt(0) lgkmcnt(0)
	s_barrier
	buffer_gl0_inv
	v_cmpx_ne_u32_e32 0, v0
	s_cbranch_execz .LBB1019_49
; %bb.48:
	v_add_nc_u32_e32 v25, -8, v47
	ds_load_b64 v[27:28], v25
.LBB1019_49:
	s_or_b32 exec_lo, exec_lo, s2
	v_or_b32_e32 v25, 7, v47
	v_or_b32_e32 v26, 6, v47
	v_cmp_ne_u64_e32 vcc_lo, v[1:2], v[3:4]
	v_or_b32_e32 v29, 5, v47
	v_cmp_ne_u64_e64 s3, v[7:8], v[1:2]
	v_cmp_gt_u32_e64 s2, s19, v25
	v_cmp_gt_u32_e64 s4, s19, v26
	v_cmp_ne_u64_e64 s5, v[5:6], v[7:8]
	v_cmp_gt_u32_e64 s6, s19, v29
	v_or_b32_e32 v29, 3, v47
	s_and_b32 s2, s2, vcc_lo
	v_or_b32_e32 v30, 4, v47
	v_cndmask_b32_e64 v25, 0, 1, s2
	s_and_b32 s2, s4, s3
	v_cmp_ne_u64_e32 vcc_lo, v[9:10], v[11:12]
	v_cndmask_b32_e64 v26, 0, 1, s2
	s_and_b32 s2, s6, s5
	v_cmp_gt_u32_e64 s3, s19, v30
	v_cndmask_b32_e64 v31, 0, 1, s2
	v_cmp_gt_u32_e64 s2, s19, v29
	v_or_b32_e32 v29, 2, v47
	v_or_b32_e32 v30, 1, v47
	v_cmp_ne_u64_e64 s4, v[11:12], v[5:6]
	v_cmp_ne_u64_e64 s6, v[13:14], v[15:16]
	s_and_b32 s2, s2, vcc_lo
	v_cmp_ne_u64_e32 vcc_lo, v[15:16], v[9:10]
	v_cndmask_b32_e64 v32, 0, 1, s2
	v_cmp_gt_u32_e64 s2, s19, v29
	v_cmp_gt_u32_e64 s5, s19, v30
	s_and_b32 s3, s3, s4
	v_lshlrev_b16 v31, 8, v31
	v_cndmask_b32_e64 v29, 0, 1, s3
	s_and_b32 s2, s2, vcc_lo
	v_lshlrev_b16 v32, 8, v32
	v_cndmask_b32_e64 v30, 0, 1, s2
	s_and_b32 s2, s5, s6
	v_lshlrev_b16 v25, 8, v25
	v_cndmask_b32_e64 v33, 0, 1, s2
	v_or_b32_e32 v29, v29, v31
	v_or_b32_e32 v30, v30, v32
	s_waitcnt lgkmcnt(0)
	v_cmp_ne_u64_e32 vcc_lo, v[27:28], v[13:14]
	v_or_b32_e32 v25, v26, v25
	v_lshlrev_b16 v32, 8, v33
	v_and_b32_e32 v29, 0xffff, v29
	v_lshlrev_b32_e32 v26, 16, v30
	v_cmp_gt_u32_e64 s2, s19, v47
	v_lshlrev_b32_e32 v31, 16, v25
	v_and_b32_e32 v30, 0xffff, v32
	s_delay_alu instid0(VALU_DEP_3) | instskip(NEXT) | instid1(VALU_DEP_1)
	s_and_b32 s2, s2, vcc_lo
	v_or_b32_e32 v25, v30, v26
	s_delay_alu instid0(VALU_DEP_3)
	v_or_b32_e32 v26, v29, v31
.LBB1019_50:
	s_mov_b32 s12, -1
	s_cbranch_execnz .LBB1019_59
.LBB1019_51:
	v_cmp_ne_u64_e64 s3, v[1:2], v[3:4]
	v_cmp_ne_u64_e64 s4, v[7:8], v[1:2]
	;; [unrolled: 1-line block ×7, first 2 shown]
	s_and_b32 vcc_lo, exec_lo, s18
	ds_store_b64 v47, v[3:4]
	s_cbranch_vccz .LBB1019_55
; %bb.52:
	v_cndmask_b32_e64 v25, 0, 1, s3
	s_waitcnt vmcnt(0) lgkmcnt(2)
	v_cndmask_b32_e64 v27, 0, 1, s5
	v_cndmask_b32_e64 v29, 0, 1, s7
	;; [unrolled: 1-line block ×6, first 2 shown]
	v_lshlrev_b16 v27, 8, v27
	v_lshlrev_b16 v25, 8, v25
	v_lshlrev_b16 v29, 8, v29
	v_lshlrev_b16 v30, 8, v30
	s_mov_b32 s3, 0
	v_or_b32_e32 v27, v28, v27
	v_or_b32_e32 v25, v26, v25
	;; [unrolled: 1-line block ×4, first 2 shown]
	s_mov_b32 s4, exec_lo
	v_and_b32_e32 v27, 0xffff, v27
	v_lshlrev_b32_e32 v25, 16, v25
	v_lshlrev_b32_e32 v29, 16, v26
	v_and_b32_e32 v28, 0xffff, v28
	s_waitcnt lgkmcnt(0)
	s_barrier
	v_or_b32_e32 v26, v27, v25
	buffer_gl0_inv
	v_or_b32_e32 v25, v28, v29
                                        ; implicit-def: $sgpr2
	v_cmpx_ne_u32_e32 0, v0
	s_xor_b32 s4, exec_lo, s4
	s_cbranch_execz .LBB1019_54
; %bb.53:
	v_add_nc_u32_e32 v27, -8, v47
	s_or_b32 s12, s12, exec_lo
	ds_load_b64 v[27:28], v27
	s_waitcnt lgkmcnt(0)
	v_cmp_ne_u64_e32 vcc_lo, v[27:28], v[13:14]
	s_and_b32 s2, vcc_lo, exec_lo
.LBB1019_54:
	s_or_b32 exec_lo, exec_lo, s4
	s_delay_alu instid0(SALU_CYCLE_1)
	s_and_b32 vcc_lo, exec_lo, s3
	s_cbranch_vccnz .LBB1019_56
	s_branch .LBB1019_59
.LBB1019_55:
                                        ; implicit-def: $sgpr2
                                        ; implicit-def: $vgpr26
	s_cbranch_execz .LBB1019_59
.LBB1019_56:
	v_or_b32_e32 v25, 7, v47
	v_or_b32_e32 v26, 6, v47
	v_cmp_ne_u64_e32 vcc_lo, v[1:2], v[3:4]
	v_cmp_ne_u64_e64 s2, v[7:8], v[1:2]
	s_waitcnt vmcnt(0) lgkmcnt(2)
	v_or_b32_e32 v27, 4, v47
	v_cmp_gt_u32_e64 s3, s19, v25
	v_or_b32_e32 v25, 5, v47
	v_cmp_gt_u32_e64 s5, s19, v26
	v_cmp_ne_u64_e64 s4, v[5:6], v[7:8]
	v_cmp_ne_u64_e64 s6, v[11:12], v[5:6]
	s_and_b32 s3, s3, vcc_lo
	v_cmp_gt_u32_e32 vcc_lo, s19, v25
	v_cndmask_b32_e64 v26, 0, 1, s3
	v_cmp_gt_u32_e64 s3, s19, v27
	s_and_b32 s2, s5, s2
	v_or_b32_e32 v28, 3, v47
	v_cndmask_b32_e64 v25, 0, 1, s2
	s_and_b32 s2, vcc_lo, s4
	v_or_b32_e32 v30, 1, v47
	v_cndmask_b32_e64 v27, 0, 1, s2
	s_and_b32 s2, s3, s6
	v_cmp_ne_u64_e32 vcc_lo, v[9:10], v[11:12]
	v_cndmask_b32_e64 v29, 0, 1, s2
	v_cmp_gt_u32_e64 s2, s19, v28
	v_cmp_ne_u64_e64 s3, v[13:14], v[15:16]
	v_or_b32_e32 v31, 2, v47
	v_cmp_gt_u32_e64 s4, s19, v30
	v_cmp_ne_u64_e64 s5, v[15:16], v[9:10]
	s_and_b32 s2, s2, vcc_lo
	v_lshlrev_b16 v27, 8, v27
	v_cmp_gt_u32_e64 s6, s19, v31
	v_cndmask_b32_e64 v28, 0, 1, s2
	s_and_b32 s2, s4, s3
	v_lshlrev_b16 v26, 8, v26
	v_cndmask_b32_e64 v30, 0, 1, s2
	s_and_b32 s2, s6, s5
	v_lshlrev_b16 v28, 8, v28
	v_cndmask_b32_e64 v31, 0, 1, s2
	v_or_b32_e32 v27, v29, v27
	v_lshlrev_b16 v30, 8, v30
	v_or_b32_e32 v25, v25, v26
	s_mov_b32 s3, exec_lo
	v_or_b32_e32 v26, v31, v28
	v_and_b32_e32 v27, 0xffff, v27
	v_or_b32_e32 v28, 1, v30
	v_lshlrev_b32_e32 v25, 16, v25
	s_waitcnt lgkmcnt(0)
	v_lshlrev_b32_e32 v29, 16, v26
	s_barrier
	v_and_b32_e32 v28, 0xffff, v28
	v_or_b32_e32 v26, v27, v25
	buffer_gl0_inv
                                        ; implicit-def: $sgpr2
	v_or_b32_e32 v25, v28, v29
	v_cmpx_ne_u32_e32 0, v0
	s_cbranch_execz .LBB1019_58
; %bb.57:
	v_add_nc_u32_e32 v27, -8, v47
	v_cmp_gt_u32_e64 s2, s19, v47
	s_or_b32 s12, s12, exec_lo
	ds_load_b64 v[27:28], v27
	s_waitcnt lgkmcnt(0)
	v_cmp_ne_u64_e32 vcc_lo, v[27:28], v[13:14]
	s_and_b32 s2, s2, vcc_lo
	s_delay_alu instid0(SALU_CYCLE_1)
	s_and_b32 s2, s2, exec_lo
.LBB1019_58:
	s_or_b32 exec_lo, exec_lo, s3
.LBB1019_59:
	s_and_saveexec_b32 s3, s12
	s_cbranch_execz .LBB1019_61
; %bb.60:
	s_waitcnt vmcnt(0) lgkmcnt(1)
	v_and_b32_e32 v27, 0xffffff00, v25
	v_cndmask_b32_e64 v28, 0, 1, s2
	s_delay_alu instid0(VALU_DEP_1) | instskip(NEXT) | instid1(VALU_DEP_1)
	v_or_b32_e32 v27, v28, v27
	v_and_b32_e32 v27, 0xffff, v27
	s_delay_alu instid0(VALU_DEP_1)
	v_and_or_b32 v25, 0xffff0000, v25, v27
.LBB1019_61:
	s_or_b32 exec_lo, exec_lo, s3
	s_load_b64 s[12:13], s[0:1], 0x68
	s_and_not1_b32 vcc_lo, exec_lo, s20
	s_cbranch_vccnz .LBB1019_63
; %bb.62:
	v_cmp_gt_u32_e32 vcc_lo, s19, v47
	s_waitcnt vmcnt(0) lgkmcnt(0)
	v_or_b32_e32 v28, 1, v47
	v_and_b32_e32 v29, 0xffffff00, v26
	v_or_b32_e32 v30, 2, v47
	v_cndmask_b32_e32 v27, 0, v25, vcc_lo
	s_delay_alu instid0(VALU_DEP_4) | instskip(SKIP_1) | instid1(VALU_DEP_4)
	v_cmp_gt_u32_e32 vcc_lo, s19, v28
	v_or_b32_e32 v28, 4, v47
	v_cmp_gt_u32_e64 s2, s19, v30
	v_or_b32_e32 v30, 3, v47
	v_and_b32_e32 v27, 0xff, v27
	s_delay_alu instid0(VALU_DEP_2) | instskip(NEXT) | instid1(VALU_DEP_2)
	v_cmp_gt_u32_e64 s3, s19, v30
	v_cndmask_b32_e32 v27, v27, v25, vcc_lo
	v_cmp_gt_u32_e32 vcc_lo, s19, v28
	v_cndmask_b32_e32 v28, v29, v26, vcc_lo
	v_or_b32_e32 v29, 5, v47
	s_delay_alu instid0(VALU_DEP_2) | instskip(SKIP_1) | instid1(VALU_DEP_1)
	v_and_b32_e32 v28, 0xffff00ff, v28
	v_and_b32_e32 v27, 0xffff, v27
	v_cndmask_b32_e64 v27, v27, v25, s2
	s_delay_alu instid0(VALU_DEP_4) | instskip(SKIP_1) | instid1(VALU_DEP_3)
	v_cmp_gt_u32_e64 s2, s19, v29
	v_or_b32_e32 v29, 6, v47
	v_and_b32_e32 v27, 0xffffff, v27
	s_delay_alu instid0(VALU_DEP_3) | instskip(NEXT) | instid1(VALU_DEP_2)
	v_cndmask_b32_e64 v28, v28, v26, s2
	v_cndmask_b32_e64 v27, v27, v25, s3
	s_delay_alu instid0(VALU_DEP_1) | instskip(SKIP_2) | instid1(VALU_DEP_3)
	v_dual_cndmask_b32 v27, v27, v25 :: v_dual_and_b32 v28, 0xff00ffff, v28
	v_cmp_gt_u32_e32 vcc_lo, s19, v29
	v_or_b32_e32 v29, 7, v47
	v_cndmask_b32_e64 v27, v27, v25, s2
	s_delay_alu instid0(VALU_DEP_1) | instskip(NEXT) | instid1(VALU_DEP_1)
	v_dual_cndmask_b32 v28, v28, v26 :: v_dual_cndmask_b32 v27, v27, v25
	v_and_b32_e32 v28, 0xffffff, v28
	s_delay_alu instid0(VALU_DEP_4) | instskip(NEXT) | instid1(VALU_DEP_2)
	v_cmp_gt_u32_e32 vcc_lo, s19, v29
	v_dual_cndmask_b32 v26, v28, v26 :: v_dual_cndmask_b32 v25, v27, v25
.LBB1019_63:
	s_delay_alu instid0(VALU_DEP_1) | instskip(SKIP_1) | instid1(VALU_DEP_2)
	v_and_b32_e32 v36, 0xff, v25
	s_waitcnt vmcnt(0) lgkmcnt(0)
	v_alignbit_b32 v27, v26, v25, 24
	v_bfe_u32 v38, v25, 8, 8
	v_bfe_u32 v40, v25, 16, 8
	v_and_b32_e32 v44, 0xff, v26
	v_bfe_u32 v46, v26, 8, 8
	v_and_b32_e32 v42, 0xff, v27
	v_add_nc_u32_e32 v27, v38, v36
	v_mbcnt_lo_u32_b32 v50, -1, 0
	v_bfe_u32 v49, v26, 16, 8
	v_lshrrev_b32_e32 v48, 24, v26
	v_lshrrev_b32_e32 v51, 5, v0
	v_add3_u32 v27, v27, v40, v42
	v_and_b32_e32 v28, 15, v50
	v_and_b32_e32 v29, 16, v50
	s_and_b32 vcc_lo, exec_lo, s9
	s_mov_b32 s19, -1
	v_add3_u32 v27, v27, v44, v46
	v_cmp_eq_u32_e64 s4, 0, v28
	v_cmp_lt_u32_e64 s2, 1, v28
	v_cmp_lt_u32_e64 s5, 3, v28
	;; [unrolled: 1-line block ×3, first 2 shown]
	v_add3_u32 v52, v27, v49, v48
	v_or_b32_e32 v27, 31, v0
	v_cmp_eq_u32_e64 s7, 0, v29
	s_barrier
	buffer_gl0_inv
	v_cmp_eq_u32_e64 s6, v27, v0
	s_cbranch_vccz .LBB1019_89
; %bb.64:
	v_mov_b32_dpp v27, v52 row_shr:1 row_mask:0xf bank_mask:0xf
	s_delay_alu instid0(VALU_DEP_1) | instskip(NEXT) | instid1(VALU_DEP_1)
	v_cndmask_b32_e64 v27, v27, 0, s4
	v_add_nc_u32_e32 v27, v27, v52
	s_delay_alu instid0(VALU_DEP_1) | instskip(NEXT) | instid1(VALU_DEP_1)
	v_mov_b32_dpp v28, v27 row_shr:2 row_mask:0xf bank_mask:0xf
	v_cndmask_b32_e64 v28, 0, v28, s2
	s_delay_alu instid0(VALU_DEP_1) | instskip(NEXT) | instid1(VALU_DEP_1)
	v_add_nc_u32_e32 v27, v27, v28
	v_mov_b32_dpp v28, v27 row_shr:4 row_mask:0xf bank_mask:0xf
	s_delay_alu instid0(VALU_DEP_1) | instskip(NEXT) | instid1(VALU_DEP_1)
	v_cndmask_b32_e64 v28, 0, v28, s5
	v_add_nc_u32_e32 v27, v27, v28
	s_delay_alu instid0(VALU_DEP_1) | instskip(NEXT) | instid1(VALU_DEP_1)
	v_mov_b32_dpp v28, v27 row_shr:8 row_mask:0xf bank_mask:0xf
	v_cndmask_b32_e64 v28, 0, v28, s3
	s_delay_alu instid0(VALU_DEP_1) | instskip(SKIP_3) | instid1(VALU_DEP_1)
	v_add_nc_u32_e32 v27, v27, v28
	ds_swizzle_b32 v28, v27 offset:swizzle(BROADCAST,32,15)
	s_waitcnt lgkmcnt(0)
	v_cndmask_b32_e64 v28, v28, 0, s7
	v_add_nc_u32_e32 v27, v27, v28
	s_and_saveexec_b32 s8, s6
	s_cbranch_execz .LBB1019_66
; %bb.65:
	v_lshlrev_b32_e32 v28, 2, v51
	ds_store_b32 v28, v27
.LBB1019_66:
	s_or_b32 exec_lo, exec_lo, s8
	s_delay_alu instid0(SALU_CYCLE_1)
	s_mov_b32 s8, exec_lo
	s_waitcnt lgkmcnt(0)
	s_barrier
	buffer_gl0_inv
	v_cmpx_gt_u32_e32 16, v0
	s_cbranch_execz .LBB1019_68
; %bb.67:
	v_lshlrev_b32_e32 v28, 2, v0
	ds_load_b32 v29, v28
	s_waitcnt lgkmcnt(0)
	v_mov_b32_dpp v30, v29 row_shr:1 row_mask:0xf bank_mask:0xf
	s_delay_alu instid0(VALU_DEP_1) | instskip(NEXT) | instid1(VALU_DEP_1)
	v_cndmask_b32_e64 v30, v30, 0, s4
	v_add_nc_u32_e32 v29, v30, v29
	s_delay_alu instid0(VALU_DEP_1) | instskip(NEXT) | instid1(VALU_DEP_1)
	v_mov_b32_dpp v30, v29 row_shr:2 row_mask:0xf bank_mask:0xf
	v_cndmask_b32_e64 v30, 0, v30, s2
	s_delay_alu instid0(VALU_DEP_1) | instskip(NEXT) | instid1(VALU_DEP_1)
	v_add_nc_u32_e32 v29, v29, v30
	v_mov_b32_dpp v30, v29 row_shr:4 row_mask:0xf bank_mask:0xf
	s_delay_alu instid0(VALU_DEP_1) | instskip(NEXT) | instid1(VALU_DEP_1)
	v_cndmask_b32_e64 v30, 0, v30, s5
	v_add_nc_u32_e32 v29, v29, v30
	s_delay_alu instid0(VALU_DEP_1) | instskip(NEXT) | instid1(VALU_DEP_1)
	v_mov_b32_dpp v30, v29 row_shr:8 row_mask:0xf bank_mask:0xf
	v_cndmask_b32_e64 v30, 0, v30, s3
	s_delay_alu instid0(VALU_DEP_1)
	v_add_nc_u32_e32 v29, v29, v30
	ds_store_b32 v28, v29
.LBB1019_68:
	s_or_b32 exec_lo, exec_lo, s8
	v_cmp_gt_u32_e32 vcc_lo, 32, v0
	s_mov_b32 s9, exec_lo
	s_waitcnt lgkmcnt(0)
	s_barrier
	buffer_gl0_inv
                                        ; implicit-def: $vgpr35
	v_cmpx_lt_u32_e32 31, v0
	s_cbranch_execz .LBB1019_70
; %bb.69:
	v_lshl_add_u32 v28, v51, 2, -4
	ds_load_b32 v35, v28
	s_waitcnt lgkmcnt(0)
	v_add_nc_u32_e32 v27, v35, v27
.LBB1019_70:
	s_or_b32 exec_lo, exec_lo, s9
	v_add_nc_u32_e32 v28, -1, v50
	s_delay_alu instid0(VALU_DEP_1) | instskip(NEXT) | instid1(VALU_DEP_1)
	v_cmp_gt_i32_e64 s8, 0, v28
	v_cndmask_b32_e64 v28, v28, v50, s8
	v_cmp_eq_u32_e64 s8, 0, v50
	s_delay_alu instid0(VALU_DEP_2)
	v_lshlrev_b32_e32 v28, 2, v28
	ds_bpermute_b32 v37, v28, v27
	s_and_saveexec_b32 s9, vcc_lo
	s_cbranch_execz .LBB1019_88
; %bb.71:
	v_mov_b32_e32 v31, 0
	ds_load_b32 v27, v31 offset:60
	s_and_saveexec_b32 s19, s8
	s_cbranch_execz .LBB1019_73
; %bb.72:
	s_add_i32 s20, s15, 32
	s_mov_b32 s21, 0
	v_mov_b32_e32 v28, 1
	s_lshl_b64 s[20:21], s[20:21], 3
	s_delay_alu instid0(SALU_CYCLE_1)
	s_add_u32 s20, s12, s20
	s_addc_u32 s21, s13, s21
	s_waitcnt lgkmcnt(0)
	global_store_b64 v31, v[27:28], s[20:21]
.LBB1019_73:
	s_or_b32 exec_lo, exec_lo, s19
	v_xad_u32 v29, v50, -1, s15
	s_mov_b32 s20, 0
	s_mov_b32 s19, exec_lo
	s_delay_alu instid0(VALU_DEP_1) | instskip(NEXT) | instid1(VALU_DEP_1)
	v_add_nc_u32_e32 v30, 32, v29
	v_lshlrev_b64 v[30:31], 3, v[30:31]
	s_delay_alu instid0(VALU_DEP_1) | instskip(NEXT) | instid1(VALU_DEP_2)
	v_add_co_u32 v33, vcc_lo, s12, v30
	v_add_co_ci_u32_e32 v34, vcc_lo, s13, v31, vcc_lo
	global_load_b64 v[31:32], v[33:34], off glc
	s_waitcnt vmcnt(0)
	v_and_b32_e32 v28, 0xff, v32
	s_delay_alu instid0(VALU_DEP_1)
	v_cmpx_eq_u16_e32 0, v28
	s_cbranch_execz .LBB1019_76
.LBB1019_74:                            ; =>This Inner Loop Header: Depth=1
	global_load_b64 v[31:32], v[33:34], off glc
	s_waitcnt vmcnt(0)
	v_and_b32_e32 v28, 0xff, v32
	s_delay_alu instid0(VALU_DEP_1) | instskip(SKIP_1) | instid1(SALU_CYCLE_1)
	v_cmp_ne_u16_e32 vcc_lo, 0, v28
	s_or_b32 s20, vcc_lo, s20
	s_and_not1_b32 exec_lo, exec_lo, s20
	s_cbranch_execnz .LBB1019_74
; %bb.75:
	s_or_b32 exec_lo, exec_lo, s20
.LBB1019_76:
	s_delay_alu instid0(SALU_CYCLE_1)
	s_or_b32 exec_lo, exec_lo, s19
	v_cmp_ne_u32_e32 vcc_lo, 31, v50
	v_lshlrev_b32_e64 v41, v50, -1
	v_add_nc_u32_e32 v45, 2, v50
	v_add_nc_u32_e32 v58, 16, v50
	v_add_co_ci_u32_e32 v28, vcc_lo, 0, v50, vcc_lo
	s_delay_alu instid0(VALU_DEP_1)
	v_lshlrev_b32_e32 v39, 2, v28
	v_and_b32_e32 v28, 0xff, v32
	ds_bpermute_b32 v30, v39, v31
	v_cmp_eq_u16_e32 vcc_lo, 2, v28
	v_and_or_b32 v28, vcc_lo, v41, 0x80000000
	v_cmp_gt_u32_e32 vcc_lo, 30, v50
	s_delay_alu instid0(VALU_DEP_2) | instskip(SKIP_1) | instid1(VALU_DEP_2)
	v_ctz_i32_b32_e32 v28, v28
	v_cndmask_b32_e64 v33, 0, 1, vcc_lo
	v_cmp_lt_u32_e32 vcc_lo, v50, v28
	s_waitcnt lgkmcnt(0)
	s_delay_alu instid0(VALU_DEP_2) | instskip(NEXT) | instid1(VALU_DEP_1)
	v_dual_cndmask_b32 v30, 0, v30 :: v_dual_lshlrev_b32 v33, 1, v33
	v_add_lshl_u32 v43, v33, v50, 2
	v_cmp_gt_u32_e32 vcc_lo, 28, v50
	s_delay_alu instid0(VALU_DEP_3) | instskip(SKIP_4) | instid1(VALU_DEP_1)
	v_add_nc_u32_e32 v30, v30, v31
	v_cndmask_b32_e64 v33, 0, 1, vcc_lo
	v_cmp_le_u32_e32 vcc_lo, v45, v28
	ds_bpermute_b32 v31, v43, v30
	v_lshlrev_b32_e32 v33, 2, v33
	v_add_lshl_u32 v53, v33, v50, 2
	s_waitcnt lgkmcnt(0)
	v_cndmask_b32_e32 v31, 0, v31, vcc_lo
	v_cmp_gt_u32_e32 vcc_lo, 24, v50
	s_delay_alu instid0(VALU_DEP_2) | instskip(SKIP_4) | instid1(VALU_DEP_2)
	v_add_nc_u32_e32 v30, v30, v31
	v_cndmask_b32_e64 v33, 0, 1, vcc_lo
	ds_bpermute_b32 v31, v53, v30
	v_add_nc_u32_e32 v54, 4, v50
	v_lshlrev_b32_e32 v33, 3, v33
	v_cmp_le_u32_e32 vcc_lo, v54, v28
	s_delay_alu instid0(VALU_DEP_2) | instskip(SKIP_3) | instid1(VALU_DEP_2)
	v_add_lshl_u32 v55, v33, v50, 2
	s_waitcnt lgkmcnt(0)
	v_cndmask_b32_e32 v31, 0, v31, vcc_lo
	v_cmp_gt_u32_e32 vcc_lo, 16, v50
	v_add_nc_u32_e32 v30, v30, v31
	v_cndmask_b32_e64 v33, 0, 1, vcc_lo
	ds_bpermute_b32 v31, v55, v30
	v_add_nc_u32_e32 v56, 8, v50
	v_lshlrev_b32_e32 v33, 4, v33
	s_delay_alu instid0(VALU_DEP_2) | instskip(NEXT) | instid1(VALU_DEP_2)
	v_cmp_le_u32_e32 vcc_lo, v56, v28
	v_add_lshl_u32 v57, v33, v50, 2
	s_waitcnt lgkmcnt(0)
	v_cndmask_b32_e32 v31, 0, v31, vcc_lo
	v_cmp_le_u32_e32 vcc_lo, v58, v28
	s_delay_alu instid0(VALU_DEP_2) | instskip(SKIP_3) | instid1(VALU_DEP_1)
	v_add_nc_u32_e32 v30, v30, v31
	ds_bpermute_b32 v31, v57, v30
	s_waitcnt lgkmcnt(0)
	v_cndmask_b32_e32 v28, 0, v31, vcc_lo
	v_dual_mov_b32 v30, 0 :: v_dual_add_nc_u32 v31, v30, v28
	s_branch .LBB1019_78
.LBB1019_77:                            ;   in Loop: Header=BB1019_78 Depth=1
	s_or_b32 exec_lo, exec_lo, s19
	ds_bpermute_b32 v34, v39, v31
	v_and_b32_e32 v33, 0xff, v32
	v_subrev_nc_u32_e32 v29, 32, v29
	s_delay_alu instid0(VALU_DEP_2) | instskip(SKIP_1) | instid1(VALU_DEP_1)
	v_cmp_eq_u16_e32 vcc_lo, 2, v33
	v_and_or_b32 v33, vcc_lo, v41, 0x80000000
	v_ctz_i32_b32_e32 v33, v33
	s_delay_alu instid0(VALU_DEP_1) | instskip(SKIP_3) | instid1(VALU_DEP_2)
	v_cmp_lt_u32_e32 vcc_lo, v50, v33
	s_waitcnt lgkmcnt(0)
	v_cndmask_b32_e32 v34, 0, v34, vcc_lo
	v_cmp_le_u32_e32 vcc_lo, v45, v33
	v_add_nc_u32_e32 v31, v34, v31
	ds_bpermute_b32 v34, v43, v31
	s_waitcnt lgkmcnt(0)
	v_cndmask_b32_e32 v34, 0, v34, vcc_lo
	v_cmp_le_u32_e32 vcc_lo, v54, v33
	s_delay_alu instid0(VALU_DEP_2) | instskip(SKIP_4) | instid1(VALU_DEP_2)
	v_add_nc_u32_e32 v31, v31, v34
	ds_bpermute_b32 v34, v53, v31
	s_waitcnt lgkmcnt(0)
	v_cndmask_b32_e32 v34, 0, v34, vcc_lo
	v_cmp_le_u32_e32 vcc_lo, v56, v33
	v_add_nc_u32_e32 v31, v31, v34
	ds_bpermute_b32 v34, v55, v31
	s_waitcnt lgkmcnt(0)
	v_cndmask_b32_e32 v34, 0, v34, vcc_lo
	v_cmp_le_u32_e32 vcc_lo, v58, v33
	s_delay_alu instid0(VALU_DEP_2) | instskip(SKIP_3) | instid1(VALU_DEP_1)
	v_add_nc_u32_e32 v31, v31, v34
	ds_bpermute_b32 v34, v57, v31
	s_waitcnt lgkmcnt(0)
	v_cndmask_b32_e32 v33, 0, v34, vcc_lo
	v_add3_u32 v31, v33, v28, v31
.LBB1019_78:                            ; =>This Loop Header: Depth=1
                                        ;     Child Loop BB1019_81 Depth 2
	v_and_b32_e32 v28, 0xff, v32
	s_delay_alu instid0(VALU_DEP_1) | instskip(SKIP_2) | instid1(VALU_DEP_1)
	v_cmp_ne_u16_e32 vcc_lo, 2, v28
	v_cndmask_b32_e64 v28, 0, 1, vcc_lo
	;;#ASMSTART
	;;#ASMEND
	v_cmp_ne_u32_e32 vcc_lo, 0, v28
	v_mov_b32_e32 v28, v31
	s_cmp_lg_u32 vcc_lo, exec_lo
	s_cbranch_scc1 .LBB1019_83
; %bb.79:                               ;   in Loop: Header=BB1019_78 Depth=1
	v_lshlrev_b64 v[31:32], 3, v[29:30]
	s_mov_b32 s19, exec_lo
	s_delay_alu instid0(VALU_DEP_1) | instskip(NEXT) | instid1(VALU_DEP_2)
	v_add_co_u32 v33, vcc_lo, s12, v31
	v_add_co_ci_u32_e32 v34, vcc_lo, s13, v32, vcc_lo
	global_load_b64 v[31:32], v[33:34], off glc
	s_waitcnt vmcnt(0)
	v_and_b32_e32 v59, 0xff, v32
	s_delay_alu instid0(VALU_DEP_1)
	v_cmpx_eq_u16_e32 0, v59
	s_cbranch_execz .LBB1019_77
; %bb.80:                               ;   in Loop: Header=BB1019_78 Depth=1
	s_mov_b32 s20, 0
.LBB1019_81:                            ;   Parent Loop BB1019_78 Depth=1
                                        ; =>  This Inner Loop Header: Depth=2
	global_load_b64 v[31:32], v[33:34], off glc
	s_waitcnt vmcnt(0)
	v_and_b32_e32 v59, 0xff, v32
	s_delay_alu instid0(VALU_DEP_1) | instskip(SKIP_1) | instid1(SALU_CYCLE_1)
	v_cmp_ne_u16_e32 vcc_lo, 0, v59
	s_or_b32 s20, vcc_lo, s20
	s_and_not1_b32 exec_lo, exec_lo, s20
	s_cbranch_execnz .LBB1019_81
; %bb.82:                               ;   in Loop: Header=BB1019_78 Depth=1
	s_or_b32 exec_lo, exec_lo, s20
	s_branch .LBB1019_77
.LBB1019_83:                            ;   in Loop: Header=BB1019_78 Depth=1
                                        ; implicit-def: $vgpr31
                                        ; implicit-def: $vgpr32
	s_cbranch_execz .LBB1019_78
; %bb.84:
	s_and_saveexec_b32 s19, s8
	s_cbranch_execz .LBB1019_86
; %bb.85:
	s_add_i32 s20, s15, 32
	s_mov_b32 s21, 0
	v_dual_mov_b32 v30, 2 :: v_dual_add_nc_u32 v29, v28, v27
	s_lshl_b64 s[20:21], s[20:21], 3
	v_mov_b32_e32 v31, 0
	s_add_u32 s20, s12, s20
	s_addc_u32 s21, s13, s21
	global_store_b64 v31, v[29:30], s[20:21]
	ds_store_b64 v31, v[27:28] offset:33792
.LBB1019_86:
	s_or_b32 exec_lo, exec_lo, s19
	v_cmp_eq_u32_e32 vcc_lo, 0, v0
	s_and_b32 exec_lo, exec_lo, vcc_lo
	s_cbranch_execz .LBB1019_88
; %bb.87:
	v_mov_b32_e32 v27, 0
	ds_store_b32 v27, v28 offset:60
.LBB1019_88:
	s_or_b32 exec_lo, exec_lo, s9
	v_mov_b32_e32 v27, 0
	s_waitcnt lgkmcnt(0)
	s_waitcnt_vscnt null, 0x0
	s_barrier
	buffer_gl0_inv
	v_cndmask_b32_e64 v29, v37, v35, s8
	ds_load_b32 v28, v27 offset:60
	v_cmp_ne_u32_e32 vcc_lo, 0, v0
	s_waitcnt lgkmcnt(0)
	s_barrier
	buffer_gl0_inv
	v_cndmask_b32_e32 v29, 0, v29, vcc_lo
	s_delay_alu instid0(VALU_DEP_1) | instskip(SKIP_2) | instid1(VALU_DEP_1)
	v_add_nc_u32_e32 v45, v28, v29
	ds_load_b64 v[27:28], v27 offset:33792
	v_add_nc_u32_e32 v43, v45, v36
	v_add_nc_u32_e32 v41, v43, v38
	s_delay_alu instid0(VALU_DEP_1) | instskip(NEXT) | instid1(VALU_DEP_1)
	v_add_nc_u32_e32 v39, v41, v40
	v_add_nc_u32_e32 v37, v39, v42
	s_delay_alu instid0(VALU_DEP_1) | instskip(NEXT) | instid1(VALU_DEP_1)
	v_add_nc_u32_e32 v35, v37, v44
	v_add_nc_u32_e32 v33, v35, v46
	s_delay_alu instid0(VALU_DEP_1)
	v_add_nc_u32_e32 v31, v33, v49
	s_load_b64 s[8:9], s[0:1], 0x28
	v_lshrrev_b64 v[29:30], 24, v[25:26]
	s_branch .LBB1019_99
.LBB1019_89:
                                        ; implicit-def: $vgpr31
                                        ; implicit-def: $vgpr33
                                        ; implicit-def: $vgpr35
                                        ; implicit-def: $vgpr37
                                        ; implicit-def: $vgpr39
                                        ; implicit-def: $vgpr41
                                        ; implicit-def: $vgpr43
                                        ; implicit-def: $vgpr45
                                        ; implicit-def: $vgpr28
	s_load_b64 s[8:9], s[0:1], 0x28
	v_lshrrev_b64 v[29:30], 24, v[25:26]
	s_and_b32 vcc_lo, exec_lo, s19
	s_cbranch_vccz .LBB1019_99
; %bb.90:
	s_waitcnt lgkmcnt(0)
	v_mov_b32_dpp v27, v52 row_shr:1 row_mask:0xf bank_mask:0xf
	s_delay_alu instid0(VALU_DEP_1) | instskip(NEXT) | instid1(VALU_DEP_1)
	v_cndmask_b32_e64 v27, v27, 0, s4
	v_add_nc_u32_e32 v27, v27, v52
	s_delay_alu instid0(VALU_DEP_1) | instskip(NEXT) | instid1(VALU_DEP_1)
	v_mov_b32_dpp v28, v27 row_shr:2 row_mask:0xf bank_mask:0xf
	v_cndmask_b32_e64 v28, 0, v28, s2
	s_delay_alu instid0(VALU_DEP_1) | instskip(NEXT) | instid1(VALU_DEP_1)
	v_add_nc_u32_e32 v27, v27, v28
	v_mov_b32_dpp v28, v27 row_shr:4 row_mask:0xf bank_mask:0xf
	s_delay_alu instid0(VALU_DEP_1) | instskip(NEXT) | instid1(VALU_DEP_1)
	v_cndmask_b32_e64 v28, 0, v28, s5
	v_add_nc_u32_e32 v27, v27, v28
	s_delay_alu instid0(VALU_DEP_1) | instskip(NEXT) | instid1(VALU_DEP_1)
	v_mov_b32_dpp v28, v27 row_shr:8 row_mask:0xf bank_mask:0xf
	v_cndmask_b32_e64 v28, 0, v28, s3
	s_delay_alu instid0(VALU_DEP_1) | instskip(SKIP_3) | instid1(VALU_DEP_1)
	v_add_nc_u32_e32 v27, v27, v28
	ds_swizzle_b32 v28, v27 offset:swizzle(BROADCAST,32,15)
	s_waitcnt lgkmcnt(0)
	v_cndmask_b32_e64 v28, v28, 0, s7
	v_add_nc_u32_e32 v27, v27, v28
	s_and_saveexec_b32 s0, s6
	s_cbranch_execz .LBB1019_92
; %bb.91:
	v_lshlrev_b32_e32 v28, 2, v51
	ds_store_b32 v28, v27
.LBB1019_92:
	s_or_b32 exec_lo, exec_lo, s0
	s_delay_alu instid0(SALU_CYCLE_1)
	s_mov_b32 s0, exec_lo
	s_waitcnt lgkmcnt(0)
	s_barrier
	buffer_gl0_inv
	v_cmpx_gt_u32_e32 16, v0
	s_cbranch_execz .LBB1019_94
; %bb.93:
	v_lshlrev_b32_e32 v28, 2, v0
	ds_load_b32 v30, v28
	s_waitcnt lgkmcnt(0)
	v_mov_b32_dpp v31, v30 row_shr:1 row_mask:0xf bank_mask:0xf
	s_delay_alu instid0(VALU_DEP_1) | instskip(NEXT) | instid1(VALU_DEP_1)
	v_cndmask_b32_e64 v31, v31, 0, s4
	v_add_nc_u32_e32 v30, v31, v30
	s_delay_alu instid0(VALU_DEP_1) | instskip(NEXT) | instid1(VALU_DEP_1)
	v_mov_b32_dpp v31, v30 row_shr:2 row_mask:0xf bank_mask:0xf
	v_cndmask_b32_e64 v31, 0, v31, s2
	s_delay_alu instid0(VALU_DEP_1) | instskip(NEXT) | instid1(VALU_DEP_1)
	v_add_nc_u32_e32 v30, v30, v31
	v_mov_b32_dpp v31, v30 row_shr:4 row_mask:0xf bank_mask:0xf
	s_delay_alu instid0(VALU_DEP_1) | instskip(NEXT) | instid1(VALU_DEP_1)
	v_cndmask_b32_e64 v31, 0, v31, s5
	v_add_nc_u32_e32 v30, v30, v31
	s_delay_alu instid0(VALU_DEP_1) | instskip(NEXT) | instid1(VALU_DEP_1)
	v_mov_b32_dpp v31, v30 row_shr:8 row_mask:0xf bank_mask:0xf
	v_cndmask_b32_e64 v31, 0, v31, s3
	s_delay_alu instid0(VALU_DEP_1)
	v_add_nc_u32_e32 v30, v30, v31
	ds_store_b32 v28, v30
.LBB1019_94:
	s_or_b32 exec_lo, exec_lo, s0
	v_mov_b32_e32 v28, 0
	v_mov_b32_e32 v30, 0
	s_mov_b32 s0, exec_lo
	s_waitcnt lgkmcnt(0)
	s_barrier
	buffer_gl0_inv
	v_cmpx_lt_u32_e32 31, v0
	s_cbranch_execz .LBB1019_96
; %bb.95:
	v_lshl_add_u32 v30, v51, 2, -4
	ds_load_b32 v30, v30
.LBB1019_96:
	s_or_b32 exec_lo, exec_lo, s0
	v_add_nc_u32_e32 v31, -1, v50
	s_waitcnt lgkmcnt(0)
	v_add_nc_u32_e32 v27, v30, v27
	s_delay_alu instid0(VALU_DEP_2) | instskip(SKIP_2) | instid1(VALU_DEP_2)
	v_cmp_gt_i32_e32 vcc_lo, 0, v31
	v_cndmask_b32_e32 v31, v31, v50, vcc_lo
	v_cmp_eq_u32_e32 vcc_lo, 0, v0
	v_lshlrev_b32_e32 v31, 2, v31
	ds_bpermute_b32 v31, v31, v27
	ds_load_b32 v27, v28 offset:60
	s_and_saveexec_b32 s0, vcc_lo
	s_cbranch_execz .LBB1019_98
; %bb.97:
	v_mov_b32_e32 v32, 0
	v_mov_b32_e32 v28, 2
	s_waitcnt lgkmcnt(0)
	global_store_b64 v32, v[27:28], s[12:13] offset:256
.LBB1019_98:
	s_or_b32 exec_lo, exec_lo, s0
	v_cmp_eq_u32_e64 s0, 0, v50
	s_waitcnt lgkmcnt(0)
	s_waitcnt_vscnt null, 0x0
	s_barrier
	buffer_gl0_inv
	v_cndmask_b32_e64 v28, v31, v30, s0
	s_delay_alu instid0(VALU_DEP_1) | instskip(NEXT) | instid1(VALU_DEP_1)
	v_cndmask_b32_e64 v45, v28, 0, vcc_lo
	v_dual_mov_b32 v28, 0 :: v_dual_add_nc_u32 v43, v45, v36
	s_delay_alu instid0(VALU_DEP_1) | instskip(NEXT) | instid1(VALU_DEP_1)
	v_add_nc_u32_e32 v41, v43, v38
	v_add_nc_u32_e32 v39, v41, v40
	s_delay_alu instid0(VALU_DEP_1) | instskip(NEXT) | instid1(VALU_DEP_1)
	v_add_nc_u32_e32 v37, v39, v42
	v_add_nc_u32_e32 v35, v37, v44
	;; [unrolled: 3-line block ×3, first 2 shown]
.LBB1019_99:
	s_waitcnt lgkmcnt(0)
	v_cmp_gt_u32_e32 vcc_lo, 0x201, v27
	v_lshrrev_b32_e32 v51, 8, v25
	v_lshrrev_b32_e32 v50, 16, v25
	;; [unrolled: 1-line block ×4, first 2 shown]
	v_cmp_lt_u32_e64 s0, 0x200, v27
	s_mov_b32 s1, -1
	s_cbranch_vccz .LBB1019_125
; %bb.100:
	v_add_nc_u32_e32 v32, v28, v27
	s_lshl_b64 s[2:3], s[10:11], 3
	s_delay_alu instid0(SALU_CYCLE_1) | instskip(SKIP_1) | instid1(VALU_DEP_1)
	s_add_u32 s1, s8, s2
	s_addc_u32 s2, s9, s3
	v_cmp_lt_u32_e32 vcc_lo, v45, v32
	s_or_b32 s4, s18, vcc_lo
	s_delay_alu instid0(SALU_CYCLE_1)
	s_and_saveexec_b32 s3, s4
	s_cbranch_execz .LBB1019_103
; %bb.101:
	v_and_b32_e32 v34, 1, v25
	s_delay_alu instid0(VALU_DEP_1)
	v_cmp_eq_u32_e32 vcc_lo, 1, v34
	s_and_b32 exec_lo, exec_lo, vcc_lo
	s_cbranch_execz .LBB1019_103
; %bb.102:
	v_mov_b32_e32 v46, 0
	s_delay_alu instid0(VALU_DEP_1) | instskip(NEXT) | instid1(VALU_DEP_1)
	v_lshlrev_b64 v[52:53], 3, v[45:46]
	v_add_co_u32 v52, vcc_lo, s1, v52
	s_delay_alu instid0(VALU_DEP_2)
	v_add_co_ci_u32_e32 v53, vcc_lo, s2, v53, vcc_lo
	global_store_b64 v[52:53], v[13:14], off
.LBB1019_103:
	s_or_b32 exec_lo, exec_lo, s3
	v_cmp_lt_u32_e32 vcc_lo, v43, v32
	s_or_b32 s4, s18, vcc_lo
	s_delay_alu instid0(SALU_CYCLE_1)
	s_and_saveexec_b32 s3, s4
	s_cbranch_execz .LBB1019_106
; %bb.104:
	v_and_b32_e32 v34, 1, v51
	s_delay_alu instid0(VALU_DEP_1)
	v_cmp_eq_u32_e32 vcc_lo, 1, v34
	s_and_b32 exec_lo, exec_lo, vcc_lo
	s_cbranch_execz .LBB1019_106
; %bb.105:
	v_mov_b32_e32 v44, 0
	s_delay_alu instid0(VALU_DEP_1) | instskip(NEXT) | instid1(VALU_DEP_1)
	v_lshlrev_b64 v[52:53], 3, v[43:44]
	v_add_co_u32 v52, vcc_lo, s1, v52
	s_delay_alu instid0(VALU_DEP_2)
	v_add_co_ci_u32_e32 v53, vcc_lo, s2, v53, vcc_lo
	global_store_b64 v[52:53], v[15:16], off
.LBB1019_106:
	s_or_b32 exec_lo, exec_lo, s3
	;; [unrolled: 21-line block ×8, first 2 shown]
	s_mov_b32 s1, 0
.LBB1019_125:
	v_and_b32_e32 v25, 1, v25
	s_and_b32 vcc_lo, exec_lo, s1
	s_delay_alu instid0(VALU_DEP_1)
	v_cmp_eq_u32_e64 s1, 1, v25
	s_cbranch_vccz .LBB1019_146
; %bb.126:
	s_delay_alu instid0(VALU_DEP_1)
	s_and_saveexec_b32 s2, s1
	s_cbranch_execz .LBB1019_128
; %bb.127:
	v_sub_nc_u32_e32 v32, v45, v28
	s_delay_alu instid0(VALU_DEP_1)
	v_lshlrev_b32_e32 v32, 3, v32
	ds_store_b64 v32, v[13:14]
.LBB1019_128:
	s_or_b32 exec_lo, exec_lo, s2
	v_and_b32_e32 v13, 1, v51
	s_mov_b32 s1, exec_lo
	s_delay_alu instid0(VALU_DEP_1)
	v_cmpx_eq_u32_e32 1, v13
	s_cbranch_execz .LBB1019_130
; %bb.129:
	v_sub_nc_u32_e32 v13, v43, v28
	s_delay_alu instid0(VALU_DEP_1)
	v_lshlrev_b32_e32 v13, 3, v13
	ds_store_b64 v13, v[15:16]
.LBB1019_130:
	s_or_b32 exec_lo, exec_lo, s1
	v_and_b32_e32 v13, 1, v50
	s_mov_b32 s1, exec_lo
	s_delay_alu instid0(VALU_DEP_1)
	v_cmpx_eq_u32_e32 1, v13
	;; [unrolled: 12-line block ×7, first 2 shown]
	s_cbranch_execz .LBB1019_142
; %bb.141:
	v_sub_nc_u32_e32 v1, v31, v28
	s_delay_alu instid0(VALU_DEP_1)
	v_lshlrev_b32_e32 v1, 3, v1
	ds_store_b64 v1, v[3:4]
.LBB1019_142:
	s_or_b32 exec_lo, exec_lo, s1
	s_delay_alu instid0(SALU_CYCLE_1)
	s_mov_b32 s2, exec_lo
	s_waitcnt lgkmcnt(0)
	s_waitcnt_vscnt null, 0x0
	s_barrier
	buffer_gl0_inv
	v_cmpx_lt_u32_e64 v0, v27
	s_cbranch_execz .LBB1019_145
; %bb.143:
	v_dual_mov_b32 v2, 0 :: v_dual_mov_b32 v1, v28
	s_lshl_b64 s[4:5], s[10:11], 3
	v_mov_b32_e32 v3, v0
	s_mov_b32 s3, 0
	s_delay_alu instid0(VALU_DEP_2) | instskip(NEXT) | instid1(VALU_DEP_1)
	v_lshlrev_b64 v[1:2], 3, v[1:2]
	v_add_co_u32 v1, vcc_lo, s4, v1
	s_delay_alu instid0(VALU_DEP_2) | instskip(NEXT) | instid1(VALU_DEP_2)
	v_add_co_ci_u32_e32 v2, vcc_lo, s5, v2, vcc_lo
	v_add_co_u32 v1, vcc_lo, s8, v1
	s_delay_alu instid0(VALU_DEP_2) | instskip(NEXT) | instid1(VALU_DEP_2)
	v_add_co_ci_u32_e32 v2, vcc_lo, s9, v2, vcc_lo
	v_add_co_u32 v1, vcc_lo, v1, v47
	s_delay_alu instid0(VALU_DEP_2)
	v_add_co_ci_u32_e32 v2, vcc_lo, 0, v2, vcc_lo
	.p2align	6
.LBB1019_144:                           ; =>This Inner Loop Header: Depth=1
	ds_load_b64 v[4:5], v47
	v_add_nc_u32_e32 v3, 0x200, v3
	v_add_nc_u32_e32 v47, 0x1000, v47
	s_delay_alu instid0(VALU_DEP_2) | instskip(SKIP_4) | instid1(VALU_DEP_1)
	v_cmp_ge_u32_e32 vcc_lo, v3, v27
	s_or_b32 s3, vcc_lo, s3
	s_waitcnt lgkmcnt(0)
	global_store_b64 v[1:2], v[4:5], off
	v_add_co_u32 v1, s1, 0x1000, v1
	v_add_co_ci_u32_e64 v2, s1, 0, v2, s1
	s_and_not1_b32 exec_lo, exec_lo, s3
	s_cbranch_execnz .LBB1019_144
.LBB1019_145:
	s_or_b32 exec_lo, exec_lo, s2
.LBB1019_146:
	s_delay_alu instid0(SALU_CYCLE_1)
	s_and_not1_b32 vcc_lo, exec_lo, s0
	s_waitcnt_vscnt null, 0x0
	s_barrier
	buffer_gl0_inv
	s_cbranch_vccnz .LBB1019_165
; %bb.147:
	s_mov_b32 s0, exec_lo
	v_cmpx_eq_u32_e32 1, v25
	s_cbranch_execz .LBB1019_149
; %bb.148:
	v_sub_nc_u32_e32 v1, v45, v28
	s_delay_alu instid0(VALU_DEP_1)
	v_lshlrev_b32_e32 v1, 2, v1
	ds_store_b32 v1, v23
.LBB1019_149:
	s_or_b32 exec_lo, exec_lo, s0
	v_and_b32_e32 v1, 1, v51
	s_mov_b32 s0, exec_lo
	s_delay_alu instid0(VALU_DEP_1)
	v_cmpx_eq_u32_e32 1, v1
	s_cbranch_execz .LBB1019_151
; %bb.150:
	v_sub_nc_u32_e32 v1, v43, v28
	s_delay_alu instid0(VALU_DEP_1)
	v_lshlrev_b32_e32 v1, 2, v1
	ds_store_b32 v1, v24
.LBB1019_151:
	s_or_b32 exec_lo, exec_lo, s0
	v_and_b32_e32 v1, 1, v50
	s_mov_b32 s0, exec_lo
	s_delay_alu instid0(VALU_DEP_1)
	;; [unrolled: 12-line block ×7, first 2 shown]
	v_cmpx_eq_u32_e32 1, v1
	s_cbranch_execz .LBB1019_163
; %bb.162:
	v_sub_nc_u32_e32 v1, v31, v28
	s_delay_alu instid0(VALU_DEP_1)
	v_lshlrev_b32_e32 v1, 2, v1
	ds_store_b32 v1, v18
.LBB1019_163:
	s_or_b32 exec_lo, exec_lo, s0
	s_waitcnt lgkmcnt(0)
	s_barrier
	buffer_gl0_inv
	v_cmp_eq_u32_e32 vcc_lo, 0, v0
	s_and_b32 s0, vcc_lo, s14
	s_delay_alu instid0(SALU_CYCLE_1)
	s_and_saveexec_b32 s1, s0
	s_cbranch_execnz .LBB1019_166
.LBB1019_164:
	s_endpgm
.LBB1019_165:
	v_cmp_eq_u32_e32 vcc_lo, 0, v0
	s_and_b32 s0, vcc_lo, s14
	s_delay_alu instid0(SALU_CYCLE_1)
	s_and_saveexec_b32 s1, s0
	s_cbranch_execz .LBB1019_164
.LBB1019_166:
	v_add_co_u32 v0, s0, s10, v27
	s_delay_alu instid0(VALU_DEP_1) | instskip(SKIP_1) | instid1(VALU_DEP_3)
	v_add_co_ci_u32_e64 v1, null, s11, 0, s0
	v_mov_b32_e32 v2, 0
	v_add_co_u32 v0, vcc_lo, v0, v28
	s_delay_alu instid0(VALU_DEP_3)
	v_add_co_ci_u32_e32 v1, vcc_lo, 0, v1, vcc_lo
	global_store_b64 v2, v[0:1], s[16:17]
	s_nop 0
	s_sendmsg sendmsg(MSG_DEALLOC_VGPRS)
	s_endpgm
	.section	.rodata,"a",@progbits
	.p2align	6, 0x0
	.amdhsa_kernel _ZN7rocprim17ROCPRIM_400000_NS6detail17trampoline_kernelINS0_14default_configENS1_25partition_config_selectorILNS1_17partition_subalgoE9ExjbEEZZNS1_14partition_implILS5_9ELb0ES3_jN6thrust23THRUST_200600_302600_NS6detail15normal_iteratorINS9_10device_ptrIxEEEENSB_INSC_IjEEEEPNS0_10empty_typeENS0_5tupleIJSE_SH_EEENSJ_IJNS9_16discard_iteratorINS9_11use_defaultEEESI_EEENS0_18inequality_wrapperINS9_8equal_toIxEEEEPmJSH_EEE10hipError_tPvRmT3_T4_T5_T6_T7_T9_mT8_P12ihipStream_tbDpT10_ENKUlT_T0_E_clISt17integral_constantIbLb0EES1D_EEDaS18_S19_EUlS18_E_NS1_11comp_targetILNS1_3genE9ELNS1_11target_archE1100ELNS1_3gpuE3ELNS1_3repE0EEENS1_30default_config_static_selectorELNS0_4arch9wavefront6targetE0EEEvT1_
		.amdhsa_group_segment_fixed_size 33800
		.amdhsa_private_segment_fixed_size 0
		.amdhsa_kernarg_size 120
		.amdhsa_user_sgpr_count 15
		.amdhsa_user_sgpr_dispatch_ptr 0
		.amdhsa_user_sgpr_queue_ptr 0
		.amdhsa_user_sgpr_kernarg_segment_ptr 1
		.amdhsa_user_sgpr_dispatch_id 0
		.amdhsa_user_sgpr_private_segment_size 0
		.amdhsa_wavefront_size32 1
		.amdhsa_uses_dynamic_stack 0
		.amdhsa_enable_private_segment 0
		.amdhsa_system_sgpr_workgroup_id_x 1
		.amdhsa_system_sgpr_workgroup_id_y 0
		.amdhsa_system_sgpr_workgroup_id_z 0
		.amdhsa_system_sgpr_workgroup_info 0
		.amdhsa_system_vgpr_workitem_id 0
		.amdhsa_next_free_vgpr 60
		.amdhsa_next_free_sgpr 24
		.amdhsa_reserve_vcc 1
		.amdhsa_float_round_mode_32 0
		.amdhsa_float_round_mode_16_64 0
		.amdhsa_float_denorm_mode_32 3
		.amdhsa_float_denorm_mode_16_64 3
		.amdhsa_dx10_clamp 1
		.amdhsa_ieee_mode 1
		.amdhsa_fp16_overflow 0
		.amdhsa_workgroup_processor_mode 1
		.amdhsa_memory_ordered 1
		.amdhsa_forward_progress 0
		.amdhsa_shared_vgpr_count 0
		.amdhsa_exception_fp_ieee_invalid_op 0
		.amdhsa_exception_fp_denorm_src 0
		.amdhsa_exception_fp_ieee_div_zero 0
		.amdhsa_exception_fp_ieee_overflow 0
		.amdhsa_exception_fp_ieee_underflow 0
		.amdhsa_exception_fp_ieee_inexact 0
		.amdhsa_exception_int_div_zero 0
	.end_amdhsa_kernel
	.section	.text._ZN7rocprim17ROCPRIM_400000_NS6detail17trampoline_kernelINS0_14default_configENS1_25partition_config_selectorILNS1_17partition_subalgoE9ExjbEEZZNS1_14partition_implILS5_9ELb0ES3_jN6thrust23THRUST_200600_302600_NS6detail15normal_iteratorINS9_10device_ptrIxEEEENSB_INSC_IjEEEEPNS0_10empty_typeENS0_5tupleIJSE_SH_EEENSJ_IJNS9_16discard_iteratorINS9_11use_defaultEEESI_EEENS0_18inequality_wrapperINS9_8equal_toIxEEEEPmJSH_EEE10hipError_tPvRmT3_T4_T5_T6_T7_T9_mT8_P12ihipStream_tbDpT10_ENKUlT_T0_E_clISt17integral_constantIbLb0EES1D_EEDaS18_S19_EUlS18_E_NS1_11comp_targetILNS1_3genE9ELNS1_11target_archE1100ELNS1_3gpuE3ELNS1_3repE0EEENS1_30default_config_static_selectorELNS0_4arch9wavefront6targetE0EEEvT1_,"axG",@progbits,_ZN7rocprim17ROCPRIM_400000_NS6detail17trampoline_kernelINS0_14default_configENS1_25partition_config_selectorILNS1_17partition_subalgoE9ExjbEEZZNS1_14partition_implILS5_9ELb0ES3_jN6thrust23THRUST_200600_302600_NS6detail15normal_iteratorINS9_10device_ptrIxEEEENSB_INSC_IjEEEEPNS0_10empty_typeENS0_5tupleIJSE_SH_EEENSJ_IJNS9_16discard_iteratorINS9_11use_defaultEEESI_EEENS0_18inequality_wrapperINS9_8equal_toIxEEEEPmJSH_EEE10hipError_tPvRmT3_T4_T5_T6_T7_T9_mT8_P12ihipStream_tbDpT10_ENKUlT_T0_E_clISt17integral_constantIbLb0EES1D_EEDaS18_S19_EUlS18_E_NS1_11comp_targetILNS1_3genE9ELNS1_11target_archE1100ELNS1_3gpuE3ELNS1_3repE0EEENS1_30default_config_static_selectorELNS0_4arch9wavefront6targetE0EEEvT1_,comdat
.Lfunc_end1019:
	.size	_ZN7rocprim17ROCPRIM_400000_NS6detail17trampoline_kernelINS0_14default_configENS1_25partition_config_selectorILNS1_17partition_subalgoE9ExjbEEZZNS1_14partition_implILS5_9ELb0ES3_jN6thrust23THRUST_200600_302600_NS6detail15normal_iteratorINS9_10device_ptrIxEEEENSB_INSC_IjEEEEPNS0_10empty_typeENS0_5tupleIJSE_SH_EEENSJ_IJNS9_16discard_iteratorINS9_11use_defaultEEESI_EEENS0_18inequality_wrapperINS9_8equal_toIxEEEEPmJSH_EEE10hipError_tPvRmT3_T4_T5_T6_T7_T9_mT8_P12ihipStream_tbDpT10_ENKUlT_T0_E_clISt17integral_constantIbLb0EES1D_EEDaS18_S19_EUlS18_E_NS1_11comp_targetILNS1_3genE9ELNS1_11target_archE1100ELNS1_3gpuE3ELNS1_3repE0EEENS1_30default_config_static_selectorELNS0_4arch9wavefront6targetE0EEEvT1_, .Lfunc_end1019-_ZN7rocprim17ROCPRIM_400000_NS6detail17trampoline_kernelINS0_14default_configENS1_25partition_config_selectorILNS1_17partition_subalgoE9ExjbEEZZNS1_14partition_implILS5_9ELb0ES3_jN6thrust23THRUST_200600_302600_NS6detail15normal_iteratorINS9_10device_ptrIxEEEENSB_INSC_IjEEEEPNS0_10empty_typeENS0_5tupleIJSE_SH_EEENSJ_IJNS9_16discard_iteratorINS9_11use_defaultEEESI_EEENS0_18inequality_wrapperINS9_8equal_toIxEEEEPmJSH_EEE10hipError_tPvRmT3_T4_T5_T6_T7_T9_mT8_P12ihipStream_tbDpT10_ENKUlT_T0_E_clISt17integral_constantIbLb0EES1D_EEDaS18_S19_EUlS18_E_NS1_11comp_targetILNS1_3genE9ELNS1_11target_archE1100ELNS1_3gpuE3ELNS1_3repE0EEENS1_30default_config_static_selectorELNS0_4arch9wavefront6targetE0EEEvT1_
                                        ; -- End function
	.section	.AMDGPU.csdata,"",@progbits
; Kernel info:
; codeLenInByte = 8472
; NumSgprs: 26
; NumVgprs: 60
; ScratchSize: 0
; MemoryBound: 0
; FloatMode: 240
; IeeeMode: 1
; LDSByteSize: 33800 bytes/workgroup (compile time only)
; SGPRBlocks: 3
; VGPRBlocks: 7
; NumSGPRsForWavesPerEU: 26
; NumVGPRsForWavesPerEU: 60
; Occupancy: 12
; WaveLimiterHint : 1
; COMPUTE_PGM_RSRC2:SCRATCH_EN: 0
; COMPUTE_PGM_RSRC2:USER_SGPR: 15
; COMPUTE_PGM_RSRC2:TRAP_HANDLER: 0
; COMPUTE_PGM_RSRC2:TGID_X_EN: 1
; COMPUTE_PGM_RSRC2:TGID_Y_EN: 0
; COMPUTE_PGM_RSRC2:TGID_Z_EN: 0
; COMPUTE_PGM_RSRC2:TIDIG_COMP_CNT: 0
	.section	.text._ZN7rocprim17ROCPRIM_400000_NS6detail17trampoline_kernelINS0_14default_configENS1_25partition_config_selectorILNS1_17partition_subalgoE9ExjbEEZZNS1_14partition_implILS5_9ELb0ES3_jN6thrust23THRUST_200600_302600_NS6detail15normal_iteratorINS9_10device_ptrIxEEEENSB_INSC_IjEEEEPNS0_10empty_typeENS0_5tupleIJSE_SH_EEENSJ_IJNS9_16discard_iteratorINS9_11use_defaultEEESI_EEENS0_18inequality_wrapperINS9_8equal_toIxEEEEPmJSH_EEE10hipError_tPvRmT3_T4_T5_T6_T7_T9_mT8_P12ihipStream_tbDpT10_ENKUlT_T0_E_clISt17integral_constantIbLb0EES1D_EEDaS18_S19_EUlS18_E_NS1_11comp_targetILNS1_3genE8ELNS1_11target_archE1030ELNS1_3gpuE2ELNS1_3repE0EEENS1_30default_config_static_selectorELNS0_4arch9wavefront6targetE0EEEvT1_,"axG",@progbits,_ZN7rocprim17ROCPRIM_400000_NS6detail17trampoline_kernelINS0_14default_configENS1_25partition_config_selectorILNS1_17partition_subalgoE9ExjbEEZZNS1_14partition_implILS5_9ELb0ES3_jN6thrust23THRUST_200600_302600_NS6detail15normal_iteratorINS9_10device_ptrIxEEEENSB_INSC_IjEEEEPNS0_10empty_typeENS0_5tupleIJSE_SH_EEENSJ_IJNS9_16discard_iteratorINS9_11use_defaultEEESI_EEENS0_18inequality_wrapperINS9_8equal_toIxEEEEPmJSH_EEE10hipError_tPvRmT3_T4_T5_T6_T7_T9_mT8_P12ihipStream_tbDpT10_ENKUlT_T0_E_clISt17integral_constantIbLb0EES1D_EEDaS18_S19_EUlS18_E_NS1_11comp_targetILNS1_3genE8ELNS1_11target_archE1030ELNS1_3gpuE2ELNS1_3repE0EEENS1_30default_config_static_selectorELNS0_4arch9wavefront6targetE0EEEvT1_,comdat
	.protected	_ZN7rocprim17ROCPRIM_400000_NS6detail17trampoline_kernelINS0_14default_configENS1_25partition_config_selectorILNS1_17partition_subalgoE9ExjbEEZZNS1_14partition_implILS5_9ELb0ES3_jN6thrust23THRUST_200600_302600_NS6detail15normal_iteratorINS9_10device_ptrIxEEEENSB_INSC_IjEEEEPNS0_10empty_typeENS0_5tupleIJSE_SH_EEENSJ_IJNS9_16discard_iteratorINS9_11use_defaultEEESI_EEENS0_18inequality_wrapperINS9_8equal_toIxEEEEPmJSH_EEE10hipError_tPvRmT3_T4_T5_T6_T7_T9_mT8_P12ihipStream_tbDpT10_ENKUlT_T0_E_clISt17integral_constantIbLb0EES1D_EEDaS18_S19_EUlS18_E_NS1_11comp_targetILNS1_3genE8ELNS1_11target_archE1030ELNS1_3gpuE2ELNS1_3repE0EEENS1_30default_config_static_selectorELNS0_4arch9wavefront6targetE0EEEvT1_ ; -- Begin function _ZN7rocprim17ROCPRIM_400000_NS6detail17trampoline_kernelINS0_14default_configENS1_25partition_config_selectorILNS1_17partition_subalgoE9ExjbEEZZNS1_14partition_implILS5_9ELb0ES3_jN6thrust23THRUST_200600_302600_NS6detail15normal_iteratorINS9_10device_ptrIxEEEENSB_INSC_IjEEEEPNS0_10empty_typeENS0_5tupleIJSE_SH_EEENSJ_IJNS9_16discard_iteratorINS9_11use_defaultEEESI_EEENS0_18inequality_wrapperINS9_8equal_toIxEEEEPmJSH_EEE10hipError_tPvRmT3_T4_T5_T6_T7_T9_mT8_P12ihipStream_tbDpT10_ENKUlT_T0_E_clISt17integral_constantIbLb0EES1D_EEDaS18_S19_EUlS18_E_NS1_11comp_targetILNS1_3genE8ELNS1_11target_archE1030ELNS1_3gpuE2ELNS1_3repE0EEENS1_30default_config_static_selectorELNS0_4arch9wavefront6targetE0EEEvT1_
	.globl	_ZN7rocprim17ROCPRIM_400000_NS6detail17trampoline_kernelINS0_14default_configENS1_25partition_config_selectorILNS1_17partition_subalgoE9ExjbEEZZNS1_14partition_implILS5_9ELb0ES3_jN6thrust23THRUST_200600_302600_NS6detail15normal_iteratorINS9_10device_ptrIxEEEENSB_INSC_IjEEEEPNS0_10empty_typeENS0_5tupleIJSE_SH_EEENSJ_IJNS9_16discard_iteratorINS9_11use_defaultEEESI_EEENS0_18inequality_wrapperINS9_8equal_toIxEEEEPmJSH_EEE10hipError_tPvRmT3_T4_T5_T6_T7_T9_mT8_P12ihipStream_tbDpT10_ENKUlT_T0_E_clISt17integral_constantIbLb0EES1D_EEDaS18_S19_EUlS18_E_NS1_11comp_targetILNS1_3genE8ELNS1_11target_archE1030ELNS1_3gpuE2ELNS1_3repE0EEENS1_30default_config_static_selectorELNS0_4arch9wavefront6targetE0EEEvT1_
	.p2align	8
	.type	_ZN7rocprim17ROCPRIM_400000_NS6detail17trampoline_kernelINS0_14default_configENS1_25partition_config_selectorILNS1_17partition_subalgoE9ExjbEEZZNS1_14partition_implILS5_9ELb0ES3_jN6thrust23THRUST_200600_302600_NS6detail15normal_iteratorINS9_10device_ptrIxEEEENSB_INSC_IjEEEEPNS0_10empty_typeENS0_5tupleIJSE_SH_EEENSJ_IJNS9_16discard_iteratorINS9_11use_defaultEEESI_EEENS0_18inequality_wrapperINS9_8equal_toIxEEEEPmJSH_EEE10hipError_tPvRmT3_T4_T5_T6_T7_T9_mT8_P12ihipStream_tbDpT10_ENKUlT_T0_E_clISt17integral_constantIbLb0EES1D_EEDaS18_S19_EUlS18_E_NS1_11comp_targetILNS1_3genE8ELNS1_11target_archE1030ELNS1_3gpuE2ELNS1_3repE0EEENS1_30default_config_static_selectorELNS0_4arch9wavefront6targetE0EEEvT1_,@function
_ZN7rocprim17ROCPRIM_400000_NS6detail17trampoline_kernelINS0_14default_configENS1_25partition_config_selectorILNS1_17partition_subalgoE9ExjbEEZZNS1_14partition_implILS5_9ELb0ES3_jN6thrust23THRUST_200600_302600_NS6detail15normal_iteratorINS9_10device_ptrIxEEEENSB_INSC_IjEEEEPNS0_10empty_typeENS0_5tupleIJSE_SH_EEENSJ_IJNS9_16discard_iteratorINS9_11use_defaultEEESI_EEENS0_18inequality_wrapperINS9_8equal_toIxEEEEPmJSH_EEE10hipError_tPvRmT3_T4_T5_T6_T7_T9_mT8_P12ihipStream_tbDpT10_ENKUlT_T0_E_clISt17integral_constantIbLb0EES1D_EEDaS18_S19_EUlS18_E_NS1_11comp_targetILNS1_3genE8ELNS1_11target_archE1030ELNS1_3gpuE2ELNS1_3repE0EEENS1_30default_config_static_selectorELNS0_4arch9wavefront6targetE0EEEvT1_: ; @_ZN7rocprim17ROCPRIM_400000_NS6detail17trampoline_kernelINS0_14default_configENS1_25partition_config_selectorILNS1_17partition_subalgoE9ExjbEEZZNS1_14partition_implILS5_9ELb0ES3_jN6thrust23THRUST_200600_302600_NS6detail15normal_iteratorINS9_10device_ptrIxEEEENSB_INSC_IjEEEEPNS0_10empty_typeENS0_5tupleIJSE_SH_EEENSJ_IJNS9_16discard_iteratorINS9_11use_defaultEEESI_EEENS0_18inequality_wrapperINS9_8equal_toIxEEEEPmJSH_EEE10hipError_tPvRmT3_T4_T5_T6_T7_T9_mT8_P12ihipStream_tbDpT10_ENKUlT_T0_E_clISt17integral_constantIbLb0EES1D_EEDaS18_S19_EUlS18_E_NS1_11comp_targetILNS1_3genE8ELNS1_11target_archE1030ELNS1_3gpuE2ELNS1_3repE0EEENS1_30default_config_static_selectorELNS0_4arch9wavefront6targetE0EEEvT1_
; %bb.0:
	.section	.rodata,"a",@progbits
	.p2align	6, 0x0
	.amdhsa_kernel _ZN7rocprim17ROCPRIM_400000_NS6detail17trampoline_kernelINS0_14default_configENS1_25partition_config_selectorILNS1_17partition_subalgoE9ExjbEEZZNS1_14partition_implILS5_9ELb0ES3_jN6thrust23THRUST_200600_302600_NS6detail15normal_iteratorINS9_10device_ptrIxEEEENSB_INSC_IjEEEEPNS0_10empty_typeENS0_5tupleIJSE_SH_EEENSJ_IJNS9_16discard_iteratorINS9_11use_defaultEEESI_EEENS0_18inequality_wrapperINS9_8equal_toIxEEEEPmJSH_EEE10hipError_tPvRmT3_T4_T5_T6_T7_T9_mT8_P12ihipStream_tbDpT10_ENKUlT_T0_E_clISt17integral_constantIbLb0EES1D_EEDaS18_S19_EUlS18_E_NS1_11comp_targetILNS1_3genE8ELNS1_11target_archE1030ELNS1_3gpuE2ELNS1_3repE0EEENS1_30default_config_static_selectorELNS0_4arch9wavefront6targetE0EEEvT1_
		.amdhsa_group_segment_fixed_size 0
		.amdhsa_private_segment_fixed_size 0
		.amdhsa_kernarg_size 120
		.amdhsa_user_sgpr_count 15
		.amdhsa_user_sgpr_dispatch_ptr 0
		.amdhsa_user_sgpr_queue_ptr 0
		.amdhsa_user_sgpr_kernarg_segment_ptr 1
		.amdhsa_user_sgpr_dispatch_id 0
		.amdhsa_user_sgpr_private_segment_size 0
		.amdhsa_wavefront_size32 1
		.amdhsa_uses_dynamic_stack 0
		.amdhsa_enable_private_segment 0
		.amdhsa_system_sgpr_workgroup_id_x 1
		.amdhsa_system_sgpr_workgroup_id_y 0
		.amdhsa_system_sgpr_workgroup_id_z 0
		.amdhsa_system_sgpr_workgroup_info 0
		.amdhsa_system_vgpr_workitem_id 0
		.amdhsa_next_free_vgpr 1
		.amdhsa_next_free_sgpr 1
		.amdhsa_reserve_vcc 0
		.amdhsa_float_round_mode_32 0
		.amdhsa_float_round_mode_16_64 0
		.amdhsa_float_denorm_mode_32 3
		.amdhsa_float_denorm_mode_16_64 3
		.amdhsa_dx10_clamp 1
		.amdhsa_ieee_mode 1
		.amdhsa_fp16_overflow 0
		.amdhsa_workgroup_processor_mode 1
		.amdhsa_memory_ordered 1
		.amdhsa_forward_progress 0
		.amdhsa_shared_vgpr_count 0
		.amdhsa_exception_fp_ieee_invalid_op 0
		.amdhsa_exception_fp_denorm_src 0
		.amdhsa_exception_fp_ieee_div_zero 0
		.amdhsa_exception_fp_ieee_overflow 0
		.amdhsa_exception_fp_ieee_underflow 0
		.amdhsa_exception_fp_ieee_inexact 0
		.amdhsa_exception_int_div_zero 0
	.end_amdhsa_kernel
	.section	.text._ZN7rocprim17ROCPRIM_400000_NS6detail17trampoline_kernelINS0_14default_configENS1_25partition_config_selectorILNS1_17partition_subalgoE9ExjbEEZZNS1_14partition_implILS5_9ELb0ES3_jN6thrust23THRUST_200600_302600_NS6detail15normal_iteratorINS9_10device_ptrIxEEEENSB_INSC_IjEEEEPNS0_10empty_typeENS0_5tupleIJSE_SH_EEENSJ_IJNS9_16discard_iteratorINS9_11use_defaultEEESI_EEENS0_18inequality_wrapperINS9_8equal_toIxEEEEPmJSH_EEE10hipError_tPvRmT3_T4_T5_T6_T7_T9_mT8_P12ihipStream_tbDpT10_ENKUlT_T0_E_clISt17integral_constantIbLb0EES1D_EEDaS18_S19_EUlS18_E_NS1_11comp_targetILNS1_3genE8ELNS1_11target_archE1030ELNS1_3gpuE2ELNS1_3repE0EEENS1_30default_config_static_selectorELNS0_4arch9wavefront6targetE0EEEvT1_,"axG",@progbits,_ZN7rocprim17ROCPRIM_400000_NS6detail17trampoline_kernelINS0_14default_configENS1_25partition_config_selectorILNS1_17partition_subalgoE9ExjbEEZZNS1_14partition_implILS5_9ELb0ES3_jN6thrust23THRUST_200600_302600_NS6detail15normal_iteratorINS9_10device_ptrIxEEEENSB_INSC_IjEEEEPNS0_10empty_typeENS0_5tupleIJSE_SH_EEENSJ_IJNS9_16discard_iteratorINS9_11use_defaultEEESI_EEENS0_18inequality_wrapperINS9_8equal_toIxEEEEPmJSH_EEE10hipError_tPvRmT3_T4_T5_T6_T7_T9_mT8_P12ihipStream_tbDpT10_ENKUlT_T0_E_clISt17integral_constantIbLb0EES1D_EEDaS18_S19_EUlS18_E_NS1_11comp_targetILNS1_3genE8ELNS1_11target_archE1030ELNS1_3gpuE2ELNS1_3repE0EEENS1_30default_config_static_selectorELNS0_4arch9wavefront6targetE0EEEvT1_,comdat
.Lfunc_end1020:
	.size	_ZN7rocprim17ROCPRIM_400000_NS6detail17trampoline_kernelINS0_14default_configENS1_25partition_config_selectorILNS1_17partition_subalgoE9ExjbEEZZNS1_14partition_implILS5_9ELb0ES3_jN6thrust23THRUST_200600_302600_NS6detail15normal_iteratorINS9_10device_ptrIxEEEENSB_INSC_IjEEEEPNS0_10empty_typeENS0_5tupleIJSE_SH_EEENSJ_IJNS9_16discard_iteratorINS9_11use_defaultEEESI_EEENS0_18inequality_wrapperINS9_8equal_toIxEEEEPmJSH_EEE10hipError_tPvRmT3_T4_T5_T6_T7_T9_mT8_P12ihipStream_tbDpT10_ENKUlT_T0_E_clISt17integral_constantIbLb0EES1D_EEDaS18_S19_EUlS18_E_NS1_11comp_targetILNS1_3genE8ELNS1_11target_archE1030ELNS1_3gpuE2ELNS1_3repE0EEENS1_30default_config_static_selectorELNS0_4arch9wavefront6targetE0EEEvT1_, .Lfunc_end1020-_ZN7rocprim17ROCPRIM_400000_NS6detail17trampoline_kernelINS0_14default_configENS1_25partition_config_selectorILNS1_17partition_subalgoE9ExjbEEZZNS1_14partition_implILS5_9ELb0ES3_jN6thrust23THRUST_200600_302600_NS6detail15normal_iteratorINS9_10device_ptrIxEEEENSB_INSC_IjEEEEPNS0_10empty_typeENS0_5tupleIJSE_SH_EEENSJ_IJNS9_16discard_iteratorINS9_11use_defaultEEESI_EEENS0_18inequality_wrapperINS9_8equal_toIxEEEEPmJSH_EEE10hipError_tPvRmT3_T4_T5_T6_T7_T9_mT8_P12ihipStream_tbDpT10_ENKUlT_T0_E_clISt17integral_constantIbLb0EES1D_EEDaS18_S19_EUlS18_E_NS1_11comp_targetILNS1_3genE8ELNS1_11target_archE1030ELNS1_3gpuE2ELNS1_3repE0EEENS1_30default_config_static_selectorELNS0_4arch9wavefront6targetE0EEEvT1_
                                        ; -- End function
	.section	.AMDGPU.csdata,"",@progbits
; Kernel info:
; codeLenInByte = 0
; NumSgprs: 0
; NumVgprs: 0
; ScratchSize: 0
; MemoryBound: 0
; FloatMode: 240
; IeeeMode: 1
; LDSByteSize: 0 bytes/workgroup (compile time only)
; SGPRBlocks: 0
; VGPRBlocks: 0
; NumSGPRsForWavesPerEU: 1
; NumVGPRsForWavesPerEU: 1
; Occupancy: 16
; WaveLimiterHint : 0
; COMPUTE_PGM_RSRC2:SCRATCH_EN: 0
; COMPUTE_PGM_RSRC2:USER_SGPR: 15
; COMPUTE_PGM_RSRC2:TRAP_HANDLER: 0
; COMPUTE_PGM_RSRC2:TGID_X_EN: 1
; COMPUTE_PGM_RSRC2:TGID_Y_EN: 0
; COMPUTE_PGM_RSRC2:TGID_Z_EN: 0
; COMPUTE_PGM_RSRC2:TIDIG_COMP_CNT: 0
	.section	.text._ZN7rocprim17ROCPRIM_400000_NS6detail17trampoline_kernelINS0_14default_configENS1_25partition_config_selectorILNS1_17partition_subalgoE9ExjbEEZZNS1_14partition_implILS5_9ELb0ES3_jN6thrust23THRUST_200600_302600_NS6detail15normal_iteratorINS9_10device_ptrIxEEEENSB_INSC_IjEEEEPNS0_10empty_typeENS0_5tupleIJSE_SH_EEENSJ_IJNS9_16discard_iteratorINS9_11use_defaultEEESI_EEENS0_18inequality_wrapperINS9_8equal_toIxEEEEPmJSH_EEE10hipError_tPvRmT3_T4_T5_T6_T7_T9_mT8_P12ihipStream_tbDpT10_ENKUlT_T0_E_clISt17integral_constantIbLb1EES1D_EEDaS18_S19_EUlS18_E_NS1_11comp_targetILNS1_3genE0ELNS1_11target_archE4294967295ELNS1_3gpuE0ELNS1_3repE0EEENS1_30default_config_static_selectorELNS0_4arch9wavefront6targetE0EEEvT1_,"axG",@progbits,_ZN7rocprim17ROCPRIM_400000_NS6detail17trampoline_kernelINS0_14default_configENS1_25partition_config_selectorILNS1_17partition_subalgoE9ExjbEEZZNS1_14partition_implILS5_9ELb0ES3_jN6thrust23THRUST_200600_302600_NS6detail15normal_iteratorINS9_10device_ptrIxEEEENSB_INSC_IjEEEEPNS0_10empty_typeENS0_5tupleIJSE_SH_EEENSJ_IJNS9_16discard_iteratorINS9_11use_defaultEEESI_EEENS0_18inequality_wrapperINS9_8equal_toIxEEEEPmJSH_EEE10hipError_tPvRmT3_T4_T5_T6_T7_T9_mT8_P12ihipStream_tbDpT10_ENKUlT_T0_E_clISt17integral_constantIbLb1EES1D_EEDaS18_S19_EUlS18_E_NS1_11comp_targetILNS1_3genE0ELNS1_11target_archE4294967295ELNS1_3gpuE0ELNS1_3repE0EEENS1_30default_config_static_selectorELNS0_4arch9wavefront6targetE0EEEvT1_,comdat
	.protected	_ZN7rocprim17ROCPRIM_400000_NS6detail17trampoline_kernelINS0_14default_configENS1_25partition_config_selectorILNS1_17partition_subalgoE9ExjbEEZZNS1_14partition_implILS5_9ELb0ES3_jN6thrust23THRUST_200600_302600_NS6detail15normal_iteratorINS9_10device_ptrIxEEEENSB_INSC_IjEEEEPNS0_10empty_typeENS0_5tupleIJSE_SH_EEENSJ_IJNS9_16discard_iteratorINS9_11use_defaultEEESI_EEENS0_18inequality_wrapperINS9_8equal_toIxEEEEPmJSH_EEE10hipError_tPvRmT3_T4_T5_T6_T7_T9_mT8_P12ihipStream_tbDpT10_ENKUlT_T0_E_clISt17integral_constantIbLb1EES1D_EEDaS18_S19_EUlS18_E_NS1_11comp_targetILNS1_3genE0ELNS1_11target_archE4294967295ELNS1_3gpuE0ELNS1_3repE0EEENS1_30default_config_static_selectorELNS0_4arch9wavefront6targetE0EEEvT1_ ; -- Begin function _ZN7rocprim17ROCPRIM_400000_NS6detail17trampoline_kernelINS0_14default_configENS1_25partition_config_selectorILNS1_17partition_subalgoE9ExjbEEZZNS1_14partition_implILS5_9ELb0ES3_jN6thrust23THRUST_200600_302600_NS6detail15normal_iteratorINS9_10device_ptrIxEEEENSB_INSC_IjEEEEPNS0_10empty_typeENS0_5tupleIJSE_SH_EEENSJ_IJNS9_16discard_iteratorINS9_11use_defaultEEESI_EEENS0_18inequality_wrapperINS9_8equal_toIxEEEEPmJSH_EEE10hipError_tPvRmT3_T4_T5_T6_T7_T9_mT8_P12ihipStream_tbDpT10_ENKUlT_T0_E_clISt17integral_constantIbLb1EES1D_EEDaS18_S19_EUlS18_E_NS1_11comp_targetILNS1_3genE0ELNS1_11target_archE4294967295ELNS1_3gpuE0ELNS1_3repE0EEENS1_30default_config_static_selectorELNS0_4arch9wavefront6targetE0EEEvT1_
	.globl	_ZN7rocprim17ROCPRIM_400000_NS6detail17trampoline_kernelINS0_14default_configENS1_25partition_config_selectorILNS1_17partition_subalgoE9ExjbEEZZNS1_14partition_implILS5_9ELb0ES3_jN6thrust23THRUST_200600_302600_NS6detail15normal_iteratorINS9_10device_ptrIxEEEENSB_INSC_IjEEEEPNS0_10empty_typeENS0_5tupleIJSE_SH_EEENSJ_IJNS9_16discard_iteratorINS9_11use_defaultEEESI_EEENS0_18inequality_wrapperINS9_8equal_toIxEEEEPmJSH_EEE10hipError_tPvRmT3_T4_T5_T6_T7_T9_mT8_P12ihipStream_tbDpT10_ENKUlT_T0_E_clISt17integral_constantIbLb1EES1D_EEDaS18_S19_EUlS18_E_NS1_11comp_targetILNS1_3genE0ELNS1_11target_archE4294967295ELNS1_3gpuE0ELNS1_3repE0EEENS1_30default_config_static_selectorELNS0_4arch9wavefront6targetE0EEEvT1_
	.p2align	8
	.type	_ZN7rocprim17ROCPRIM_400000_NS6detail17trampoline_kernelINS0_14default_configENS1_25partition_config_selectorILNS1_17partition_subalgoE9ExjbEEZZNS1_14partition_implILS5_9ELb0ES3_jN6thrust23THRUST_200600_302600_NS6detail15normal_iteratorINS9_10device_ptrIxEEEENSB_INSC_IjEEEEPNS0_10empty_typeENS0_5tupleIJSE_SH_EEENSJ_IJNS9_16discard_iteratorINS9_11use_defaultEEESI_EEENS0_18inequality_wrapperINS9_8equal_toIxEEEEPmJSH_EEE10hipError_tPvRmT3_T4_T5_T6_T7_T9_mT8_P12ihipStream_tbDpT10_ENKUlT_T0_E_clISt17integral_constantIbLb1EES1D_EEDaS18_S19_EUlS18_E_NS1_11comp_targetILNS1_3genE0ELNS1_11target_archE4294967295ELNS1_3gpuE0ELNS1_3repE0EEENS1_30default_config_static_selectorELNS0_4arch9wavefront6targetE0EEEvT1_,@function
_ZN7rocprim17ROCPRIM_400000_NS6detail17trampoline_kernelINS0_14default_configENS1_25partition_config_selectorILNS1_17partition_subalgoE9ExjbEEZZNS1_14partition_implILS5_9ELb0ES3_jN6thrust23THRUST_200600_302600_NS6detail15normal_iteratorINS9_10device_ptrIxEEEENSB_INSC_IjEEEEPNS0_10empty_typeENS0_5tupleIJSE_SH_EEENSJ_IJNS9_16discard_iteratorINS9_11use_defaultEEESI_EEENS0_18inequality_wrapperINS9_8equal_toIxEEEEPmJSH_EEE10hipError_tPvRmT3_T4_T5_T6_T7_T9_mT8_P12ihipStream_tbDpT10_ENKUlT_T0_E_clISt17integral_constantIbLb1EES1D_EEDaS18_S19_EUlS18_E_NS1_11comp_targetILNS1_3genE0ELNS1_11target_archE4294967295ELNS1_3gpuE0ELNS1_3repE0EEENS1_30default_config_static_selectorELNS0_4arch9wavefront6targetE0EEEvT1_: ; @_ZN7rocprim17ROCPRIM_400000_NS6detail17trampoline_kernelINS0_14default_configENS1_25partition_config_selectorILNS1_17partition_subalgoE9ExjbEEZZNS1_14partition_implILS5_9ELb0ES3_jN6thrust23THRUST_200600_302600_NS6detail15normal_iteratorINS9_10device_ptrIxEEEENSB_INSC_IjEEEEPNS0_10empty_typeENS0_5tupleIJSE_SH_EEENSJ_IJNS9_16discard_iteratorINS9_11use_defaultEEESI_EEENS0_18inequality_wrapperINS9_8equal_toIxEEEEPmJSH_EEE10hipError_tPvRmT3_T4_T5_T6_T7_T9_mT8_P12ihipStream_tbDpT10_ENKUlT_T0_E_clISt17integral_constantIbLb1EES1D_EEDaS18_S19_EUlS18_E_NS1_11comp_targetILNS1_3genE0ELNS1_11target_archE4294967295ELNS1_3gpuE0ELNS1_3repE0EEENS1_30default_config_static_selectorELNS0_4arch9wavefront6targetE0EEEvT1_
; %bb.0:
	.section	.rodata,"a",@progbits
	.p2align	6, 0x0
	.amdhsa_kernel _ZN7rocprim17ROCPRIM_400000_NS6detail17trampoline_kernelINS0_14default_configENS1_25partition_config_selectorILNS1_17partition_subalgoE9ExjbEEZZNS1_14partition_implILS5_9ELb0ES3_jN6thrust23THRUST_200600_302600_NS6detail15normal_iteratorINS9_10device_ptrIxEEEENSB_INSC_IjEEEEPNS0_10empty_typeENS0_5tupleIJSE_SH_EEENSJ_IJNS9_16discard_iteratorINS9_11use_defaultEEESI_EEENS0_18inequality_wrapperINS9_8equal_toIxEEEEPmJSH_EEE10hipError_tPvRmT3_T4_T5_T6_T7_T9_mT8_P12ihipStream_tbDpT10_ENKUlT_T0_E_clISt17integral_constantIbLb1EES1D_EEDaS18_S19_EUlS18_E_NS1_11comp_targetILNS1_3genE0ELNS1_11target_archE4294967295ELNS1_3gpuE0ELNS1_3repE0EEENS1_30default_config_static_selectorELNS0_4arch9wavefront6targetE0EEEvT1_
		.amdhsa_group_segment_fixed_size 0
		.amdhsa_private_segment_fixed_size 0
		.amdhsa_kernarg_size 136
		.amdhsa_user_sgpr_count 15
		.amdhsa_user_sgpr_dispatch_ptr 0
		.amdhsa_user_sgpr_queue_ptr 0
		.amdhsa_user_sgpr_kernarg_segment_ptr 1
		.amdhsa_user_sgpr_dispatch_id 0
		.amdhsa_user_sgpr_private_segment_size 0
		.amdhsa_wavefront_size32 1
		.amdhsa_uses_dynamic_stack 0
		.amdhsa_enable_private_segment 0
		.amdhsa_system_sgpr_workgroup_id_x 1
		.amdhsa_system_sgpr_workgroup_id_y 0
		.amdhsa_system_sgpr_workgroup_id_z 0
		.amdhsa_system_sgpr_workgroup_info 0
		.amdhsa_system_vgpr_workitem_id 0
		.amdhsa_next_free_vgpr 1
		.amdhsa_next_free_sgpr 1
		.amdhsa_reserve_vcc 0
		.amdhsa_float_round_mode_32 0
		.amdhsa_float_round_mode_16_64 0
		.amdhsa_float_denorm_mode_32 3
		.amdhsa_float_denorm_mode_16_64 3
		.amdhsa_dx10_clamp 1
		.amdhsa_ieee_mode 1
		.amdhsa_fp16_overflow 0
		.amdhsa_workgroup_processor_mode 1
		.amdhsa_memory_ordered 1
		.amdhsa_forward_progress 0
		.amdhsa_shared_vgpr_count 0
		.amdhsa_exception_fp_ieee_invalid_op 0
		.amdhsa_exception_fp_denorm_src 0
		.amdhsa_exception_fp_ieee_div_zero 0
		.amdhsa_exception_fp_ieee_overflow 0
		.amdhsa_exception_fp_ieee_underflow 0
		.amdhsa_exception_fp_ieee_inexact 0
		.amdhsa_exception_int_div_zero 0
	.end_amdhsa_kernel
	.section	.text._ZN7rocprim17ROCPRIM_400000_NS6detail17trampoline_kernelINS0_14default_configENS1_25partition_config_selectorILNS1_17partition_subalgoE9ExjbEEZZNS1_14partition_implILS5_9ELb0ES3_jN6thrust23THRUST_200600_302600_NS6detail15normal_iteratorINS9_10device_ptrIxEEEENSB_INSC_IjEEEEPNS0_10empty_typeENS0_5tupleIJSE_SH_EEENSJ_IJNS9_16discard_iteratorINS9_11use_defaultEEESI_EEENS0_18inequality_wrapperINS9_8equal_toIxEEEEPmJSH_EEE10hipError_tPvRmT3_T4_T5_T6_T7_T9_mT8_P12ihipStream_tbDpT10_ENKUlT_T0_E_clISt17integral_constantIbLb1EES1D_EEDaS18_S19_EUlS18_E_NS1_11comp_targetILNS1_3genE0ELNS1_11target_archE4294967295ELNS1_3gpuE0ELNS1_3repE0EEENS1_30default_config_static_selectorELNS0_4arch9wavefront6targetE0EEEvT1_,"axG",@progbits,_ZN7rocprim17ROCPRIM_400000_NS6detail17trampoline_kernelINS0_14default_configENS1_25partition_config_selectorILNS1_17partition_subalgoE9ExjbEEZZNS1_14partition_implILS5_9ELb0ES3_jN6thrust23THRUST_200600_302600_NS6detail15normal_iteratorINS9_10device_ptrIxEEEENSB_INSC_IjEEEEPNS0_10empty_typeENS0_5tupleIJSE_SH_EEENSJ_IJNS9_16discard_iteratorINS9_11use_defaultEEESI_EEENS0_18inequality_wrapperINS9_8equal_toIxEEEEPmJSH_EEE10hipError_tPvRmT3_T4_T5_T6_T7_T9_mT8_P12ihipStream_tbDpT10_ENKUlT_T0_E_clISt17integral_constantIbLb1EES1D_EEDaS18_S19_EUlS18_E_NS1_11comp_targetILNS1_3genE0ELNS1_11target_archE4294967295ELNS1_3gpuE0ELNS1_3repE0EEENS1_30default_config_static_selectorELNS0_4arch9wavefront6targetE0EEEvT1_,comdat
.Lfunc_end1021:
	.size	_ZN7rocprim17ROCPRIM_400000_NS6detail17trampoline_kernelINS0_14default_configENS1_25partition_config_selectorILNS1_17partition_subalgoE9ExjbEEZZNS1_14partition_implILS5_9ELb0ES3_jN6thrust23THRUST_200600_302600_NS6detail15normal_iteratorINS9_10device_ptrIxEEEENSB_INSC_IjEEEEPNS0_10empty_typeENS0_5tupleIJSE_SH_EEENSJ_IJNS9_16discard_iteratorINS9_11use_defaultEEESI_EEENS0_18inequality_wrapperINS9_8equal_toIxEEEEPmJSH_EEE10hipError_tPvRmT3_T4_T5_T6_T7_T9_mT8_P12ihipStream_tbDpT10_ENKUlT_T0_E_clISt17integral_constantIbLb1EES1D_EEDaS18_S19_EUlS18_E_NS1_11comp_targetILNS1_3genE0ELNS1_11target_archE4294967295ELNS1_3gpuE0ELNS1_3repE0EEENS1_30default_config_static_selectorELNS0_4arch9wavefront6targetE0EEEvT1_, .Lfunc_end1021-_ZN7rocprim17ROCPRIM_400000_NS6detail17trampoline_kernelINS0_14default_configENS1_25partition_config_selectorILNS1_17partition_subalgoE9ExjbEEZZNS1_14partition_implILS5_9ELb0ES3_jN6thrust23THRUST_200600_302600_NS6detail15normal_iteratorINS9_10device_ptrIxEEEENSB_INSC_IjEEEEPNS0_10empty_typeENS0_5tupleIJSE_SH_EEENSJ_IJNS9_16discard_iteratorINS9_11use_defaultEEESI_EEENS0_18inequality_wrapperINS9_8equal_toIxEEEEPmJSH_EEE10hipError_tPvRmT3_T4_T5_T6_T7_T9_mT8_P12ihipStream_tbDpT10_ENKUlT_T0_E_clISt17integral_constantIbLb1EES1D_EEDaS18_S19_EUlS18_E_NS1_11comp_targetILNS1_3genE0ELNS1_11target_archE4294967295ELNS1_3gpuE0ELNS1_3repE0EEENS1_30default_config_static_selectorELNS0_4arch9wavefront6targetE0EEEvT1_
                                        ; -- End function
	.section	.AMDGPU.csdata,"",@progbits
; Kernel info:
; codeLenInByte = 0
; NumSgprs: 0
; NumVgprs: 0
; ScratchSize: 0
; MemoryBound: 0
; FloatMode: 240
; IeeeMode: 1
; LDSByteSize: 0 bytes/workgroup (compile time only)
; SGPRBlocks: 0
; VGPRBlocks: 0
; NumSGPRsForWavesPerEU: 1
; NumVGPRsForWavesPerEU: 1
; Occupancy: 16
; WaveLimiterHint : 0
; COMPUTE_PGM_RSRC2:SCRATCH_EN: 0
; COMPUTE_PGM_RSRC2:USER_SGPR: 15
; COMPUTE_PGM_RSRC2:TRAP_HANDLER: 0
; COMPUTE_PGM_RSRC2:TGID_X_EN: 1
; COMPUTE_PGM_RSRC2:TGID_Y_EN: 0
; COMPUTE_PGM_RSRC2:TGID_Z_EN: 0
; COMPUTE_PGM_RSRC2:TIDIG_COMP_CNT: 0
	.section	.text._ZN7rocprim17ROCPRIM_400000_NS6detail17trampoline_kernelINS0_14default_configENS1_25partition_config_selectorILNS1_17partition_subalgoE9ExjbEEZZNS1_14partition_implILS5_9ELb0ES3_jN6thrust23THRUST_200600_302600_NS6detail15normal_iteratorINS9_10device_ptrIxEEEENSB_INSC_IjEEEEPNS0_10empty_typeENS0_5tupleIJSE_SH_EEENSJ_IJNS9_16discard_iteratorINS9_11use_defaultEEESI_EEENS0_18inequality_wrapperINS9_8equal_toIxEEEEPmJSH_EEE10hipError_tPvRmT3_T4_T5_T6_T7_T9_mT8_P12ihipStream_tbDpT10_ENKUlT_T0_E_clISt17integral_constantIbLb1EES1D_EEDaS18_S19_EUlS18_E_NS1_11comp_targetILNS1_3genE5ELNS1_11target_archE942ELNS1_3gpuE9ELNS1_3repE0EEENS1_30default_config_static_selectorELNS0_4arch9wavefront6targetE0EEEvT1_,"axG",@progbits,_ZN7rocprim17ROCPRIM_400000_NS6detail17trampoline_kernelINS0_14default_configENS1_25partition_config_selectorILNS1_17partition_subalgoE9ExjbEEZZNS1_14partition_implILS5_9ELb0ES3_jN6thrust23THRUST_200600_302600_NS6detail15normal_iteratorINS9_10device_ptrIxEEEENSB_INSC_IjEEEEPNS0_10empty_typeENS0_5tupleIJSE_SH_EEENSJ_IJNS9_16discard_iteratorINS9_11use_defaultEEESI_EEENS0_18inequality_wrapperINS9_8equal_toIxEEEEPmJSH_EEE10hipError_tPvRmT3_T4_T5_T6_T7_T9_mT8_P12ihipStream_tbDpT10_ENKUlT_T0_E_clISt17integral_constantIbLb1EES1D_EEDaS18_S19_EUlS18_E_NS1_11comp_targetILNS1_3genE5ELNS1_11target_archE942ELNS1_3gpuE9ELNS1_3repE0EEENS1_30default_config_static_selectorELNS0_4arch9wavefront6targetE0EEEvT1_,comdat
	.protected	_ZN7rocprim17ROCPRIM_400000_NS6detail17trampoline_kernelINS0_14default_configENS1_25partition_config_selectorILNS1_17partition_subalgoE9ExjbEEZZNS1_14partition_implILS5_9ELb0ES3_jN6thrust23THRUST_200600_302600_NS6detail15normal_iteratorINS9_10device_ptrIxEEEENSB_INSC_IjEEEEPNS0_10empty_typeENS0_5tupleIJSE_SH_EEENSJ_IJNS9_16discard_iteratorINS9_11use_defaultEEESI_EEENS0_18inequality_wrapperINS9_8equal_toIxEEEEPmJSH_EEE10hipError_tPvRmT3_T4_T5_T6_T7_T9_mT8_P12ihipStream_tbDpT10_ENKUlT_T0_E_clISt17integral_constantIbLb1EES1D_EEDaS18_S19_EUlS18_E_NS1_11comp_targetILNS1_3genE5ELNS1_11target_archE942ELNS1_3gpuE9ELNS1_3repE0EEENS1_30default_config_static_selectorELNS0_4arch9wavefront6targetE0EEEvT1_ ; -- Begin function _ZN7rocprim17ROCPRIM_400000_NS6detail17trampoline_kernelINS0_14default_configENS1_25partition_config_selectorILNS1_17partition_subalgoE9ExjbEEZZNS1_14partition_implILS5_9ELb0ES3_jN6thrust23THRUST_200600_302600_NS6detail15normal_iteratorINS9_10device_ptrIxEEEENSB_INSC_IjEEEEPNS0_10empty_typeENS0_5tupleIJSE_SH_EEENSJ_IJNS9_16discard_iteratorINS9_11use_defaultEEESI_EEENS0_18inequality_wrapperINS9_8equal_toIxEEEEPmJSH_EEE10hipError_tPvRmT3_T4_T5_T6_T7_T9_mT8_P12ihipStream_tbDpT10_ENKUlT_T0_E_clISt17integral_constantIbLb1EES1D_EEDaS18_S19_EUlS18_E_NS1_11comp_targetILNS1_3genE5ELNS1_11target_archE942ELNS1_3gpuE9ELNS1_3repE0EEENS1_30default_config_static_selectorELNS0_4arch9wavefront6targetE0EEEvT1_
	.globl	_ZN7rocprim17ROCPRIM_400000_NS6detail17trampoline_kernelINS0_14default_configENS1_25partition_config_selectorILNS1_17partition_subalgoE9ExjbEEZZNS1_14partition_implILS5_9ELb0ES3_jN6thrust23THRUST_200600_302600_NS6detail15normal_iteratorINS9_10device_ptrIxEEEENSB_INSC_IjEEEEPNS0_10empty_typeENS0_5tupleIJSE_SH_EEENSJ_IJNS9_16discard_iteratorINS9_11use_defaultEEESI_EEENS0_18inequality_wrapperINS9_8equal_toIxEEEEPmJSH_EEE10hipError_tPvRmT3_T4_T5_T6_T7_T9_mT8_P12ihipStream_tbDpT10_ENKUlT_T0_E_clISt17integral_constantIbLb1EES1D_EEDaS18_S19_EUlS18_E_NS1_11comp_targetILNS1_3genE5ELNS1_11target_archE942ELNS1_3gpuE9ELNS1_3repE0EEENS1_30default_config_static_selectorELNS0_4arch9wavefront6targetE0EEEvT1_
	.p2align	8
	.type	_ZN7rocprim17ROCPRIM_400000_NS6detail17trampoline_kernelINS0_14default_configENS1_25partition_config_selectorILNS1_17partition_subalgoE9ExjbEEZZNS1_14partition_implILS5_9ELb0ES3_jN6thrust23THRUST_200600_302600_NS6detail15normal_iteratorINS9_10device_ptrIxEEEENSB_INSC_IjEEEEPNS0_10empty_typeENS0_5tupleIJSE_SH_EEENSJ_IJNS9_16discard_iteratorINS9_11use_defaultEEESI_EEENS0_18inequality_wrapperINS9_8equal_toIxEEEEPmJSH_EEE10hipError_tPvRmT3_T4_T5_T6_T7_T9_mT8_P12ihipStream_tbDpT10_ENKUlT_T0_E_clISt17integral_constantIbLb1EES1D_EEDaS18_S19_EUlS18_E_NS1_11comp_targetILNS1_3genE5ELNS1_11target_archE942ELNS1_3gpuE9ELNS1_3repE0EEENS1_30default_config_static_selectorELNS0_4arch9wavefront6targetE0EEEvT1_,@function
_ZN7rocprim17ROCPRIM_400000_NS6detail17trampoline_kernelINS0_14default_configENS1_25partition_config_selectorILNS1_17partition_subalgoE9ExjbEEZZNS1_14partition_implILS5_9ELb0ES3_jN6thrust23THRUST_200600_302600_NS6detail15normal_iteratorINS9_10device_ptrIxEEEENSB_INSC_IjEEEEPNS0_10empty_typeENS0_5tupleIJSE_SH_EEENSJ_IJNS9_16discard_iteratorINS9_11use_defaultEEESI_EEENS0_18inequality_wrapperINS9_8equal_toIxEEEEPmJSH_EEE10hipError_tPvRmT3_T4_T5_T6_T7_T9_mT8_P12ihipStream_tbDpT10_ENKUlT_T0_E_clISt17integral_constantIbLb1EES1D_EEDaS18_S19_EUlS18_E_NS1_11comp_targetILNS1_3genE5ELNS1_11target_archE942ELNS1_3gpuE9ELNS1_3repE0EEENS1_30default_config_static_selectorELNS0_4arch9wavefront6targetE0EEEvT1_: ; @_ZN7rocprim17ROCPRIM_400000_NS6detail17trampoline_kernelINS0_14default_configENS1_25partition_config_selectorILNS1_17partition_subalgoE9ExjbEEZZNS1_14partition_implILS5_9ELb0ES3_jN6thrust23THRUST_200600_302600_NS6detail15normal_iteratorINS9_10device_ptrIxEEEENSB_INSC_IjEEEEPNS0_10empty_typeENS0_5tupleIJSE_SH_EEENSJ_IJNS9_16discard_iteratorINS9_11use_defaultEEESI_EEENS0_18inequality_wrapperINS9_8equal_toIxEEEEPmJSH_EEE10hipError_tPvRmT3_T4_T5_T6_T7_T9_mT8_P12ihipStream_tbDpT10_ENKUlT_T0_E_clISt17integral_constantIbLb1EES1D_EEDaS18_S19_EUlS18_E_NS1_11comp_targetILNS1_3genE5ELNS1_11target_archE942ELNS1_3gpuE9ELNS1_3repE0EEENS1_30default_config_static_selectorELNS0_4arch9wavefront6targetE0EEEvT1_
; %bb.0:
	.section	.rodata,"a",@progbits
	.p2align	6, 0x0
	.amdhsa_kernel _ZN7rocprim17ROCPRIM_400000_NS6detail17trampoline_kernelINS0_14default_configENS1_25partition_config_selectorILNS1_17partition_subalgoE9ExjbEEZZNS1_14partition_implILS5_9ELb0ES3_jN6thrust23THRUST_200600_302600_NS6detail15normal_iteratorINS9_10device_ptrIxEEEENSB_INSC_IjEEEEPNS0_10empty_typeENS0_5tupleIJSE_SH_EEENSJ_IJNS9_16discard_iteratorINS9_11use_defaultEEESI_EEENS0_18inequality_wrapperINS9_8equal_toIxEEEEPmJSH_EEE10hipError_tPvRmT3_T4_T5_T6_T7_T9_mT8_P12ihipStream_tbDpT10_ENKUlT_T0_E_clISt17integral_constantIbLb1EES1D_EEDaS18_S19_EUlS18_E_NS1_11comp_targetILNS1_3genE5ELNS1_11target_archE942ELNS1_3gpuE9ELNS1_3repE0EEENS1_30default_config_static_selectorELNS0_4arch9wavefront6targetE0EEEvT1_
		.amdhsa_group_segment_fixed_size 0
		.amdhsa_private_segment_fixed_size 0
		.amdhsa_kernarg_size 136
		.amdhsa_user_sgpr_count 15
		.amdhsa_user_sgpr_dispatch_ptr 0
		.amdhsa_user_sgpr_queue_ptr 0
		.amdhsa_user_sgpr_kernarg_segment_ptr 1
		.amdhsa_user_sgpr_dispatch_id 0
		.amdhsa_user_sgpr_private_segment_size 0
		.amdhsa_wavefront_size32 1
		.amdhsa_uses_dynamic_stack 0
		.amdhsa_enable_private_segment 0
		.amdhsa_system_sgpr_workgroup_id_x 1
		.amdhsa_system_sgpr_workgroup_id_y 0
		.amdhsa_system_sgpr_workgroup_id_z 0
		.amdhsa_system_sgpr_workgroup_info 0
		.amdhsa_system_vgpr_workitem_id 0
		.amdhsa_next_free_vgpr 1
		.amdhsa_next_free_sgpr 1
		.amdhsa_reserve_vcc 0
		.amdhsa_float_round_mode_32 0
		.amdhsa_float_round_mode_16_64 0
		.amdhsa_float_denorm_mode_32 3
		.amdhsa_float_denorm_mode_16_64 3
		.amdhsa_dx10_clamp 1
		.amdhsa_ieee_mode 1
		.amdhsa_fp16_overflow 0
		.amdhsa_workgroup_processor_mode 1
		.amdhsa_memory_ordered 1
		.amdhsa_forward_progress 0
		.amdhsa_shared_vgpr_count 0
		.amdhsa_exception_fp_ieee_invalid_op 0
		.amdhsa_exception_fp_denorm_src 0
		.amdhsa_exception_fp_ieee_div_zero 0
		.amdhsa_exception_fp_ieee_overflow 0
		.amdhsa_exception_fp_ieee_underflow 0
		.amdhsa_exception_fp_ieee_inexact 0
		.amdhsa_exception_int_div_zero 0
	.end_amdhsa_kernel
	.section	.text._ZN7rocprim17ROCPRIM_400000_NS6detail17trampoline_kernelINS0_14default_configENS1_25partition_config_selectorILNS1_17partition_subalgoE9ExjbEEZZNS1_14partition_implILS5_9ELb0ES3_jN6thrust23THRUST_200600_302600_NS6detail15normal_iteratorINS9_10device_ptrIxEEEENSB_INSC_IjEEEEPNS0_10empty_typeENS0_5tupleIJSE_SH_EEENSJ_IJNS9_16discard_iteratorINS9_11use_defaultEEESI_EEENS0_18inequality_wrapperINS9_8equal_toIxEEEEPmJSH_EEE10hipError_tPvRmT3_T4_T5_T6_T7_T9_mT8_P12ihipStream_tbDpT10_ENKUlT_T0_E_clISt17integral_constantIbLb1EES1D_EEDaS18_S19_EUlS18_E_NS1_11comp_targetILNS1_3genE5ELNS1_11target_archE942ELNS1_3gpuE9ELNS1_3repE0EEENS1_30default_config_static_selectorELNS0_4arch9wavefront6targetE0EEEvT1_,"axG",@progbits,_ZN7rocprim17ROCPRIM_400000_NS6detail17trampoline_kernelINS0_14default_configENS1_25partition_config_selectorILNS1_17partition_subalgoE9ExjbEEZZNS1_14partition_implILS5_9ELb0ES3_jN6thrust23THRUST_200600_302600_NS6detail15normal_iteratorINS9_10device_ptrIxEEEENSB_INSC_IjEEEEPNS0_10empty_typeENS0_5tupleIJSE_SH_EEENSJ_IJNS9_16discard_iteratorINS9_11use_defaultEEESI_EEENS0_18inequality_wrapperINS9_8equal_toIxEEEEPmJSH_EEE10hipError_tPvRmT3_T4_T5_T6_T7_T9_mT8_P12ihipStream_tbDpT10_ENKUlT_T0_E_clISt17integral_constantIbLb1EES1D_EEDaS18_S19_EUlS18_E_NS1_11comp_targetILNS1_3genE5ELNS1_11target_archE942ELNS1_3gpuE9ELNS1_3repE0EEENS1_30default_config_static_selectorELNS0_4arch9wavefront6targetE0EEEvT1_,comdat
.Lfunc_end1022:
	.size	_ZN7rocprim17ROCPRIM_400000_NS6detail17trampoline_kernelINS0_14default_configENS1_25partition_config_selectorILNS1_17partition_subalgoE9ExjbEEZZNS1_14partition_implILS5_9ELb0ES3_jN6thrust23THRUST_200600_302600_NS6detail15normal_iteratorINS9_10device_ptrIxEEEENSB_INSC_IjEEEEPNS0_10empty_typeENS0_5tupleIJSE_SH_EEENSJ_IJNS9_16discard_iteratorINS9_11use_defaultEEESI_EEENS0_18inequality_wrapperINS9_8equal_toIxEEEEPmJSH_EEE10hipError_tPvRmT3_T4_T5_T6_T7_T9_mT8_P12ihipStream_tbDpT10_ENKUlT_T0_E_clISt17integral_constantIbLb1EES1D_EEDaS18_S19_EUlS18_E_NS1_11comp_targetILNS1_3genE5ELNS1_11target_archE942ELNS1_3gpuE9ELNS1_3repE0EEENS1_30default_config_static_selectorELNS0_4arch9wavefront6targetE0EEEvT1_, .Lfunc_end1022-_ZN7rocprim17ROCPRIM_400000_NS6detail17trampoline_kernelINS0_14default_configENS1_25partition_config_selectorILNS1_17partition_subalgoE9ExjbEEZZNS1_14partition_implILS5_9ELb0ES3_jN6thrust23THRUST_200600_302600_NS6detail15normal_iteratorINS9_10device_ptrIxEEEENSB_INSC_IjEEEEPNS0_10empty_typeENS0_5tupleIJSE_SH_EEENSJ_IJNS9_16discard_iteratorINS9_11use_defaultEEESI_EEENS0_18inequality_wrapperINS9_8equal_toIxEEEEPmJSH_EEE10hipError_tPvRmT3_T4_T5_T6_T7_T9_mT8_P12ihipStream_tbDpT10_ENKUlT_T0_E_clISt17integral_constantIbLb1EES1D_EEDaS18_S19_EUlS18_E_NS1_11comp_targetILNS1_3genE5ELNS1_11target_archE942ELNS1_3gpuE9ELNS1_3repE0EEENS1_30default_config_static_selectorELNS0_4arch9wavefront6targetE0EEEvT1_
                                        ; -- End function
	.section	.AMDGPU.csdata,"",@progbits
; Kernel info:
; codeLenInByte = 0
; NumSgprs: 0
; NumVgprs: 0
; ScratchSize: 0
; MemoryBound: 0
; FloatMode: 240
; IeeeMode: 1
; LDSByteSize: 0 bytes/workgroup (compile time only)
; SGPRBlocks: 0
; VGPRBlocks: 0
; NumSGPRsForWavesPerEU: 1
; NumVGPRsForWavesPerEU: 1
; Occupancy: 16
; WaveLimiterHint : 0
; COMPUTE_PGM_RSRC2:SCRATCH_EN: 0
; COMPUTE_PGM_RSRC2:USER_SGPR: 15
; COMPUTE_PGM_RSRC2:TRAP_HANDLER: 0
; COMPUTE_PGM_RSRC2:TGID_X_EN: 1
; COMPUTE_PGM_RSRC2:TGID_Y_EN: 0
; COMPUTE_PGM_RSRC2:TGID_Z_EN: 0
; COMPUTE_PGM_RSRC2:TIDIG_COMP_CNT: 0
	.section	.text._ZN7rocprim17ROCPRIM_400000_NS6detail17trampoline_kernelINS0_14default_configENS1_25partition_config_selectorILNS1_17partition_subalgoE9ExjbEEZZNS1_14partition_implILS5_9ELb0ES3_jN6thrust23THRUST_200600_302600_NS6detail15normal_iteratorINS9_10device_ptrIxEEEENSB_INSC_IjEEEEPNS0_10empty_typeENS0_5tupleIJSE_SH_EEENSJ_IJNS9_16discard_iteratorINS9_11use_defaultEEESI_EEENS0_18inequality_wrapperINS9_8equal_toIxEEEEPmJSH_EEE10hipError_tPvRmT3_T4_T5_T6_T7_T9_mT8_P12ihipStream_tbDpT10_ENKUlT_T0_E_clISt17integral_constantIbLb1EES1D_EEDaS18_S19_EUlS18_E_NS1_11comp_targetILNS1_3genE4ELNS1_11target_archE910ELNS1_3gpuE8ELNS1_3repE0EEENS1_30default_config_static_selectorELNS0_4arch9wavefront6targetE0EEEvT1_,"axG",@progbits,_ZN7rocprim17ROCPRIM_400000_NS6detail17trampoline_kernelINS0_14default_configENS1_25partition_config_selectorILNS1_17partition_subalgoE9ExjbEEZZNS1_14partition_implILS5_9ELb0ES3_jN6thrust23THRUST_200600_302600_NS6detail15normal_iteratorINS9_10device_ptrIxEEEENSB_INSC_IjEEEEPNS0_10empty_typeENS0_5tupleIJSE_SH_EEENSJ_IJNS9_16discard_iteratorINS9_11use_defaultEEESI_EEENS0_18inequality_wrapperINS9_8equal_toIxEEEEPmJSH_EEE10hipError_tPvRmT3_T4_T5_T6_T7_T9_mT8_P12ihipStream_tbDpT10_ENKUlT_T0_E_clISt17integral_constantIbLb1EES1D_EEDaS18_S19_EUlS18_E_NS1_11comp_targetILNS1_3genE4ELNS1_11target_archE910ELNS1_3gpuE8ELNS1_3repE0EEENS1_30default_config_static_selectorELNS0_4arch9wavefront6targetE0EEEvT1_,comdat
	.protected	_ZN7rocprim17ROCPRIM_400000_NS6detail17trampoline_kernelINS0_14default_configENS1_25partition_config_selectorILNS1_17partition_subalgoE9ExjbEEZZNS1_14partition_implILS5_9ELb0ES3_jN6thrust23THRUST_200600_302600_NS6detail15normal_iteratorINS9_10device_ptrIxEEEENSB_INSC_IjEEEEPNS0_10empty_typeENS0_5tupleIJSE_SH_EEENSJ_IJNS9_16discard_iteratorINS9_11use_defaultEEESI_EEENS0_18inequality_wrapperINS9_8equal_toIxEEEEPmJSH_EEE10hipError_tPvRmT3_T4_T5_T6_T7_T9_mT8_P12ihipStream_tbDpT10_ENKUlT_T0_E_clISt17integral_constantIbLb1EES1D_EEDaS18_S19_EUlS18_E_NS1_11comp_targetILNS1_3genE4ELNS1_11target_archE910ELNS1_3gpuE8ELNS1_3repE0EEENS1_30default_config_static_selectorELNS0_4arch9wavefront6targetE0EEEvT1_ ; -- Begin function _ZN7rocprim17ROCPRIM_400000_NS6detail17trampoline_kernelINS0_14default_configENS1_25partition_config_selectorILNS1_17partition_subalgoE9ExjbEEZZNS1_14partition_implILS5_9ELb0ES3_jN6thrust23THRUST_200600_302600_NS6detail15normal_iteratorINS9_10device_ptrIxEEEENSB_INSC_IjEEEEPNS0_10empty_typeENS0_5tupleIJSE_SH_EEENSJ_IJNS9_16discard_iteratorINS9_11use_defaultEEESI_EEENS0_18inequality_wrapperINS9_8equal_toIxEEEEPmJSH_EEE10hipError_tPvRmT3_T4_T5_T6_T7_T9_mT8_P12ihipStream_tbDpT10_ENKUlT_T0_E_clISt17integral_constantIbLb1EES1D_EEDaS18_S19_EUlS18_E_NS1_11comp_targetILNS1_3genE4ELNS1_11target_archE910ELNS1_3gpuE8ELNS1_3repE0EEENS1_30default_config_static_selectorELNS0_4arch9wavefront6targetE0EEEvT1_
	.globl	_ZN7rocprim17ROCPRIM_400000_NS6detail17trampoline_kernelINS0_14default_configENS1_25partition_config_selectorILNS1_17partition_subalgoE9ExjbEEZZNS1_14partition_implILS5_9ELb0ES3_jN6thrust23THRUST_200600_302600_NS6detail15normal_iteratorINS9_10device_ptrIxEEEENSB_INSC_IjEEEEPNS0_10empty_typeENS0_5tupleIJSE_SH_EEENSJ_IJNS9_16discard_iteratorINS9_11use_defaultEEESI_EEENS0_18inequality_wrapperINS9_8equal_toIxEEEEPmJSH_EEE10hipError_tPvRmT3_T4_T5_T6_T7_T9_mT8_P12ihipStream_tbDpT10_ENKUlT_T0_E_clISt17integral_constantIbLb1EES1D_EEDaS18_S19_EUlS18_E_NS1_11comp_targetILNS1_3genE4ELNS1_11target_archE910ELNS1_3gpuE8ELNS1_3repE0EEENS1_30default_config_static_selectorELNS0_4arch9wavefront6targetE0EEEvT1_
	.p2align	8
	.type	_ZN7rocprim17ROCPRIM_400000_NS6detail17trampoline_kernelINS0_14default_configENS1_25partition_config_selectorILNS1_17partition_subalgoE9ExjbEEZZNS1_14partition_implILS5_9ELb0ES3_jN6thrust23THRUST_200600_302600_NS6detail15normal_iteratorINS9_10device_ptrIxEEEENSB_INSC_IjEEEEPNS0_10empty_typeENS0_5tupleIJSE_SH_EEENSJ_IJNS9_16discard_iteratorINS9_11use_defaultEEESI_EEENS0_18inequality_wrapperINS9_8equal_toIxEEEEPmJSH_EEE10hipError_tPvRmT3_T4_T5_T6_T7_T9_mT8_P12ihipStream_tbDpT10_ENKUlT_T0_E_clISt17integral_constantIbLb1EES1D_EEDaS18_S19_EUlS18_E_NS1_11comp_targetILNS1_3genE4ELNS1_11target_archE910ELNS1_3gpuE8ELNS1_3repE0EEENS1_30default_config_static_selectorELNS0_4arch9wavefront6targetE0EEEvT1_,@function
_ZN7rocprim17ROCPRIM_400000_NS6detail17trampoline_kernelINS0_14default_configENS1_25partition_config_selectorILNS1_17partition_subalgoE9ExjbEEZZNS1_14partition_implILS5_9ELb0ES3_jN6thrust23THRUST_200600_302600_NS6detail15normal_iteratorINS9_10device_ptrIxEEEENSB_INSC_IjEEEEPNS0_10empty_typeENS0_5tupleIJSE_SH_EEENSJ_IJNS9_16discard_iteratorINS9_11use_defaultEEESI_EEENS0_18inequality_wrapperINS9_8equal_toIxEEEEPmJSH_EEE10hipError_tPvRmT3_T4_T5_T6_T7_T9_mT8_P12ihipStream_tbDpT10_ENKUlT_T0_E_clISt17integral_constantIbLb1EES1D_EEDaS18_S19_EUlS18_E_NS1_11comp_targetILNS1_3genE4ELNS1_11target_archE910ELNS1_3gpuE8ELNS1_3repE0EEENS1_30default_config_static_selectorELNS0_4arch9wavefront6targetE0EEEvT1_: ; @_ZN7rocprim17ROCPRIM_400000_NS6detail17trampoline_kernelINS0_14default_configENS1_25partition_config_selectorILNS1_17partition_subalgoE9ExjbEEZZNS1_14partition_implILS5_9ELb0ES3_jN6thrust23THRUST_200600_302600_NS6detail15normal_iteratorINS9_10device_ptrIxEEEENSB_INSC_IjEEEEPNS0_10empty_typeENS0_5tupleIJSE_SH_EEENSJ_IJNS9_16discard_iteratorINS9_11use_defaultEEESI_EEENS0_18inequality_wrapperINS9_8equal_toIxEEEEPmJSH_EEE10hipError_tPvRmT3_T4_T5_T6_T7_T9_mT8_P12ihipStream_tbDpT10_ENKUlT_T0_E_clISt17integral_constantIbLb1EES1D_EEDaS18_S19_EUlS18_E_NS1_11comp_targetILNS1_3genE4ELNS1_11target_archE910ELNS1_3gpuE8ELNS1_3repE0EEENS1_30default_config_static_selectorELNS0_4arch9wavefront6targetE0EEEvT1_
; %bb.0:
	.section	.rodata,"a",@progbits
	.p2align	6, 0x0
	.amdhsa_kernel _ZN7rocprim17ROCPRIM_400000_NS6detail17trampoline_kernelINS0_14default_configENS1_25partition_config_selectorILNS1_17partition_subalgoE9ExjbEEZZNS1_14partition_implILS5_9ELb0ES3_jN6thrust23THRUST_200600_302600_NS6detail15normal_iteratorINS9_10device_ptrIxEEEENSB_INSC_IjEEEEPNS0_10empty_typeENS0_5tupleIJSE_SH_EEENSJ_IJNS9_16discard_iteratorINS9_11use_defaultEEESI_EEENS0_18inequality_wrapperINS9_8equal_toIxEEEEPmJSH_EEE10hipError_tPvRmT3_T4_T5_T6_T7_T9_mT8_P12ihipStream_tbDpT10_ENKUlT_T0_E_clISt17integral_constantIbLb1EES1D_EEDaS18_S19_EUlS18_E_NS1_11comp_targetILNS1_3genE4ELNS1_11target_archE910ELNS1_3gpuE8ELNS1_3repE0EEENS1_30default_config_static_selectorELNS0_4arch9wavefront6targetE0EEEvT1_
		.amdhsa_group_segment_fixed_size 0
		.amdhsa_private_segment_fixed_size 0
		.amdhsa_kernarg_size 136
		.amdhsa_user_sgpr_count 15
		.amdhsa_user_sgpr_dispatch_ptr 0
		.amdhsa_user_sgpr_queue_ptr 0
		.amdhsa_user_sgpr_kernarg_segment_ptr 1
		.amdhsa_user_sgpr_dispatch_id 0
		.amdhsa_user_sgpr_private_segment_size 0
		.amdhsa_wavefront_size32 1
		.amdhsa_uses_dynamic_stack 0
		.amdhsa_enable_private_segment 0
		.amdhsa_system_sgpr_workgroup_id_x 1
		.amdhsa_system_sgpr_workgroup_id_y 0
		.amdhsa_system_sgpr_workgroup_id_z 0
		.amdhsa_system_sgpr_workgroup_info 0
		.amdhsa_system_vgpr_workitem_id 0
		.amdhsa_next_free_vgpr 1
		.amdhsa_next_free_sgpr 1
		.amdhsa_reserve_vcc 0
		.amdhsa_float_round_mode_32 0
		.amdhsa_float_round_mode_16_64 0
		.amdhsa_float_denorm_mode_32 3
		.amdhsa_float_denorm_mode_16_64 3
		.amdhsa_dx10_clamp 1
		.amdhsa_ieee_mode 1
		.amdhsa_fp16_overflow 0
		.amdhsa_workgroup_processor_mode 1
		.amdhsa_memory_ordered 1
		.amdhsa_forward_progress 0
		.amdhsa_shared_vgpr_count 0
		.amdhsa_exception_fp_ieee_invalid_op 0
		.amdhsa_exception_fp_denorm_src 0
		.amdhsa_exception_fp_ieee_div_zero 0
		.amdhsa_exception_fp_ieee_overflow 0
		.amdhsa_exception_fp_ieee_underflow 0
		.amdhsa_exception_fp_ieee_inexact 0
		.amdhsa_exception_int_div_zero 0
	.end_amdhsa_kernel
	.section	.text._ZN7rocprim17ROCPRIM_400000_NS6detail17trampoline_kernelINS0_14default_configENS1_25partition_config_selectorILNS1_17partition_subalgoE9ExjbEEZZNS1_14partition_implILS5_9ELb0ES3_jN6thrust23THRUST_200600_302600_NS6detail15normal_iteratorINS9_10device_ptrIxEEEENSB_INSC_IjEEEEPNS0_10empty_typeENS0_5tupleIJSE_SH_EEENSJ_IJNS9_16discard_iteratorINS9_11use_defaultEEESI_EEENS0_18inequality_wrapperINS9_8equal_toIxEEEEPmJSH_EEE10hipError_tPvRmT3_T4_T5_T6_T7_T9_mT8_P12ihipStream_tbDpT10_ENKUlT_T0_E_clISt17integral_constantIbLb1EES1D_EEDaS18_S19_EUlS18_E_NS1_11comp_targetILNS1_3genE4ELNS1_11target_archE910ELNS1_3gpuE8ELNS1_3repE0EEENS1_30default_config_static_selectorELNS0_4arch9wavefront6targetE0EEEvT1_,"axG",@progbits,_ZN7rocprim17ROCPRIM_400000_NS6detail17trampoline_kernelINS0_14default_configENS1_25partition_config_selectorILNS1_17partition_subalgoE9ExjbEEZZNS1_14partition_implILS5_9ELb0ES3_jN6thrust23THRUST_200600_302600_NS6detail15normal_iteratorINS9_10device_ptrIxEEEENSB_INSC_IjEEEEPNS0_10empty_typeENS0_5tupleIJSE_SH_EEENSJ_IJNS9_16discard_iteratorINS9_11use_defaultEEESI_EEENS0_18inequality_wrapperINS9_8equal_toIxEEEEPmJSH_EEE10hipError_tPvRmT3_T4_T5_T6_T7_T9_mT8_P12ihipStream_tbDpT10_ENKUlT_T0_E_clISt17integral_constantIbLb1EES1D_EEDaS18_S19_EUlS18_E_NS1_11comp_targetILNS1_3genE4ELNS1_11target_archE910ELNS1_3gpuE8ELNS1_3repE0EEENS1_30default_config_static_selectorELNS0_4arch9wavefront6targetE0EEEvT1_,comdat
.Lfunc_end1023:
	.size	_ZN7rocprim17ROCPRIM_400000_NS6detail17trampoline_kernelINS0_14default_configENS1_25partition_config_selectorILNS1_17partition_subalgoE9ExjbEEZZNS1_14partition_implILS5_9ELb0ES3_jN6thrust23THRUST_200600_302600_NS6detail15normal_iteratorINS9_10device_ptrIxEEEENSB_INSC_IjEEEEPNS0_10empty_typeENS0_5tupleIJSE_SH_EEENSJ_IJNS9_16discard_iteratorINS9_11use_defaultEEESI_EEENS0_18inequality_wrapperINS9_8equal_toIxEEEEPmJSH_EEE10hipError_tPvRmT3_T4_T5_T6_T7_T9_mT8_P12ihipStream_tbDpT10_ENKUlT_T0_E_clISt17integral_constantIbLb1EES1D_EEDaS18_S19_EUlS18_E_NS1_11comp_targetILNS1_3genE4ELNS1_11target_archE910ELNS1_3gpuE8ELNS1_3repE0EEENS1_30default_config_static_selectorELNS0_4arch9wavefront6targetE0EEEvT1_, .Lfunc_end1023-_ZN7rocprim17ROCPRIM_400000_NS6detail17trampoline_kernelINS0_14default_configENS1_25partition_config_selectorILNS1_17partition_subalgoE9ExjbEEZZNS1_14partition_implILS5_9ELb0ES3_jN6thrust23THRUST_200600_302600_NS6detail15normal_iteratorINS9_10device_ptrIxEEEENSB_INSC_IjEEEEPNS0_10empty_typeENS0_5tupleIJSE_SH_EEENSJ_IJNS9_16discard_iteratorINS9_11use_defaultEEESI_EEENS0_18inequality_wrapperINS9_8equal_toIxEEEEPmJSH_EEE10hipError_tPvRmT3_T4_T5_T6_T7_T9_mT8_P12ihipStream_tbDpT10_ENKUlT_T0_E_clISt17integral_constantIbLb1EES1D_EEDaS18_S19_EUlS18_E_NS1_11comp_targetILNS1_3genE4ELNS1_11target_archE910ELNS1_3gpuE8ELNS1_3repE0EEENS1_30default_config_static_selectorELNS0_4arch9wavefront6targetE0EEEvT1_
                                        ; -- End function
	.section	.AMDGPU.csdata,"",@progbits
; Kernel info:
; codeLenInByte = 0
; NumSgprs: 0
; NumVgprs: 0
; ScratchSize: 0
; MemoryBound: 0
; FloatMode: 240
; IeeeMode: 1
; LDSByteSize: 0 bytes/workgroup (compile time only)
; SGPRBlocks: 0
; VGPRBlocks: 0
; NumSGPRsForWavesPerEU: 1
; NumVGPRsForWavesPerEU: 1
; Occupancy: 15
; WaveLimiterHint : 0
; COMPUTE_PGM_RSRC2:SCRATCH_EN: 0
; COMPUTE_PGM_RSRC2:USER_SGPR: 15
; COMPUTE_PGM_RSRC2:TRAP_HANDLER: 0
; COMPUTE_PGM_RSRC2:TGID_X_EN: 1
; COMPUTE_PGM_RSRC2:TGID_Y_EN: 0
; COMPUTE_PGM_RSRC2:TGID_Z_EN: 0
; COMPUTE_PGM_RSRC2:TIDIG_COMP_CNT: 0
	.section	.text._ZN7rocprim17ROCPRIM_400000_NS6detail17trampoline_kernelINS0_14default_configENS1_25partition_config_selectorILNS1_17partition_subalgoE9ExjbEEZZNS1_14partition_implILS5_9ELb0ES3_jN6thrust23THRUST_200600_302600_NS6detail15normal_iteratorINS9_10device_ptrIxEEEENSB_INSC_IjEEEEPNS0_10empty_typeENS0_5tupleIJSE_SH_EEENSJ_IJNS9_16discard_iteratorINS9_11use_defaultEEESI_EEENS0_18inequality_wrapperINS9_8equal_toIxEEEEPmJSH_EEE10hipError_tPvRmT3_T4_T5_T6_T7_T9_mT8_P12ihipStream_tbDpT10_ENKUlT_T0_E_clISt17integral_constantIbLb1EES1D_EEDaS18_S19_EUlS18_E_NS1_11comp_targetILNS1_3genE3ELNS1_11target_archE908ELNS1_3gpuE7ELNS1_3repE0EEENS1_30default_config_static_selectorELNS0_4arch9wavefront6targetE0EEEvT1_,"axG",@progbits,_ZN7rocprim17ROCPRIM_400000_NS6detail17trampoline_kernelINS0_14default_configENS1_25partition_config_selectorILNS1_17partition_subalgoE9ExjbEEZZNS1_14partition_implILS5_9ELb0ES3_jN6thrust23THRUST_200600_302600_NS6detail15normal_iteratorINS9_10device_ptrIxEEEENSB_INSC_IjEEEEPNS0_10empty_typeENS0_5tupleIJSE_SH_EEENSJ_IJNS9_16discard_iteratorINS9_11use_defaultEEESI_EEENS0_18inequality_wrapperINS9_8equal_toIxEEEEPmJSH_EEE10hipError_tPvRmT3_T4_T5_T6_T7_T9_mT8_P12ihipStream_tbDpT10_ENKUlT_T0_E_clISt17integral_constantIbLb1EES1D_EEDaS18_S19_EUlS18_E_NS1_11comp_targetILNS1_3genE3ELNS1_11target_archE908ELNS1_3gpuE7ELNS1_3repE0EEENS1_30default_config_static_selectorELNS0_4arch9wavefront6targetE0EEEvT1_,comdat
	.protected	_ZN7rocprim17ROCPRIM_400000_NS6detail17trampoline_kernelINS0_14default_configENS1_25partition_config_selectorILNS1_17partition_subalgoE9ExjbEEZZNS1_14partition_implILS5_9ELb0ES3_jN6thrust23THRUST_200600_302600_NS6detail15normal_iteratorINS9_10device_ptrIxEEEENSB_INSC_IjEEEEPNS0_10empty_typeENS0_5tupleIJSE_SH_EEENSJ_IJNS9_16discard_iteratorINS9_11use_defaultEEESI_EEENS0_18inequality_wrapperINS9_8equal_toIxEEEEPmJSH_EEE10hipError_tPvRmT3_T4_T5_T6_T7_T9_mT8_P12ihipStream_tbDpT10_ENKUlT_T0_E_clISt17integral_constantIbLb1EES1D_EEDaS18_S19_EUlS18_E_NS1_11comp_targetILNS1_3genE3ELNS1_11target_archE908ELNS1_3gpuE7ELNS1_3repE0EEENS1_30default_config_static_selectorELNS0_4arch9wavefront6targetE0EEEvT1_ ; -- Begin function _ZN7rocprim17ROCPRIM_400000_NS6detail17trampoline_kernelINS0_14default_configENS1_25partition_config_selectorILNS1_17partition_subalgoE9ExjbEEZZNS1_14partition_implILS5_9ELb0ES3_jN6thrust23THRUST_200600_302600_NS6detail15normal_iteratorINS9_10device_ptrIxEEEENSB_INSC_IjEEEEPNS0_10empty_typeENS0_5tupleIJSE_SH_EEENSJ_IJNS9_16discard_iteratorINS9_11use_defaultEEESI_EEENS0_18inequality_wrapperINS9_8equal_toIxEEEEPmJSH_EEE10hipError_tPvRmT3_T4_T5_T6_T7_T9_mT8_P12ihipStream_tbDpT10_ENKUlT_T0_E_clISt17integral_constantIbLb1EES1D_EEDaS18_S19_EUlS18_E_NS1_11comp_targetILNS1_3genE3ELNS1_11target_archE908ELNS1_3gpuE7ELNS1_3repE0EEENS1_30default_config_static_selectorELNS0_4arch9wavefront6targetE0EEEvT1_
	.globl	_ZN7rocprim17ROCPRIM_400000_NS6detail17trampoline_kernelINS0_14default_configENS1_25partition_config_selectorILNS1_17partition_subalgoE9ExjbEEZZNS1_14partition_implILS5_9ELb0ES3_jN6thrust23THRUST_200600_302600_NS6detail15normal_iteratorINS9_10device_ptrIxEEEENSB_INSC_IjEEEEPNS0_10empty_typeENS0_5tupleIJSE_SH_EEENSJ_IJNS9_16discard_iteratorINS9_11use_defaultEEESI_EEENS0_18inequality_wrapperINS9_8equal_toIxEEEEPmJSH_EEE10hipError_tPvRmT3_T4_T5_T6_T7_T9_mT8_P12ihipStream_tbDpT10_ENKUlT_T0_E_clISt17integral_constantIbLb1EES1D_EEDaS18_S19_EUlS18_E_NS1_11comp_targetILNS1_3genE3ELNS1_11target_archE908ELNS1_3gpuE7ELNS1_3repE0EEENS1_30default_config_static_selectorELNS0_4arch9wavefront6targetE0EEEvT1_
	.p2align	8
	.type	_ZN7rocprim17ROCPRIM_400000_NS6detail17trampoline_kernelINS0_14default_configENS1_25partition_config_selectorILNS1_17partition_subalgoE9ExjbEEZZNS1_14partition_implILS5_9ELb0ES3_jN6thrust23THRUST_200600_302600_NS6detail15normal_iteratorINS9_10device_ptrIxEEEENSB_INSC_IjEEEEPNS0_10empty_typeENS0_5tupleIJSE_SH_EEENSJ_IJNS9_16discard_iteratorINS9_11use_defaultEEESI_EEENS0_18inequality_wrapperINS9_8equal_toIxEEEEPmJSH_EEE10hipError_tPvRmT3_T4_T5_T6_T7_T9_mT8_P12ihipStream_tbDpT10_ENKUlT_T0_E_clISt17integral_constantIbLb1EES1D_EEDaS18_S19_EUlS18_E_NS1_11comp_targetILNS1_3genE3ELNS1_11target_archE908ELNS1_3gpuE7ELNS1_3repE0EEENS1_30default_config_static_selectorELNS0_4arch9wavefront6targetE0EEEvT1_,@function
_ZN7rocprim17ROCPRIM_400000_NS6detail17trampoline_kernelINS0_14default_configENS1_25partition_config_selectorILNS1_17partition_subalgoE9ExjbEEZZNS1_14partition_implILS5_9ELb0ES3_jN6thrust23THRUST_200600_302600_NS6detail15normal_iteratorINS9_10device_ptrIxEEEENSB_INSC_IjEEEEPNS0_10empty_typeENS0_5tupleIJSE_SH_EEENSJ_IJNS9_16discard_iteratorINS9_11use_defaultEEESI_EEENS0_18inequality_wrapperINS9_8equal_toIxEEEEPmJSH_EEE10hipError_tPvRmT3_T4_T5_T6_T7_T9_mT8_P12ihipStream_tbDpT10_ENKUlT_T0_E_clISt17integral_constantIbLb1EES1D_EEDaS18_S19_EUlS18_E_NS1_11comp_targetILNS1_3genE3ELNS1_11target_archE908ELNS1_3gpuE7ELNS1_3repE0EEENS1_30default_config_static_selectorELNS0_4arch9wavefront6targetE0EEEvT1_: ; @_ZN7rocprim17ROCPRIM_400000_NS6detail17trampoline_kernelINS0_14default_configENS1_25partition_config_selectorILNS1_17partition_subalgoE9ExjbEEZZNS1_14partition_implILS5_9ELb0ES3_jN6thrust23THRUST_200600_302600_NS6detail15normal_iteratorINS9_10device_ptrIxEEEENSB_INSC_IjEEEEPNS0_10empty_typeENS0_5tupleIJSE_SH_EEENSJ_IJNS9_16discard_iteratorINS9_11use_defaultEEESI_EEENS0_18inequality_wrapperINS9_8equal_toIxEEEEPmJSH_EEE10hipError_tPvRmT3_T4_T5_T6_T7_T9_mT8_P12ihipStream_tbDpT10_ENKUlT_T0_E_clISt17integral_constantIbLb1EES1D_EEDaS18_S19_EUlS18_E_NS1_11comp_targetILNS1_3genE3ELNS1_11target_archE908ELNS1_3gpuE7ELNS1_3repE0EEENS1_30default_config_static_selectorELNS0_4arch9wavefront6targetE0EEEvT1_
; %bb.0:
	.section	.rodata,"a",@progbits
	.p2align	6, 0x0
	.amdhsa_kernel _ZN7rocprim17ROCPRIM_400000_NS6detail17trampoline_kernelINS0_14default_configENS1_25partition_config_selectorILNS1_17partition_subalgoE9ExjbEEZZNS1_14partition_implILS5_9ELb0ES3_jN6thrust23THRUST_200600_302600_NS6detail15normal_iteratorINS9_10device_ptrIxEEEENSB_INSC_IjEEEEPNS0_10empty_typeENS0_5tupleIJSE_SH_EEENSJ_IJNS9_16discard_iteratorINS9_11use_defaultEEESI_EEENS0_18inequality_wrapperINS9_8equal_toIxEEEEPmJSH_EEE10hipError_tPvRmT3_T4_T5_T6_T7_T9_mT8_P12ihipStream_tbDpT10_ENKUlT_T0_E_clISt17integral_constantIbLb1EES1D_EEDaS18_S19_EUlS18_E_NS1_11comp_targetILNS1_3genE3ELNS1_11target_archE908ELNS1_3gpuE7ELNS1_3repE0EEENS1_30default_config_static_selectorELNS0_4arch9wavefront6targetE0EEEvT1_
		.amdhsa_group_segment_fixed_size 0
		.amdhsa_private_segment_fixed_size 0
		.amdhsa_kernarg_size 136
		.amdhsa_user_sgpr_count 15
		.amdhsa_user_sgpr_dispatch_ptr 0
		.amdhsa_user_sgpr_queue_ptr 0
		.amdhsa_user_sgpr_kernarg_segment_ptr 1
		.amdhsa_user_sgpr_dispatch_id 0
		.amdhsa_user_sgpr_private_segment_size 0
		.amdhsa_wavefront_size32 1
		.amdhsa_uses_dynamic_stack 0
		.amdhsa_enable_private_segment 0
		.amdhsa_system_sgpr_workgroup_id_x 1
		.amdhsa_system_sgpr_workgroup_id_y 0
		.amdhsa_system_sgpr_workgroup_id_z 0
		.amdhsa_system_sgpr_workgroup_info 0
		.amdhsa_system_vgpr_workitem_id 0
		.amdhsa_next_free_vgpr 1
		.amdhsa_next_free_sgpr 1
		.amdhsa_reserve_vcc 0
		.amdhsa_float_round_mode_32 0
		.amdhsa_float_round_mode_16_64 0
		.amdhsa_float_denorm_mode_32 3
		.amdhsa_float_denorm_mode_16_64 3
		.amdhsa_dx10_clamp 1
		.amdhsa_ieee_mode 1
		.amdhsa_fp16_overflow 0
		.amdhsa_workgroup_processor_mode 1
		.amdhsa_memory_ordered 1
		.amdhsa_forward_progress 0
		.amdhsa_shared_vgpr_count 0
		.amdhsa_exception_fp_ieee_invalid_op 0
		.amdhsa_exception_fp_denorm_src 0
		.amdhsa_exception_fp_ieee_div_zero 0
		.amdhsa_exception_fp_ieee_overflow 0
		.amdhsa_exception_fp_ieee_underflow 0
		.amdhsa_exception_fp_ieee_inexact 0
		.amdhsa_exception_int_div_zero 0
	.end_amdhsa_kernel
	.section	.text._ZN7rocprim17ROCPRIM_400000_NS6detail17trampoline_kernelINS0_14default_configENS1_25partition_config_selectorILNS1_17partition_subalgoE9ExjbEEZZNS1_14partition_implILS5_9ELb0ES3_jN6thrust23THRUST_200600_302600_NS6detail15normal_iteratorINS9_10device_ptrIxEEEENSB_INSC_IjEEEEPNS0_10empty_typeENS0_5tupleIJSE_SH_EEENSJ_IJNS9_16discard_iteratorINS9_11use_defaultEEESI_EEENS0_18inequality_wrapperINS9_8equal_toIxEEEEPmJSH_EEE10hipError_tPvRmT3_T4_T5_T6_T7_T9_mT8_P12ihipStream_tbDpT10_ENKUlT_T0_E_clISt17integral_constantIbLb1EES1D_EEDaS18_S19_EUlS18_E_NS1_11comp_targetILNS1_3genE3ELNS1_11target_archE908ELNS1_3gpuE7ELNS1_3repE0EEENS1_30default_config_static_selectorELNS0_4arch9wavefront6targetE0EEEvT1_,"axG",@progbits,_ZN7rocprim17ROCPRIM_400000_NS6detail17trampoline_kernelINS0_14default_configENS1_25partition_config_selectorILNS1_17partition_subalgoE9ExjbEEZZNS1_14partition_implILS5_9ELb0ES3_jN6thrust23THRUST_200600_302600_NS6detail15normal_iteratorINS9_10device_ptrIxEEEENSB_INSC_IjEEEEPNS0_10empty_typeENS0_5tupleIJSE_SH_EEENSJ_IJNS9_16discard_iteratorINS9_11use_defaultEEESI_EEENS0_18inequality_wrapperINS9_8equal_toIxEEEEPmJSH_EEE10hipError_tPvRmT3_T4_T5_T6_T7_T9_mT8_P12ihipStream_tbDpT10_ENKUlT_T0_E_clISt17integral_constantIbLb1EES1D_EEDaS18_S19_EUlS18_E_NS1_11comp_targetILNS1_3genE3ELNS1_11target_archE908ELNS1_3gpuE7ELNS1_3repE0EEENS1_30default_config_static_selectorELNS0_4arch9wavefront6targetE0EEEvT1_,comdat
.Lfunc_end1024:
	.size	_ZN7rocprim17ROCPRIM_400000_NS6detail17trampoline_kernelINS0_14default_configENS1_25partition_config_selectorILNS1_17partition_subalgoE9ExjbEEZZNS1_14partition_implILS5_9ELb0ES3_jN6thrust23THRUST_200600_302600_NS6detail15normal_iteratorINS9_10device_ptrIxEEEENSB_INSC_IjEEEEPNS0_10empty_typeENS0_5tupleIJSE_SH_EEENSJ_IJNS9_16discard_iteratorINS9_11use_defaultEEESI_EEENS0_18inequality_wrapperINS9_8equal_toIxEEEEPmJSH_EEE10hipError_tPvRmT3_T4_T5_T6_T7_T9_mT8_P12ihipStream_tbDpT10_ENKUlT_T0_E_clISt17integral_constantIbLb1EES1D_EEDaS18_S19_EUlS18_E_NS1_11comp_targetILNS1_3genE3ELNS1_11target_archE908ELNS1_3gpuE7ELNS1_3repE0EEENS1_30default_config_static_selectorELNS0_4arch9wavefront6targetE0EEEvT1_, .Lfunc_end1024-_ZN7rocprim17ROCPRIM_400000_NS6detail17trampoline_kernelINS0_14default_configENS1_25partition_config_selectorILNS1_17partition_subalgoE9ExjbEEZZNS1_14partition_implILS5_9ELb0ES3_jN6thrust23THRUST_200600_302600_NS6detail15normal_iteratorINS9_10device_ptrIxEEEENSB_INSC_IjEEEEPNS0_10empty_typeENS0_5tupleIJSE_SH_EEENSJ_IJNS9_16discard_iteratorINS9_11use_defaultEEESI_EEENS0_18inequality_wrapperINS9_8equal_toIxEEEEPmJSH_EEE10hipError_tPvRmT3_T4_T5_T6_T7_T9_mT8_P12ihipStream_tbDpT10_ENKUlT_T0_E_clISt17integral_constantIbLb1EES1D_EEDaS18_S19_EUlS18_E_NS1_11comp_targetILNS1_3genE3ELNS1_11target_archE908ELNS1_3gpuE7ELNS1_3repE0EEENS1_30default_config_static_selectorELNS0_4arch9wavefront6targetE0EEEvT1_
                                        ; -- End function
	.section	.AMDGPU.csdata,"",@progbits
; Kernel info:
; codeLenInByte = 0
; NumSgprs: 0
; NumVgprs: 0
; ScratchSize: 0
; MemoryBound: 0
; FloatMode: 240
; IeeeMode: 1
; LDSByteSize: 0 bytes/workgroup (compile time only)
; SGPRBlocks: 0
; VGPRBlocks: 0
; NumSGPRsForWavesPerEU: 1
; NumVGPRsForWavesPerEU: 1
; Occupancy: 16
; WaveLimiterHint : 0
; COMPUTE_PGM_RSRC2:SCRATCH_EN: 0
; COMPUTE_PGM_RSRC2:USER_SGPR: 15
; COMPUTE_PGM_RSRC2:TRAP_HANDLER: 0
; COMPUTE_PGM_RSRC2:TGID_X_EN: 1
; COMPUTE_PGM_RSRC2:TGID_Y_EN: 0
; COMPUTE_PGM_RSRC2:TGID_Z_EN: 0
; COMPUTE_PGM_RSRC2:TIDIG_COMP_CNT: 0
	.section	.text._ZN7rocprim17ROCPRIM_400000_NS6detail17trampoline_kernelINS0_14default_configENS1_25partition_config_selectorILNS1_17partition_subalgoE9ExjbEEZZNS1_14partition_implILS5_9ELb0ES3_jN6thrust23THRUST_200600_302600_NS6detail15normal_iteratorINS9_10device_ptrIxEEEENSB_INSC_IjEEEEPNS0_10empty_typeENS0_5tupleIJSE_SH_EEENSJ_IJNS9_16discard_iteratorINS9_11use_defaultEEESI_EEENS0_18inequality_wrapperINS9_8equal_toIxEEEEPmJSH_EEE10hipError_tPvRmT3_T4_T5_T6_T7_T9_mT8_P12ihipStream_tbDpT10_ENKUlT_T0_E_clISt17integral_constantIbLb1EES1D_EEDaS18_S19_EUlS18_E_NS1_11comp_targetILNS1_3genE2ELNS1_11target_archE906ELNS1_3gpuE6ELNS1_3repE0EEENS1_30default_config_static_selectorELNS0_4arch9wavefront6targetE0EEEvT1_,"axG",@progbits,_ZN7rocprim17ROCPRIM_400000_NS6detail17trampoline_kernelINS0_14default_configENS1_25partition_config_selectorILNS1_17partition_subalgoE9ExjbEEZZNS1_14partition_implILS5_9ELb0ES3_jN6thrust23THRUST_200600_302600_NS6detail15normal_iteratorINS9_10device_ptrIxEEEENSB_INSC_IjEEEEPNS0_10empty_typeENS0_5tupleIJSE_SH_EEENSJ_IJNS9_16discard_iteratorINS9_11use_defaultEEESI_EEENS0_18inequality_wrapperINS9_8equal_toIxEEEEPmJSH_EEE10hipError_tPvRmT3_T4_T5_T6_T7_T9_mT8_P12ihipStream_tbDpT10_ENKUlT_T0_E_clISt17integral_constantIbLb1EES1D_EEDaS18_S19_EUlS18_E_NS1_11comp_targetILNS1_3genE2ELNS1_11target_archE906ELNS1_3gpuE6ELNS1_3repE0EEENS1_30default_config_static_selectorELNS0_4arch9wavefront6targetE0EEEvT1_,comdat
	.protected	_ZN7rocprim17ROCPRIM_400000_NS6detail17trampoline_kernelINS0_14default_configENS1_25partition_config_selectorILNS1_17partition_subalgoE9ExjbEEZZNS1_14partition_implILS5_9ELb0ES3_jN6thrust23THRUST_200600_302600_NS6detail15normal_iteratorINS9_10device_ptrIxEEEENSB_INSC_IjEEEEPNS0_10empty_typeENS0_5tupleIJSE_SH_EEENSJ_IJNS9_16discard_iteratorINS9_11use_defaultEEESI_EEENS0_18inequality_wrapperINS9_8equal_toIxEEEEPmJSH_EEE10hipError_tPvRmT3_T4_T5_T6_T7_T9_mT8_P12ihipStream_tbDpT10_ENKUlT_T0_E_clISt17integral_constantIbLb1EES1D_EEDaS18_S19_EUlS18_E_NS1_11comp_targetILNS1_3genE2ELNS1_11target_archE906ELNS1_3gpuE6ELNS1_3repE0EEENS1_30default_config_static_selectorELNS0_4arch9wavefront6targetE0EEEvT1_ ; -- Begin function _ZN7rocprim17ROCPRIM_400000_NS6detail17trampoline_kernelINS0_14default_configENS1_25partition_config_selectorILNS1_17partition_subalgoE9ExjbEEZZNS1_14partition_implILS5_9ELb0ES3_jN6thrust23THRUST_200600_302600_NS6detail15normal_iteratorINS9_10device_ptrIxEEEENSB_INSC_IjEEEEPNS0_10empty_typeENS0_5tupleIJSE_SH_EEENSJ_IJNS9_16discard_iteratorINS9_11use_defaultEEESI_EEENS0_18inequality_wrapperINS9_8equal_toIxEEEEPmJSH_EEE10hipError_tPvRmT3_T4_T5_T6_T7_T9_mT8_P12ihipStream_tbDpT10_ENKUlT_T0_E_clISt17integral_constantIbLb1EES1D_EEDaS18_S19_EUlS18_E_NS1_11comp_targetILNS1_3genE2ELNS1_11target_archE906ELNS1_3gpuE6ELNS1_3repE0EEENS1_30default_config_static_selectorELNS0_4arch9wavefront6targetE0EEEvT1_
	.globl	_ZN7rocprim17ROCPRIM_400000_NS6detail17trampoline_kernelINS0_14default_configENS1_25partition_config_selectorILNS1_17partition_subalgoE9ExjbEEZZNS1_14partition_implILS5_9ELb0ES3_jN6thrust23THRUST_200600_302600_NS6detail15normal_iteratorINS9_10device_ptrIxEEEENSB_INSC_IjEEEEPNS0_10empty_typeENS0_5tupleIJSE_SH_EEENSJ_IJNS9_16discard_iteratorINS9_11use_defaultEEESI_EEENS0_18inequality_wrapperINS9_8equal_toIxEEEEPmJSH_EEE10hipError_tPvRmT3_T4_T5_T6_T7_T9_mT8_P12ihipStream_tbDpT10_ENKUlT_T0_E_clISt17integral_constantIbLb1EES1D_EEDaS18_S19_EUlS18_E_NS1_11comp_targetILNS1_3genE2ELNS1_11target_archE906ELNS1_3gpuE6ELNS1_3repE0EEENS1_30default_config_static_selectorELNS0_4arch9wavefront6targetE0EEEvT1_
	.p2align	8
	.type	_ZN7rocprim17ROCPRIM_400000_NS6detail17trampoline_kernelINS0_14default_configENS1_25partition_config_selectorILNS1_17partition_subalgoE9ExjbEEZZNS1_14partition_implILS5_9ELb0ES3_jN6thrust23THRUST_200600_302600_NS6detail15normal_iteratorINS9_10device_ptrIxEEEENSB_INSC_IjEEEEPNS0_10empty_typeENS0_5tupleIJSE_SH_EEENSJ_IJNS9_16discard_iteratorINS9_11use_defaultEEESI_EEENS0_18inequality_wrapperINS9_8equal_toIxEEEEPmJSH_EEE10hipError_tPvRmT3_T4_T5_T6_T7_T9_mT8_P12ihipStream_tbDpT10_ENKUlT_T0_E_clISt17integral_constantIbLb1EES1D_EEDaS18_S19_EUlS18_E_NS1_11comp_targetILNS1_3genE2ELNS1_11target_archE906ELNS1_3gpuE6ELNS1_3repE0EEENS1_30default_config_static_selectorELNS0_4arch9wavefront6targetE0EEEvT1_,@function
_ZN7rocprim17ROCPRIM_400000_NS6detail17trampoline_kernelINS0_14default_configENS1_25partition_config_selectorILNS1_17partition_subalgoE9ExjbEEZZNS1_14partition_implILS5_9ELb0ES3_jN6thrust23THRUST_200600_302600_NS6detail15normal_iteratorINS9_10device_ptrIxEEEENSB_INSC_IjEEEEPNS0_10empty_typeENS0_5tupleIJSE_SH_EEENSJ_IJNS9_16discard_iteratorINS9_11use_defaultEEESI_EEENS0_18inequality_wrapperINS9_8equal_toIxEEEEPmJSH_EEE10hipError_tPvRmT3_T4_T5_T6_T7_T9_mT8_P12ihipStream_tbDpT10_ENKUlT_T0_E_clISt17integral_constantIbLb1EES1D_EEDaS18_S19_EUlS18_E_NS1_11comp_targetILNS1_3genE2ELNS1_11target_archE906ELNS1_3gpuE6ELNS1_3repE0EEENS1_30default_config_static_selectorELNS0_4arch9wavefront6targetE0EEEvT1_: ; @_ZN7rocprim17ROCPRIM_400000_NS6detail17trampoline_kernelINS0_14default_configENS1_25partition_config_selectorILNS1_17partition_subalgoE9ExjbEEZZNS1_14partition_implILS5_9ELb0ES3_jN6thrust23THRUST_200600_302600_NS6detail15normal_iteratorINS9_10device_ptrIxEEEENSB_INSC_IjEEEEPNS0_10empty_typeENS0_5tupleIJSE_SH_EEENSJ_IJNS9_16discard_iteratorINS9_11use_defaultEEESI_EEENS0_18inequality_wrapperINS9_8equal_toIxEEEEPmJSH_EEE10hipError_tPvRmT3_T4_T5_T6_T7_T9_mT8_P12ihipStream_tbDpT10_ENKUlT_T0_E_clISt17integral_constantIbLb1EES1D_EEDaS18_S19_EUlS18_E_NS1_11comp_targetILNS1_3genE2ELNS1_11target_archE906ELNS1_3gpuE6ELNS1_3repE0EEENS1_30default_config_static_selectorELNS0_4arch9wavefront6targetE0EEEvT1_
; %bb.0:
	.section	.rodata,"a",@progbits
	.p2align	6, 0x0
	.amdhsa_kernel _ZN7rocprim17ROCPRIM_400000_NS6detail17trampoline_kernelINS0_14default_configENS1_25partition_config_selectorILNS1_17partition_subalgoE9ExjbEEZZNS1_14partition_implILS5_9ELb0ES3_jN6thrust23THRUST_200600_302600_NS6detail15normal_iteratorINS9_10device_ptrIxEEEENSB_INSC_IjEEEEPNS0_10empty_typeENS0_5tupleIJSE_SH_EEENSJ_IJNS9_16discard_iteratorINS9_11use_defaultEEESI_EEENS0_18inequality_wrapperINS9_8equal_toIxEEEEPmJSH_EEE10hipError_tPvRmT3_T4_T5_T6_T7_T9_mT8_P12ihipStream_tbDpT10_ENKUlT_T0_E_clISt17integral_constantIbLb1EES1D_EEDaS18_S19_EUlS18_E_NS1_11comp_targetILNS1_3genE2ELNS1_11target_archE906ELNS1_3gpuE6ELNS1_3repE0EEENS1_30default_config_static_selectorELNS0_4arch9wavefront6targetE0EEEvT1_
		.amdhsa_group_segment_fixed_size 0
		.amdhsa_private_segment_fixed_size 0
		.amdhsa_kernarg_size 136
		.amdhsa_user_sgpr_count 15
		.amdhsa_user_sgpr_dispatch_ptr 0
		.amdhsa_user_sgpr_queue_ptr 0
		.amdhsa_user_sgpr_kernarg_segment_ptr 1
		.amdhsa_user_sgpr_dispatch_id 0
		.amdhsa_user_sgpr_private_segment_size 0
		.amdhsa_wavefront_size32 1
		.amdhsa_uses_dynamic_stack 0
		.amdhsa_enable_private_segment 0
		.amdhsa_system_sgpr_workgroup_id_x 1
		.amdhsa_system_sgpr_workgroup_id_y 0
		.amdhsa_system_sgpr_workgroup_id_z 0
		.amdhsa_system_sgpr_workgroup_info 0
		.amdhsa_system_vgpr_workitem_id 0
		.amdhsa_next_free_vgpr 1
		.amdhsa_next_free_sgpr 1
		.amdhsa_reserve_vcc 0
		.amdhsa_float_round_mode_32 0
		.amdhsa_float_round_mode_16_64 0
		.amdhsa_float_denorm_mode_32 3
		.amdhsa_float_denorm_mode_16_64 3
		.amdhsa_dx10_clamp 1
		.amdhsa_ieee_mode 1
		.amdhsa_fp16_overflow 0
		.amdhsa_workgroup_processor_mode 1
		.amdhsa_memory_ordered 1
		.amdhsa_forward_progress 0
		.amdhsa_shared_vgpr_count 0
		.amdhsa_exception_fp_ieee_invalid_op 0
		.amdhsa_exception_fp_denorm_src 0
		.amdhsa_exception_fp_ieee_div_zero 0
		.amdhsa_exception_fp_ieee_overflow 0
		.amdhsa_exception_fp_ieee_underflow 0
		.amdhsa_exception_fp_ieee_inexact 0
		.amdhsa_exception_int_div_zero 0
	.end_amdhsa_kernel
	.section	.text._ZN7rocprim17ROCPRIM_400000_NS6detail17trampoline_kernelINS0_14default_configENS1_25partition_config_selectorILNS1_17partition_subalgoE9ExjbEEZZNS1_14partition_implILS5_9ELb0ES3_jN6thrust23THRUST_200600_302600_NS6detail15normal_iteratorINS9_10device_ptrIxEEEENSB_INSC_IjEEEEPNS0_10empty_typeENS0_5tupleIJSE_SH_EEENSJ_IJNS9_16discard_iteratorINS9_11use_defaultEEESI_EEENS0_18inequality_wrapperINS9_8equal_toIxEEEEPmJSH_EEE10hipError_tPvRmT3_T4_T5_T6_T7_T9_mT8_P12ihipStream_tbDpT10_ENKUlT_T0_E_clISt17integral_constantIbLb1EES1D_EEDaS18_S19_EUlS18_E_NS1_11comp_targetILNS1_3genE2ELNS1_11target_archE906ELNS1_3gpuE6ELNS1_3repE0EEENS1_30default_config_static_selectorELNS0_4arch9wavefront6targetE0EEEvT1_,"axG",@progbits,_ZN7rocprim17ROCPRIM_400000_NS6detail17trampoline_kernelINS0_14default_configENS1_25partition_config_selectorILNS1_17partition_subalgoE9ExjbEEZZNS1_14partition_implILS5_9ELb0ES3_jN6thrust23THRUST_200600_302600_NS6detail15normal_iteratorINS9_10device_ptrIxEEEENSB_INSC_IjEEEEPNS0_10empty_typeENS0_5tupleIJSE_SH_EEENSJ_IJNS9_16discard_iteratorINS9_11use_defaultEEESI_EEENS0_18inequality_wrapperINS9_8equal_toIxEEEEPmJSH_EEE10hipError_tPvRmT3_T4_T5_T6_T7_T9_mT8_P12ihipStream_tbDpT10_ENKUlT_T0_E_clISt17integral_constantIbLb1EES1D_EEDaS18_S19_EUlS18_E_NS1_11comp_targetILNS1_3genE2ELNS1_11target_archE906ELNS1_3gpuE6ELNS1_3repE0EEENS1_30default_config_static_selectorELNS0_4arch9wavefront6targetE0EEEvT1_,comdat
.Lfunc_end1025:
	.size	_ZN7rocprim17ROCPRIM_400000_NS6detail17trampoline_kernelINS0_14default_configENS1_25partition_config_selectorILNS1_17partition_subalgoE9ExjbEEZZNS1_14partition_implILS5_9ELb0ES3_jN6thrust23THRUST_200600_302600_NS6detail15normal_iteratorINS9_10device_ptrIxEEEENSB_INSC_IjEEEEPNS0_10empty_typeENS0_5tupleIJSE_SH_EEENSJ_IJNS9_16discard_iteratorINS9_11use_defaultEEESI_EEENS0_18inequality_wrapperINS9_8equal_toIxEEEEPmJSH_EEE10hipError_tPvRmT3_T4_T5_T6_T7_T9_mT8_P12ihipStream_tbDpT10_ENKUlT_T0_E_clISt17integral_constantIbLb1EES1D_EEDaS18_S19_EUlS18_E_NS1_11comp_targetILNS1_3genE2ELNS1_11target_archE906ELNS1_3gpuE6ELNS1_3repE0EEENS1_30default_config_static_selectorELNS0_4arch9wavefront6targetE0EEEvT1_, .Lfunc_end1025-_ZN7rocprim17ROCPRIM_400000_NS6detail17trampoline_kernelINS0_14default_configENS1_25partition_config_selectorILNS1_17partition_subalgoE9ExjbEEZZNS1_14partition_implILS5_9ELb0ES3_jN6thrust23THRUST_200600_302600_NS6detail15normal_iteratorINS9_10device_ptrIxEEEENSB_INSC_IjEEEEPNS0_10empty_typeENS0_5tupleIJSE_SH_EEENSJ_IJNS9_16discard_iteratorINS9_11use_defaultEEESI_EEENS0_18inequality_wrapperINS9_8equal_toIxEEEEPmJSH_EEE10hipError_tPvRmT3_T4_T5_T6_T7_T9_mT8_P12ihipStream_tbDpT10_ENKUlT_T0_E_clISt17integral_constantIbLb1EES1D_EEDaS18_S19_EUlS18_E_NS1_11comp_targetILNS1_3genE2ELNS1_11target_archE906ELNS1_3gpuE6ELNS1_3repE0EEENS1_30default_config_static_selectorELNS0_4arch9wavefront6targetE0EEEvT1_
                                        ; -- End function
	.section	.AMDGPU.csdata,"",@progbits
; Kernel info:
; codeLenInByte = 0
; NumSgprs: 0
; NumVgprs: 0
; ScratchSize: 0
; MemoryBound: 0
; FloatMode: 240
; IeeeMode: 1
; LDSByteSize: 0 bytes/workgroup (compile time only)
; SGPRBlocks: 0
; VGPRBlocks: 0
; NumSGPRsForWavesPerEU: 1
; NumVGPRsForWavesPerEU: 1
; Occupancy: 16
; WaveLimiterHint : 0
; COMPUTE_PGM_RSRC2:SCRATCH_EN: 0
; COMPUTE_PGM_RSRC2:USER_SGPR: 15
; COMPUTE_PGM_RSRC2:TRAP_HANDLER: 0
; COMPUTE_PGM_RSRC2:TGID_X_EN: 1
; COMPUTE_PGM_RSRC2:TGID_Y_EN: 0
; COMPUTE_PGM_RSRC2:TGID_Z_EN: 0
; COMPUTE_PGM_RSRC2:TIDIG_COMP_CNT: 0
	.section	.text._ZN7rocprim17ROCPRIM_400000_NS6detail17trampoline_kernelINS0_14default_configENS1_25partition_config_selectorILNS1_17partition_subalgoE9ExjbEEZZNS1_14partition_implILS5_9ELb0ES3_jN6thrust23THRUST_200600_302600_NS6detail15normal_iteratorINS9_10device_ptrIxEEEENSB_INSC_IjEEEEPNS0_10empty_typeENS0_5tupleIJSE_SH_EEENSJ_IJNS9_16discard_iteratorINS9_11use_defaultEEESI_EEENS0_18inequality_wrapperINS9_8equal_toIxEEEEPmJSH_EEE10hipError_tPvRmT3_T4_T5_T6_T7_T9_mT8_P12ihipStream_tbDpT10_ENKUlT_T0_E_clISt17integral_constantIbLb1EES1D_EEDaS18_S19_EUlS18_E_NS1_11comp_targetILNS1_3genE10ELNS1_11target_archE1200ELNS1_3gpuE4ELNS1_3repE0EEENS1_30default_config_static_selectorELNS0_4arch9wavefront6targetE0EEEvT1_,"axG",@progbits,_ZN7rocprim17ROCPRIM_400000_NS6detail17trampoline_kernelINS0_14default_configENS1_25partition_config_selectorILNS1_17partition_subalgoE9ExjbEEZZNS1_14partition_implILS5_9ELb0ES3_jN6thrust23THRUST_200600_302600_NS6detail15normal_iteratorINS9_10device_ptrIxEEEENSB_INSC_IjEEEEPNS0_10empty_typeENS0_5tupleIJSE_SH_EEENSJ_IJNS9_16discard_iteratorINS9_11use_defaultEEESI_EEENS0_18inequality_wrapperINS9_8equal_toIxEEEEPmJSH_EEE10hipError_tPvRmT3_T4_T5_T6_T7_T9_mT8_P12ihipStream_tbDpT10_ENKUlT_T0_E_clISt17integral_constantIbLb1EES1D_EEDaS18_S19_EUlS18_E_NS1_11comp_targetILNS1_3genE10ELNS1_11target_archE1200ELNS1_3gpuE4ELNS1_3repE0EEENS1_30default_config_static_selectorELNS0_4arch9wavefront6targetE0EEEvT1_,comdat
	.protected	_ZN7rocprim17ROCPRIM_400000_NS6detail17trampoline_kernelINS0_14default_configENS1_25partition_config_selectorILNS1_17partition_subalgoE9ExjbEEZZNS1_14partition_implILS5_9ELb0ES3_jN6thrust23THRUST_200600_302600_NS6detail15normal_iteratorINS9_10device_ptrIxEEEENSB_INSC_IjEEEEPNS0_10empty_typeENS0_5tupleIJSE_SH_EEENSJ_IJNS9_16discard_iteratorINS9_11use_defaultEEESI_EEENS0_18inequality_wrapperINS9_8equal_toIxEEEEPmJSH_EEE10hipError_tPvRmT3_T4_T5_T6_T7_T9_mT8_P12ihipStream_tbDpT10_ENKUlT_T0_E_clISt17integral_constantIbLb1EES1D_EEDaS18_S19_EUlS18_E_NS1_11comp_targetILNS1_3genE10ELNS1_11target_archE1200ELNS1_3gpuE4ELNS1_3repE0EEENS1_30default_config_static_selectorELNS0_4arch9wavefront6targetE0EEEvT1_ ; -- Begin function _ZN7rocprim17ROCPRIM_400000_NS6detail17trampoline_kernelINS0_14default_configENS1_25partition_config_selectorILNS1_17partition_subalgoE9ExjbEEZZNS1_14partition_implILS5_9ELb0ES3_jN6thrust23THRUST_200600_302600_NS6detail15normal_iteratorINS9_10device_ptrIxEEEENSB_INSC_IjEEEEPNS0_10empty_typeENS0_5tupleIJSE_SH_EEENSJ_IJNS9_16discard_iteratorINS9_11use_defaultEEESI_EEENS0_18inequality_wrapperINS9_8equal_toIxEEEEPmJSH_EEE10hipError_tPvRmT3_T4_T5_T6_T7_T9_mT8_P12ihipStream_tbDpT10_ENKUlT_T0_E_clISt17integral_constantIbLb1EES1D_EEDaS18_S19_EUlS18_E_NS1_11comp_targetILNS1_3genE10ELNS1_11target_archE1200ELNS1_3gpuE4ELNS1_3repE0EEENS1_30default_config_static_selectorELNS0_4arch9wavefront6targetE0EEEvT1_
	.globl	_ZN7rocprim17ROCPRIM_400000_NS6detail17trampoline_kernelINS0_14default_configENS1_25partition_config_selectorILNS1_17partition_subalgoE9ExjbEEZZNS1_14partition_implILS5_9ELb0ES3_jN6thrust23THRUST_200600_302600_NS6detail15normal_iteratorINS9_10device_ptrIxEEEENSB_INSC_IjEEEEPNS0_10empty_typeENS0_5tupleIJSE_SH_EEENSJ_IJNS9_16discard_iteratorINS9_11use_defaultEEESI_EEENS0_18inequality_wrapperINS9_8equal_toIxEEEEPmJSH_EEE10hipError_tPvRmT3_T4_T5_T6_T7_T9_mT8_P12ihipStream_tbDpT10_ENKUlT_T0_E_clISt17integral_constantIbLb1EES1D_EEDaS18_S19_EUlS18_E_NS1_11comp_targetILNS1_3genE10ELNS1_11target_archE1200ELNS1_3gpuE4ELNS1_3repE0EEENS1_30default_config_static_selectorELNS0_4arch9wavefront6targetE0EEEvT1_
	.p2align	8
	.type	_ZN7rocprim17ROCPRIM_400000_NS6detail17trampoline_kernelINS0_14default_configENS1_25partition_config_selectorILNS1_17partition_subalgoE9ExjbEEZZNS1_14partition_implILS5_9ELb0ES3_jN6thrust23THRUST_200600_302600_NS6detail15normal_iteratorINS9_10device_ptrIxEEEENSB_INSC_IjEEEEPNS0_10empty_typeENS0_5tupleIJSE_SH_EEENSJ_IJNS9_16discard_iteratorINS9_11use_defaultEEESI_EEENS0_18inequality_wrapperINS9_8equal_toIxEEEEPmJSH_EEE10hipError_tPvRmT3_T4_T5_T6_T7_T9_mT8_P12ihipStream_tbDpT10_ENKUlT_T0_E_clISt17integral_constantIbLb1EES1D_EEDaS18_S19_EUlS18_E_NS1_11comp_targetILNS1_3genE10ELNS1_11target_archE1200ELNS1_3gpuE4ELNS1_3repE0EEENS1_30default_config_static_selectorELNS0_4arch9wavefront6targetE0EEEvT1_,@function
_ZN7rocprim17ROCPRIM_400000_NS6detail17trampoline_kernelINS0_14default_configENS1_25partition_config_selectorILNS1_17partition_subalgoE9ExjbEEZZNS1_14partition_implILS5_9ELb0ES3_jN6thrust23THRUST_200600_302600_NS6detail15normal_iteratorINS9_10device_ptrIxEEEENSB_INSC_IjEEEEPNS0_10empty_typeENS0_5tupleIJSE_SH_EEENSJ_IJNS9_16discard_iteratorINS9_11use_defaultEEESI_EEENS0_18inequality_wrapperINS9_8equal_toIxEEEEPmJSH_EEE10hipError_tPvRmT3_T4_T5_T6_T7_T9_mT8_P12ihipStream_tbDpT10_ENKUlT_T0_E_clISt17integral_constantIbLb1EES1D_EEDaS18_S19_EUlS18_E_NS1_11comp_targetILNS1_3genE10ELNS1_11target_archE1200ELNS1_3gpuE4ELNS1_3repE0EEENS1_30default_config_static_selectorELNS0_4arch9wavefront6targetE0EEEvT1_: ; @_ZN7rocprim17ROCPRIM_400000_NS6detail17trampoline_kernelINS0_14default_configENS1_25partition_config_selectorILNS1_17partition_subalgoE9ExjbEEZZNS1_14partition_implILS5_9ELb0ES3_jN6thrust23THRUST_200600_302600_NS6detail15normal_iteratorINS9_10device_ptrIxEEEENSB_INSC_IjEEEEPNS0_10empty_typeENS0_5tupleIJSE_SH_EEENSJ_IJNS9_16discard_iteratorINS9_11use_defaultEEESI_EEENS0_18inequality_wrapperINS9_8equal_toIxEEEEPmJSH_EEE10hipError_tPvRmT3_T4_T5_T6_T7_T9_mT8_P12ihipStream_tbDpT10_ENKUlT_T0_E_clISt17integral_constantIbLb1EES1D_EEDaS18_S19_EUlS18_E_NS1_11comp_targetILNS1_3genE10ELNS1_11target_archE1200ELNS1_3gpuE4ELNS1_3repE0EEENS1_30default_config_static_selectorELNS0_4arch9wavefront6targetE0EEEvT1_
; %bb.0:
	.section	.rodata,"a",@progbits
	.p2align	6, 0x0
	.amdhsa_kernel _ZN7rocprim17ROCPRIM_400000_NS6detail17trampoline_kernelINS0_14default_configENS1_25partition_config_selectorILNS1_17partition_subalgoE9ExjbEEZZNS1_14partition_implILS5_9ELb0ES3_jN6thrust23THRUST_200600_302600_NS6detail15normal_iteratorINS9_10device_ptrIxEEEENSB_INSC_IjEEEEPNS0_10empty_typeENS0_5tupleIJSE_SH_EEENSJ_IJNS9_16discard_iteratorINS9_11use_defaultEEESI_EEENS0_18inequality_wrapperINS9_8equal_toIxEEEEPmJSH_EEE10hipError_tPvRmT3_T4_T5_T6_T7_T9_mT8_P12ihipStream_tbDpT10_ENKUlT_T0_E_clISt17integral_constantIbLb1EES1D_EEDaS18_S19_EUlS18_E_NS1_11comp_targetILNS1_3genE10ELNS1_11target_archE1200ELNS1_3gpuE4ELNS1_3repE0EEENS1_30default_config_static_selectorELNS0_4arch9wavefront6targetE0EEEvT1_
		.amdhsa_group_segment_fixed_size 0
		.amdhsa_private_segment_fixed_size 0
		.amdhsa_kernarg_size 136
		.amdhsa_user_sgpr_count 15
		.amdhsa_user_sgpr_dispatch_ptr 0
		.amdhsa_user_sgpr_queue_ptr 0
		.amdhsa_user_sgpr_kernarg_segment_ptr 1
		.amdhsa_user_sgpr_dispatch_id 0
		.amdhsa_user_sgpr_private_segment_size 0
		.amdhsa_wavefront_size32 1
		.amdhsa_uses_dynamic_stack 0
		.amdhsa_enable_private_segment 0
		.amdhsa_system_sgpr_workgroup_id_x 1
		.amdhsa_system_sgpr_workgroup_id_y 0
		.amdhsa_system_sgpr_workgroup_id_z 0
		.amdhsa_system_sgpr_workgroup_info 0
		.amdhsa_system_vgpr_workitem_id 0
		.amdhsa_next_free_vgpr 1
		.amdhsa_next_free_sgpr 1
		.amdhsa_reserve_vcc 0
		.amdhsa_float_round_mode_32 0
		.amdhsa_float_round_mode_16_64 0
		.amdhsa_float_denorm_mode_32 3
		.amdhsa_float_denorm_mode_16_64 3
		.amdhsa_dx10_clamp 1
		.amdhsa_ieee_mode 1
		.amdhsa_fp16_overflow 0
		.amdhsa_workgroup_processor_mode 1
		.amdhsa_memory_ordered 1
		.amdhsa_forward_progress 0
		.amdhsa_shared_vgpr_count 0
		.amdhsa_exception_fp_ieee_invalid_op 0
		.amdhsa_exception_fp_denorm_src 0
		.amdhsa_exception_fp_ieee_div_zero 0
		.amdhsa_exception_fp_ieee_overflow 0
		.amdhsa_exception_fp_ieee_underflow 0
		.amdhsa_exception_fp_ieee_inexact 0
		.amdhsa_exception_int_div_zero 0
	.end_amdhsa_kernel
	.section	.text._ZN7rocprim17ROCPRIM_400000_NS6detail17trampoline_kernelINS0_14default_configENS1_25partition_config_selectorILNS1_17partition_subalgoE9ExjbEEZZNS1_14partition_implILS5_9ELb0ES3_jN6thrust23THRUST_200600_302600_NS6detail15normal_iteratorINS9_10device_ptrIxEEEENSB_INSC_IjEEEEPNS0_10empty_typeENS0_5tupleIJSE_SH_EEENSJ_IJNS9_16discard_iteratorINS9_11use_defaultEEESI_EEENS0_18inequality_wrapperINS9_8equal_toIxEEEEPmJSH_EEE10hipError_tPvRmT3_T4_T5_T6_T7_T9_mT8_P12ihipStream_tbDpT10_ENKUlT_T0_E_clISt17integral_constantIbLb1EES1D_EEDaS18_S19_EUlS18_E_NS1_11comp_targetILNS1_3genE10ELNS1_11target_archE1200ELNS1_3gpuE4ELNS1_3repE0EEENS1_30default_config_static_selectorELNS0_4arch9wavefront6targetE0EEEvT1_,"axG",@progbits,_ZN7rocprim17ROCPRIM_400000_NS6detail17trampoline_kernelINS0_14default_configENS1_25partition_config_selectorILNS1_17partition_subalgoE9ExjbEEZZNS1_14partition_implILS5_9ELb0ES3_jN6thrust23THRUST_200600_302600_NS6detail15normal_iteratorINS9_10device_ptrIxEEEENSB_INSC_IjEEEEPNS0_10empty_typeENS0_5tupleIJSE_SH_EEENSJ_IJNS9_16discard_iteratorINS9_11use_defaultEEESI_EEENS0_18inequality_wrapperINS9_8equal_toIxEEEEPmJSH_EEE10hipError_tPvRmT3_T4_T5_T6_T7_T9_mT8_P12ihipStream_tbDpT10_ENKUlT_T0_E_clISt17integral_constantIbLb1EES1D_EEDaS18_S19_EUlS18_E_NS1_11comp_targetILNS1_3genE10ELNS1_11target_archE1200ELNS1_3gpuE4ELNS1_3repE0EEENS1_30default_config_static_selectorELNS0_4arch9wavefront6targetE0EEEvT1_,comdat
.Lfunc_end1026:
	.size	_ZN7rocprim17ROCPRIM_400000_NS6detail17trampoline_kernelINS0_14default_configENS1_25partition_config_selectorILNS1_17partition_subalgoE9ExjbEEZZNS1_14partition_implILS5_9ELb0ES3_jN6thrust23THRUST_200600_302600_NS6detail15normal_iteratorINS9_10device_ptrIxEEEENSB_INSC_IjEEEEPNS0_10empty_typeENS0_5tupleIJSE_SH_EEENSJ_IJNS9_16discard_iteratorINS9_11use_defaultEEESI_EEENS0_18inequality_wrapperINS9_8equal_toIxEEEEPmJSH_EEE10hipError_tPvRmT3_T4_T5_T6_T7_T9_mT8_P12ihipStream_tbDpT10_ENKUlT_T0_E_clISt17integral_constantIbLb1EES1D_EEDaS18_S19_EUlS18_E_NS1_11comp_targetILNS1_3genE10ELNS1_11target_archE1200ELNS1_3gpuE4ELNS1_3repE0EEENS1_30default_config_static_selectorELNS0_4arch9wavefront6targetE0EEEvT1_, .Lfunc_end1026-_ZN7rocprim17ROCPRIM_400000_NS6detail17trampoline_kernelINS0_14default_configENS1_25partition_config_selectorILNS1_17partition_subalgoE9ExjbEEZZNS1_14partition_implILS5_9ELb0ES3_jN6thrust23THRUST_200600_302600_NS6detail15normal_iteratorINS9_10device_ptrIxEEEENSB_INSC_IjEEEEPNS0_10empty_typeENS0_5tupleIJSE_SH_EEENSJ_IJNS9_16discard_iteratorINS9_11use_defaultEEESI_EEENS0_18inequality_wrapperINS9_8equal_toIxEEEEPmJSH_EEE10hipError_tPvRmT3_T4_T5_T6_T7_T9_mT8_P12ihipStream_tbDpT10_ENKUlT_T0_E_clISt17integral_constantIbLb1EES1D_EEDaS18_S19_EUlS18_E_NS1_11comp_targetILNS1_3genE10ELNS1_11target_archE1200ELNS1_3gpuE4ELNS1_3repE0EEENS1_30default_config_static_selectorELNS0_4arch9wavefront6targetE0EEEvT1_
                                        ; -- End function
	.section	.AMDGPU.csdata,"",@progbits
; Kernel info:
; codeLenInByte = 0
; NumSgprs: 0
; NumVgprs: 0
; ScratchSize: 0
; MemoryBound: 0
; FloatMode: 240
; IeeeMode: 1
; LDSByteSize: 0 bytes/workgroup (compile time only)
; SGPRBlocks: 0
; VGPRBlocks: 0
; NumSGPRsForWavesPerEU: 1
; NumVGPRsForWavesPerEU: 1
; Occupancy: 15
; WaveLimiterHint : 0
; COMPUTE_PGM_RSRC2:SCRATCH_EN: 0
; COMPUTE_PGM_RSRC2:USER_SGPR: 15
; COMPUTE_PGM_RSRC2:TRAP_HANDLER: 0
; COMPUTE_PGM_RSRC2:TGID_X_EN: 1
; COMPUTE_PGM_RSRC2:TGID_Y_EN: 0
; COMPUTE_PGM_RSRC2:TGID_Z_EN: 0
; COMPUTE_PGM_RSRC2:TIDIG_COMP_CNT: 0
	.section	.text._ZN7rocprim17ROCPRIM_400000_NS6detail17trampoline_kernelINS0_14default_configENS1_25partition_config_selectorILNS1_17partition_subalgoE9ExjbEEZZNS1_14partition_implILS5_9ELb0ES3_jN6thrust23THRUST_200600_302600_NS6detail15normal_iteratorINS9_10device_ptrIxEEEENSB_INSC_IjEEEEPNS0_10empty_typeENS0_5tupleIJSE_SH_EEENSJ_IJNS9_16discard_iteratorINS9_11use_defaultEEESI_EEENS0_18inequality_wrapperINS9_8equal_toIxEEEEPmJSH_EEE10hipError_tPvRmT3_T4_T5_T6_T7_T9_mT8_P12ihipStream_tbDpT10_ENKUlT_T0_E_clISt17integral_constantIbLb1EES1D_EEDaS18_S19_EUlS18_E_NS1_11comp_targetILNS1_3genE9ELNS1_11target_archE1100ELNS1_3gpuE3ELNS1_3repE0EEENS1_30default_config_static_selectorELNS0_4arch9wavefront6targetE0EEEvT1_,"axG",@progbits,_ZN7rocprim17ROCPRIM_400000_NS6detail17trampoline_kernelINS0_14default_configENS1_25partition_config_selectorILNS1_17partition_subalgoE9ExjbEEZZNS1_14partition_implILS5_9ELb0ES3_jN6thrust23THRUST_200600_302600_NS6detail15normal_iteratorINS9_10device_ptrIxEEEENSB_INSC_IjEEEEPNS0_10empty_typeENS0_5tupleIJSE_SH_EEENSJ_IJNS9_16discard_iteratorINS9_11use_defaultEEESI_EEENS0_18inequality_wrapperINS9_8equal_toIxEEEEPmJSH_EEE10hipError_tPvRmT3_T4_T5_T6_T7_T9_mT8_P12ihipStream_tbDpT10_ENKUlT_T0_E_clISt17integral_constantIbLb1EES1D_EEDaS18_S19_EUlS18_E_NS1_11comp_targetILNS1_3genE9ELNS1_11target_archE1100ELNS1_3gpuE3ELNS1_3repE0EEENS1_30default_config_static_selectorELNS0_4arch9wavefront6targetE0EEEvT1_,comdat
	.protected	_ZN7rocprim17ROCPRIM_400000_NS6detail17trampoline_kernelINS0_14default_configENS1_25partition_config_selectorILNS1_17partition_subalgoE9ExjbEEZZNS1_14partition_implILS5_9ELb0ES3_jN6thrust23THRUST_200600_302600_NS6detail15normal_iteratorINS9_10device_ptrIxEEEENSB_INSC_IjEEEEPNS0_10empty_typeENS0_5tupleIJSE_SH_EEENSJ_IJNS9_16discard_iteratorINS9_11use_defaultEEESI_EEENS0_18inequality_wrapperINS9_8equal_toIxEEEEPmJSH_EEE10hipError_tPvRmT3_T4_T5_T6_T7_T9_mT8_P12ihipStream_tbDpT10_ENKUlT_T0_E_clISt17integral_constantIbLb1EES1D_EEDaS18_S19_EUlS18_E_NS1_11comp_targetILNS1_3genE9ELNS1_11target_archE1100ELNS1_3gpuE3ELNS1_3repE0EEENS1_30default_config_static_selectorELNS0_4arch9wavefront6targetE0EEEvT1_ ; -- Begin function _ZN7rocprim17ROCPRIM_400000_NS6detail17trampoline_kernelINS0_14default_configENS1_25partition_config_selectorILNS1_17partition_subalgoE9ExjbEEZZNS1_14partition_implILS5_9ELb0ES3_jN6thrust23THRUST_200600_302600_NS6detail15normal_iteratorINS9_10device_ptrIxEEEENSB_INSC_IjEEEEPNS0_10empty_typeENS0_5tupleIJSE_SH_EEENSJ_IJNS9_16discard_iteratorINS9_11use_defaultEEESI_EEENS0_18inequality_wrapperINS9_8equal_toIxEEEEPmJSH_EEE10hipError_tPvRmT3_T4_T5_T6_T7_T9_mT8_P12ihipStream_tbDpT10_ENKUlT_T0_E_clISt17integral_constantIbLb1EES1D_EEDaS18_S19_EUlS18_E_NS1_11comp_targetILNS1_3genE9ELNS1_11target_archE1100ELNS1_3gpuE3ELNS1_3repE0EEENS1_30default_config_static_selectorELNS0_4arch9wavefront6targetE0EEEvT1_
	.globl	_ZN7rocprim17ROCPRIM_400000_NS6detail17trampoline_kernelINS0_14default_configENS1_25partition_config_selectorILNS1_17partition_subalgoE9ExjbEEZZNS1_14partition_implILS5_9ELb0ES3_jN6thrust23THRUST_200600_302600_NS6detail15normal_iteratorINS9_10device_ptrIxEEEENSB_INSC_IjEEEEPNS0_10empty_typeENS0_5tupleIJSE_SH_EEENSJ_IJNS9_16discard_iteratorINS9_11use_defaultEEESI_EEENS0_18inequality_wrapperINS9_8equal_toIxEEEEPmJSH_EEE10hipError_tPvRmT3_T4_T5_T6_T7_T9_mT8_P12ihipStream_tbDpT10_ENKUlT_T0_E_clISt17integral_constantIbLb1EES1D_EEDaS18_S19_EUlS18_E_NS1_11comp_targetILNS1_3genE9ELNS1_11target_archE1100ELNS1_3gpuE3ELNS1_3repE0EEENS1_30default_config_static_selectorELNS0_4arch9wavefront6targetE0EEEvT1_
	.p2align	8
	.type	_ZN7rocprim17ROCPRIM_400000_NS6detail17trampoline_kernelINS0_14default_configENS1_25partition_config_selectorILNS1_17partition_subalgoE9ExjbEEZZNS1_14partition_implILS5_9ELb0ES3_jN6thrust23THRUST_200600_302600_NS6detail15normal_iteratorINS9_10device_ptrIxEEEENSB_INSC_IjEEEEPNS0_10empty_typeENS0_5tupleIJSE_SH_EEENSJ_IJNS9_16discard_iteratorINS9_11use_defaultEEESI_EEENS0_18inequality_wrapperINS9_8equal_toIxEEEEPmJSH_EEE10hipError_tPvRmT3_T4_T5_T6_T7_T9_mT8_P12ihipStream_tbDpT10_ENKUlT_T0_E_clISt17integral_constantIbLb1EES1D_EEDaS18_S19_EUlS18_E_NS1_11comp_targetILNS1_3genE9ELNS1_11target_archE1100ELNS1_3gpuE3ELNS1_3repE0EEENS1_30default_config_static_selectorELNS0_4arch9wavefront6targetE0EEEvT1_,@function
_ZN7rocprim17ROCPRIM_400000_NS6detail17trampoline_kernelINS0_14default_configENS1_25partition_config_selectorILNS1_17partition_subalgoE9ExjbEEZZNS1_14partition_implILS5_9ELb0ES3_jN6thrust23THRUST_200600_302600_NS6detail15normal_iteratorINS9_10device_ptrIxEEEENSB_INSC_IjEEEEPNS0_10empty_typeENS0_5tupleIJSE_SH_EEENSJ_IJNS9_16discard_iteratorINS9_11use_defaultEEESI_EEENS0_18inequality_wrapperINS9_8equal_toIxEEEEPmJSH_EEE10hipError_tPvRmT3_T4_T5_T6_T7_T9_mT8_P12ihipStream_tbDpT10_ENKUlT_T0_E_clISt17integral_constantIbLb1EES1D_EEDaS18_S19_EUlS18_E_NS1_11comp_targetILNS1_3genE9ELNS1_11target_archE1100ELNS1_3gpuE3ELNS1_3repE0EEENS1_30default_config_static_selectorELNS0_4arch9wavefront6targetE0EEEvT1_: ; @_ZN7rocprim17ROCPRIM_400000_NS6detail17trampoline_kernelINS0_14default_configENS1_25partition_config_selectorILNS1_17partition_subalgoE9ExjbEEZZNS1_14partition_implILS5_9ELb0ES3_jN6thrust23THRUST_200600_302600_NS6detail15normal_iteratorINS9_10device_ptrIxEEEENSB_INSC_IjEEEEPNS0_10empty_typeENS0_5tupleIJSE_SH_EEENSJ_IJNS9_16discard_iteratorINS9_11use_defaultEEESI_EEENS0_18inequality_wrapperINS9_8equal_toIxEEEEPmJSH_EEE10hipError_tPvRmT3_T4_T5_T6_T7_T9_mT8_P12ihipStream_tbDpT10_ENKUlT_T0_E_clISt17integral_constantIbLb1EES1D_EEDaS18_S19_EUlS18_E_NS1_11comp_targetILNS1_3genE9ELNS1_11target_archE1100ELNS1_3gpuE3ELNS1_3repE0EEENS1_30default_config_static_selectorELNS0_4arch9wavefront6targetE0EEEvT1_
; %bb.0:
	s_clause 0x5
	s_load_b128 s[4:7], s[0:1], 0x8
	s_load_b64 s[8:9], s[0:1], 0x18
	s_load_b64 s[10:11], s[0:1], 0x28
	s_load_b128 s[12:15], s[0:1], 0x48
	s_load_b64 s[18:19], s[0:1], 0x58
	s_load_b64 s[16:17], s[0:1], 0x68
	v_cmp_ne_u32_e64 s3, 0, v0
	v_cmp_eq_u32_e64 s2, 0, v0
	s_delay_alu instid0(VALU_DEP_1)
	s_and_saveexec_b32 s20, s2
	s_cbranch_execz .LBB1027_4
; %bb.1:
	s_mov_b32 s22, exec_lo
	s_mov_b32 s21, exec_lo
	v_mbcnt_lo_u32_b32 v1, s22, 0
                                        ; implicit-def: $vgpr2
	s_delay_alu instid0(VALU_DEP_1)
	v_cmpx_eq_u32_e32 0, v1
	s_cbranch_execz .LBB1027_3
; %bb.2:
	s_load_b64 s[24:25], s[0:1], 0x78
	s_bcnt1_i32_b32 s22, s22
	s_delay_alu instid0(SALU_CYCLE_1)
	v_dual_mov_b32 v2, 0 :: v_dual_mov_b32 v3, s22
	s_waitcnt lgkmcnt(0)
	global_atomic_add_u32 v2, v2, v3, s[24:25] glc
.LBB1027_3:
	s_or_b32 exec_lo, exec_lo, s21
	s_waitcnt vmcnt(0)
	v_readfirstlane_b32 s21, v2
	s_delay_alu instid0(VALU_DEP_1)
	v_dual_mov_b32 v2, 0 :: v_dual_add_nc_u32 v1, s21, v1
	ds_store_b32 v2, v1
.LBB1027_4:
	s_or_b32 exec_lo, exec_lo, s20
	v_mov_b32_e32 v1, 0
	s_waitcnt lgkmcnt(0)
	s_barrier
	buffer_gl0_inv
	s_load_b32 s0, s[0:1], 0x70
	ds_load_b32 v2, v1
	s_waitcnt lgkmcnt(0)
	s_barrier
	buffer_gl0_inv
	global_load_b64 v[17:18], v1, s[14:15]
	s_lshl_b64 s[14:15], s[6:7], 3
	v_lshlrev_b32_e32 v49, 3, v0
	s_add_u32 s22, s4, s14
	s_addc_u32 s23, s5, s15
	v_lshrrev_b32_e32 v26, 2, v0
	v_or_b32_e32 v25, 0x200, v0
	v_or_b32_e32 v24, 0x400, v0
	;; [unrolled: 1-line block ×7, first 2 shown]
	s_add_i32 s5, s0, -1
	v_readfirstlane_b32 s20, v2
	s_lshl_b32 s1, s5, 12
	s_lshl_b32 s0, s0, 12
	s_add_i32 s1, s6, s1
	s_delay_alu instid0(SALU_CYCLE_1)
	s_sub_i32 s21, s18, s1
	s_lshl_b32 s4, s20, 12
	s_add_u32 s0, s6, s0
	s_addc_u32 s1, s7, 0
	s_cmp_eq_u32 s20, s5
	v_cmp_ge_u64_e64 s0, s[0:1], s[18:19]
	s_cselect_b32 s14, -1, 0
	s_mov_b32 s5, 0
	s_delay_alu instid0(VALU_DEP_1)
	s_and_b32 s18, s0, s14
	s_lshl_b64 s[0:1], s[4:5], 3
	s_xor_b32 s15, s18, -1
	s_add_u32 s19, s22, s0
	s_addc_u32 s1, s23, s1
	s_and_b32 vcc_lo, exec_lo, s15
	s_mov_b32 s22, -1
	s_cbranch_vccz .LBB1027_6
; %bb.5:
	v_add_co_u32 v1, s0, s19, v49
	s_delay_alu instid0(VALU_DEP_1) | instskip(SKIP_1) | instid1(VALU_DEP_3)
	v_add_co_ci_u32_e64 v2, null, s1, 0, s0
	v_lshrrev_b32_e32 v28, 2, v25
	v_add_co_u32 v3, vcc_lo, 0x1000, v1
	s_delay_alu instid0(VALU_DEP_3)
	v_add_co_ci_u32_e32 v4, vcc_lo, 0, v2, vcc_lo
	v_add_co_u32 v5, vcc_lo, 0x2000, v1
	v_add_co_ci_u32_e32 v6, vcc_lo, 0, v2, vcc_lo
	v_add_co_u32 v7, vcc_lo, 0x3000, v1
	;; [unrolled: 2-line block ×6, first 2 shown]
	v_add_co_ci_u32_e32 v16, vcc_lo, 0, v2, vcc_lo
	s_clause 0x7
	flat_load_b64 v[1:2], v[1:2]
	flat_load_b64 v[3:4], v[3:4]
	;; [unrolled: 1-line block ×8, first 2 shown]
	v_lshrrev_b32_e32 v29, 2, v24
	v_lshrrev_b32_e32 v30, 2, v23
	;; [unrolled: 1-line block ×3, first 2 shown]
	v_and_b32_e32 v27, 0x78, v26
	v_lshrrev_b32_e32 v32, 2, v21
	v_lshrrev_b32_e32 v33, 2, v20
	;; [unrolled: 1-line block ×3, first 2 shown]
	v_and_b32_e32 v28, 0xf8, v28
	v_and_b32_e32 v29, 0x178, v29
	;; [unrolled: 1-line block ×4, first 2 shown]
	v_add_nc_u32_e32 v27, v27, v49
	v_and_b32_e32 v32, 0x2f8, v32
	v_and_b32_e32 v33, 0x378, v33
	v_and_b32_e32 v34, 0x3f8, v34
	v_add_nc_u32_e32 v28, v28, v49
	v_add_nc_u32_e32 v29, v29, v49
	;; [unrolled: 1-line block ×4, first 2 shown]
	s_mov_b32 s22, s5
	v_add_nc_u32_e32 v32, v32, v49
	v_add_nc_u32_e32 v33, v33, v49
	;; [unrolled: 1-line block ×3, first 2 shown]
	s_waitcnt vmcnt(7) lgkmcnt(7)
	ds_store_b64 v27, v[1:2]
	s_waitcnt vmcnt(6) lgkmcnt(7)
	ds_store_b64 v28, v[3:4] offset:4096
	s_waitcnt vmcnt(5) lgkmcnt(7)
	ds_store_b64 v29, v[5:6] offset:8192
	;; [unrolled: 2-line block ×7, first 2 shown]
	s_waitcnt lgkmcnt(0)
	s_barrier
.LBB1027_6:
	v_cmp_gt_u32_e64 s0, s21, v0
	s_and_not1_b32 vcc_lo, exec_lo, s22
	s_cbranch_vccnz .LBB1027_24
; %bb.7:
                                        ; implicit-def: $vgpr1_vgpr2_vgpr3_vgpr4_vgpr5_vgpr6_vgpr7_vgpr8_vgpr9_vgpr10_vgpr11_vgpr12_vgpr13_vgpr14_vgpr15_vgpr16
	s_delay_alu instid0(VALU_DEP_1)
	s_and_saveexec_b32 s22, s0
	s_cbranch_execz .LBB1027_15
; %bb.8:
	v_add_co_u32 v1, s0, s19, v49
	s_delay_alu instid0(VALU_DEP_1) | instskip(SKIP_2) | instid1(SALU_CYCLE_1)
	v_add_co_ci_u32_e64 v2, null, s1, 0, s0
	flat_load_b64 v[1:2], v[1:2]
	s_or_b32 exec_lo, exec_lo, s22
	s_mov_b32 s0, exec_lo
	v_cmpx_gt_u32_e64 s21, v25
	s_cbranch_execnz .LBB1027_16
.LBB1027_9:
	s_or_b32 exec_lo, exec_lo, s0
	s_delay_alu instid0(SALU_CYCLE_1)
	s_mov_b32 s0, exec_lo
	v_cmpx_gt_u32_e64 s21, v24
	s_cbranch_execz .LBB1027_17
.LBB1027_10:
	v_lshlrev_b32_e32 v5, 3, v24
	s_delay_alu instid0(VALU_DEP_1) | instskip(NEXT) | instid1(VALU_DEP_1)
	v_add_co_u32 v5, s22, s19, v5
	v_add_co_ci_u32_e64 v6, null, s1, 0, s22
	flat_load_b64 v[5:6], v[5:6]
	s_or_b32 exec_lo, exec_lo, s0
	s_delay_alu instid0(SALU_CYCLE_1)
	s_mov_b32 s0, exec_lo
	v_cmpx_gt_u32_e64 s21, v23
	s_cbranch_execnz .LBB1027_18
.LBB1027_11:
	s_or_b32 exec_lo, exec_lo, s0
	s_delay_alu instid0(SALU_CYCLE_1)
	s_mov_b32 s0, exec_lo
	v_cmpx_gt_u32_e64 s21, v22
	s_cbranch_execz .LBB1027_19
.LBB1027_12:
	v_lshlrev_b32_e32 v9, 3, v22
	s_delay_alu instid0(VALU_DEP_1) | instskip(NEXT) | instid1(VALU_DEP_1)
	v_add_co_u32 v9, s22, s19, v9
	v_add_co_ci_u32_e64 v10, null, s1, 0, s22
	flat_load_b64 v[9:10], v[9:10]
	s_or_b32 exec_lo, exec_lo, s0
	s_delay_alu instid0(SALU_CYCLE_1)
	s_mov_b32 s0, exec_lo
	v_cmpx_gt_u32_e64 s21, v21
	s_cbranch_execnz .LBB1027_20
.LBB1027_13:
	s_or_b32 exec_lo, exec_lo, s0
	s_delay_alu instid0(SALU_CYCLE_1)
	s_mov_b32 s0, exec_lo
	v_cmpx_gt_u32_e64 s21, v20
	s_cbranch_execz .LBB1027_21
.LBB1027_14:
	v_lshlrev_b32_e32 v13, 3, v20
	s_delay_alu instid0(VALU_DEP_1) | instskip(NEXT) | instid1(VALU_DEP_1)
	v_add_co_u32 v13, s22, s19, v13
	v_add_co_ci_u32_e64 v14, null, s1, 0, s22
	flat_load_b64 v[13:14], v[13:14]
	s_or_b32 exec_lo, exec_lo, s0
	s_delay_alu instid0(SALU_CYCLE_1)
	s_mov_b32 s0, exec_lo
	v_cmpx_gt_u32_e64 s21, v19
	s_cbranch_execnz .LBB1027_22
	s_branch .LBB1027_23
.LBB1027_15:
	s_or_b32 exec_lo, exec_lo, s22
	s_delay_alu instid0(SALU_CYCLE_1)
	s_mov_b32 s0, exec_lo
	v_cmpx_gt_u32_e64 s21, v25
	s_cbranch_execz .LBB1027_9
.LBB1027_16:
	v_lshlrev_b32_e32 v3, 3, v25
	s_delay_alu instid0(VALU_DEP_1) | instskip(NEXT) | instid1(VALU_DEP_1)
	v_add_co_u32 v3, s22, s19, v3
	v_add_co_ci_u32_e64 v4, null, s1, 0, s22
	flat_load_b64 v[3:4], v[3:4]
	s_or_b32 exec_lo, exec_lo, s0
	s_delay_alu instid0(SALU_CYCLE_1)
	s_mov_b32 s0, exec_lo
	v_cmpx_gt_u32_e64 s21, v24
	s_cbranch_execnz .LBB1027_10
.LBB1027_17:
	s_or_b32 exec_lo, exec_lo, s0
	s_delay_alu instid0(SALU_CYCLE_1)
	s_mov_b32 s0, exec_lo
	v_cmpx_gt_u32_e64 s21, v23
	s_cbranch_execz .LBB1027_11
.LBB1027_18:
	v_lshlrev_b32_e32 v7, 3, v23
	s_delay_alu instid0(VALU_DEP_1) | instskip(NEXT) | instid1(VALU_DEP_1)
	v_add_co_u32 v7, s22, s19, v7
	v_add_co_ci_u32_e64 v8, null, s1, 0, s22
	flat_load_b64 v[7:8], v[7:8]
	s_or_b32 exec_lo, exec_lo, s0
	s_delay_alu instid0(SALU_CYCLE_1)
	s_mov_b32 s0, exec_lo
	v_cmpx_gt_u32_e64 s21, v22
	s_cbranch_execnz .LBB1027_12
.LBB1027_19:
	s_or_b32 exec_lo, exec_lo, s0
	s_delay_alu instid0(SALU_CYCLE_1)
	s_mov_b32 s0, exec_lo
	v_cmpx_gt_u32_e64 s21, v21
	s_cbranch_execz .LBB1027_13
.LBB1027_20:
	v_lshlrev_b32_e32 v11, 3, v21
	s_delay_alu instid0(VALU_DEP_1) | instskip(NEXT) | instid1(VALU_DEP_1)
	v_add_co_u32 v11, s22, s19, v11
	v_add_co_ci_u32_e64 v12, null, s1, 0, s22
	flat_load_b64 v[11:12], v[11:12]
	s_or_b32 exec_lo, exec_lo, s0
	s_delay_alu instid0(SALU_CYCLE_1)
	s_mov_b32 s0, exec_lo
	v_cmpx_gt_u32_e64 s21, v20
	s_cbranch_execnz .LBB1027_14
.LBB1027_21:
	s_or_b32 exec_lo, exec_lo, s0
	s_delay_alu instid0(SALU_CYCLE_1)
	s_mov_b32 s0, exec_lo
	v_cmpx_gt_u32_e64 s21, v19
	s_cbranch_execz .LBB1027_23
.LBB1027_22:
	v_lshlrev_b32_e32 v15, 3, v19
	s_delay_alu instid0(VALU_DEP_1) | instskip(NEXT) | instid1(VALU_DEP_1)
	v_add_co_u32 v15, s22, s19, v15
	v_add_co_ci_u32_e64 v16, null, s1, 0, s22
	flat_load_b64 v[15:16], v[15:16]
.LBB1027_23:
	s_or_b32 exec_lo, exec_lo, s0
	v_lshrrev_b32_e32 v27, 2, v25
	v_lshrrev_b32_e32 v28, 2, v24
	;; [unrolled: 1-line block ×4, first 2 shown]
	v_and_b32_e32 v29, 0x78, v26
	v_lshrrev_b32_e32 v32, 2, v21
	v_lshrrev_b32_e32 v33, 2, v20
	;; [unrolled: 1-line block ×3, first 2 shown]
	v_and_b32_e32 v27, 0xf8, v27
	v_and_b32_e32 v28, 0x1f8, v28
	v_and_b32_e32 v30, 0x1f8, v30
	v_and_b32_e32 v31, 0x3f8, v31
	v_add_nc_u32_e32 v29, v29, v49
	v_and_b32_e32 v32, 0x3f8, v32
	v_and_b32_e32 v33, 0x3f8, v33
	;; [unrolled: 1-line block ×3, first 2 shown]
	v_add_nc_u32_e32 v27, v27, v49
	v_add_nc_u32_e32 v28, v28, v49
	;; [unrolled: 1-line block ×7, first 2 shown]
	s_waitcnt vmcnt(0) lgkmcnt(0)
	ds_store_b64 v29, v[1:2]
	ds_store_b64 v27, v[3:4] offset:4096
	ds_store_b64 v28, v[5:6] offset:8192
	;; [unrolled: 1-line block ×7, first 2 shown]
	s_waitcnt lgkmcnt(0)
	s_barrier
.LBB1027_24:
	v_add_nc_u32_e32 v26, v26, v49
	s_waitcnt vmcnt(0)
	buffer_gl0_inv
	s_lshl_b64 s[22:23], s[6:7], 2
	v_lshrrev_b32_e32 v28, 3, v0
	s_add_u32 s0, s8, s22
	v_lshlrev_b32_e32 v27, 3, v26
	s_addc_u32 s8, s9, s23
	s_lshl_b64 s[4:5], s[4:5], 2
	ds_load_2addr_b64 v[13:16], v27 offset1:1
	ds_load_2addr_b64 v[9:12], v27 offset0:2 offset1:3
	ds_load_2addr_b64 v[5:8], v27 offset0:4 offset1:5
	;; [unrolled: 1-line block ×3, first 2 shown]
	s_add_u32 s0, s0, s4
	s_addc_u32 s4, s8, s5
	s_and_b32 vcc_lo, exec_lo, s15
	s_mov_b32 s5, -1
	s_waitcnt lgkmcnt(0)
	s_barrier
	buffer_gl0_inv
	s_cbranch_vccz .LBB1027_26
; %bb.25:
	v_lshlrev_b32_e32 v37, 2, v0
	v_lshrrev_b32_e32 v39, 3, v25
	v_lshrrev_b32_e32 v40, 3, v24
	;; [unrolled: 1-line block ×4, first 2 shown]
	v_add_co_u32 v29, s5, s0, v37
	s_delay_alu instid0(VALU_DEP_1) | instskip(SKIP_1) | instid1(VALU_DEP_3)
	v_add_co_ci_u32_e64 v30, null, s4, 0, s5
	v_lshrrev_b32_e32 v43, 3, v21
	v_add_co_u32 v31, vcc_lo, 0x1000, v29
	s_delay_alu instid0(VALU_DEP_3)
	v_add_co_ci_u32_e32 v32, vcc_lo, 0, v30, vcc_lo
	v_add_co_u32 v33, vcc_lo, 0x2000, v29
	v_add_co_ci_u32_e32 v34, vcc_lo, 0, v30, vcc_lo
	v_add_co_u32 v35, vcc_lo, 0x3000, v29
	v_add_co_ci_u32_e32 v36, vcc_lo, 0, v30, vcc_lo
	s_clause 0x7
	flat_load_b32 v38, v[29:30]
	flat_load_b32 v29, v[29:30] offset:2048
	flat_load_b32 v30, v[31:32]
	flat_load_b32 v31, v[31:32] offset:2048
	;; [unrolled: 2-line block ×4, first 2 shown]
	v_and_b32_e32 v36, 60, v28
	v_lshrrev_b32_e32 v44, 3, v20
	v_lshrrev_b32_e32 v45, 3, v19
	v_and_b32_e32 v39, 0x7c, v39
	v_and_b32_e32 v40, 0xbc, v40
	;; [unrolled: 1-line block ×4, first 2 shown]
	v_add_nc_u32_e32 v36, v36, v37
	v_and_b32_e32 v43, 0x17c, v43
	v_and_b32_e32 v44, 0x1bc, v44
	;; [unrolled: 1-line block ×3, first 2 shown]
	v_add_nc_u32_e32 v39, v39, v37
	v_add_nc_u32_e32 v40, v40, v37
	;; [unrolled: 1-line block ×4, first 2 shown]
	s_mov_b32 s5, 0
	v_add_nc_u32_e32 v43, v43, v37
	v_add_nc_u32_e32 v44, v44, v37
	;; [unrolled: 1-line block ×3, first 2 shown]
	s_waitcnt vmcnt(7) lgkmcnt(7)
	ds_store_b32 v36, v38
	s_waitcnt vmcnt(6) lgkmcnt(7)
	ds_store_b32 v39, v29 offset:2048
	s_waitcnt vmcnt(5) lgkmcnt(7)
	ds_store_b32 v40, v30 offset:4096
	;; [unrolled: 2-line block ×7, first 2 shown]
	s_waitcnt lgkmcnt(0)
	s_barrier
.LBB1027_26:
	s_and_not1_b32 vcc_lo, exec_lo, s5
	s_cbranch_vccnz .LBB1027_44
; %bb.27:
	s_mov_b32 s5, exec_lo
                                        ; implicit-def: $vgpr29
	v_cmpx_gt_u32_e64 s21, v0
	s_cbranch_execz .LBB1027_29
; %bb.28:
	v_lshlrev_b32_e32 v29, 2, v0
	s_delay_alu instid0(VALU_DEP_1) | instskip(NEXT) | instid1(VALU_DEP_1)
	v_add_co_u32 v29, s8, s0, v29
	v_add_co_ci_u32_e64 v30, null, s4, 0, s8
	flat_load_b32 v29, v[29:30]
.LBB1027_29:
	s_or_b32 exec_lo, exec_lo, s5
	s_delay_alu instid0(SALU_CYCLE_1)
	s_mov_b32 s5, exec_lo
                                        ; implicit-def: $vgpr30
	v_cmpx_gt_u32_e64 s21, v25
	s_cbranch_execz .LBB1027_31
; %bb.30:
	v_lshlrev_b32_e32 v30, 2, v0
	s_delay_alu instid0(VALU_DEP_1) | instskip(NEXT) | instid1(VALU_DEP_1)
	v_add_co_u32 v30, s8, s0, v30
	v_add_co_ci_u32_e64 v31, null, s4, 0, s8
	flat_load_b32 v30, v[30:31] offset:2048
.LBB1027_31:
	s_or_b32 exec_lo, exec_lo, s5
	s_delay_alu instid0(SALU_CYCLE_1)
	s_mov_b32 s5, exec_lo
                                        ; implicit-def: $vgpr31
	v_cmpx_gt_u32_e64 s21, v24
	s_cbranch_execz .LBB1027_33
; %bb.32:
	v_lshlrev_b32_e32 v31, 2, v24
	s_delay_alu instid0(VALU_DEP_1) | instskip(NEXT) | instid1(VALU_DEP_1)
	v_add_co_u32 v31, s8, s0, v31
	v_add_co_ci_u32_e64 v32, null, s4, 0, s8
	flat_load_b32 v31, v[31:32]
.LBB1027_33:
	s_or_b32 exec_lo, exec_lo, s5
	s_delay_alu instid0(SALU_CYCLE_1)
	s_mov_b32 s5, exec_lo
                                        ; implicit-def: $vgpr32
	v_cmpx_gt_u32_e64 s21, v23
	s_cbranch_execz .LBB1027_35
; %bb.34:
	v_lshlrev_b32_e32 v32, 2, v23
	s_delay_alu instid0(VALU_DEP_1) | instskip(NEXT) | instid1(VALU_DEP_1)
	v_add_co_u32 v32, s8, s0, v32
	v_add_co_ci_u32_e64 v33, null, s4, 0, s8
	flat_load_b32 v32, v[32:33]
.LBB1027_35:
	s_or_b32 exec_lo, exec_lo, s5
	s_delay_alu instid0(SALU_CYCLE_1)
	s_mov_b32 s5, exec_lo
                                        ; implicit-def: $vgpr33
	v_cmpx_gt_u32_e64 s21, v22
	s_cbranch_execz .LBB1027_37
; %bb.36:
	v_lshlrev_b32_e32 v33, 2, v22
	s_delay_alu instid0(VALU_DEP_1) | instskip(NEXT) | instid1(VALU_DEP_1)
	v_add_co_u32 v33, s8, s0, v33
	v_add_co_ci_u32_e64 v34, null, s4, 0, s8
	flat_load_b32 v33, v[33:34]
.LBB1027_37:
	s_or_b32 exec_lo, exec_lo, s5
	s_delay_alu instid0(SALU_CYCLE_1)
	s_mov_b32 s5, exec_lo
                                        ; implicit-def: $vgpr34
	v_cmpx_gt_u32_e64 s21, v21
	s_cbranch_execz .LBB1027_39
; %bb.38:
	v_lshlrev_b32_e32 v34, 2, v21
	s_delay_alu instid0(VALU_DEP_1) | instskip(NEXT) | instid1(VALU_DEP_1)
	v_add_co_u32 v34, s8, s0, v34
	v_add_co_ci_u32_e64 v35, null, s4, 0, s8
	flat_load_b32 v34, v[34:35]
.LBB1027_39:
	s_or_b32 exec_lo, exec_lo, s5
	s_delay_alu instid0(SALU_CYCLE_1)
	s_mov_b32 s5, exec_lo
                                        ; implicit-def: $vgpr35
	v_cmpx_gt_u32_e64 s21, v20
	s_cbranch_execz .LBB1027_41
; %bb.40:
	v_lshlrev_b32_e32 v35, 2, v20
	s_delay_alu instid0(VALU_DEP_1) | instskip(NEXT) | instid1(VALU_DEP_1)
	v_add_co_u32 v35, s8, s0, v35
	v_add_co_ci_u32_e64 v36, null, s4, 0, s8
	flat_load_b32 v35, v[35:36]
.LBB1027_41:
	s_or_b32 exec_lo, exec_lo, s5
	s_delay_alu instid0(SALU_CYCLE_1)
	s_mov_b32 s5, exec_lo
                                        ; implicit-def: $vgpr36
	v_cmpx_gt_u32_e64 s21, v19
	s_cbranch_execz .LBB1027_43
; %bb.42:
	v_lshlrev_b32_e32 v36, 2, v19
	s_delay_alu instid0(VALU_DEP_1) | instskip(NEXT) | instid1(VALU_DEP_1)
	v_add_co_u32 v36, s0, s0, v36
	v_add_co_ci_u32_e64 v37, null, s4, 0, s0
	flat_load_b32 v36, v[36:37]
.LBB1027_43:
	s_or_b32 exec_lo, exec_lo, s5
	v_lshrrev_b32_e32 v25, 3, v25
	v_lshrrev_b32_e32 v24, 3, v24
	;; [unrolled: 1-line block ×4, first 2 shown]
	v_and_b32_e32 v28, 60, v28
	v_lshlrev_b32_e32 v37, 2, v0
	v_lshrrev_b32_e32 v21, 3, v21
	v_lshrrev_b32_e32 v20, 3, v20
	;; [unrolled: 1-line block ×3, first 2 shown]
	v_and_b32_e32 v25, 0x7c, v25
	v_and_b32_e32 v24, 0xfc, v24
	;; [unrolled: 1-line block ×4, first 2 shown]
	v_add_nc_u32_e32 v28, v28, v37
	v_and_b32_e32 v21, 0x1fc, v21
	v_and_b32_e32 v20, 0x1fc, v20
	;; [unrolled: 1-line block ×3, first 2 shown]
	v_add_nc_u32_e32 v25, v25, v37
	v_add_nc_u32_e32 v24, v24, v37
	;; [unrolled: 1-line block ×7, first 2 shown]
	s_waitcnt vmcnt(0) lgkmcnt(0)
	ds_store_b32 v28, v29
	ds_store_b32 v25, v30 offset:2048
	ds_store_b32 v24, v31 offset:4096
	;; [unrolled: 1-line block ×7, first 2 shown]
	s_waitcnt lgkmcnt(0)
	s_barrier
.LBB1027_44:
	v_lshlrev_b32_e32 v19, 2, v26
	buffer_gl0_inv
	s_cmp_lg_u32 s20, 0
	s_mov_b32 s22, 0
	s_cselect_b32 s9, -1, 0
	v_sub_nc_u32_e32 v19, v27, v19
	s_cmp_lg_u64 s[6:7], 0
	ds_load_2addr_b32 v[25:26], v19 offset1:1
	ds_load_2addr_b32 v[23:24], v19 offset0:2 offset1:3
	ds_load_2addr_b32 v[21:22], v19 offset0:4 offset1:5
	;; [unrolled: 1-line block ×3, first 2 shown]
	s_cselect_b32 s0, -1, 0
	s_waitcnt lgkmcnt(0)
	s_or_b32 s0, s0, s9
	s_barrier
	s_and_b32 vcc_lo, exec_lo, s0
	buffer_gl0_inv
	s_cbranch_vccz .LBB1027_49
; %bb.45:
	v_add_co_u32 v27, s0, -8, s19
	s_delay_alu instid0(VALU_DEP_1)
	v_add_co_ci_u32_e64 v28, null, -1, s1, s0
	s_mov_b32 s1, -1
	s_and_b32 vcc_lo, exec_lo, s15
	flat_load_b64 v[29:30], v[27:28]
	ds_store_b64 v49, v[3:4]
	s_cbranch_vccz .LBB1027_50
; %bb.46:
	s_waitcnt vmcnt(0) lgkmcnt(1)
	v_dual_mov_b32 v27, v29 :: v_dual_mov_b32 v28, v30
	s_waitcnt lgkmcnt(0)
	s_barrier
	buffer_gl0_inv
	s_and_saveexec_b32 s0, s3
	s_cbranch_execz .LBB1027_48
; %bb.47:
	v_add_nc_u32_e32 v27, -8, v49
	ds_load_b64 v[27:28], v27
.LBB1027_48:
	s_or_b32 exec_lo, exec_lo, s0
	v_cmp_ne_u64_e32 vcc_lo, v[1:2], v[3:4]
	s_waitcnt lgkmcnt(0)
	v_cmp_ne_u64_e64 s0, v[27:28], v[13:14]
	v_cndmask_b32_e64 v31, 0, 1, vcc_lo
	v_cmp_ne_u64_e32 vcc_lo, v[7:8], v[1:2]
	s_delay_alu instid0(VALU_DEP_2) | instskip(SKIP_2) | instid1(VALU_DEP_2)
	v_lshlrev_b16 v31, 8, v31
	v_cndmask_b32_e64 v32, 0, 1, vcc_lo
	v_cmp_ne_u64_e32 vcc_lo, v[5:6], v[7:8]
	v_or_b32_e32 v31, v32, v31
	v_cndmask_b32_e64 v33, 0, 1, vcc_lo
	v_cmp_ne_u64_e32 vcc_lo, v[9:10], v[11:12]
	s_delay_alu instid0(VALU_DEP_3) | instskip(NEXT) | instid1(VALU_DEP_3)
	v_lshlrev_b32_e32 v31, 16, v31
	v_lshlrev_b16 v33, 8, v33
	v_cndmask_b32_e64 v34, 0, 1, vcc_lo
	v_cmp_ne_u64_e32 vcc_lo, v[11:12], v[5:6]
	s_delay_alu instid0(VALU_DEP_2) | instskip(SKIP_2) | instid1(VALU_DEP_2)
	v_lshlrev_b16 v34, 8, v34
	v_cndmask_b32_e64 v35, 0, 1, vcc_lo
	v_cmp_ne_u64_e32 vcc_lo, v[15:16], v[9:10]
	v_or_b32_e32 v33, v35, v33
	v_cndmask_b32_e64 v36, 0, 1, vcc_lo
	v_cmp_ne_u64_e32 vcc_lo, v[13:14], v[15:16]
	s_delay_alu instid0(VALU_DEP_3) | instskip(NEXT) | instid1(VALU_DEP_3)
	v_and_b32_e32 v33, 0xffff, v33
	v_or_b32_e32 v34, v36, v34
	v_cndmask_b32_e64 v37, 0, 1, vcc_lo
	s_delay_alu instid0(VALU_DEP_3) | instskip(NEXT) | instid1(VALU_DEP_3)
	v_or_b32_e32 v28, v33, v31
	v_lshlrev_b32_e32 v32, 16, v34
	s_delay_alu instid0(VALU_DEP_3) | instskip(NEXT) | instid1(VALU_DEP_1)
	v_lshlrev_b16 v36, 8, v37
	v_and_b32_e32 v34, 0xffff, v36
	s_delay_alu instid0(VALU_DEP_1)
	v_or_b32_e32 v27, v34, v32
	s_branch .LBB1027_54
.LBB1027_49:
                                        ; implicit-def: $sgpr0
                                        ; implicit-def: $vgpr28
	s_branch .LBB1027_55
.LBB1027_50:
                                        ; implicit-def: $sgpr0
                                        ; implicit-def: $vgpr28
	s_and_b32 vcc_lo, exec_lo, s1
	s_cbranch_vccz .LBB1027_54
; %bb.51:
	s_waitcnt vmcnt(0) lgkmcnt(0)
	s_barrier
	buffer_gl0_inv
	s_and_saveexec_b32 s0, s3
	s_cbranch_execz .LBB1027_53
; %bb.52:
	v_add_nc_u32_e32 v27, -8, v49
	ds_load_b64 v[29:30], v27
.LBB1027_53:
	s_or_b32 exec_lo, exec_lo, s0
	v_or_b32_e32 v27, 7, v49
	v_or_b32_e32 v28, 6, v49
	v_cmp_ne_u64_e32 vcc_lo, v[1:2], v[3:4]
	v_or_b32_e32 v31, 5, v49
	v_cmp_ne_u64_e64 s1, v[7:8], v[1:2]
	v_cmp_gt_u32_e64 s0, s21, v27
	v_cmp_gt_u32_e64 s4, s21, v28
	v_cmp_ne_u64_e64 s5, v[5:6], v[7:8]
	v_cmp_gt_u32_e64 s6, s21, v31
	v_or_b32_e32 v31, 3, v49
	s_and_b32 s0, s0, vcc_lo
	v_or_b32_e32 v32, 4, v49
	v_cndmask_b32_e64 v27, 0, 1, s0
	s_and_b32 s0, s4, s1
	v_cmp_ne_u64_e32 vcc_lo, v[9:10], v[11:12]
	v_cndmask_b32_e64 v28, 0, 1, s0
	s_and_b32 s0, s6, s5
	v_cmp_gt_u32_e64 s1, s21, v32
	v_cndmask_b32_e64 v33, 0, 1, s0
	v_cmp_gt_u32_e64 s0, s21, v31
	v_or_b32_e32 v31, 2, v49
	v_or_b32_e32 v32, 1, v49
	v_cmp_ne_u64_e64 s4, v[11:12], v[5:6]
	v_cmp_ne_u64_e64 s6, v[13:14], v[15:16]
	s_and_b32 s0, s0, vcc_lo
	v_cmp_ne_u64_e32 vcc_lo, v[15:16], v[9:10]
	v_cndmask_b32_e64 v34, 0, 1, s0
	v_cmp_gt_u32_e64 s0, s21, v31
	v_cmp_gt_u32_e64 s5, s21, v32
	s_and_b32 s1, s1, s4
	v_lshlrev_b16 v33, 8, v33
	v_cndmask_b32_e64 v31, 0, 1, s1
	s_and_b32 s0, s0, vcc_lo
	v_lshlrev_b16 v34, 8, v34
	v_cndmask_b32_e64 v32, 0, 1, s0
	s_and_b32 s0, s5, s6
	v_lshlrev_b16 v27, 8, v27
	v_cndmask_b32_e64 v35, 0, 1, s0
	v_or_b32_e32 v31, v31, v33
	v_or_b32_e32 v32, v32, v34
	s_waitcnt lgkmcnt(0)
	v_cmp_ne_u64_e32 vcc_lo, v[29:30], v[13:14]
	v_or_b32_e32 v27, v28, v27
	v_lshlrev_b16 v34, 8, v35
	v_and_b32_e32 v31, 0xffff, v31
	v_lshlrev_b32_e32 v28, 16, v32
	v_cmp_gt_u32_e64 s0, s21, v49
	v_lshlrev_b32_e32 v33, 16, v27
	v_and_b32_e32 v32, 0xffff, v34
	s_delay_alu instid0(VALU_DEP_3) | instskip(NEXT) | instid1(VALU_DEP_1)
	s_and_b32 s0, s0, vcc_lo
	v_or_b32_e32 v27, v32, v28
	s_delay_alu instid0(VALU_DEP_3)
	v_or_b32_e32 v28, v31, v33
.LBB1027_54:
	s_mov_b32 s22, -1
	s_cbranch_execnz .LBB1027_63
.LBB1027_55:
	v_cmp_ne_u64_e64 s1, v[1:2], v[3:4]
	v_cmp_ne_u64_e64 s4, v[7:8], v[1:2]
	;; [unrolled: 1-line block ×7, first 2 shown]
	s_and_b32 vcc_lo, exec_lo, s15
	ds_store_b64 v49, v[3:4]
	s_cbranch_vccz .LBB1027_59
; %bb.56:
	v_cndmask_b32_e64 v27, 0, 1, s1
	s_waitcnt vmcnt(0) lgkmcnt(2)
	v_cndmask_b32_e64 v29, 0, 1, s5
	v_cndmask_b32_e64 v31, 0, 1, s7
	;; [unrolled: 1-line block ×6, first 2 shown]
	v_lshlrev_b16 v29, 8, v29
	v_lshlrev_b16 v27, 8, v27
	;; [unrolled: 1-line block ×4, first 2 shown]
	s_waitcnt lgkmcnt(0)
	v_or_b32_e32 v29, v30, v29
	v_or_b32_e32 v27, v28, v27
	v_or_b32_e32 v28, v33, v31
	v_or_b32_e32 v30, 1, v32
	s_barrier
	v_and_b32_e32 v29, 0xffff, v29
	v_lshlrev_b32_e32 v27, 16, v27
	v_lshlrev_b32_e32 v31, 16, v28
	v_and_b32_e32 v30, 0xffff, v30
	buffer_gl0_inv
                                        ; implicit-def: $sgpr0
	v_or_b32_e32 v28, v29, v27
	v_or_b32_e32 v27, v30, v31
	s_and_saveexec_b32 s1, s3
	s_delay_alu instid0(SALU_CYCLE_1)
	s_xor_b32 s1, exec_lo, s1
	s_cbranch_execz .LBB1027_58
; %bb.57:
	v_add_nc_u32_e32 v29, -8, v49
	s_or_b32 s22, s22, exec_lo
	ds_load_b64 v[29:30], v29
	s_waitcnt lgkmcnt(0)
	v_cmp_ne_u64_e32 vcc_lo, v[29:30], v[13:14]
	s_and_b32 s0, vcc_lo, exec_lo
.LBB1027_58:
	s_or_b32 exec_lo, exec_lo, s1
	s_branch .LBB1027_63
.LBB1027_59:
                                        ; implicit-def: $sgpr0
                                        ; implicit-def: $vgpr28
	s_cbranch_execz .LBB1027_63
; %bb.60:
	v_or_b32_e32 v27, 7, v49
	v_or_b32_e32 v28, 6, v49
	v_cmp_ne_u64_e32 vcc_lo, v[1:2], v[3:4]
	v_cmp_ne_u64_e64 s0, v[7:8], v[1:2]
	s_waitcnt vmcnt(0) lgkmcnt(2)
	v_or_b32_e32 v29, 4, v49
	v_cmp_gt_u32_e64 s1, s21, v27
	v_or_b32_e32 v27, 5, v49
	v_cmp_gt_u32_e64 s5, s21, v28
	v_cmp_ne_u64_e64 s4, v[5:6], v[7:8]
	v_cmp_ne_u64_e64 s6, v[11:12], v[5:6]
	s_and_b32 s1, s1, vcc_lo
	v_cmp_gt_u32_e32 vcc_lo, s21, v27
	v_cndmask_b32_e64 v28, 0, 1, s1
	v_cmp_gt_u32_e64 s1, s21, v29
	s_and_b32 s0, s5, s0
	v_or_b32_e32 v30, 3, v49
	v_cndmask_b32_e64 v27, 0, 1, s0
	s_and_b32 s0, vcc_lo, s4
	v_or_b32_e32 v32, 1, v49
	v_cndmask_b32_e64 v29, 0, 1, s0
	s_and_b32 s0, s1, s6
	v_cmp_ne_u64_e32 vcc_lo, v[9:10], v[11:12]
	v_cndmask_b32_e64 v31, 0, 1, s0
	v_cmp_gt_u32_e64 s0, s21, v30
	v_cmp_ne_u64_e64 s1, v[13:14], v[15:16]
	v_or_b32_e32 v33, 2, v49
	v_cmp_gt_u32_e64 s4, s21, v32
	v_cmp_ne_u64_e64 s5, v[15:16], v[9:10]
	s_and_b32 s0, s0, vcc_lo
	v_lshlrev_b16 v29, 8, v29
	v_cmp_gt_u32_e64 s6, s21, v33
	v_cndmask_b32_e64 v30, 0, 1, s0
	s_and_b32 s0, s4, s1
	v_lshlrev_b16 v28, 8, v28
	v_cndmask_b32_e64 v32, 0, 1, s0
	s_and_b32 s0, s6, s5
	v_lshlrev_b16 v30, 8, v30
	v_cndmask_b32_e64 v33, 0, 1, s0
	v_or_b32_e32 v29, v31, v29
	v_lshlrev_b16 v32, 8, v32
	v_or_b32_e32 v27, v27, v28
	s_waitcnt lgkmcnt(0)
	v_or_b32_e32 v28, v33, v30
	v_and_b32_e32 v29, 0xffff, v29
	v_or_b32_e32 v30, 1, v32
	v_lshlrev_b32_e32 v27, 16, v27
	s_barrier
	v_lshlrev_b32_e32 v31, 16, v28
	buffer_gl0_inv
	v_and_b32_e32 v30, 0xffff, v30
	v_or_b32_e32 v28, v29, v27
                                        ; implicit-def: $sgpr0
	s_delay_alu instid0(VALU_DEP_2)
	v_or_b32_e32 v27, v30, v31
	s_and_saveexec_b32 s1, s3
	s_cbranch_execz .LBB1027_62
; %bb.61:
	v_add_nc_u32_e32 v29, -8, v49
	v_cmp_gt_u32_e64 s0, s21, v49
	s_or_b32 s22, s22, exec_lo
	ds_load_b64 v[29:30], v29
	s_waitcnt lgkmcnt(0)
	v_cmp_ne_u64_e32 vcc_lo, v[29:30], v[13:14]
	s_and_b32 s0, s0, vcc_lo
	s_delay_alu instid0(SALU_CYCLE_1)
	s_and_b32 s0, s0, exec_lo
.LBB1027_62:
	s_or_b32 exec_lo, exec_lo, s1
.LBB1027_63:
	s_and_saveexec_b32 s1, s22
	s_cbranch_execz .LBB1027_65
; %bb.64:
	s_waitcnt vmcnt(0) lgkmcnt(1)
	v_and_b32_e32 v29, 0xffffff00, v27
	v_cndmask_b32_e64 v30, 0, 1, s0
	s_delay_alu instid0(VALU_DEP_1) | instskip(NEXT) | instid1(VALU_DEP_1)
	v_or_b32_e32 v29, v30, v29
	v_and_b32_e32 v29, 0xffff, v29
	s_delay_alu instid0(VALU_DEP_1)
	v_and_or_b32 v27, 0xffff0000, v27, v29
.LBB1027_65:
	s_or_b32 exec_lo, exec_lo, s1
	s_delay_alu instid0(SALU_CYCLE_1)
	s_and_not1_b32 vcc_lo, exec_lo, s18
	s_cbranch_vccnz .LBB1027_67
; %bb.66:
	v_cmp_gt_u32_e32 vcc_lo, s21, v49
	s_waitcnt vmcnt(0) lgkmcnt(1)
	v_or_b32_e32 v30, 1, v49
	v_and_b32_e32 v31, 0xffffff00, v28
	v_or_b32_e32 v32, 2, v49
	v_cndmask_b32_e32 v29, 0, v27, vcc_lo
	s_delay_alu instid0(VALU_DEP_4) | instskip(SKIP_1) | instid1(VALU_DEP_4)
	v_cmp_gt_u32_e32 vcc_lo, s21, v30
	v_or_b32_e32 v30, 4, v49
	v_cmp_gt_u32_e64 s0, s21, v32
	v_or_b32_e32 v32, 3, v49
	v_and_b32_e32 v29, 0xff, v29
	s_delay_alu instid0(VALU_DEP_2) | instskip(NEXT) | instid1(VALU_DEP_2)
	v_cmp_gt_u32_e64 s1, s21, v32
	v_cndmask_b32_e32 v29, v29, v27, vcc_lo
	v_cmp_gt_u32_e32 vcc_lo, s21, v30
	v_cndmask_b32_e32 v30, v31, v28, vcc_lo
	v_or_b32_e32 v31, 5, v49
	s_delay_alu instid0(VALU_DEP_2) | instskip(SKIP_1) | instid1(VALU_DEP_1)
	v_and_b32_e32 v30, 0xffff00ff, v30
	v_and_b32_e32 v29, 0xffff, v29
	v_cndmask_b32_e64 v29, v29, v27, s0
	s_delay_alu instid0(VALU_DEP_4) | instskip(SKIP_1) | instid1(VALU_DEP_3)
	v_cmp_gt_u32_e64 s0, s21, v31
	v_or_b32_e32 v31, 6, v49
	v_and_b32_e32 v29, 0xffffff, v29
	s_delay_alu instid0(VALU_DEP_3) | instskip(NEXT) | instid1(VALU_DEP_2)
	v_cndmask_b32_e64 v30, v30, v28, s0
	v_cndmask_b32_e64 v29, v29, v27, s1
	s_delay_alu instid0(VALU_DEP_1) | instskip(SKIP_2) | instid1(VALU_DEP_3)
	v_dual_cndmask_b32 v29, v29, v27 :: v_dual_and_b32 v30, 0xff00ffff, v30
	v_cmp_gt_u32_e32 vcc_lo, s21, v31
	v_or_b32_e32 v31, 7, v49
	v_cndmask_b32_e64 v29, v29, v27, s0
	s_delay_alu instid0(VALU_DEP_1) | instskip(NEXT) | instid1(VALU_DEP_1)
	v_dual_cndmask_b32 v30, v30, v28 :: v_dual_cndmask_b32 v29, v29, v27
	v_and_b32_e32 v30, 0xffffff, v30
	s_delay_alu instid0(VALU_DEP_4) | instskip(NEXT) | instid1(VALU_DEP_2)
	v_cmp_gt_u32_e32 vcc_lo, s21, v31
	v_dual_cndmask_b32 v28, v30, v28 :: v_dual_cndmask_b32 v27, v29, v27
.LBB1027_67:
	s_delay_alu instid0(VALU_DEP_1) | instskip(SKIP_1) | instid1(VALU_DEP_2)
	v_and_b32_e32 v38, 0xff, v27
	s_waitcnt vmcnt(0) lgkmcnt(1)
	v_alignbit_b32 v29, v28, v27, 24
	v_bfe_u32 v40, v27, 8, 8
	v_bfe_u32 v42, v27, 16, 8
	v_and_b32_e32 v46, 0xff, v28
	v_bfe_u32 v48, v28, 8, 8
	v_and_b32_e32 v44, 0xff, v29
	v_add_nc_u32_e32 v29, v40, v38
	v_mbcnt_lo_u32_b32 v52, -1, 0
	v_bfe_u32 v51, v28, 16, 8
	v_lshrrev_b32_e32 v50, 24, v28
	v_lshrrev_b32_e32 v53, 5, v0
	v_add3_u32 v29, v29, v42, v44
	v_and_b32_e32 v30, 15, v52
	v_and_b32_e32 v31, 16, v52
	s_and_b32 vcc_lo, exec_lo, s9
	s_mov_b32 s7, -1
	v_add3_u32 v29, v29, v46, v48
	v_cmp_eq_u32_e64 s3, 0, v30
	v_cmp_lt_u32_e64 s0, 1, v30
	v_cmp_lt_u32_e64 s4, 3, v30
	;; [unrolled: 1-line block ×3, first 2 shown]
	v_add3_u32 v54, v29, v51, v50
	v_or_b32_e32 v29, 31, v0
	v_cmp_eq_u32_e64 s6, 0, v31
	s_waitcnt lgkmcnt(0)
	s_barrier
	buffer_gl0_inv
	v_cmp_eq_u32_e64 s5, v29, v0
	s_cbranch_vccz .LBB1027_98
; %bb.68:
	v_mov_b32_dpp v29, v54 row_shr:1 row_mask:0xf bank_mask:0xf
	s_delay_alu instid0(VALU_DEP_1) | instskip(NEXT) | instid1(VALU_DEP_1)
	v_cndmask_b32_e64 v29, v29, 0, s3
	v_add_nc_u32_e32 v29, v29, v54
	s_delay_alu instid0(VALU_DEP_1) | instskip(NEXT) | instid1(VALU_DEP_1)
	v_mov_b32_dpp v30, v29 row_shr:2 row_mask:0xf bank_mask:0xf
	v_cndmask_b32_e64 v30, 0, v30, s0
	s_delay_alu instid0(VALU_DEP_1) | instskip(NEXT) | instid1(VALU_DEP_1)
	v_add_nc_u32_e32 v29, v29, v30
	v_mov_b32_dpp v30, v29 row_shr:4 row_mask:0xf bank_mask:0xf
	s_delay_alu instid0(VALU_DEP_1) | instskip(NEXT) | instid1(VALU_DEP_1)
	v_cndmask_b32_e64 v30, 0, v30, s4
	v_add_nc_u32_e32 v29, v29, v30
	s_delay_alu instid0(VALU_DEP_1) | instskip(NEXT) | instid1(VALU_DEP_1)
	v_mov_b32_dpp v30, v29 row_shr:8 row_mask:0xf bank_mask:0xf
	v_cndmask_b32_e64 v30, 0, v30, s1
	s_delay_alu instid0(VALU_DEP_1) | instskip(SKIP_3) | instid1(VALU_DEP_1)
	v_add_nc_u32_e32 v29, v29, v30
	ds_swizzle_b32 v30, v29 offset:swizzle(BROADCAST,32,15)
	s_waitcnt lgkmcnt(0)
	v_cndmask_b32_e64 v30, v30, 0, s6
	v_add_nc_u32_e32 v29, v29, v30
	s_and_saveexec_b32 s7, s5
	s_cbranch_execz .LBB1027_70
; %bb.69:
	v_lshlrev_b32_e32 v30, 2, v53
	ds_store_b32 v30, v29
.LBB1027_70:
	s_or_b32 exec_lo, exec_lo, s7
	s_delay_alu instid0(SALU_CYCLE_1)
	s_mov_b32 s7, exec_lo
	s_waitcnt lgkmcnt(0)
	s_barrier
	buffer_gl0_inv
	v_cmpx_gt_u32_e32 16, v0
	s_cbranch_execz .LBB1027_72
; %bb.71:
	v_lshlrev_b32_e32 v30, 2, v0
	ds_load_b32 v31, v30
	s_waitcnt lgkmcnt(0)
	v_mov_b32_dpp v32, v31 row_shr:1 row_mask:0xf bank_mask:0xf
	s_delay_alu instid0(VALU_DEP_1) | instskip(NEXT) | instid1(VALU_DEP_1)
	v_cndmask_b32_e64 v32, v32, 0, s3
	v_add_nc_u32_e32 v31, v32, v31
	s_delay_alu instid0(VALU_DEP_1) | instskip(NEXT) | instid1(VALU_DEP_1)
	v_mov_b32_dpp v32, v31 row_shr:2 row_mask:0xf bank_mask:0xf
	v_cndmask_b32_e64 v32, 0, v32, s0
	s_delay_alu instid0(VALU_DEP_1) | instskip(NEXT) | instid1(VALU_DEP_1)
	v_add_nc_u32_e32 v31, v31, v32
	v_mov_b32_dpp v32, v31 row_shr:4 row_mask:0xf bank_mask:0xf
	s_delay_alu instid0(VALU_DEP_1) | instskip(NEXT) | instid1(VALU_DEP_1)
	v_cndmask_b32_e64 v32, 0, v32, s4
	v_add_nc_u32_e32 v31, v31, v32
	s_delay_alu instid0(VALU_DEP_1) | instskip(NEXT) | instid1(VALU_DEP_1)
	v_mov_b32_dpp v32, v31 row_shr:8 row_mask:0xf bank_mask:0xf
	v_cndmask_b32_e64 v32, 0, v32, s1
	s_delay_alu instid0(VALU_DEP_1)
	v_add_nc_u32_e32 v31, v31, v32
	ds_store_b32 v30, v31
.LBB1027_72:
	s_or_b32 exec_lo, exec_lo, s7
	v_cmp_gt_u32_e32 vcc_lo, 32, v0
	s_mov_b32 s8, exec_lo
	s_waitcnt lgkmcnt(0)
	s_barrier
	buffer_gl0_inv
                                        ; implicit-def: $vgpr37
	v_cmpx_lt_u32_e32 31, v0
	s_cbranch_execz .LBB1027_74
; %bb.73:
	v_lshl_add_u32 v30, v53, 2, -4
	ds_load_b32 v37, v30
	s_waitcnt lgkmcnt(0)
	v_add_nc_u32_e32 v29, v37, v29
.LBB1027_74:
	s_or_b32 exec_lo, exec_lo, s8
	v_add_nc_u32_e32 v30, -1, v52
	s_delay_alu instid0(VALU_DEP_1) | instskip(NEXT) | instid1(VALU_DEP_1)
	v_cmp_gt_i32_e64 s7, 0, v30
	v_cndmask_b32_e64 v30, v30, v52, s7
	v_cmp_eq_u32_e64 s7, 0, v52
	s_delay_alu instid0(VALU_DEP_2)
	v_lshlrev_b32_e32 v30, 2, v30
	ds_bpermute_b32 v39, v30, v29
	s_and_saveexec_b32 s8, vcc_lo
	s_cbranch_execz .LBB1027_97
; %bb.75:
	v_mov_b32_e32 v33, 0
	ds_load_b32 v29, v33 offset:60
	s_and_saveexec_b32 s9, s7
	s_cbranch_execz .LBB1027_77
; %bb.76:
	s_add_i32 s18, s20, 32
	s_mov_b32 s19, 0
	v_mov_b32_e32 v30, 1
	s_lshl_b64 s[18:19], s[18:19], 3
	s_delay_alu instid0(SALU_CYCLE_1)
	s_add_u32 s18, s16, s18
	s_addc_u32 s19, s17, s19
	s_waitcnt lgkmcnt(0)
	global_store_b64 v33, v[29:30], s[18:19]
.LBB1027_77:
	s_or_b32 exec_lo, exec_lo, s9
	v_xad_u32 v31, v52, -1, s20
	s_mov_b32 s18, 0
	s_mov_b32 s9, exec_lo
	s_delay_alu instid0(VALU_DEP_1) | instskip(NEXT) | instid1(VALU_DEP_1)
	v_add_nc_u32_e32 v32, 32, v31
	v_lshlrev_b64 v[32:33], 3, v[32:33]
	s_delay_alu instid0(VALU_DEP_1) | instskip(NEXT) | instid1(VALU_DEP_2)
	v_add_co_u32 v35, vcc_lo, s16, v32
	v_add_co_ci_u32_e32 v36, vcc_lo, s17, v33, vcc_lo
	global_load_b64 v[33:34], v[35:36], off glc
	s_waitcnt vmcnt(0)
	v_and_b32_e32 v30, 0xff, v34
	s_delay_alu instid0(VALU_DEP_1)
	v_cmpx_eq_u16_e32 0, v30
	s_cbranch_execz .LBB1027_83
; %bb.78:
	s_mov_b32 s19, 1
	.p2align	6
.LBB1027_79:                            ; =>This Loop Header: Depth=1
                                        ;     Child Loop BB1027_80 Depth 2
	s_delay_alu instid0(SALU_CYCLE_1)
	s_max_u32 s21, s19, 1
.LBB1027_80:                            ;   Parent Loop BB1027_79 Depth=1
                                        ; =>  This Inner Loop Header: Depth=2
	s_delay_alu instid0(SALU_CYCLE_1)
	s_add_i32 s21, s21, -1
	s_sleep 1
	s_cmp_eq_u32 s21, 0
	s_cbranch_scc0 .LBB1027_80
; %bb.81:                               ;   in Loop: Header=BB1027_79 Depth=1
	global_load_b64 v[33:34], v[35:36], off glc
	s_cmp_lt_u32 s19, 32
	s_cselect_b32 s21, -1, 0
	s_delay_alu instid0(SALU_CYCLE_1) | instskip(SKIP_3) | instid1(VALU_DEP_1)
	s_cmp_lg_u32 s21, 0
	s_addc_u32 s19, s19, 0
	s_waitcnt vmcnt(0)
	v_and_b32_e32 v30, 0xff, v34
	v_cmp_ne_u16_e32 vcc_lo, 0, v30
	s_or_b32 s18, vcc_lo, s18
	s_delay_alu instid0(SALU_CYCLE_1)
	s_and_not1_b32 exec_lo, exec_lo, s18
	s_cbranch_execnz .LBB1027_79
; %bb.82:
	s_or_b32 exec_lo, exec_lo, s18
.LBB1027_83:
	s_delay_alu instid0(SALU_CYCLE_1)
	s_or_b32 exec_lo, exec_lo, s9
	v_cmp_ne_u32_e32 vcc_lo, 31, v52
	v_lshlrev_b32_e64 v43, v52, -1
	v_add_nc_u32_e32 v47, 2, v52
	v_add_nc_u32_e32 v60, 16, v52
	v_add_co_ci_u32_e32 v30, vcc_lo, 0, v52, vcc_lo
	s_delay_alu instid0(VALU_DEP_1)
	v_lshlrev_b32_e32 v41, 2, v30
	v_and_b32_e32 v30, 0xff, v34
	ds_bpermute_b32 v32, v41, v33
	v_cmp_eq_u16_e32 vcc_lo, 2, v30
	v_and_or_b32 v30, vcc_lo, v43, 0x80000000
	v_cmp_gt_u32_e32 vcc_lo, 30, v52
	s_delay_alu instid0(VALU_DEP_2) | instskip(SKIP_1) | instid1(VALU_DEP_2)
	v_ctz_i32_b32_e32 v30, v30
	v_cndmask_b32_e64 v35, 0, 1, vcc_lo
	v_cmp_lt_u32_e32 vcc_lo, v52, v30
	s_waitcnt lgkmcnt(0)
	s_delay_alu instid0(VALU_DEP_2) | instskip(NEXT) | instid1(VALU_DEP_1)
	v_dual_cndmask_b32 v32, 0, v32 :: v_dual_lshlrev_b32 v35, 1, v35
	v_add_lshl_u32 v45, v35, v52, 2
	v_cmp_gt_u32_e32 vcc_lo, 28, v52
	s_delay_alu instid0(VALU_DEP_3) | instskip(SKIP_4) | instid1(VALU_DEP_1)
	v_add_nc_u32_e32 v32, v32, v33
	v_cndmask_b32_e64 v35, 0, 1, vcc_lo
	v_cmp_le_u32_e32 vcc_lo, v47, v30
	ds_bpermute_b32 v33, v45, v32
	v_lshlrev_b32_e32 v35, 2, v35
	v_add_lshl_u32 v55, v35, v52, 2
	s_waitcnt lgkmcnt(0)
	v_cndmask_b32_e32 v33, 0, v33, vcc_lo
	v_cmp_gt_u32_e32 vcc_lo, 24, v52
	s_delay_alu instid0(VALU_DEP_2) | instskip(SKIP_4) | instid1(VALU_DEP_2)
	v_add_nc_u32_e32 v32, v32, v33
	v_cndmask_b32_e64 v35, 0, 1, vcc_lo
	ds_bpermute_b32 v33, v55, v32
	v_add_nc_u32_e32 v56, 4, v52
	v_lshlrev_b32_e32 v35, 3, v35
	v_cmp_le_u32_e32 vcc_lo, v56, v30
	s_delay_alu instid0(VALU_DEP_2) | instskip(SKIP_3) | instid1(VALU_DEP_2)
	v_add_lshl_u32 v57, v35, v52, 2
	s_waitcnt lgkmcnt(0)
	v_cndmask_b32_e32 v33, 0, v33, vcc_lo
	v_cmp_gt_u32_e32 vcc_lo, 16, v52
	v_add_nc_u32_e32 v32, v32, v33
	v_cndmask_b32_e64 v35, 0, 1, vcc_lo
	ds_bpermute_b32 v33, v57, v32
	v_add_nc_u32_e32 v58, 8, v52
	v_lshlrev_b32_e32 v35, 4, v35
	s_delay_alu instid0(VALU_DEP_2) | instskip(NEXT) | instid1(VALU_DEP_2)
	v_cmp_le_u32_e32 vcc_lo, v58, v30
	v_add_lshl_u32 v59, v35, v52, 2
	s_waitcnt lgkmcnt(0)
	v_cndmask_b32_e32 v33, 0, v33, vcc_lo
	v_cmp_le_u32_e32 vcc_lo, v60, v30
	s_delay_alu instid0(VALU_DEP_2) | instskip(SKIP_3) | instid1(VALU_DEP_1)
	v_add_nc_u32_e32 v32, v32, v33
	ds_bpermute_b32 v33, v59, v32
	s_waitcnt lgkmcnt(0)
	v_cndmask_b32_e32 v30, 0, v33, vcc_lo
	v_dual_mov_b32 v32, 0 :: v_dual_add_nc_u32 v33, v32, v30
	s_branch .LBB1027_85
.LBB1027_84:                            ;   in Loop: Header=BB1027_85 Depth=1
	s_or_b32 exec_lo, exec_lo, s9
	ds_bpermute_b32 v36, v41, v33
	v_and_b32_e32 v35, 0xff, v34
	v_subrev_nc_u32_e32 v31, 32, v31
	s_delay_alu instid0(VALU_DEP_2) | instskip(SKIP_1) | instid1(VALU_DEP_1)
	v_cmp_eq_u16_e32 vcc_lo, 2, v35
	v_and_or_b32 v35, vcc_lo, v43, 0x80000000
	v_ctz_i32_b32_e32 v35, v35
	s_delay_alu instid0(VALU_DEP_1) | instskip(SKIP_3) | instid1(VALU_DEP_2)
	v_cmp_lt_u32_e32 vcc_lo, v52, v35
	s_waitcnt lgkmcnt(0)
	v_cndmask_b32_e32 v36, 0, v36, vcc_lo
	v_cmp_le_u32_e32 vcc_lo, v47, v35
	v_add_nc_u32_e32 v33, v36, v33
	ds_bpermute_b32 v36, v45, v33
	s_waitcnt lgkmcnt(0)
	v_cndmask_b32_e32 v36, 0, v36, vcc_lo
	v_cmp_le_u32_e32 vcc_lo, v56, v35
	s_delay_alu instid0(VALU_DEP_2) | instskip(SKIP_4) | instid1(VALU_DEP_2)
	v_add_nc_u32_e32 v33, v33, v36
	ds_bpermute_b32 v36, v55, v33
	s_waitcnt lgkmcnt(0)
	v_cndmask_b32_e32 v36, 0, v36, vcc_lo
	v_cmp_le_u32_e32 vcc_lo, v58, v35
	v_add_nc_u32_e32 v33, v33, v36
	ds_bpermute_b32 v36, v57, v33
	s_waitcnt lgkmcnt(0)
	v_cndmask_b32_e32 v36, 0, v36, vcc_lo
	v_cmp_le_u32_e32 vcc_lo, v60, v35
	s_delay_alu instid0(VALU_DEP_2) | instskip(SKIP_3) | instid1(VALU_DEP_1)
	v_add_nc_u32_e32 v33, v33, v36
	ds_bpermute_b32 v36, v59, v33
	s_waitcnt lgkmcnt(0)
	v_cndmask_b32_e32 v35, 0, v36, vcc_lo
	v_add3_u32 v33, v35, v30, v33
.LBB1027_85:                            ; =>This Loop Header: Depth=1
                                        ;     Child Loop BB1027_88 Depth 2
                                        ;       Child Loop BB1027_89 Depth 3
	v_and_b32_e32 v30, 0xff, v34
	s_delay_alu instid0(VALU_DEP_1) | instskip(SKIP_2) | instid1(VALU_DEP_1)
	v_cmp_ne_u16_e32 vcc_lo, 2, v30
	v_cndmask_b32_e64 v30, 0, 1, vcc_lo
	;;#ASMSTART
	;;#ASMEND
	v_cmp_ne_u32_e32 vcc_lo, 0, v30
	v_mov_b32_e32 v30, v33
	s_cmp_lg_u32 vcc_lo, exec_lo
	s_cbranch_scc1 .LBB1027_92
; %bb.86:                               ;   in Loop: Header=BB1027_85 Depth=1
	v_lshlrev_b64 v[33:34], 3, v[31:32]
	s_mov_b32 s9, exec_lo
	s_delay_alu instid0(VALU_DEP_1) | instskip(NEXT) | instid1(VALU_DEP_2)
	v_add_co_u32 v35, vcc_lo, s16, v33
	v_add_co_ci_u32_e32 v36, vcc_lo, s17, v34, vcc_lo
	global_load_b64 v[33:34], v[35:36], off glc
	s_waitcnt vmcnt(0)
	v_and_b32_e32 v61, 0xff, v34
	s_delay_alu instid0(VALU_DEP_1)
	v_cmpx_eq_u16_e32 0, v61
	s_cbranch_execz .LBB1027_84
; %bb.87:                               ;   in Loop: Header=BB1027_85 Depth=1
	s_mov_b32 s19, 1
	s_mov_b32 s18, 0
	.p2align	6
.LBB1027_88:                            ;   Parent Loop BB1027_85 Depth=1
                                        ; =>  This Loop Header: Depth=2
                                        ;       Child Loop BB1027_89 Depth 3
	s_max_u32 s21, s19, 1
.LBB1027_89:                            ;   Parent Loop BB1027_85 Depth=1
                                        ;     Parent Loop BB1027_88 Depth=2
                                        ; =>    This Inner Loop Header: Depth=3
	s_delay_alu instid0(SALU_CYCLE_1)
	s_add_i32 s21, s21, -1
	s_sleep 1
	s_cmp_eq_u32 s21, 0
	s_cbranch_scc0 .LBB1027_89
; %bb.90:                               ;   in Loop: Header=BB1027_88 Depth=2
	global_load_b64 v[33:34], v[35:36], off glc
	s_cmp_lt_u32 s19, 32
	s_cselect_b32 s21, -1, 0
	s_delay_alu instid0(SALU_CYCLE_1) | instskip(SKIP_3) | instid1(VALU_DEP_1)
	s_cmp_lg_u32 s21, 0
	s_addc_u32 s19, s19, 0
	s_waitcnt vmcnt(0)
	v_and_b32_e32 v61, 0xff, v34
	v_cmp_ne_u16_e32 vcc_lo, 0, v61
	s_or_b32 s18, vcc_lo, s18
	s_delay_alu instid0(SALU_CYCLE_1)
	s_and_not1_b32 exec_lo, exec_lo, s18
	s_cbranch_execnz .LBB1027_88
; %bb.91:                               ;   in Loop: Header=BB1027_85 Depth=1
	s_or_b32 exec_lo, exec_lo, s18
	s_branch .LBB1027_84
.LBB1027_92:                            ;   in Loop: Header=BB1027_85 Depth=1
                                        ; implicit-def: $vgpr33
                                        ; implicit-def: $vgpr34
	s_cbranch_execz .LBB1027_85
; %bb.93:
	s_and_saveexec_b32 s9, s7
	s_cbranch_execz .LBB1027_95
; %bb.94:
	s_add_i32 s18, s20, 32
	s_mov_b32 s19, 0
	v_dual_mov_b32 v32, 2 :: v_dual_add_nc_u32 v31, v30, v29
	s_lshl_b64 s[18:19], s[18:19], 3
	v_mov_b32_e32 v33, 0
	s_add_u32 s18, s16, s18
	s_addc_u32 s19, s17, s19
	global_store_b64 v33, v[31:32], s[18:19]
	ds_store_b64 v33, v[29:30] offset:33792
.LBB1027_95:
	s_or_b32 exec_lo, exec_lo, s9
	s_delay_alu instid0(SALU_CYCLE_1)
	s_and_b32 exec_lo, exec_lo, s2
	s_cbranch_execz .LBB1027_97
; %bb.96:
	v_mov_b32_e32 v29, 0
	ds_store_b32 v29, v30 offset:60
.LBB1027_97:
	s_or_b32 exec_lo, exec_lo, s8
	v_mov_b32_e32 v29, 0
	s_waitcnt lgkmcnt(0)
	s_waitcnt_vscnt null, 0x0
	s_barrier
	buffer_gl0_inv
	v_cndmask_b32_e64 v31, v39, v37, s7
	ds_load_b32 v30, v29 offset:60
	s_waitcnt lgkmcnt(0)
	s_barrier
	buffer_gl0_inv
	v_cndmask_b32_e64 v31, v31, 0, s2
	s_delay_alu instid0(VALU_DEP_1) | instskip(SKIP_2) | instid1(VALU_DEP_1)
	v_add_nc_u32_e32 v47, v30, v31
	ds_load_b64 v[29:30], v29 offset:33792
	v_add_nc_u32_e32 v45, v47, v38
	v_add_nc_u32_e32 v43, v45, v40
	s_delay_alu instid0(VALU_DEP_1) | instskip(NEXT) | instid1(VALU_DEP_1)
	v_add_nc_u32_e32 v41, v43, v42
	v_add_nc_u32_e32 v39, v41, v44
	s_delay_alu instid0(VALU_DEP_1) | instskip(NEXT) | instid1(VALU_DEP_1)
	v_add_nc_u32_e32 v37, v39, v46
	v_add_nc_u32_e32 v35, v37, v48
	s_delay_alu instid0(VALU_DEP_1)
	v_add_nc_u32_e32 v33, v35, v51
	v_lshrrev_b64 v[31:32], 24, v[27:28]
	s_branch .LBB1027_108
.LBB1027_98:
                                        ; implicit-def: $vgpr33
                                        ; implicit-def: $vgpr35
                                        ; implicit-def: $vgpr37
                                        ; implicit-def: $vgpr39
                                        ; implicit-def: $vgpr41
                                        ; implicit-def: $vgpr43
                                        ; implicit-def: $vgpr45
                                        ; implicit-def: $vgpr47
                                        ; implicit-def: $vgpr30
	v_lshrrev_b64 v[31:32], 24, v[27:28]
	s_and_b32 vcc_lo, exec_lo, s7
	s_cbranch_vccz .LBB1027_108
; %bb.99:
	s_waitcnt lgkmcnt(0)
	v_mov_b32_dpp v29, v54 row_shr:1 row_mask:0xf bank_mask:0xf
	s_delay_alu instid0(VALU_DEP_1) | instskip(NEXT) | instid1(VALU_DEP_1)
	v_cndmask_b32_e64 v29, v29, 0, s3
	v_add_nc_u32_e32 v29, v29, v54
	s_delay_alu instid0(VALU_DEP_1) | instskip(NEXT) | instid1(VALU_DEP_1)
	v_mov_b32_dpp v30, v29 row_shr:2 row_mask:0xf bank_mask:0xf
	v_cndmask_b32_e64 v30, 0, v30, s0
	s_delay_alu instid0(VALU_DEP_1) | instskip(NEXT) | instid1(VALU_DEP_1)
	v_add_nc_u32_e32 v29, v29, v30
	v_mov_b32_dpp v30, v29 row_shr:4 row_mask:0xf bank_mask:0xf
	s_delay_alu instid0(VALU_DEP_1) | instskip(NEXT) | instid1(VALU_DEP_1)
	v_cndmask_b32_e64 v30, 0, v30, s4
	v_add_nc_u32_e32 v29, v29, v30
	s_delay_alu instid0(VALU_DEP_1) | instskip(NEXT) | instid1(VALU_DEP_1)
	v_mov_b32_dpp v30, v29 row_shr:8 row_mask:0xf bank_mask:0xf
	v_cndmask_b32_e64 v30, 0, v30, s1
	s_delay_alu instid0(VALU_DEP_1) | instskip(SKIP_3) | instid1(VALU_DEP_1)
	v_add_nc_u32_e32 v29, v29, v30
	ds_swizzle_b32 v30, v29 offset:swizzle(BROADCAST,32,15)
	s_waitcnt lgkmcnt(0)
	v_cndmask_b32_e64 v30, v30, 0, s6
	v_add_nc_u32_e32 v29, v29, v30
	s_and_saveexec_b32 s6, s5
	s_cbranch_execz .LBB1027_101
; %bb.100:
	v_lshlrev_b32_e32 v30, 2, v53
	ds_store_b32 v30, v29
.LBB1027_101:
	s_or_b32 exec_lo, exec_lo, s6
	s_delay_alu instid0(SALU_CYCLE_1)
	s_mov_b32 s5, exec_lo
	s_waitcnt lgkmcnt(0)
	s_barrier
	buffer_gl0_inv
	v_cmpx_gt_u32_e32 16, v0
	s_cbranch_execz .LBB1027_103
; %bb.102:
	v_lshlrev_b32_e32 v30, 2, v0
	ds_load_b32 v32, v30
	s_waitcnt lgkmcnt(0)
	v_mov_b32_dpp v33, v32 row_shr:1 row_mask:0xf bank_mask:0xf
	s_delay_alu instid0(VALU_DEP_1) | instskip(NEXT) | instid1(VALU_DEP_1)
	v_cndmask_b32_e64 v33, v33, 0, s3
	v_add_nc_u32_e32 v32, v33, v32
	s_delay_alu instid0(VALU_DEP_1) | instskip(NEXT) | instid1(VALU_DEP_1)
	v_mov_b32_dpp v33, v32 row_shr:2 row_mask:0xf bank_mask:0xf
	v_cndmask_b32_e64 v33, 0, v33, s0
	s_delay_alu instid0(VALU_DEP_1) | instskip(NEXT) | instid1(VALU_DEP_1)
	v_add_nc_u32_e32 v32, v32, v33
	v_mov_b32_dpp v33, v32 row_shr:4 row_mask:0xf bank_mask:0xf
	s_delay_alu instid0(VALU_DEP_1) | instskip(NEXT) | instid1(VALU_DEP_1)
	v_cndmask_b32_e64 v33, 0, v33, s4
	v_add_nc_u32_e32 v32, v32, v33
	s_delay_alu instid0(VALU_DEP_1) | instskip(NEXT) | instid1(VALU_DEP_1)
	v_mov_b32_dpp v33, v32 row_shr:8 row_mask:0xf bank_mask:0xf
	v_cndmask_b32_e64 v33, 0, v33, s1
	s_delay_alu instid0(VALU_DEP_1)
	v_add_nc_u32_e32 v32, v32, v33
	ds_store_b32 v30, v32
.LBB1027_103:
	s_or_b32 exec_lo, exec_lo, s5
	v_mov_b32_e32 v30, 0
	v_mov_b32_e32 v32, 0
	s_mov_b32 s0, exec_lo
	s_waitcnt lgkmcnt(0)
	s_barrier
	buffer_gl0_inv
	v_cmpx_lt_u32_e32 31, v0
	s_cbranch_execz .LBB1027_105
; %bb.104:
	v_lshl_add_u32 v32, v53, 2, -4
	ds_load_b32 v32, v32
.LBB1027_105:
	s_or_b32 exec_lo, exec_lo, s0
	v_add_nc_u32_e32 v33, -1, v52
	s_waitcnt lgkmcnt(0)
	v_add_nc_u32_e32 v29, v32, v29
	s_delay_alu instid0(VALU_DEP_2) | instskip(SKIP_1) | instid1(VALU_DEP_1)
	v_cmp_gt_i32_e32 vcc_lo, 0, v33
	v_cndmask_b32_e32 v33, v33, v52, vcc_lo
	v_lshlrev_b32_e32 v33, 2, v33
	ds_bpermute_b32 v33, v33, v29
	ds_load_b32 v29, v30 offset:60
	s_and_saveexec_b32 s0, s2
	s_cbranch_execz .LBB1027_107
; %bb.106:
	v_mov_b32_e32 v34, 0
	v_mov_b32_e32 v30, 2
	s_waitcnt lgkmcnt(0)
	global_store_b64 v34, v[29:30], s[16:17] offset:256
.LBB1027_107:
	s_or_b32 exec_lo, exec_lo, s0
	v_cmp_eq_u32_e32 vcc_lo, 0, v52
	s_waitcnt lgkmcnt(0)
	s_waitcnt_vscnt null, 0x0
	s_barrier
	buffer_gl0_inv
	v_cndmask_b32_e32 v30, v33, v32, vcc_lo
	s_delay_alu instid0(VALU_DEP_1) | instskip(NEXT) | instid1(VALU_DEP_1)
	v_cndmask_b32_e64 v47, v30, 0, s2
	v_dual_mov_b32 v30, 0 :: v_dual_add_nc_u32 v45, v47, v38
	s_delay_alu instid0(VALU_DEP_1) | instskip(NEXT) | instid1(VALU_DEP_1)
	v_add_nc_u32_e32 v43, v45, v40
	v_add_nc_u32_e32 v41, v43, v42
	s_delay_alu instid0(VALU_DEP_1) | instskip(NEXT) | instid1(VALU_DEP_1)
	v_add_nc_u32_e32 v39, v41, v44
	v_add_nc_u32_e32 v37, v39, v46
	;; [unrolled: 3-line block ×3, first 2 shown]
.LBB1027_108:
	s_waitcnt lgkmcnt(0)
	v_cmp_gt_u32_e32 vcc_lo, 0x201, v29
	v_lshrrev_b32_e32 v53, 8, v27
	v_lshrrev_b32_e32 v52, 16, v27
	;; [unrolled: 1-line block ×4, first 2 shown]
	v_cmp_lt_u32_e64 s0, 0x200, v29
	s_mov_b32 s1, -1
	s_cbranch_vccz .LBB1027_134
; %bb.109:
	v_lshlrev_b64 v[54:55], 3, v[17:18]
	v_add_nc_u32_e32 v34, v30, v29
	s_delay_alu instid0(VALU_DEP_1) | instskip(NEXT) | instid1(VALU_DEP_3)
	v_cmp_lt_u32_e32 vcc_lo, v47, v34
	v_add_co_u32 v54, s1, s10, v54
	s_delay_alu instid0(VALU_DEP_1) | instskip(SKIP_1) | instid1(SALU_CYCLE_1)
	v_add_co_ci_u32_e64 v55, s1, s11, v55, s1
	s_or_b32 s3, s15, vcc_lo
	s_and_saveexec_b32 s1, s3
	s_cbranch_execz .LBB1027_112
; %bb.110:
	v_and_b32_e32 v36, 1, v27
	s_delay_alu instid0(VALU_DEP_1)
	v_cmp_eq_u32_e32 vcc_lo, 1, v36
	s_and_b32 exec_lo, exec_lo, vcc_lo
	s_cbranch_execz .LBB1027_112
; %bb.111:
	v_mov_b32_e32 v48, 0
	s_delay_alu instid0(VALU_DEP_1) | instskip(NEXT) | instid1(VALU_DEP_1)
	v_lshlrev_b64 v[56:57], 3, v[47:48]
	v_add_co_u32 v56, vcc_lo, v54, v56
	s_delay_alu instid0(VALU_DEP_2)
	v_add_co_ci_u32_e32 v57, vcc_lo, v55, v57, vcc_lo
	global_store_b64 v[56:57], v[13:14], off
.LBB1027_112:
	s_or_b32 exec_lo, exec_lo, s1
	v_cmp_lt_u32_e32 vcc_lo, v45, v34
	s_or_b32 s3, s15, vcc_lo
	s_delay_alu instid0(SALU_CYCLE_1)
	s_and_saveexec_b32 s1, s3
	s_cbranch_execz .LBB1027_115
; %bb.113:
	v_and_b32_e32 v36, 1, v53
	s_delay_alu instid0(VALU_DEP_1)
	v_cmp_eq_u32_e32 vcc_lo, 1, v36
	s_and_b32 exec_lo, exec_lo, vcc_lo
	s_cbranch_execz .LBB1027_115
; %bb.114:
	v_mov_b32_e32 v46, 0
	s_delay_alu instid0(VALU_DEP_1) | instskip(NEXT) | instid1(VALU_DEP_1)
	v_lshlrev_b64 v[56:57], 3, v[45:46]
	v_add_co_u32 v56, vcc_lo, v54, v56
	s_delay_alu instid0(VALU_DEP_2)
	v_add_co_ci_u32_e32 v57, vcc_lo, v55, v57, vcc_lo
	global_store_b64 v[56:57], v[15:16], off
.LBB1027_115:
	s_or_b32 exec_lo, exec_lo, s1
	v_cmp_lt_u32_e32 vcc_lo, v43, v34
	s_or_b32 s3, s15, vcc_lo
	s_delay_alu instid0(SALU_CYCLE_1)
	;; [unrolled: 21-line block ×7, first 2 shown]
	s_and_saveexec_b32 s1, s3
	s_cbranch_execz .LBB1027_133
; %bb.131:
	v_and_b32_e32 v34, 1, v50
	s_delay_alu instid0(VALU_DEP_1)
	v_cmp_eq_u32_e32 vcc_lo, 1, v34
	s_and_b32 exec_lo, exec_lo, vcc_lo
	s_cbranch_execz .LBB1027_133
; %bb.132:
	v_mov_b32_e32 v34, 0
	s_delay_alu instid0(VALU_DEP_1) | instskip(NEXT) | instid1(VALU_DEP_1)
	v_lshlrev_b64 v[56:57], 3, v[33:34]
	v_add_co_u32 v54, vcc_lo, v54, v56
	s_delay_alu instid0(VALU_DEP_2)
	v_add_co_ci_u32_e32 v55, vcc_lo, v55, v57, vcc_lo
	global_store_b64 v[54:55], v[3:4], off
.LBB1027_133:
	s_or_b32 exec_lo, exec_lo, s1
	s_mov_b32 s1, 0
.LBB1027_134:
	v_and_b32_e32 v27, 1, v27
	s_and_b32 vcc_lo, exec_lo, s1
	s_delay_alu instid0(VALU_DEP_1)
	v_cmp_eq_u32_e64 s1, 1, v27
	s_cbranch_vccz .LBB1027_155
; %bb.135:
	s_delay_alu instid0(VALU_DEP_1)
	s_and_saveexec_b32 s3, s1
	s_cbranch_execz .LBB1027_137
; %bb.136:
	v_sub_nc_u32_e32 v34, v47, v30
	s_delay_alu instid0(VALU_DEP_1)
	v_lshlrev_b32_e32 v34, 3, v34
	ds_store_b64 v34, v[13:14]
.LBB1027_137:
	s_or_b32 exec_lo, exec_lo, s3
	v_and_b32_e32 v13, 1, v53
	s_mov_b32 s1, exec_lo
	s_delay_alu instid0(VALU_DEP_1)
	v_cmpx_eq_u32_e32 1, v13
	s_cbranch_execz .LBB1027_139
; %bb.138:
	v_sub_nc_u32_e32 v13, v45, v30
	s_delay_alu instid0(VALU_DEP_1)
	v_lshlrev_b32_e32 v13, 3, v13
	ds_store_b64 v13, v[15:16]
.LBB1027_139:
	s_or_b32 exec_lo, exec_lo, s1
	v_and_b32_e32 v13, 1, v52
	s_mov_b32 s1, exec_lo
	s_delay_alu instid0(VALU_DEP_1)
	v_cmpx_eq_u32_e32 1, v13
	;; [unrolled: 12-line block ×7, first 2 shown]
	s_cbranch_execz .LBB1027_151
; %bb.150:
	v_sub_nc_u32_e32 v1, v33, v30
	s_delay_alu instid0(VALU_DEP_1)
	v_lshlrev_b32_e32 v1, 3, v1
	ds_store_b64 v1, v[3:4]
.LBB1027_151:
	s_or_b32 exec_lo, exec_lo, s1
	s_delay_alu instid0(SALU_CYCLE_1)
	s_mov_b32 s3, exec_lo
	s_waitcnt lgkmcnt(0)
	s_waitcnt_vscnt null, 0x0
	s_barrier
	buffer_gl0_inv
	v_cmpx_lt_u32_e64 v0, v29
	s_cbranch_execz .LBB1027_154
; %bb.152:
	v_dual_mov_b32 v2, 0 :: v_dual_mov_b32 v1, v30
	v_lshlrev_b64 v[3:4], 3, v[17:18]
	s_mov_b32 s4, 0
	s_delay_alu instid0(VALU_DEP_2) | instskip(NEXT) | instid1(VALU_DEP_1)
	v_lshlrev_b64 v[1:2], 3, v[1:2]
	v_add_co_u32 v1, vcc_lo, v3, v1
	s_delay_alu instid0(VALU_DEP_2) | instskip(NEXT) | instid1(VALU_DEP_2)
	v_add_co_ci_u32_e32 v2, vcc_lo, v4, v2, vcc_lo
	v_add_co_u32 v1, vcc_lo, s10, v1
	s_delay_alu instid0(VALU_DEP_2) | instskip(NEXT) | instid1(VALU_DEP_2)
	v_add_co_ci_u32_e32 v2, vcc_lo, s11, v2, vcc_lo
	v_add_co_u32 v1, vcc_lo, v1, v49
	s_delay_alu instid0(VALU_DEP_2)
	v_add_co_ci_u32_e32 v2, vcc_lo, 0, v2, vcc_lo
	.p2align	6
.LBB1027_153:                           ; =>This Inner Loop Header: Depth=1
	ds_load_b64 v[3:4], v49
	v_add_nc_u32_e32 v0, 0x200, v0
	v_add_nc_u32_e32 v49, 0x1000, v49
	s_delay_alu instid0(VALU_DEP_2) | instskip(SKIP_4) | instid1(VALU_DEP_1)
	v_cmp_ge_u32_e32 vcc_lo, v0, v29
	s_or_b32 s4, vcc_lo, s4
	s_waitcnt lgkmcnt(0)
	global_store_b64 v[1:2], v[3:4], off
	v_add_co_u32 v1, s1, 0x1000, v1
	v_add_co_ci_u32_e64 v2, s1, 0, v2, s1
	s_and_not1_b32 exec_lo, exec_lo, s4
	s_cbranch_execnz .LBB1027_153
.LBB1027_154:
	s_or_b32 exec_lo, exec_lo, s3
.LBB1027_155:
	s_delay_alu instid0(SALU_CYCLE_1)
	s_and_not1_b32 vcc_lo, exec_lo, s0
	s_waitcnt_vscnt null, 0x0
	s_barrier
	buffer_gl0_inv
	s_cbranch_vccnz .LBB1027_174
; %bb.156:
	s_mov_b32 s0, exec_lo
	v_cmpx_eq_u32_e32 1, v27
	s_cbranch_execz .LBB1027_158
; %bb.157:
	v_sub_nc_u32_e32 v0, v47, v30
	s_delay_alu instid0(VALU_DEP_1)
	v_lshlrev_b32_e32 v0, 2, v0
	ds_store_b32 v0, v25
.LBB1027_158:
	s_or_b32 exec_lo, exec_lo, s0
	v_and_b32_e32 v0, 1, v53
	s_mov_b32 s0, exec_lo
	s_delay_alu instid0(VALU_DEP_1)
	v_cmpx_eq_u32_e32 1, v0
	s_cbranch_execz .LBB1027_160
; %bb.159:
	v_sub_nc_u32_e32 v0, v45, v30
	s_delay_alu instid0(VALU_DEP_1)
	v_lshlrev_b32_e32 v0, 2, v0
	ds_store_b32 v0, v26
.LBB1027_160:
	s_or_b32 exec_lo, exec_lo, s0
	v_and_b32_e32 v0, 1, v52
	s_mov_b32 s0, exec_lo
	s_delay_alu instid0(VALU_DEP_1)
	;; [unrolled: 12-line block ×7, first 2 shown]
	v_cmpx_eq_u32_e32 1, v0
	s_cbranch_execz .LBB1027_172
; %bb.171:
	v_sub_nc_u32_e32 v0, v33, v30
	s_delay_alu instid0(VALU_DEP_1)
	v_lshlrev_b32_e32 v0, 2, v0
	ds_store_b32 v0, v20
.LBB1027_172:
	s_or_b32 exec_lo, exec_lo, s0
	s_waitcnt lgkmcnt(0)
	s_barrier
	buffer_gl0_inv
	s_and_b32 s0, s2, s14
	s_delay_alu instid0(SALU_CYCLE_1)
	s_and_saveexec_b32 s1, s0
	s_cbranch_execnz .LBB1027_175
.LBB1027_173:
	s_endpgm
.LBB1027_174:
	s_and_b32 s0, s2, s14
	s_delay_alu instid0(SALU_CYCLE_1)
	s_and_saveexec_b32 s1, s0
	s_cbranch_execz .LBB1027_173
.LBB1027_175:
	v_add_co_u32 v0, vcc_lo, v17, v29
	v_add_co_ci_u32_e32 v1, vcc_lo, 0, v18, vcc_lo
	v_mov_b32_e32 v2, 0
	s_delay_alu instid0(VALU_DEP_3) | instskip(NEXT) | instid1(VALU_DEP_3)
	v_add_co_u32 v0, vcc_lo, v0, v30
	v_add_co_ci_u32_e32 v1, vcc_lo, 0, v1, vcc_lo
	global_store_b64 v2, v[0:1], s[12:13]
	s_nop 0
	s_sendmsg sendmsg(MSG_DEALLOC_VGPRS)
	s_endpgm
	.section	.rodata,"a",@progbits
	.p2align	6, 0x0
	.amdhsa_kernel _ZN7rocprim17ROCPRIM_400000_NS6detail17trampoline_kernelINS0_14default_configENS1_25partition_config_selectorILNS1_17partition_subalgoE9ExjbEEZZNS1_14partition_implILS5_9ELb0ES3_jN6thrust23THRUST_200600_302600_NS6detail15normal_iteratorINS9_10device_ptrIxEEEENSB_INSC_IjEEEEPNS0_10empty_typeENS0_5tupleIJSE_SH_EEENSJ_IJNS9_16discard_iteratorINS9_11use_defaultEEESI_EEENS0_18inequality_wrapperINS9_8equal_toIxEEEEPmJSH_EEE10hipError_tPvRmT3_T4_T5_T6_T7_T9_mT8_P12ihipStream_tbDpT10_ENKUlT_T0_E_clISt17integral_constantIbLb1EES1D_EEDaS18_S19_EUlS18_E_NS1_11comp_targetILNS1_3genE9ELNS1_11target_archE1100ELNS1_3gpuE3ELNS1_3repE0EEENS1_30default_config_static_selectorELNS0_4arch9wavefront6targetE0EEEvT1_
		.amdhsa_group_segment_fixed_size 33800
		.amdhsa_private_segment_fixed_size 0
		.amdhsa_kernarg_size 136
		.amdhsa_user_sgpr_count 15
		.amdhsa_user_sgpr_dispatch_ptr 0
		.amdhsa_user_sgpr_queue_ptr 0
		.amdhsa_user_sgpr_kernarg_segment_ptr 1
		.amdhsa_user_sgpr_dispatch_id 0
		.amdhsa_user_sgpr_private_segment_size 0
		.amdhsa_wavefront_size32 1
		.amdhsa_uses_dynamic_stack 0
		.amdhsa_enable_private_segment 0
		.amdhsa_system_sgpr_workgroup_id_x 1
		.amdhsa_system_sgpr_workgroup_id_y 0
		.amdhsa_system_sgpr_workgroup_id_z 0
		.amdhsa_system_sgpr_workgroup_info 0
		.amdhsa_system_vgpr_workitem_id 0
		.amdhsa_next_free_vgpr 62
		.amdhsa_next_free_sgpr 26
		.amdhsa_reserve_vcc 1
		.amdhsa_float_round_mode_32 0
		.amdhsa_float_round_mode_16_64 0
		.amdhsa_float_denorm_mode_32 3
		.amdhsa_float_denorm_mode_16_64 3
		.amdhsa_dx10_clamp 1
		.amdhsa_ieee_mode 1
		.amdhsa_fp16_overflow 0
		.amdhsa_workgroup_processor_mode 1
		.amdhsa_memory_ordered 1
		.amdhsa_forward_progress 0
		.amdhsa_shared_vgpr_count 0
		.amdhsa_exception_fp_ieee_invalid_op 0
		.amdhsa_exception_fp_denorm_src 0
		.amdhsa_exception_fp_ieee_div_zero 0
		.amdhsa_exception_fp_ieee_overflow 0
		.amdhsa_exception_fp_ieee_underflow 0
		.amdhsa_exception_fp_ieee_inexact 0
		.amdhsa_exception_int_div_zero 0
	.end_amdhsa_kernel
	.section	.text._ZN7rocprim17ROCPRIM_400000_NS6detail17trampoline_kernelINS0_14default_configENS1_25partition_config_selectorILNS1_17partition_subalgoE9ExjbEEZZNS1_14partition_implILS5_9ELb0ES3_jN6thrust23THRUST_200600_302600_NS6detail15normal_iteratorINS9_10device_ptrIxEEEENSB_INSC_IjEEEEPNS0_10empty_typeENS0_5tupleIJSE_SH_EEENSJ_IJNS9_16discard_iteratorINS9_11use_defaultEEESI_EEENS0_18inequality_wrapperINS9_8equal_toIxEEEEPmJSH_EEE10hipError_tPvRmT3_T4_T5_T6_T7_T9_mT8_P12ihipStream_tbDpT10_ENKUlT_T0_E_clISt17integral_constantIbLb1EES1D_EEDaS18_S19_EUlS18_E_NS1_11comp_targetILNS1_3genE9ELNS1_11target_archE1100ELNS1_3gpuE3ELNS1_3repE0EEENS1_30default_config_static_selectorELNS0_4arch9wavefront6targetE0EEEvT1_,"axG",@progbits,_ZN7rocprim17ROCPRIM_400000_NS6detail17trampoline_kernelINS0_14default_configENS1_25partition_config_selectorILNS1_17partition_subalgoE9ExjbEEZZNS1_14partition_implILS5_9ELb0ES3_jN6thrust23THRUST_200600_302600_NS6detail15normal_iteratorINS9_10device_ptrIxEEEENSB_INSC_IjEEEEPNS0_10empty_typeENS0_5tupleIJSE_SH_EEENSJ_IJNS9_16discard_iteratorINS9_11use_defaultEEESI_EEENS0_18inequality_wrapperINS9_8equal_toIxEEEEPmJSH_EEE10hipError_tPvRmT3_T4_T5_T6_T7_T9_mT8_P12ihipStream_tbDpT10_ENKUlT_T0_E_clISt17integral_constantIbLb1EES1D_EEDaS18_S19_EUlS18_E_NS1_11comp_targetILNS1_3genE9ELNS1_11target_archE1100ELNS1_3gpuE3ELNS1_3repE0EEENS1_30default_config_static_selectorELNS0_4arch9wavefront6targetE0EEEvT1_,comdat
.Lfunc_end1027:
	.size	_ZN7rocprim17ROCPRIM_400000_NS6detail17trampoline_kernelINS0_14default_configENS1_25partition_config_selectorILNS1_17partition_subalgoE9ExjbEEZZNS1_14partition_implILS5_9ELb0ES3_jN6thrust23THRUST_200600_302600_NS6detail15normal_iteratorINS9_10device_ptrIxEEEENSB_INSC_IjEEEEPNS0_10empty_typeENS0_5tupleIJSE_SH_EEENSJ_IJNS9_16discard_iteratorINS9_11use_defaultEEESI_EEENS0_18inequality_wrapperINS9_8equal_toIxEEEEPmJSH_EEE10hipError_tPvRmT3_T4_T5_T6_T7_T9_mT8_P12ihipStream_tbDpT10_ENKUlT_T0_E_clISt17integral_constantIbLb1EES1D_EEDaS18_S19_EUlS18_E_NS1_11comp_targetILNS1_3genE9ELNS1_11target_archE1100ELNS1_3gpuE3ELNS1_3repE0EEENS1_30default_config_static_selectorELNS0_4arch9wavefront6targetE0EEEvT1_, .Lfunc_end1027-_ZN7rocprim17ROCPRIM_400000_NS6detail17trampoline_kernelINS0_14default_configENS1_25partition_config_selectorILNS1_17partition_subalgoE9ExjbEEZZNS1_14partition_implILS5_9ELb0ES3_jN6thrust23THRUST_200600_302600_NS6detail15normal_iteratorINS9_10device_ptrIxEEEENSB_INSC_IjEEEEPNS0_10empty_typeENS0_5tupleIJSE_SH_EEENSJ_IJNS9_16discard_iteratorINS9_11use_defaultEEESI_EEENS0_18inequality_wrapperINS9_8equal_toIxEEEEPmJSH_EEE10hipError_tPvRmT3_T4_T5_T6_T7_T9_mT8_P12ihipStream_tbDpT10_ENKUlT_T0_E_clISt17integral_constantIbLb1EES1D_EEDaS18_S19_EUlS18_E_NS1_11comp_targetILNS1_3genE9ELNS1_11target_archE1100ELNS1_3gpuE3ELNS1_3repE0EEENS1_30default_config_static_selectorELNS0_4arch9wavefront6targetE0EEEvT1_
                                        ; -- End function
	.section	.AMDGPU.csdata,"",@progbits
; Kernel info:
; codeLenInByte = 8692
; NumSgprs: 28
; NumVgprs: 62
; ScratchSize: 0
; MemoryBound: 0
; FloatMode: 240
; IeeeMode: 1
; LDSByteSize: 33800 bytes/workgroup (compile time only)
; SGPRBlocks: 3
; VGPRBlocks: 7
; NumSGPRsForWavesPerEU: 28
; NumVGPRsForWavesPerEU: 62
; Occupancy: 12
; WaveLimiterHint : 1
; COMPUTE_PGM_RSRC2:SCRATCH_EN: 0
; COMPUTE_PGM_RSRC2:USER_SGPR: 15
; COMPUTE_PGM_RSRC2:TRAP_HANDLER: 0
; COMPUTE_PGM_RSRC2:TGID_X_EN: 1
; COMPUTE_PGM_RSRC2:TGID_Y_EN: 0
; COMPUTE_PGM_RSRC2:TGID_Z_EN: 0
; COMPUTE_PGM_RSRC2:TIDIG_COMP_CNT: 0
	.section	.text._ZN7rocprim17ROCPRIM_400000_NS6detail17trampoline_kernelINS0_14default_configENS1_25partition_config_selectorILNS1_17partition_subalgoE9ExjbEEZZNS1_14partition_implILS5_9ELb0ES3_jN6thrust23THRUST_200600_302600_NS6detail15normal_iteratorINS9_10device_ptrIxEEEENSB_INSC_IjEEEEPNS0_10empty_typeENS0_5tupleIJSE_SH_EEENSJ_IJNS9_16discard_iteratorINS9_11use_defaultEEESI_EEENS0_18inequality_wrapperINS9_8equal_toIxEEEEPmJSH_EEE10hipError_tPvRmT3_T4_T5_T6_T7_T9_mT8_P12ihipStream_tbDpT10_ENKUlT_T0_E_clISt17integral_constantIbLb1EES1D_EEDaS18_S19_EUlS18_E_NS1_11comp_targetILNS1_3genE8ELNS1_11target_archE1030ELNS1_3gpuE2ELNS1_3repE0EEENS1_30default_config_static_selectorELNS0_4arch9wavefront6targetE0EEEvT1_,"axG",@progbits,_ZN7rocprim17ROCPRIM_400000_NS6detail17trampoline_kernelINS0_14default_configENS1_25partition_config_selectorILNS1_17partition_subalgoE9ExjbEEZZNS1_14partition_implILS5_9ELb0ES3_jN6thrust23THRUST_200600_302600_NS6detail15normal_iteratorINS9_10device_ptrIxEEEENSB_INSC_IjEEEEPNS0_10empty_typeENS0_5tupleIJSE_SH_EEENSJ_IJNS9_16discard_iteratorINS9_11use_defaultEEESI_EEENS0_18inequality_wrapperINS9_8equal_toIxEEEEPmJSH_EEE10hipError_tPvRmT3_T4_T5_T6_T7_T9_mT8_P12ihipStream_tbDpT10_ENKUlT_T0_E_clISt17integral_constantIbLb1EES1D_EEDaS18_S19_EUlS18_E_NS1_11comp_targetILNS1_3genE8ELNS1_11target_archE1030ELNS1_3gpuE2ELNS1_3repE0EEENS1_30default_config_static_selectorELNS0_4arch9wavefront6targetE0EEEvT1_,comdat
	.protected	_ZN7rocprim17ROCPRIM_400000_NS6detail17trampoline_kernelINS0_14default_configENS1_25partition_config_selectorILNS1_17partition_subalgoE9ExjbEEZZNS1_14partition_implILS5_9ELb0ES3_jN6thrust23THRUST_200600_302600_NS6detail15normal_iteratorINS9_10device_ptrIxEEEENSB_INSC_IjEEEEPNS0_10empty_typeENS0_5tupleIJSE_SH_EEENSJ_IJNS9_16discard_iteratorINS9_11use_defaultEEESI_EEENS0_18inequality_wrapperINS9_8equal_toIxEEEEPmJSH_EEE10hipError_tPvRmT3_T4_T5_T6_T7_T9_mT8_P12ihipStream_tbDpT10_ENKUlT_T0_E_clISt17integral_constantIbLb1EES1D_EEDaS18_S19_EUlS18_E_NS1_11comp_targetILNS1_3genE8ELNS1_11target_archE1030ELNS1_3gpuE2ELNS1_3repE0EEENS1_30default_config_static_selectorELNS0_4arch9wavefront6targetE0EEEvT1_ ; -- Begin function _ZN7rocprim17ROCPRIM_400000_NS6detail17trampoline_kernelINS0_14default_configENS1_25partition_config_selectorILNS1_17partition_subalgoE9ExjbEEZZNS1_14partition_implILS5_9ELb0ES3_jN6thrust23THRUST_200600_302600_NS6detail15normal_iteratorINS9_10device_ptrIxEEEENSB_INSC_IjEEEEPNS0_10empty_typeENS0_5tupleIJSE_SH_EEENSJ_IJNS9_16discard_iteratorINS9_11use_defaultEEESI_EEENS0_18inequality_wrapperINS9_8equal_toIxEEEEPmJSH_EEE10hipError_tPvRmT3_T4_T5_T6_T7_T9_mT8_P12ihipStream_tbDpT10_ENKUlT_T0_E_clISt17integral_constantIbLb1EES1D_EEDaS18_S19_EUlS18_E_NS1_11comp_targetILNS1_3genE8ELNS1_11target_archE1030ELNS1_3gpuE2ELNS1_3repE0EEENS1_30default_config_static_selectorELNS0_4arch9wavefront6targetE0EEEvT1_
	.globl	_ZN7rocprim17ROCPRIM_400000_NS6detail17trampoline_kernelINS0_14default_configENS1_25partition_config_selectorILNS1_17partition_subalgoE9ExjbEEZZNS1_14partition_implILS5_9ELb0ES3_jN6thrust23THRUST_200600_302600_NS6detail15normal_iteratorINS9_10device_ptrIxEEEENSB_INSC_IjEEEEPNS0_10empty_typeENS0_5tupleIJSE_SH_EEENSJ_IJNS9_16discard_iteratorINS9_11use_defaultEEESI_EEENS0_18inequality_wrapperINS9_8equal_toIxEEEEPmJSH_EEE10hipError_tPvRmT3_T4_T5_T6_T7_T9_mT8_P12ihipStream_tbDpT10_ENKUlT_T0_E_clISt17integral_constantIbLb1EES1D_EEDaS18_S19_EUlS18_E_NS1_11comp_targetILNS1_3genE8ELNS1_11target_archE1030ELNS1_3gpuE2ELNS1_3repE0EEENS1_30default_config_static_selectorELNS0_4arch9wavefront6targetE0EEEvT1_
	.p2align	8
	.type	_ZN7rocprim17ROCPRIM_400000_NS6detail17trampoline_kernelINS0_14default_configENS1_25partition_config_selectorILNS1_17partition_subalgoE9ExjbEEZZNS1_14partition_implILS5_9ELb0ES3_jN6thrust23THRUST_200600_302600_NS6detail15normal_iteratorINS9_10device_ptrIxEEEENSB_INSC_IjEEEEPNS0_10empty_typeENS0_5tupleIJSE_SH_EEENSJ_IJNS9_16discard_iteratorINS9_11use_defaultEEESI_EEENS0_18inequality_wrapperINS9_8equal_toIxEEEEPmJSH_EEE10hipError_tPvRmT3_T4_T5_T6_T7_T9_mT8_P12ihipStream_tbDpT10_ENKUlT_T0_E_clISt17integral_constantIbLb1EES1D_EEDaS18_S19_EUlS18_E_NS1_11comp_targetILNS1_3genE8ELNS1_11target_archE1030ELNS1_3gpuE2ELNS1_3repE0EEENS1_30default_config_static_selectorELNS0_4arch9wavefront6targetE0EEEvT1_,@function
_ZN7rocprim17ROCPRIM_400000_NS6detail17trampoline_kernelINS0_14default_configENS1_25partition_config_selectorILNS1_17partition_subalgoE9ExjbEEZZNS1_14partition_implILS5_9ELb0ES3_jN6thrust23THRUST_200600_302600_NS6detail15normal_iteratorINS9_10device_ptrIxEEEENSB_INSC_IjEEEEPNS0_10empty_typeENS0_5tupleIJSE_SH_EEENSJ_IJNS9_16discard_iteratorINS9_11use_defaultEEESI_EEENS0_18inequality_wrapperINS9_8equal_toIxEEEEPmJSH_EEE10hipError_tPvRmT3_T4_T5_T6_T7_T9_mT8_P12ihipStream_tbDpT10_ENKUlT_T0_E_clISt17integral_constantIbLb1EES1D_EEDaS18_S19_EUlS18_E_NS1_11comp_targetILNS1_3genE8ELNS1_11target_archE1030ELNS1_3gpuE2ELNS1_3repE0EEENS1_30default_config_static_selectorELNS0_4arch9wavefront6targetE0EEEvT1_: ; @_ZN7rocprim17ROCPRIM_400000_NS6detail17trampoline_kernelINS0_14default_configENS1_25partition_config_selectorILNS1_17partition_subalgoE9ExjbEEZZNS1_14partition_implILS5_9ELb0ES3_jN6thrust23THRUST_200600_302600_NS6detail15normal_iteratorINS9_10device_ptrIxEEEENSB_INSC_IjEEEEPNS0_10empty_typeENS0_5tupleIJSE_SH_EEENSJ_IJNS9_16discard_iteratorINS9_11use_defaultEEESI_EEENS0_18inequality_wrapperINS9_8equal_toIxEEEEPmJSH_EEE10hipError_tPvRmT3_T4_T5_T6_T7_T9_mT8_P12ihipStream_tbDpT10_ENKUlT_T0_E_clISt17integral_constantIbLb1EES1D_EEDaS18_S19_EUlS18_E_NS1_11comp_targetILNS1_3genE8ELNS1_11target_archE1030ELNS1_3gpuE2ELNS1_3repE0EEENS1_30default_config_static_selectorELNS0_4arch9wavefront6targetE0EEEvT1_
; %bb.0:
	.section	.rodata,"a",@progbits
	.p2align	6, 0x0
	.amdhsa_kernel _ZN7rocprim17ROCPRIM_400000_NS6detail17trampoline_kernelINS0_14default_configENS1_25partition_config_selectorILNS1_17partition_subalgoE9ExjbEEZZNS1_14partition_implILS5_9ELb0ES3_jN6thrust23THRUST_200600_302600_NS6detail15normal_iteratorINS9_10device_ptrIxEEEENSB_INSC_IjEEEEPNS0_10empty_typeENS0_5tupleIJSE_SH_EEENSJ_IJNS9_16discard_iteratorINS9_11use_defaultEEESI_EEENS0_18inequality_wrapperINS9_8equal_toIxEEEEPmJSH_EEE10hipError_tPvRmT3_T4_T5_T6_T7_T9_mT8_P12ihipStream_tbDpT10_ENKUlT_T0_E_clISt17integral_constantIbLb1EES1D_EEDaS18_S19_EUlS18_E_NS1_11comp_targetILNS1_3genE8ELNS1_11target_archE1030ELNS1_3gpuE2ELNS1_3repE0EEENS1_30default_config_static_selectorELNS0_4arch9wavefront6targetE0EEEvT1_
		.amdhsa_group_segment_fixed_size 0
		.amdhsa_private_segment_fixed_size 0
		.amdhsa_kernarg_size 136
		.amdhsa_user_sgpr_count 15
		.amdhsa_user_sgpr_dispatch_ptr 0
		.amdhsa_user_sgpr_queue_ptr 0
		.amdhsa_user_sgpr_kernarg_segment_ptr 1
		.amdhsa_user_sgpr_dispatch_id 0
		.amdhsa_user_sgpr_private_segment_size 0
		.amdhsa_wavefront_size32 1
		.amdhsa_uses_dynamic_stack 0
		.amdhsa_enable_private_segment 0
		.amdhsa_system_sgpr_workgroup_id_x 1
		.amdhsa_system_sgpr_workgroup_id_y 0
		.amdhsa_system_sgpr_workgroup_id_z 0
		.amdhsa_system_sgpr_workgroup_info 0
		.amdhsa_system_vgpr_workitem_id 0
		.amdhsa_next_free_vgpr 1
		.amdhsa_next_free_sgpr 1
		.amdhsa_reserve_vcc 0
		.amdhsa_float_round_mode_32 0
		.amdhsa_float_round_mode_16_64 0
		.amdhsa_float_denorm_mode_32 3
		.amdhsa_float_denorm_mode_16_64 3
		.amdhsa_dx10_clamp 1
		.amdhsa_ieee_mode 1
		.amdhsa_fp16_overflow 0
		.amdhsa_workgroup_processor_mode 1
		.amdhsa_memory_ordered 1
		.amdhsa_forward_progress 0
		.amdhsa_shared_vgpr_count 0
		.amdhsa_exception_fp_ieee_invalid_op 0
		.amdhsa_exception_fp_denorm_src 0
		.amdhsa_exception_fp_ieee_div_zero 0
		.amdhsa_exception_fp_ieee_overflow 0
		.amdhsa_exception_fp_ieee_underflow 0
		.amdhsa_exception_fp_ieee_inexact 0
		.amdhsa_exception_int_div_zero 0
	.end_amdhsa_kernel
	.section	.text._ZN7rocprim17ROCPRIM_400000_NS6detail17trampoline_kernelINS0_14default_configENS1_25partition_config_selectorILNS1_17partition_subalgoE9ExjbEEZZNS1_14partition_implILS5_9ELb0ES3_jN6thrust23THRUST_200600_302600_NS6detail15normal_iteratorINS9_10device_ptrIxEEEENSB_INSC_IjEEEEPNS0_10empty_typeENS0_5tupleIJSE_SH_EEENSJ_IJNS9_16discard_iteratorINS9_11use_defaultEEESI_EEENS0_18inequality_wrapperINS9_8equal_toIxEEEEPmJSH_EEE10hipError_tPvRmT3_T4_T5_T6_T7_T9_mT8_P12ihipStream_tbDpT10_ENKUlT_T0_E_clISt17integral_constantIbLb1EES1D_EEDaS18_S19_EUlS18_E_NS1_11comp_targetILNS1_3genE8ELNS1_11target_archE1030ELNS1_3gpuE2ELNS1_3repE0EEENS1_30default_config_static_selectorELNS0_4arch9wavefront6targetE0EEEvT1_,"axG",@progbits,_ZN7rocprim17ROCPRIM_400000_NS6detail17trampoline_kernelINS0_14default_configENS1_25partition_config_selectorILNS1_17partition_subalgoE9ExjbEEZZNS1_14partition_implILS5_9ELb0ES3_jN6thrust23THRUST_200600_302600_NS6detail15normal_iteratorINS9_10device_ptrIxEEEENSB_INSC_IjEEEEPNS0_10empty_typeENS0_5tupleIJSE_SH_EEENSJ_IJNS9_16discard_iteratorINS9_11use_defaultEEESI_EEENS0_18inequality_wrapperINS9_8equal_toIxEEEEPmJSH_EEE10hipError_tPvRmT3_T4_T5_T6_T7_T9_mT8_P12ihipStream_tbDpT10_ENKUlT_T0_E_clISt17integral_constantIbLb1EES1D_EEDaS18_S19_EUlS18_E_NS1_11comp_targetILNS1_3genE8ELNS1_11target_archE1030ELNS1_3gpuE2ELNS1_3repE0EEENS1_30default_config_static_selectorELNS0_4arch9wavefront6targetE0EEEvT1_,comdat
.Lfunc_end1028:
	.size	_ZN7rocprim17ROCPRIM_400000_NS6detail17trampoline_kernelINS0_14default_configENS1_25partition_config_selectorILNS1_17partition_subalgoE9ExjbEEZZNS1_14partition_implILS5_9ELb0ES3_jN6thrust23THRUST_200600_302600_NS6detail15normal_iteratorINS9_10device_ptrIxEEEENSB_INSC_IjEEEEPNS0_10empty_typeENS0_5tupleIJSE_SH_EEENSJ_IJNS9_16discard_iteratorINS9_11use_defaultEEESI_EEENS0_18inequality_wrapperINS9_8equal_toIxEEEEPmJSH_EEE10hipError_tPvRmT3_T4_T5_T6_T7_T9_mT8_P12ihipStream_tbDpT10_ENKUlT_T0_E_clISt17integral_constantIbLb1EES1D_EEDaS18_S19_EUlS18_E_NS1_11comp_targetILNS1_3genE8ELNS1_11target_archE1030ELNS1_3gpuE2ELNS1_3repE0EEENS1_30default_config_static_selectorELNS0_4arch9wavefront6targetE0EEEvT1_, .Lfunc_end1028-_ZN7rocprim17ROCPRIM_400000_NS6detail17trampoline_kernelINS0_14default_configENS1_25partition_config_selectorILNS1_17partition_subalgoE9ExjbEEZZNS1_14partition_implILS5_9ELb0ES3_jN6thrust23THRUST_200600_302600_NS6detail15normal_iteratorINS9_10device_ptrIxEEEENSB_INSC_IjEEEEPNS0_10empty_typeENS0_5tupleIJSE_SH_EEENSJ_IJNS9_16discard_iteratorINS9_11use_defaultEEESI_EEENS0_18inequality_wrapperINS9_8equal_toIxEEEEPmJSH_EEE10hipError_tPvRmT3_T4_T5_T6_T7_T9_mT8_P12ihipStream_tbDpT10_ENKUlT_T0_E_clISt17integral_constantIbLb1EES1D_EEDaS18_S19_EUlS18_E_NS1_11comp_targetILNS1_3genE8ELNS1_11target_archE1030ELNS1_3gpuE2ELNS1_3repE0EEENS1_30default_config_static_selectorELNS0_4arch9wavefront6targetE0EEEvT1_
                                        ; -- End function
	.section	.AMDGPU.csdata,"",@progbits
; Kernel info:
; codeLenInByte = 0
; NumSgprs: 0
; NumVgprs: 0
; ScratchSize: 0
; MemoryBound: 0
; FloatMode: 240
; IeeeMode: 1
; LDSByteSize: 0 bytes/workgroup (compile time only)
; SGPRBlocks: 0
; VGPRBlocks: 0
; NumSGPRsForWavesPerEU: 1
; NumVGPRsForWavesPerEU: 1
; Occupancy: 16
; WaveLimiterHint : 0
; COMPUTE_PGM_RSRC2:SCRATCH_EN: 0
; COMPUTE_PGM_RSRC2:USER_SGPR: 15
; COMPUTE_PGM_RSRC2:TRAP_HANDLER: 0
; COMPUTE_PGM_RSRC2:TGID_X_EN: 1
; COMPUTE_PGM_RSRC2:TGID_Y_EN: 0
; COMPUTE_PGM_RSRC2:TGID_Z_EN: 0
; COMPUTE_PGM_RSRC2:TIDIG_COMP_CNT: 0
	.section	.text._ZN7rocprim17ROCPRIM_400000_NS6detail17trampoline_kernelINS0_14default_configENS1_25partition_config_selectorILNS1_17partition_subalgoE9ExjbEEZZNS1_14partition_implILS5_9ELb0ES3_jN6thrust23THRUST_200600_302600_NS6detail15normal_iteratorINS9_10device_ptrIxEEEENSB_INSC_IjEEEEPNS0_10empty_typeENS0_5tupleIJSE_SH_EEENSJ_IJNS9_16discard_iteratorINS9_11use_defaultEEESI_EEENS0_18inequality_wrapperINS9_8equal_toIxEEEEPmJSH_EEE10hipError_tPvRmT3_T4_T5_T6_T7_T9_mT8_P12ihipStream_tbDpT10_ENKUlT_T0_E_clISt17integral_constantIbLb1EES1C_IbLb0EEEEDaS18_S19_EUlS18_E_NS1_11comp_targetILNS1_3genE0ELNS1_11target_archE4294967295ELNS1_3gpuE0ELNS1_3repE0EEENS1_30default_config_static_selectorELNS0_4arch9wavefront6targetE0EEEvT1_,"axG",@progbits,_ZN7rocprim17ROCPRIM_400000_NS6detail17trampoline_kernelINS0_14default_configENS1_25partition_config_selectorILNS1_17partition_subalgoE9ExjbEEZZNS1_14partition_implILS5_9ELb0ES3_jN6thrust23THRUST_200600_302600_NS6detail15normal_iteratorINS9_10device_ptrIxEEEENSB_INSC_IjEEEEPNS0_10empty_typeENS0_5tupleIJSE_SH_EEENSJ_IJNS9_16discard_iteratorINS9_11use_defaultEEESI_EEENS0_18inequality_wrapperINS9_8equal_toIxEEEEPmJSH_EEE10hipError_tPvRmT3_T4_T5_T6_T7_T9_mT8_P12ihipStream_tbDpT10_ENKUlT_T0_E_clISt17integral_constantIbLb1EES1C_IbLb0EEEEDaS18_S19_EUlS18_E_NS1_11comp_targetILNS1_3genE0ELNS1_11target_archE4294967295ELNS1_3gpuE0ELNS1_3repE0EEENS1_30default_config_static_selectorELNS0_4arch9wavefront6targetE0EEEvT1_,comdat
	.protected	_ZN7rocprim17ROCPRIM_400000_NS6detail17trampoline_kernelINS0_14default_configENS1_25partition_config_selectorILNS1_17partition_subalgoE9ExjbEEZZNS1_14partition_implILS5_9ELb0ES3_jN6thrust23THRUST_200600_302600_NS6detail15normal_iteratorINS9_10device_ptrIxEEEENSB_INSC_IjEEEEPNS0_10empty_typeENS0_5tupleIJSE_SH_EEENSJ_IJNS9_16discard_iteratorINS9_11use_defaultEEESI_EEENS0_18inequality_wrapperINS9_8equal_toIxEEEEPmJSH_EEE10hipError_tPvRmT3_T4_T5_T6_T7_T9_mT8_P12ihipStream_tbDpT10_ENKUlT_T0_E_clISt17integral_constantIbLb1EES1C_IbLb0EEEEDaS18_S19_EUlS18_E_NS1_11comp_targetILNS1_3genE0ELNS1_11target_archE4294967295ELNS1_3gpuE0ELNS1_3repE0EEENS1_30default_config_static_selectorELNS0_4arch9wavefront6targetE0EEEvT1_ ; -- Begin function _ZN7rocprim17ROCPRIM_400000_NS6detail17trampoline_kernelINS0_14default_configENS1_25partition_config_selectorILNS1_17partition_subalgoE9ExjbEEZZNS1_14partition_implILS5_9ELb0ES3_jN6thrust23THRUST_200600_302600_NS6detail15normal_iteratorINS9_10device_ptrIxEEEENSB_INSC_IjEEEEPNS0_10empty_typeENS0_5tupleIJSE_SH_EEENSJ_IJNS9_16discard_iteratorINS9_11use_defaultEEESI_EEENS0_18inequality_wrapperINS9_8equal_toIxEEEEPmJSH_EEE10hipError_tPvRmT3_T4_T5_T6_T7_T9_mT8_P12ihipStream_tbDpT10_ENKUlT_T0_E_clISt17integral_constantIbLb1EES1C_IbLb0EEEEDaS18_S19_EUlS18_E_NS1_11comp_targetILNS1_3genE0ELNS1_11target_archE4294967295ELNS1_3gpuE0ELNS1_3repE0EEENS1_30default_config_static_selectorELNS0_4arch9wavefront6targetE0EEEvT1_
	.globl	_ZN7rocprim17ROCPRIM_400000_NS6detail17trampoline_kernelINS0_14default_configENS1_25partition_config_selectorILNS1_17partition_subalgoE9ExjbEEZZNS1_14partition_implILS5_9ELb0ES3_jN6thrust23THRUST_200600_302600_NS6detail15normal_iteratorINS9_10device_ptrIxEEEENSB_INSC_IjEEEEPNS0_10empty_typeENS0_5tupleIJSE_SH_EEENSJ_IJNS9_16discard_iteratorINS9_11use_defaultEEESI_EEENS0_18inequality_wrapperINS9_8equal_toIxEEEEPmJSH_EEE10hipError_tPvRmT3_T4_T5_T6_T7_T9_mT8_P12ihipStream_tbDpT10_ENKUlT_T0_E_clISt17integral_constantIbLb1EES1C_IbLb0EEEEDaS18_S19_EUlS18_E_NS1_11comp_targetILNS1_3genE0ELNS1_11target_archE4294967295ELNS1_3gpuE0ELNS1_3repE0EEENS1_30default_config_static_selectorELNS0_4arch9wavefront6targetE0EEEvT1_
	.p2align	8
	.type	_ZN7rocprim17ROCPRIM_400000_NS6detail17trampoline_kernelINS0_14default_configENS1_25partition_config_selectorILNS1_17partition_subalgoE9ExjbEEZZNS1_14partition_implILS5_9ELb0ES3_jN6thrust23THRUST_200600_302600_NS6detail15normal_iteratorINS9_10device_ptrIxEEEENSB_INSC_IjEEEEPNS0_10empty_typeENS0_5tupleIJSE_SH_EEENSJ_IJNS9_16discard_iteratorINS9_11use_defaultEEESI_EEENS0_18inequality_wrapperINS9_8equal_toIxEEEEPmJSH_EEE10hipError_tPvRmT3_T4_T5_T6_T7_T9_mT8_P12ihipStream_tbDpT10_ENKUlT_T0_E_clISt17integral_constantIbLb1EES1C_IbLb0EEEEDaS18_S19_EUlS18_E_NS1_11comp_targetILNS1_3genE0ELNS1_11target_archE4294967295ELNS1_3gpuE0ELNS1_3repE0EEENS1_30default_config_static_selectorELNS0_4arch9wavefront6targetE0EEEvT1_,@function
_ZN7rocprim17ROCPRIM_400000_NS6detail17trampoline_kernelINS0_14default_configENS1_25partition_config_selectorILNS1_17partition_subalgoE9ExjbEEZZNS1_14partition_implILS5_9ELb0ES3_jN6thrust23THRUST_200600_302600_NS6detail15normal_iteratorINS9_10device_ptrIxEEEENSB_INSC_IjEEEEPNS0_10empty_typeENS0_5tupleIJSE_SH_EEENSJ_IJNS9_16discard_iteratorINS9_11use_defaultEEESI_EEENS0_18inequality_wrapperINS9_8equal_toIxEEEEPmJSH_EEE10hipError_tPvRmT3_T4_T5_T6_T7_T9_mT8_P12ihipStream_tbDpT10_ENKUlT_T0_E_clISt17integral_constantIbLb1EES1C_IbLb0EEEEDaS18_S19_EUlS18_E_NS1_11comp_targetILNS1_3genE0ELNS1_11target_archE4294967295ELNS1_3gpuE0ELNS1_3repE0EEENS1_30default_config_static_selectorELNS0_4arch9wavefront6targetE0EEEvT1_: ; @_ZN7rocprim17ROCPRIM_400000_NS6detail17trampoline_kernelINS0_14default_configENS1_25partition_config_selectorILNS1_17partition_subalgoE9ExjbEEZZNS1_14partition_implILS5_9ELb0ES3_jN6thrust23THRUST_200600_302600_NS6detail15normal_iteratorINS9_10device_ptrIxEEEENSB_INSC_IjEEEEPNS0_10empty_typeENS0_5tupleIJSE_SH_EEENSJ_IJNS9_16discard_iteratorINS9_11use_defaultEEESI_EEENS0_18inequality_wrapperINS9_8equal_toIxEEEEPmJSH_EEE10hipError_tPvRmT3_T4_T5_T6_T7_T9_mT8_P12ihipStream_tbDpT10_ENKUlT_T0_E_clISt17integral_constantIbLb1EES1C_IbLb0EEEEDaS18_S19_EUlS18_E_NS1_11comp_targetILNS1_3genE0ELNS1_11target_archE4294967295ELNS1_3gpuE0ELNS1_3repE0EEENS1_30default_config_static_selectorELNS0_4arch9wavefront6targetE0EEEvT1_
; %bb.0:
	.section	.rodata,"a",@progbits
	.p2align	6, 0x0
	.amdhsa_kernel _ZN7rocprim17ROCPRIM_400000_NS6detail17trampoline_kernelINS0_14default_configENS1_25partition_config_selectorILNS1_17partition_subalgoE9ExjbEEZZNS1_14partition_implILS5_9ELb0ES3_jN6thrust23THRUST_200600_302600_NS6detail15normal_iteratorINS9_10device_ptrIxEEEENSB_INSC_IjEEEEPNS0_10empty_typeENS0_5tupleIJSE_SH_EEENSJ_IJNS9_16discard_iteratorINS9_11use_defaultEEESI_EEENS0_18inequality_wrapperINS9_8equal_toIxEEEEPmJSH_EEE10hipError_tPvRmT3_T4_T5_T6_T7_T9_mT8_P12ihipStream_tbDpT10_ENKUlT_T0_E_clISt17integral_constantIbLb1EES1C_IbLb0EEEEDaS18_S19_EUlS18_E_NS1_11comp_targetILNS1_3genE0ELNS1_11target_archE4294967295ELNS1_3gpuE0ELNS1_3repE0EEENS1_30default_config_static_selectorELNS0_4arch9wavefront6targetE0EEEvT1_
		.amdhsa_group_segment_fixed_size 0
		.amdhsa_private_segment_fixed_size 0
		.amdhsa_kernarg_size 120
		.amdhsa_user_sgpr_count 15
		.amdhsa_user_sgpr_dispatch_ptr 0
		.amdhsa_user_sgpr_queue_ptr 0
		.amdhsa_user_sgpr_kernarg_segment_ptr 1
		.amdhsa_user_sgpr_dispatch_id 0
		.amdhsa_user_sgpr_private_segment_size 0
		.amdhsa_wavefront_size32 1
		.amdhsa_uses_dynamic_stack 0
		.amdhsa_enable_private_segment 0
		.amdhsa_system_sgpr_workgroup_id_x 1
		.amdhsa_system_sgpr_workgroup_id_y 0
		.amdhsa_system_sgpr_workgroup_id_z 0
		.amdhsa_system_sgpr_workgroup_info 0
		.amdhsa_system_vgpr_workitem_id 0
		.amdhsa_next_free_vgpr 1
		.amdhsa_next_free_sgpr 1
		.amdhsa_reserve_vcc 0
		.amdhsa_float_round_mode_32 0
		.amdhsa_float_round_mode_16_64 0
		.amdhsa_float_denorm_mode_32 3
		.amdhsa_float_denorm_mode_16_64 3
		.amdhsa_dx10_clamp 1
		.amdhsa_ieee_mode 1
		.amdhsa_fp16_overflow 0
		.amdhsa_workgroup_processor_mode 1
		.amdhsa_memory_ordered 1
		.amdhsa_forward_progress 0
		.amdhsa_shared_vgpr_count 0
		.amdhsa_exception_fp_ieee_invalid_op 0
		.amdhsa_exception_fp_denorm_src 0
		.amdhsa_exception_fp_ieee_div_zero 0
		.amdhsa_exception_fp_ieee_overflow 0
		.amdhsa_exception_fp_ieee_underflow 0
		.amdhsa_exception_fp_ieee_inexact 0
		.amdhsa_exception_int_div_zero 0
	.end_amdhsa_kernel
	.section	.text._ZN7rocprim17ROCPRIM_400000_NS6detail17trampoline_kernelINS0_14default_configENS1_25partition_config_selectorILNS1_17partition_subalgoE9ExjbEEZZNS1_14partition_implILS5_9ELb0ES3_jN6thrust23THRUST_200600_302600_NS6detail15normal_iteratorINS9_10device_ptrIxEEEENSB_INSC_IjEEEEPNS0_10empty_typeENS0_5tupleIJSE_SH_EEENSJ_IJNS9_16discard_iteratorINS9_11use_defaultEEESI_EEENS0_18inequality_wrapperINS9_8equal_toIxEEEEPmJSH_EEE10hipError_tPvRmT3_T4_T5_T6_T7_T9_mT8_P12ihipStream_tbDpT10_ENKUlT_T0_E_clISt17integral_constantIbLb1EES1C_IbLb0EEEEDaS18_S19_EUlS18_E_NS1_11comp_targetILNS1_3genE0ELNS1_11target_archE4294967295ELNS1_3gpuE0ELNS1_3repE0EEENS1_30default_config_static_selectorELNS0_4arch9wavefront6targetE0EEEvT1_,"axG",@progbits,_ZN7rocprim17ROCPRIM_400000_NS6detail17trampoline_kernelINS0_14default_configENS1_25partition_config_selectorILNS1_17partition_subalgoE9ExjbEEZZNS1_14partition_implILS5_9ELb0ES3_jN6thrust23THRUST_200600_302600_NS6detail15normal_iteratorINS9_10device_ptrIxEEEENSB_INSC_IjEEEEPNS0_10empty_typeENS0_5tupleIJSE_SH_EEENSJ_IJNS9_16discard_iteratorINS9_11use_defaultEEESI_EEENS0_18inequality_wrapperINS9_8equal_toIxEEEEPmJSH_EEE10hipError_tPvRmT3_T4_T5_T6_T7_T9_mT8_P12ihipStream_tbDpT10_ENKUlT_T0_E_clISt17integral_constantIbLb1EES1C_IbLb0EEEEDaS18_S19_EUlS18_E_NS1_11comp_targetILNS1_3genE0ELNS1_11target_archE4294967295ELNS1_3gpuE0ELNS1_3repE0EEENS1_30default_config_static_selectorELNS0_4arch9wavefront6targetE0EEEvT1_,comdat
.Lfunc_end1029:
	.size	_ZN7rocprim17ROCPRIM_400000_NS6detail17trampoline_kernelINS0_14default_configENS1_25partition_config_selectorILNS1_17partition_subalgoE9ExjbEEZZNS1_14partition_implILS5_9ELb0ES3_jN6thrust23THRUST_200600_302600_NS6detail15normal_iteratorINS9_10device_ptrIxEEEENSB_INSC_IjEEEEPNS0_10empty_typeENS0_5tupleIJSE_SH_EEENSJ_IJNS9_16discard_iteratorINS9_11use_defaultEEESI_EEENS0_18inequality_wrapperINS9_8equal_toIxEEEEPmJSH_EEE10hipError_tPvRmT3_T4_T5_T6_T7_T9_mT8_P12ihipStream_tbDpT10_ENKUlT_T0_E_clISt17integral_constantIbLb1EES1C_IbLb0EEEEDaS18_S19_EUlS18_E_NS1_11comp_targetILNS1_3genE0ELNS1_11target_archE4294967295ELNS1_3gpuE0ELNS1_3repE0EEENS1_30default_config_static_selectorELNS0_4arch9wavefront6targetE0EEEvT1_, .Lfunc_end1029-_ZN7rocprim17ROCPRIM_400000_NS6detail17trampoline_kernelINS0_14default_configENS1_25partition_config_selectorILNS1_17partition_subalgoE9ExjbEEZZNS1_14partition_implILS5_9ELb0ES3_jN6thrust23THRUST_200600_302600_NS6detail15normal_iteratorINS9_10device_ptrIxEEEENSB_INSC_IjEEEEPNS0_10empty_typeENS0_5tupleIJSE_SH_EEENSJ_IJNS9_16discard_iteratorINS9_11use_defaultEEESI_EEENS0_18inequality_wrapperINS9_8equal_toIxEEEEPmJSH_EEE10hipError_tPvRmT3_T4_T5_T6_T7_T9_mT8_P12ihipStream_tbDpT10_ENKUlT_T0_E_clISt17integral_constantIbLb1EES1C_IbLb0EEEEDaS18_S19_EUlS18_E_NS1_11comp_targetILNS1_3genE0ELNS1_11target_archE4294967295ELNS1_3gpuE0ELNS1_3repE0EEENS1_30default_config_static_selectorELNS0_4arch9wavefront6targetE0EEEvT1_
                                        ; -- End function
	.section	.AMDGPU.csdata,"",@progbits
; Kernel info:
; codeLenInByte = 0
; NumSgprs: 0
; NumVgprs: 0
; ScratchSize: 0
; MemoryBound: 0
; FloatMode: 240
; IeeeMode: 1
; LDSByteSize: 0 bytes/workgroup (compile time only)
; SGPRBlocks: 0
; VGPRBlocks: 0
; NumSGPRsForWavesPerEU: 1
; NumVGPRsForWavesPerEU: 1
; Occupancy: 16
; WaveLimiterHint : 0
; COMPUTE_PGM_RSRC2:SCRATCH_EN: 0
; COMPUTE_PGM_RSRC2:USER_SGPR: 15
; COMPUTE_PGM_RSRC2:TRAP_HANDLER: 0
; COMPUTE_PGM_RSRC2:TGID_X_EN: 1
; COMPUTE_PGM_RSRC2:TGID_Y_EN: 0
; COMPUTE_PGM_RSRC2:TGID_Z_EN: 0
; COMPUTE_PGM_RSRC2:TIDIG_COMP_CNT: 0
	.section	.text._ZN7rocprim17ROCPRIM_400000_NS6detail17trampoline_kernelINS0_14default_configENS1_25partition_config_selectorILNS1_17partition_subalgoE9ExjbEEZZNS1_14partition_implILS5_9ELb0ES3_jN6thrust23THRUST_200600_302600_NS6detail15normal_iteratorINS9_10device_ptrIxEEEENSB_INSC_IjEEEEPNS0_10empty_typeENS0_5tupleIJSE_SH_EEENSJ_IJNS9_16discard_iteratorINS9_11use_defaultEEESI_EEENS0_18inequality_wrapperINS9_8equal_toIxEEEEPmJSH_EEE10hipError_tPvRmT3_T4_T5_T6_T7_T9_mT8_P12ihipStream_tbDpT10_ENKUlT_T0_E_clISt17integral_constantIbLb1EES1C_IbLb0EEEEDaS18_S19_EUlS18_E_NS1_11comp_targetILNS1_3genE5ELNS1_11target_archE942ELNS1_3gpuE9ELNS1_3repE0EEENS1_30default_config_static_selectorELNS0_4arch9wavefront6targetE0EEEvT1_,"axG",@progbits,_ZN7rocprim17ROCPRIM_400000_NS6detail17trampoline_kernelINS0_14default_configENS1_25partition_config_selectorILNS1_17partition_subalgoE9ExjbEEZZNS1_14partition_implILS5_9ELb0ES3_jN6thrust23THRUST_200600_302600_NS6detail15normal_iteratorINS9_10device_ptrIxEEEENSB_INSC_IjEEEEPNS0_10empty_typeENS0_5tupleIJSE_SH_EEENSJ_IJNS9_16discard_iteratorINS9_11use_defaultEEESI_EEENS0_18inequality_wrapperINS9_8equal_toIxEEEEPmJSH_EEE10hipError_tPvRmT3_T4_T5_T6_T7_T9_mT8_P12ihipStream_tbDpT10_ENKUlT_T0_E_clISt17integral_constantIbLb1EES1C_IbLb0EEEEDaS18_S19_EUlS18_E_NS1_11comp_targetILNS1_3genE5ELNS1_11target_archE942ELNS1_3gpuE9ELNS1_3repE0EEENS1_30default_config_static_selectorELNS0_4arch9wavefront6targetE0EEEvT1_,comdat
	.protected	_ZN7rocprim17ROCPRIM_400000_NS6detail17trampoline_kernelINS0_14default_configENS1_25partition_config_selectorILNS1_17partition_subalgoE9ExjbEEZZNS1_14partition_implILS5_9ELb0ES3_jN6thrust23THRUST_200600_302600_NS6detail15normal_iteratorINS9_10device_ptrIxEEEENSB_INSC_IjEEEEPNS0_10empty_typeENS0_5tupleIJSE_SH_EEENSJ_IJNS9_16discard_iteratorINS9_11use_defaultEEESI_EEENS0_18inequality_wrapperINS9_8equal_toIxEEEEPmJSH_EEE10hipError_tPvRmT3_T4_T5_T6_T7_T9_mT8_P12ihipStream_tbDpT10_ENKUlT_T0_E_clISt17integral_constantIbLb1EES1C_IbLb0EEEEDaS18_S19_EUlS18_E_NS1_11comp_targetILNS1_3genE5ELNS1_11target_archE942ELNS1_3gpuE9ELNS1_3repE0EEENS1_30default_config_static_selectorELNS0_4arch9wavefront6targetE0EEEvT1_ ; -- Begin function _ZN7rocprim17ROCPRIM_400000_NS6detail17trampoline_kernelINS0_14default_configENS1_25partition_config_selectorILNS1_17partition_subalgoE9ExjbEEZZNS1_14partition_implILS5_9ELb0ES3_jN6thrust23THRUST_200600_302600_NS6detail15normal_iteratorINS9_10device_ptrIxEEEENSB_INSC_IjEEEEPNS0_10empty_typeENS0_5tupleIJSE_SH_EEENSJ_IJNS9_16discard_iteratorINS9_11use_defaultEEESI_EEENS0_18inequality_wrapperINS9_8equal_toIxEEEEPmJSH_EEE10hipError_tPvRmT3_T4_T5_T6_T7_T9_mT8_P12ihipStream_tbDpT10_ENKUlT_T0_E_clISt17integral_constantIbLb1EES1C_IbLb0EEEEDaS18_S19_EUlS18_E_NS1_11comp_targetILNS1_3genE5ELNS1_11target_archE942ELNS1_3gpuE9ELNS1_3repE0EEENS1_30default_config_static_selectorELNS0_4arch9wavefront6targetE0EEEvT1_
	.globl	_ZN7rocprim17ROCPRIM_400000_NS6detail17trampoline_kernelINS0_14default_configENS1_25partition_config_selectorILNS1_17partition_subalgoE9ExjbEEZZNS1_14partition_implILS5_9ELb0ES3_jN6thrust23THRUST_200600_302600_NS6detail15normal_iteratorINS9_10device_ptrIxEEEENSB_INSC_IjEEEEPNS0_10empty_typeENS0_5tupleIJSE_SH_EEENSJ_IJNS9_16discard_iteratorINS9_11use_defaultEEESI_EEENS0_18inequality_wrapperINS9_8equal_toIxEEEEPmJSH_EEE10hipError_tPvRmT3_T4_T5_T6_T7_T9_mT8_P12ihipStream_tbDpT10_ENKUlT_T0_E_clISt17integral_constantIbLb1EES1C_IbLb0EEEEDaS18_S19_EUlS18_E_NS1_11comp_targetILNS1_3genE5ELNS1_11target_archE942ELNS1_3gpuE9ELNS1_3repE0EEENS1_30default_config_static_selectorELNS0_4arch9wavefront6targetE0EEEvT1_
	.p2align	8
	.type	_ZN7rocprim17ROCPRIM_400000_NS6detail17trampoline_kernelINS0_14default_configENS1_25partition_config_selectorILNS1_17partition_subalgoE9ExjbEEZZNS1_14partition_implILS5_9ELb0ES3_jN6thrust23THRUST_200600_302600_NS6detail15normal_iteratorINS9_10device_ptrIxEEEENSB_INSC_IjEEEEPNS0_10empty_typeENS0_5tupleIJSE_SH_EEENSJ_IJNS9_16discard_iteratorINS9_11use_defaultEEESI_EEENS0_18inequality_wrapperINS9_8equal_toIxEEEEPmJSH_EEE10hipError_tPvRmT3_T4_T5_T6_T7_T9_mT8_P12ihipStream_tbDpT10_ENKUlT_T0_E_clISt17integral_constantIbLb1EES1C_IbLb0EEEEDaS18_S19_EUlS18_E_NS1_11comp_targetILNS1_3genE5ELNS1_11target_archE942ELNS1_3gpuE9ELNS1_3repE0EEENS1_30default_config_static_selectorELNS0_4arch9wavefront6targetE0EEEvT1_,@function
_ZN7rocprim17ROCPRIM_400000_NS6detail17trampoline_kernelINS0_14default_configENS1_25partition_config_selectorILNS1_17partition_subalgoE9ExjbEEZZNS1_14partition_implILS5_9ELb0ES3_jN6thrust23THRUST_200600_302600_NS6detail15normal_iteratorINS9_10device_ptrIxEEEENSB_INSC_IjEEEEPNS0_10empty_typeENS0_5tupleIJSE_SH_EEENSJ_IJNS9_16discard_iteratorINS9_11use_defaultEEESI_EEENS0_18inequality_wrapperINS9_8equal_toIxEEEEPmJSH_EEE10hipError_tPvRmT3_T4_T5_T6_T7_T9_mT8_P12ihipStream_tbDpT10_ENKUlT_T0_E_clISt17integral_constantIbLb1EES1C_IbLb0EEEEDaS18_S19_EUlS18_E_NS1_11comp_targetILNS1_3genE5ELNS1_11target_archE942ELNS1_3gpuE9ELNS1_3repE0EEENS1_30default_config_static_selectorELNS0_4arch9wavefront6targetE0EEEvT1_: ; @_ZN7rocprim17ROCPRIM_400000_NS6detail17trampoline_kernelINS0_14default_configENS1_25partition_config_selectorILNS1_17partition_subalgoE9ExjbEEZZNS1_14partition_implILS5_9ELb0ES3_jN6thrust23THRUST_200600_302600_NS6detail15normal_iteratorINS9_10device_ptrIxEEEENSB_INSC_IjEEEEPNS0_10empty_typeENS0_5tupleIJSE_SH_EEENSJ_IJNS9_16discard_iteratorINS9_11use_defaultEEESI_EEENS0_18inequality_wrapperINS9_8equal_toIxEEEEPmJSH_EEE10hipError_tPvRmT3_T4_T5_T6_T7_T9_mT8_P12ihipStream_tbDpT10_ENKUlT_T0_E_clISt17integral_constantIbLb1EES1C_IbLb0EEEEDaS18_S19_EUlS18_E_NS1_11comp_targetILNS1_3genE5ELNS1_11target_archE942ELNS1_3gpuE9ELNS1_3repE0EEENS1_30default_config_static_selectorELNS0_4arch9wavefront6targetE0EEEvT1_
; %bb.0:
	.section	.rodata,"a",@progbits
	.p2align	6, 0x0
	.amdhsa_kernel _ZN7rocprim17ROCPRIM_400000_NS6detail17trampoline_kernelINS0_14default_configENS1_25partition_config_selectorILNS1_17partition_subalgoE9ExjbEEZZNS1_14partition_implILS5_9ELb0ES3_jN6thrust23THRUST_200600_302600_NS6detail15normal_iteratorINS9_10device_ptrIxEEEENSB_INSC_IjEEEEPNS0_10empty_typeENS0_5tupleIJSE_SH_EEENSJ_IJNS9_16discard_iteratorINS9_11use_defaultEEESI_EEENS0_18inequality_wrapperINS9_8equal_toIxEEEEPmJSH_EEE10hipError_tPvRmT3_T4_T5_T6_T7_T9_mT8_P12ihipStream_tbDpT10_ENKUlT_T0_E_clISt17integral_constantIbLb1EES1C_IbLb0EEEEDaS18_S19_EUlS18_E_NS1_11comp_targetILNS1_3genE5ELNS1_11target_archE942ELNS1_3gpuE9ELNS1_3repE0EEENS1_30default_config_static_selectorELNS0_4arch9wavefront6targetE0EEEvT1_
		.amdhsa_group_segment_fixed_size 0
		.amdhsa_private_segment_fixed_size 0
		.amdhsa_kernarg_size 120
		.amdhsa_user_sgpr_count 15
		.amdhsa_user_sgpr_dispatch_ptr 0
		.amdhsa_user_sgpr_queue_ptr 0
		.amdhsa_user_sgpr_kernarg_segment_ptr 1
		.amdhsa_user_sgpr_dispatch_id 0
		.amdhsa_user_sgpr_private_segment_size 0
		.amdhsa_wavefront_size32 1
		.amdhsa_uses_dynamic_stack 0
		.amdhsa_enable_private_segment 0
		.amdhsa_system_sgpr_workgroup_id_x 1
		.amdhsa_system_sgpr_workgroup_id_y 0
		.amdhsa_system_sgpr_workgroup_id_z 0
		.amdhsa_system_sgpr_workgroup_info 0
		.amdhsa_system_vgpr_workitem_id 0
		.amdhsa_next_free_vgpr 1
		.amdhsa_next_free_sgpr 1
		.amdhsa_reserve_vcc 0
		.amdhsa_float_round_mode_32 0
		.amdhsa_float_round_mode_16_64 0
		.amdhsa_float_denorm_mode_32 3
		.amdhsa_float_denorm_mode_16_64 3
		.amdhsa_dx10_clamp 1
		.amdhsa_ieee_mode 1
		.amdhsa_fp16_overflow 0
		.amdhsa_workgroup_processor_mode 1
		.amdhsa_memory_ordered 1
		.amdhsa_forward_progress 0
		.amdhsa_shared_vgpr_count 0
		.amdhsa_exception_fp_ieee_invalid_op 0
		.amdhsa_exception_fp_denorm_src 0
		.amdhsa_exception_fp_ieee_div_zero 0
		.amdhsa_exception_fp_ieee_overflow 0
		.amdhsa_exception_fp_ieee_underflow 0
		.amdhsa_exception_fp_ieee_inexact 0
		.amdhsa_exception_int_div_zero 0
	.end_amdhsa_kernel
	.section	.text._ZN7rocprim17ROCPRIM_400000_NS6detail17trampoline_kernelINS0_14default_configENS1_25partition_config_selectorILNS1_17partition_subalgoE9ExjbEEZZNS1_14partition_implILS5_9ELb0ES3_jN6thrust23THRUST_200600_302600_NS6detail15normal_iteratorINS9_10device_ptrIxEEEENSB_INSC_IjEEEEPNS0_10empty_typeENS0_5tupleIJSE_SH_EEENSJ_IJNS9_16discard_iteratorINS9_11use_defaultEEESI_EEENS0_18inequality_wrapperINS9_8equal_toIxEEEEPmJSH_EEE10hipError_tPvRmT3_T4_T5_T6_T7_T9_mT8_P12ihipStream_tbDpT10_ENKUlT_T0_E_clISt17integral_constantIbLb1EES1C_IbLb0EEEEDaS18_S19_EUlS18_E_NS1_11comp_targetILNS1_3genE5ELNS1_11target_archE942ELNS1_3gpuE9ELNS1_3repE0EEENS1_30default_config_static_selectorELNS0_4arch9wavefront6targetE0EEEvT1_,"axG",@progbits,_ZN7rocprim17ROCPRIM_400000_NS6detail17trampoline_kernelINS0_14default_configENS1_25partition_config_selectorILNS1_17partition_subalgoE9ExjbEEZZNS1_14partition_implILS5_9ELb0ES3_jN6thrust23THRUST_200600_302600_NS6detail15normal_iteratorINS9_10device_ptrIxEEEENSB_INSC_IjEEEEPNS0_10empty_typeENS0_5tupleIJSE_SH_EEENSJ_IJNS9_16discard_iteratorINS9_11use_defaultEEESI_EEENS0_18inequality_wrapperINS9_8equal_toIxEEEEPmJSH_EEE10hipError_tPvRmT3_T4_T5_T6_T7_T9_mT8_P12ihipStream_tbDpT10_ENKUlT_T0_E_clISt17integral_constantIbLb1EES1C_IbLb0EEEEDaS18_S19_EUlS18_E_NS1_11comp_targetILNS1_3genE5ELNS1_11target_archE942ELNS1_3gpuE9ELNS1_3repE0EEENS1_30default_config_static_selectorELNS0_4arch9wavefront6targetE0EEEvT1_,comdat
.Lfunc_end1030:
	.size	_ZN7rocprim17ROCPRIM_400000_NS6detail17trampoline_kernelINS0_14default_configENS1_25partition_config_selectorILNS1_17partition_subalgoE9ExjbEEZZNS1_14partition_implILS5_9ELb0ES3_jN6thrust23THRUST_200600_302600_NS6detail15normal_iteratorINS9_10device_ptrIxEEEENSB_INSC_IjEEEEPNS0_10empty_typeENS0_5tupleIJSE_SH_EEENSJ_IJNS9_16discard_iteratorINS9_11use_defaultEEESI_EEENS0_18inequality_wrapperINS9_8equal_toIxEEEEPmJSH_EEE10hipError_tPvRmT3_T4_T5_T6_T7_T9_mT8_P12ihipStream_tbDpT10_ENKUlT_T0_E_clISt17integral_constantIbLb1EES1C_IbLb0EEEEDaS18_S19_EUlS18_E_NS1_11comp_targetILNS1_3genE5ELNS1_11target_archE942ELNS1_3gpuE9ELNS1_3repE0EEENS1_30default_config_static_selectorELNS0_4arch9wavefront6targetE0EEEvT1_, .Lfunc_end1030-_ZN7rocprim17ROCPRIM_400000_NS6detail17trampoline_kernelINS0_14default_configENS1_25partition_config_selectorILNS1_17partition_subalgoE9ExjbEEZZNS1_14partition_implILS5_9ELb0ES3_jN6thrust23THRUST_200600_302600_NS6detail15normal_iteratorINS9_10device_ptrIxEEEENSB_INSC_IjEEEEPNS0_10empty_typeENS0_5tupleIJSE_SH_EEENSJ_IJNS9_16discard_iteratorINS9_11use_defaultEEESI_EEENS0_18inequality_wrapperINS9_8equal_toIxEEEEPmJSH_EEE10hipError_tPvRmT3_T4_T5_T6_T7_T9_mT8_P12ihipStream_tbDpT10_ENKUlT_T0_E_clISt17integral_constantIbLb1EES1C_IbLb0EEEEDaS18_S19_EUlS18_E_NS1_11comp_targetILNS1_3genE5ELNS1_11target_archE942ELNS1_3gpuE9ELNS1_3repE0EEENS1_30default_config_static_selectorELNS0_4arch9wavefront6targetE0EEEvT1_
                                        ; -- End function
	.section	.AMDGPU.csdata,"",@progbits
; Kernel info:
; codeLenInByte = 0
; NumSgprs: 0
; NumVgprs: 0
; ScratchSize: 0
; MemoryBound: 0
; FloatMode: 240
; IeeeMode: 1
; LDSByteSize: 0 bytes/workgroup (compile time only)
; SGPRBlocks: 0
; VGPRBlocks: 0
; NumSGPRsForWavesPerEU: 1
; NumVGPRsForWavesPerEU: 1
; Occupancy: 16
; WaveLimiterHint : 0
; COMPUTE_PGM_RSRC2:SCRATCH_EN: 0
; COMPUTE_PGM_RSRC2:USER_SGPR: 15
; COMPUTE_PGM_RSRC2:TRAP_HANDLER: 0
; COMPUTE_PGM_RSRC2:TGID_X_EN: 1
; COMPUTE_PGM_RSRC2:TGID_Y_EN: 0
; COMPUTE_PGM_RSRC2:TGID_Z_EN: 0
; COMPUTE_PGM_RSRC2:TIDIG_COMP_CNT: 0
	.section	.text._ZN7rocprim17ROCPRIM_400000_NS6detail17trampoline_kernelINS0_14default_configENS1_25partition_config_selectorILNS1_17partition_subalgoE9ExjbEEZZNS1_14partition_implILS5_9ELb0ES3_jN6thrust23THRUST_200600_302600_NS6detail15normal_iteratorINS9_10device_ptrIxEEEENSB_INSC_IjEEEEPNS0_10empty_typeENS0_5tupleIJSE_SH_EEENSJ_IJNS9_16discard_iteratorINS9_11use_defaultEEESI_EEENS0_18inequality_wrapperINS9_8equal_toIxEEEEPmJSH_EEE10hipError_tPvRmT3_T4_T5_T6_T7_T9_mT8_P12ihipStream_tbDpT10_ENKUlT_T0_E_clISt17integral_constantIbLb1EES1C_IbLb0EEEEDaS18_S19_EUlS18_E_NS1_11comp_targetILNS1_3genE4ELNS1_11target_archE910ELNS1_3gpuE8ELNS1_3repE0EEENS1_30default_config_static_selectorELNS0_4arch9wavefront6targetE0EEEvT1_,"axG",@progbits,_ZN7rocprim17ROCPRIM_400000_NS6detail17trampoline_kernelINS0_14default_configENS1_25partition_config_selectorILNS1_17partition_subalgoE9ExjbEEZZNS1_14partition_implILS5_9ELb0ES3_jN6thrust23THRUST_200600_302600_NS6detail15normal_iteratorINS9_10device_ptrIxEEEENSB_INSC_IjEEEEPNS0_10empty_typeENS0_5tupleIJSE_SH_EEENSJ_IJNS9_16discard_iteratorINS9_11use_defaultEEESI_EEENS0_18inequality_wrapperINS9_8equal_toIxEEEEPmJSH_EEE10hipError_tPvRmT3_T4_T5_T6_T7_T9_mT8_P12ihipStream_tbDpT10_ENKUlT_T0_E_clISt17integral_constantIbLb1EES1C_IbLb0EEEEDaS18_S19_EUlS18_E_NS1_11comp_targetILNS1_3genE4ELNS1_11target_archE910ELNS1_3gpuE8ELNS1_3repE0EEENS1_30default_config_static_selectorELNS0_4arch9wavefront6targetE0EEEvT1_,comdat
	.protected	_ZN7rocprim17ROCPRIM_400000_NS6detail17trampoline_kernelINS0_14default_configENS1_25partition_config_selectorILNS1_17partition_subalgoE9ExjbEEZZNS1_14partition_implILS5_9ELb0ES3_jN6thrust23THRUST_200600_302600_NS6detail15normal_iteratorINS9_10device_ptrIxEEEENSB_INSC_IjEEEEPNS0_10empty_typeENS0_5tupleIJSE_SH_EEENSJ_IJNS9_16discard_iteratorINS9_11use_defaultEEESI_EEENS0_18inequality_wrapperINS9_8equal_toIxEEEEPmJSH_EEE10hipError_tPvRmT3_T4_T5_T6_T7_T9_mT8_P12ihipStream_tbDpT10_ENKUlT_T0_E_clISt17integral_constantIbLb1EES1C_IbLb0EEEEDaS18_S19_EUlS18_E_NS1_11comp_targetILNS1_3genE4ELNS1_11target_archE910ELNS1_3gpuE8ELNS1_3repE0EEENS1_30default_config_static_selectorELNS0_4arch9wavefront6targetE0EEEvT1_ ; -- Begin function _ZN7rocprim17ROCPRIM_400000_NS6detail17trampoline_kernelINS0_14default_configENS1_25partition_config_selectorILNS1_17partition_subalgoE9ExjbEEZZNS1_14partition_implILS5_9ELb0ES3_jN6thrust23THRUST_200600_302600_NS6detail15normal_iteratorINS9_10device_ptrIxEEEENSB_INSC_IjEEEEPNS0_10empty_typeENS0_5tupleIJSE_SH_EEENSJ_IJNS9_16discard_iteratorINS9_11use_defaultEEESI_EEENS0_18inequality_wrapperINS9_8equal_toIxEEEEPmJSH_EEE10hipError_tPvRmT3_T4_T5_T6_T7_T9_mT8_P12ihipStream_tbDpT10_ENKUlT_T0_E_clISt17integral_constantIbLb1EES1C_IbLb0EEEEDaS18_S19_EUlS18_E_NS1_11comp_targetILNS1_3genE4ELNS1_11target_archE910ELNS1_3gpuE8ELNS1_3repE0EEENS1_30default_config_static_selectorELNS0_4arch9wavefront6targetE0EEEvT1_
	.globl	_ZN7rocprim17ROCPRIM_400000_NS6detail17trampoline_kernelINS0_14default_configENS1_25partition_config_selectorILNS1_17partition_subalgoE9ExjbEEZZNS1_14partition_implILS5_9ELb0ES3_jN6thrust23THRUST_200600_302600_NS6detail15normal_iteratorINS9_10device_ptrIxEEEENSB_INSC_IjEEEEPNS0_10empty_typeENS0_5tupleIJSE_SH_EEENSJ_IJNS9_16discard_iteratorINS9_11use_defaultEEESI_EEENS0_18inequality_wrapperINS9_8equal_toIxEEEEPmJSH_EEE10hipError_tPvRmT3_T4_T5_T6_T7_T9_mT8_P12ihipStream_tbDpT10_ENKUlT_T0_E_clISt17integral_constantIbLb1EES1C_IbLb0EEEEDaS18_S19_EUlS18_E_NS1_11comp_targetILNS1_3genE4ELNS1_11target_archE910ELNS1_3gpuE8ELNS1_3repE0EEENS1_30default_config_static_selectorELNS0_4arch9wavefront6targetE0EEEvT1_
	.p2align	8
	.type	_ZN7rocprim17ROCPRIM_400000_NS6detail17trampoline_kernelINS0_14default_configENS1_25partition_config_selectorILNS1_17partition_subalgoE9ExjbEEZZNS1_14partition_implILS5_9ELb0ES3_jN6thrust23THRUST_200600_302600_NS6detail15normal_iteratorINS9_10device_ptrIxEEEENSB_INSC_IjEEEEPNS0_10empty_typeENS0_5tupleIJSE_SH_EEENSJ_IJNS9_16discard_iteratorINS9_11use_defaultEEESI_EEENS0_18inequality_wrapperINS9_8equal_toIxEEEEPmJSH_EEE10hipError_tPvRmT3_T4_T5_T6_T7_T9_mT8_P12ihipStream_tbDpT10_ENKUlT_T0_E_clISt17integral_constantIbLb1EES1C_IbLb0EEEEDaS18_S19_EUlS18_E_NS1_11comp_targetILNS1_3genE4ELNS1_11target_archE910ELNS1_3gpuE8ELNS1_3repE0EEENS1_30default_config_static_selectorELNS0_4arch9wavefront6targetE0EEEvT1_,@function
_ZN7rocprim17ROCPRIM_400000_NS6detail17trampoline_kernelINS0_14default_configENS1_25partition_config_selectorILNS1_17partition_subalgoE9ExjbEEZZNS1_14partition_implILS5_9ELb0ES3_jN6thrust23THRUST_200600_302600_NS6detail15normal_iteratorINS9_10device_ptrIxEEEENSB_INSC_IjEEEEPNS0_10empty_typeENS0_5tupleIJSE_SH_EEENSJ_IJNS9_16discard_iteratorINS9_11use_defaultEEESI_EEENS0_18inequality_wrapperINS9_8equal_toIxEEEEPmJSH_EEE10hipError_tPvRmT3_T4_T5_T6_T7_T9_mT8_P12ihipStream_tbDpT10_ENKUlT_T0_E_clISt17integral_constantIbLb1EES1C_IbLb0EEEEDaS18_S19_EUlS18_E_NS1_11comp_targetILNS1_3genE4ELNS1_11target_archE910ELNS1_3gpuE8ELNS1_3repE0EEENS1_30default_config_static_selectorELNS0_4arch9wavefront6targetE0EEEvT1_: ; @_ZN7rocprim17ROCPRIM_400000_NS6detail17trampoline_kernelINS0_14default_configENS1_25partition_config_selectorILNS1_17partition_subalgoE9ExjbEEZZNS1_14partition_implILS5_9ELb0ES3_jN6thrust23THRUST_200600_302600_NS6detail15normal_iteratorINS9_10device_ptrIxEEEENSB_INSC_IjEEEEPNS0_10empty_typeENS0_5tupleIJSE_SH_EEENSJ_IJNS9_16discard_iteratorINS9_11use_defaultEEESI_EEENS0_18inequality_wrapperINS9_8equal_toIxEEEEPmJSH_EEE10hipError_tPvRmT3_T4_T5_T6_T7_T9_mT8_P12ihipStream_tbDpT10_ENKUlT_T0_E_clISt17integral_constantIbLb1EES1C_IbLb0EEEEDaS18_S19_EUlS18_E_NS1_11comp_targetILNS1_3genE4ELNS1_11target_archE910ELNS1_3gpuE8ELNS1_3repE0EEENS1_30default_config_static_selectorELNS0_4arch9wavefront6targetE0EEEvT1_
; %bb.0:
	.section	.rodata,"a",@progbits
	.p2align	6, 0x0
	.amdhsa_kernel _ZN7rocprim17ROCPRIM_400000_NS6detail17trampoline_kernelINS0_14default_configENS1_25partition_config_selectorILNS1_17partition_subalgoE9ExjbEEZZNS1_14partition_implILS5_9ELb0ES3_jN6thrust23THRUST_200600_302600_NS6detail15normal_iteratorINS9_10device_ptrIxEEEENSB_INSC_IjEEEEPNS0_10empty_typeENS0_5tupleIJSE_SH_EEENSJ_IJNS9_16discard_iteratorINS9_11use_defaultEEESI_EEENS0_18inequality_wrapperINS9_8equal_toIxEEEEPmJSH_EEE10hipError_tPvRmT3_T4_T5_T6_T7_T9_mT8_P12ihipStream_tbDpT10_ENKUlT_T0_E_clISt17integral_constantIbLb1EES1C_IbLb0EEEEDaS18_S19_EUlS18_E_NS1_11comp_targetILNS1_3genE4ELNS1_11target_archE910ELNS1_3gpuE8ELNS1_3repE0EEENS1_30default_config_static_selectorELNS0_4arch9wavefront6targetE0EEEvT1_
		.amdhsa_group_segment_fixed_size 0
		.amdhsa_private_segment_fixed_size 0
		.amdhsa_kernarg_size 120
		.amdhsa_user_sgpr_count 15
		.amdhsa_user_sgpr_dispatch_ptr 0
		.amdhsa_user_sgpr_queue_ptr 0
		.amdhsa_user_sgpr_kernarg_segment_ptr 1
		.amdhsa_user_sgpr_dispatch_id 0
		.amdhsa_user_sgpr_private_segment_size 0
		.amdhsa_wavefront_size32 1
		.amdhsa_uses_dynamic_stack 0
		.amdhsa_enable_private_segment 0
		.amdhsa_system_sgpr_workgroup_id_x 1
		.amdhsa_system_sgpr_workgroup_id_y 0
		.amdhsa_system_sgpr_workgroup_id_z 0
		.amdhsa_system_sgpr_workgroup_info 0
		.amdhsa_system_vgpr_workitem_id 0
		.amdhsa_next_free_vgpr 1
		.amdhsa_next_free_sgpr 1
		.amdhsa_reserve_vcc 0
		.amdhsa_float_round_mode_32 0
		.amdhsa_float_round_mode_16_64 0
		.amdhsa_float_denorm_mode_32 3
		.amdhsa_float_denorm_mode_16_64 3
		.amdhsa_dx10_clamp 1
		.amdhsa_ieee_mode 1
		.amdhsa_fp16_overflow 0
		.amdhsa_workgroup_processor_mode 1
		.amdhsa_memory_ordered 1
		.amdhsa_forward_progress 0
		.amdhsa_shared_vgpr_count 0
		.amdhsa_exception_fp_ieee_invalid_op 0
		.amdhsa_exception_fp_denorm_src 0
		.amdhsa_exception_fp_ieee_div_zero 0
		.amdhsa_exception_fp_ieee_overflow 0
		.amdhsa_exception_fp_ieee_underflow 0
		.amdhsa_exception_fp_ieee_inexact 0
		.amdhsa_exception_int_div_zero 0
	.end_amdhsa_kernel
	.section	.text._ZN7rocprim17ROCPRIM_400000_NS6detail17trampoline_kernelINS0_14default_configENS1_25partition_config_selectorILNS1_17partition_subalgoE9ExjbEEZZNS1_14partition_implILS5_9ELb0ES3_jN6thrust23THRUST_200600_302600_NS6detail15normal_iteratorINS9_10device_ptrIxEEEENSB_INSC_IjEEEEPNS0_10empty_typeENS0_5tupleIJSE_SH_EEENSJ_IJNS9_16discard_iteratorINS9_11use_defaultEEESI_EEENS0_18inequality_wrapperINS9_8equal_toIxEEEEPmJSH_EEE10hipError_tPvRmT3_T4_T5_T6_T7_T9_mT8_P12ihipStream_tbDpT10_ENKUlT_T0_E_clISt17integral_constantIbLb1EES1C_IbLb0EEEEDaS18_S19_EUlS18_E_NS1_11comp_targetILNS1_3genE4ELNS1_11target_archE910ELNS1_3gpuE8ELNS1_3repE0EEENS1_30default_config_static_selectorELNS0_4arch9wavefront6targetE0EEEvT1_,"axG",@progbits,_ZN7rocprim17ROCPRIM_400000_NS6detail17trampoline_kernelINS0_14default_configENS1_25partition_config_selectorILNS1_17partition_subalgoE9ExjbEEZZNS1_14partition_implILS5_9ELb0ES3_jN6thrust23THRUST_200600_302600_NS6detail15normal_iteratorINS9_10device_ptrIxEEEENSB_INSC_IjEEEEPNS0_10empty_typeENS0_5tupleIJSE_SH_EEENSJ_IJNS9_16discard_iteratorINS9_11use_defaultEEESI_EEENS0_18inequality_wrapperINS9_8equal_toIxEEEEPmJSH_EEE10hipError_tPvRmT3_T4_T5_T6_T7_T9_mT8_P12ihipStream_tbDpT10_ENKUlT_T0_E_clISt17integral_constantIbLb1EES1C_IbLb0EEEEDaS18_S19_EUlS18_E_NS1_11comp_targetILNS1_3genE4ELNS1_11target_archE910ELNS1_3gpuE8ELNS1_3repE0EEENS1_30default_config_static_selectorELNS0_4arch9wavefront6targetE0EEEvT1_,comdat
.Lfunc_end1031:
	.size	_ZN7rocprim17ROCPRIM_400000_NS6detail17trampoline_kernelINS0_14default_configENS1_25partition_config_selectorILNS1_17partition_subalgoE9ExjbEEZZNS1_14partition_implILS5_9ELb0ES3_jN6thrust23THRUST_200600_302600_NS6detail15normal_iteratorINS9_10device_ptrIxEEEENSB_INSC_IjEEEEPNS0_10empty_typeENS0_5tupleIJSE_SH_EEENSJ_IJNS9_16discard_iteratorINS9_11use_defaultEEESI_EEENS0_18inequality_wrapperINS9_8equal_toIxEEEEPmJSH_EEE10hipError_tPvRmT3_T4_T5_T6_T7_T9_mT8_P12ihipStream_tbDpT10_ENKUlT_T0_E_clISt17integral_constantIbLb1EES1C_IbLb0EEEEDaS18_S19_EUlS18_E_NS1_11comp_targetILNS1_3genE4ELNS1_11target_archE910ELNS1_3gpuE8ELNS1_3repE0EEENS1_30default_config_static_selectorELNS0_4arch9wavefront6targetE0EEEvT1_, .Lfunc_end1031-_ZN7rocprim17ROCPRIM_400000_NS6detail17trampoline_kernelINS0_14default_configENS1_25partition_config_selectorILNS1_17partition_subalgoE9ExjbEEZZNS1_14partition_implILS5_9ELb0ES3_jN6thrust23THRUST_200600_302600_NS6detail15normal_iteratorINS9_10device_ptrIxEEEENSB_INSC_IjEEEEPNS0_10empty_typeENS0_5tupleIJSE_SH_EEENSJ_IJNS9_16discard_iteratorINS9_11use_defaultEEESI_EEENS0_18inequality_wrapperINS9_8equal_toIxEEEEPmJSH_EEE10hipError_tPvRmT3_T4_T5_T6_T7_T9_mT8_P12ihipStream_tbDpT10_ENKUlT_T0_E_clISt17integral_constantIbLb1EES1C_IbLb0EEEEDaS18_S19_EUlS18_E_NS1_11comp_targetILNS1_3genE4ELNS1_11target_archE910ELNS1_3gpuE8ELNS1_3repE0EEENS1_30default_config_static_selectorELNS0_4arch9wavefront6targetE0EEEvT1_
                                        ; -- End function
	.section	.AMDGPU.csdata,"",@progbits
; Kernel info:
; codeLenInByte = 0
; NumSgprs: 0
; NumVgprs: 0
; ScratchSize: 0
; MemoryBound: 0
; FloatMode: 240
; IeeeMode: 1
; LDSByteSize: 0 bytes/workgroup (compile time only)
; SGPRBlocks: 0
; VGPRBlocks: 0
; NumSGPRsForWavesPerEU: 1
; NumVGPRsForWavesPerEU: 1
; Occupancy: 15
; WaveLimiterHint : 0
; COMPUTE_PGM_RSRC2:SCRATCH_EN: 0
; COMPUTE_PGM_RSRC2:USER_SGPR: 15
; COMPUTE_PGM_RSRC2:TRAP_HANDLER: 0
; COMPUTE_PGM_RSRC2:TGID_X_EN: 1
; COMPUTE_PGM_RSRC2:TGID_Y_EN: 0
; COMPUTE_PGM_RSRC2:TGID_Z_EN: 0
; COMPUTE_PGM_RSRC2:TIDIG_COMP_CNT: 0
	.section	.text._ZN7rocprim17ROCPRIM_400000_NS6detail17trampoline_kernelINS0_14default_configENS1_25partition_config_selectorILNS1_17partition_subalgoE9ExjbEEZZNS1_14partition_implILS5_9ELb0ES3_jN6thrust23THRUST_200600_302600_NS6detail15normal_iteratorINS9_10device_ptrIxEEEENSB_INSC_IjEEEEPNS0_10empty_typeENS0_5tupleIJSE_SH_EEENSJ_IJNS9_16discard_iteratorINS9_11use_defaultEEESI_EEENS0_18inequality_wrapperINS9_8equal_toIxEEEEPmJSH_EEE10hipError_tPvRmT3_T4_T5_T6_T7_T9_mT8_P12ihipStream_tbDpT10_ENKUlT_T0_E_clISt17integral_constantIbLb1EES1C_IbLb0EEEEDaS18_S19_EUlS18_E_NS1_11comp_targetILNS1_3genE3ELNS1_11target_archE908ELNS1_3gpuE7ELNS1_3repE0EEENS1_30default_config_static_selectorELNS0_4arch9wavefront6targetE0EEEvT1_,"axG",@progbits,_ZN7rocprim17ROCPRIM_400000_NS6detail17trampoline_kernelINS0_14default_configENS1_25partition_config_selectorILNS1_17partition_subalgoE9ExjbEEZZNS1_14partition_implILS5_9ELb0ES3_jN6thrust23THRUST_200600_302600_NS6detail15normal_iteratorINS9_10device_ptrIxEEEENSB_INSC_IjEEEEPNS0_10empty_typeENS0_5tupleIJSE_SH_EEENSJ_IJNS9_16discard_iteratorINS9_11use_defaultEEESI_EEENS0_18inequality_wrapperINS9_8equal_toIxEEEEPmJSH_EEE10hipError_tPvRmT3_T4_T5_T6_T7_T9_mT8_P12ihipStream_tbDpT10_ENKUlT_T0_E_clISt17integral_constantIbLb1EES1C_IbLb0EEEEDaS18_S19_EUlS18_E_NS1_11comp_targetILNS1_3genE3ELNS1_11target_archE908ELNS1_3gpuE7ELNS1_3repE0EEENS1_30default_config_static_selectorELNS0_4arch9wavefront6targetE0EEEvT1_,comdat
	.protected	_ZN7rocprim17ROCPRIM_400000_NS6detail17trampoline_kernelINS0_14default_configENS1_25partition_config_selectorILNS1_17partition_subalgoE9ExjbEEZZNS1_14partition_implILS5_9ELb0ES3_jN6thrust23THRUST_200600_302600_NS6detail15normal_iteratorINS9_10device_ptrIxEEEENSB_INSC_IjEEEEPNS0_10empty_typeENS0_5tupleIJSE_SH_EEENSJ_IJNS9_16discard_iteratorINS9_11use_defaultEEESI_EEENS0_18inequality_wrapperINS9_8equal_toIxEEEEPmJSH_EEE10hipError_tPvRmT3_T4_T5_T6_T7_T9_mT8_P12ihipStream_tbDpT10_ENKUlT_T0_E_clISt17integral_constantIbLb1EES1C_IbLb0EEEEDaS18_S19_EUlS18_E_NS1_11comp_targetILNS1_3genE3ELNS1_11target_archE908ELNS1_3gpuE7ELNS1_3repE0EEENS1_30default_config_static_selectorELNS0_4arch9wavefront6targetE0EEEvT1_ ; -- Begin function _ZN7rocprim17ROCPRIM_400000_NS6detail17trampoline_kernelINS0_14default_configENS1_25partition_config_selectorILNS1_17partition_subalgoE9ExjbEEZZNS1_14partition_implILS5_9ELb0ES3_jN6thrust23THRUST_200600_302600_NS6detail15normal_iteratorINS9_10device_ptrIxEEEENSB_INSC_IjEEEEPNS0_10empty_typeENS0_5tupleIJSE_SH_EEENSJ_IJNS9_16discard_iteratorINS9_11use_defaultEEESI_EEENS0_18inequality_wrapperINS9_8equal_toIxEEEEPmJSH_EEE10hipError_tPvRmT3_T4_T5_T6_T7_T9_mT8_P12ihipStream_tbDpT10_ENKUlT_T0_E_clISt17integral_constantIbLb1EES1C_IbLb0EEEEDaS18_S19_EUlS18_E_NS1_11comp_targetILNS1_3genE3ELNS1_11target_archE908ELNS1_3gpuE7ELNS1_3repE0EEENS1_30default_config_static_selectorELNS0_4arch9wavefront6targetE0EEEvT1_
	.globl	_ZN7rocprim17ROCPRIM_400000_NS6detail17trampoline_kernelINS0_14default_configENS1_25partition_config_selectorILNS1_17partition_subalgoE9ExjbEEZZNS1_14partition_implILS5_9ELb0ES3_jN6thrust23THRUST_200600_302600_NS6detail15normal_iteratorINS9_10device_ptrIxEEEENSB_INSC_IjEEEEPNS0_10empty_typeENS0_5tupleIJSE_SH_EEENSJ_IJNS9_16discard_iteratorINS9_11use_defaultEEESI_EEENS0_18inequality_wrapperINS9_8equal_toIxEEEEPmJSH_EEE10hipError_tPvRmT3_T4_T5_T6_T7_T9_mT8_P12ihipStream_tbDpT10_ENKUlT_T0_E_clISt17integral_constantIbLb1EES1C_IbLb0EEEEDaS18_S19_EUlS18_E_NS1_11comp_targetILNS1_3genE3ELNS1_11target_archE908ELNS1_3gpuE7ELNS1_3repE0EEENS1_30default_config_static_selectorELNS0_4arch9wavefront6targetE0EEEvT1_
	.p2align	8
	.type	_ZN7rocprim17ROCPRIM_400000_NS6detail17trampoline_kernelINS0_14default_configENS1_25partition_config_selectorILNS1_17partition_subalgoE9ExjbEEZZNS1_14partition_implILS5_9ELb0ES3_jN6thrust23THRUST_200600_302600_NS6detail15normal_iteratorINS9_10device_ptrIxEEEENSB_INSC_IjEEEEPNS0_10empty_typeENS0_5tupleIJSE_SH_EEENSJ_IJNS9_16discard_iteratorINS9_11use_defaultEEESI_EEENS0_18inequality_wrapperINS9_8equal_toIxEEEEPmJSH_EEE10hipError_tPvRmT3_T4_T5_T6_T7_T9_mT8_P12ihipStream_tbDpT10_ENKUlT_T0_E_clISt17integral_constantIbLb1EES1C_IbLb0EEEEDaS18_S19_EUlS18_E_NS1_11comp_targetILNS1_3genE3ELNS1_11target_archE908ELNS1_3gpuE7ELNS1_3repE0EEENS1_30default_config_static_selectorELNS0_4arch9wavefront6targetE0EEEvT1_,@function
_ZN7rocprim17ROCPRIM_400000_NS6detail17trampoline_kernelINS0_14default_configENS1_25partition_config_selectorILNS1_17partition_subalgoE9ExjbEEZZNS1_14partition_implILS5_9ELb0ES3_jN6thrust23THRUST_200600_302600_NS6detail15normal_iteratorINS9_10device_ptrIxEEEENSB_INSC_IjEEEEPNS0_10empty_typeENS0_5tupleIJSE_SH_EEENSJ_IJNS9_16discard_iteratorINS9_11use_defaultEEESI_EEENS0_18inequality_wrapperINS9_8equal_toIxEEEEPmJSH_EEE10hipError_tPvRmT3_T4_T5_T6_T7_T9_mT8_P12ihipStream_tbDpT10_ENKUlT_T0_E_clISt17integral_constantIbLb1EES1C_IbLb0EEEEDaS18_S19_EUlS18_E_NS1_11comp_targetILNS1_3genE3ELNS1_11target_archE908ELNS1_3gpuE7ELNS1_3repE0EEENS1_30default_config_static_selectorELNS0_4arch9wavefront6targetE0EEEvT1_: ; @_ZN7rocprim17ROCPRIM_400000_NS6detail17trampoline_kernelINS0_14default_configENS1_25partition_config_selectorILNS1_17partition_subalgoE9ExjbEEZZNS1_14partition_implILS5_9ELb0ES3_jN6thrust23THRUST_200600_302600_NS6detail15normal_iteratorINS9_10device_ptrIxEEEENSB_INSC_IjEEEEPNS0_10empty_typeENS0_5tupleIJSE_SH_EEENSJ_IJNS9_16discard_iteratorINS9_11use_defaultEEESI_EEENS0_18inequality_wrapperINS9_8equal_toIxEEEEPmJSH_EEE10hipError_tPvRmT3_T4_T5_T6_T7_T9_mT8_P12ihipStream_tbDpT10_ENKUlT_T0_E_clISt17integral_constantIbLb1EES1C_IbLb0EEEEDaS18_S19_EUlS18_E_NS1_11comp_targetILNS1_3genE3ELNS1_11target_archE908ELNS1_3gpuE7ELNS1_3repE0EEENS1_30default_config_static_selectorELNS0_4arch9wavefront6targetE0EEEvT1_
; %bb.0:
	.section	.rodata,"a",@progbits
	.p2align	6, 0x0
	.amdhsa_kernel _ZN7rocprim17ROCPRIM_400000_NS6detail17trampoline_kernelINS0_14default_configENS1_25partition_config_selectorILNS1_17partition_subalgoE9ExjbEEZZNS1_14partition_implILS5_9ELb0ES3_jN6thrust23THRUST_200600_302600_NS6detail15normal_iteratorINS9_10device_ptrIxEEEENSB_INSC_IjEEEEPNS0_10empty_typeENS0_5tupleIJSE_SH_EEENSJ_IJNS9_16discard_iteratorINS9_11use_defaultEEESI_EEENS0_18inequality_wrapperINS9_8equal_toIxEEEEPmJSH_EEE10hipError_tPvRmT3_T4_T5_T6_T7_T9_mT8_P12ihipStream_tbDpT10_ENKUlT_T0_E_clISt17integral_constantIbLb1EES1C_IbLb0EEEEDaS18_S19_EUlS18_E_NS1_11comp_targetILNS1_3genE3ELNS1_11target_archE908ELNS1_3gpuE7ELNS1_3repE0EEENS1_30default_config_static_selectorELNS0_4arch9wavefront6targetE0EEEvT1_
		.amdhsa_group_segment_fixed_size 0
		.amdhsa_private_segment_fixed_size 0
		.amdhsa_kernarg_size 120
		.amdhsa_user_sgpr_count 15
		.amdhsa_user_sgpr_dispatch_ptr 0
		.amdhsa_user_sgpr_queue_ptr 0
		.amdhsa_user_sgpr_kernarg_segment_ptr 1
		.amdhsa_user_sgpr_dispatch_id 0
		.amdhsa_user_sgpr_private_segment_size 0
		.amdhsa_wavefront_size32 1
		.amdhsa_uses_dynamic_stack 0
		.amdhsa_enable_private_segment 0
		.amdhsa_system_sgpr_workgroup_id_x 1
		.amdhsa_system_sgpr_workgroup_id_y 0
		.amdhsa_system_sgpr_workgroup_id_z 0
		.amdhsa_system_sgpr_workgroup_info 0
		.amdhsa_system_vgpr_workitem_id 0
		.amdhsa_next_free_vgpr 1
		.amdhsa_next_free_sgpr 1
		.amdhsa_reserve_vcc 0
		.amdhsa_float_round_mode_32 0
		.amdhsa_float_round_mode_16_64 0
		.amdhsa_float_denorm_mode_32 3
		.amdhsa_float_denorm_mode_16_64 3
		.amdhsa_dx10_clamp 1
		.amdhsa_ieee_mode 1
		.amdhsa_fp16_overflow 0
		.amdhsa_workgroup_processor_mode 1
		.amdhsa_memory_ordered 1
		.amdhsa_forward_progress 0
		.amdhsa_shared_vgpr_count 0
		.amdhsa_exception_fp_ieee_invalid_op 0
		.amdhsa_exception_fp_denorm_src 0
		.amdhsa_exception_fp_ieee_div_zero 0
		.amdhsa_exception_fp_ieee_overflow 0
		.amdhsa_exception_fp_ieee_underflow 0
		.amdhsa_exception_fp_ieee_inexact 0
		.amdhsa_exception_int_div_zero 0
	.end_amdhsa_kernel
	.section	.text._ZN7rocprim17ROCPRIM_400000_NS6detail17trampoline_kernelINS0_14default_configENS1_25partition_config_selectorILNS1_17partition_subalgoE9ExjbEEZZNS1_14partition_implILS5_9ELb0ES3_jN6thrust23THRUST_200600_302600_NS6detail15normal_iteratorINS9_10device_ptrIxEEEENSB_INSC_IjEEEEPNS0_10empty_typeENS0_5tupleIJSE_SH_EEENSJ_IJNS9_16discard_iteratorINS9_11use_defaultEEESI_EEENS0_18inequality_wrapperINS9_8equal_toIxEEEEPmJSH_EEE10hipError_tPvRmT3_T4_T5_T6_T7_T9_mT8_P12ihipStream_tbDpT10_ENKUlT_T0_E_clISt17integral_constantIbLb1EES1C_IbLb0EEEEDaS18_S19_EUlS18_E_NS1_11comp_targetILNS1_3genE3ELNS1_11target_archE908ELNS1_3gpuE7ELNS1_3repE0EEENS1_30default_config_static_selectorELNS0_4arch9wavefront6targetE0EEEvT1_,"axG",@progbits,_ZN7rocprim17ROCPRIM_400000_NS6detail17trampoline_kernelINS0_14default_configENS1_25partition_config_selectorILNS1_17partition_subalgoE9ExjbEEZZNS1_14partition_implILS5_9ELb0ES3_jN6thrust23THRUST_200600_302600_NS6detail15normal_iteratorINS9_10device_ptrIxEEEENSB_INSC_IjEEEEPNS0_10empty_typeENS0_5tupleIJSE_SH_EEENSJ_IJNS9_16discard_iteratorINS9_11use_defaultEEESI_EEENS0_18inequality_wrapperINS9_8equal_toIxEEEEPmJSH_EEE10hipError_tPvRmT3_T4_T5_T6_T7_T9_mT8_P12ihipStream_tbDpT10_ENKUlT_T0_E_clISt17integral_constantIbLb1EES1C_IbLb0EEEEDaS18_S19_EUlS18_E_NS1_11comp_targetILNS1_3genE3ELNS1_11target_archE908ELNS1_3gpuE7ELNS1_3repE0EEENS1_30default_config_static_selectorELNS0_4arch9wavefront6targetE0EEEvT1_,comdat
.Lfunc_end1032:
	.size	_ZN7rocprim17ROCPRIM_400000_NS6detail17trampoline_kernelINS0_14default_configENS1_25partition_config_selectorILNS1_17partition_subalgoE9ExjbEEZZNS1_14partition_implILS5_9ELb0ES3_jN6thrust23THRUST_200600_302600_NS6detail15normal_iteratorINS9_10device_ptrIxEEEENSB_INSC_IjEEEEPNS0_10empty_typeENS0_5tupleIJSE_SH_EEENSJ_IJNS9_16discard_iteratorINS9_11use_defaultEEESI_EEENS0_18inequality_wrapperINS9_8equal_toIxEEEEPmJSH_EEE10hipError_tPvRmT3_T4_T5_T6_T7_T9_mT8_P12ihipStream_tbDpT10_ENKUlT_T0_E_clISt17integral_constantIbLb1EES1C_IbLb0EEEEDaS18_S19_EUlS18_E_NS1_11comp_targetILNS1_3genE3ELNS1_11target_archE908ELNS1_3gpuE7ELNS1_3repE0EEENS1_30default_config_static_selectorELNS0_4arch9wavefront6targetE0EEEvT1_, .Lfunc_end1032-_ZN7rocprim17ROCPRIM_400000_NS6detail17trampoline_kernelINS0_14default_configENS1_25partition_config_selectorILNS1_17partition_subalgoE9ExjbEEZZNS1_14partition_implILS5_9ELb0ES3_jN6thrust23THRUST_200600_302600_NS6detail15normal_iteratorINS9_10device_ptrIxEEEENSB_INSC_IjEEEEPNS0_10empty_typeENS0_5tupleIJSE_SH_EEENSJ_IJNS9_16discard_iteratorINS9_11use_defaultEEESI_EEENS0_18inequality_wrapperINS9_8equal_toIxEEEEPmJSH_EEE10hipError_tPvRmT3_T4_T5_T6_T7_T9_mT8_P12ihipStream_tbDpT10_ENKUlT_T0_E_clISt17integral_constantIbLb1EES1C_IbLb0EEEEDaS18_S19_EUlS18_E_NS1_11comp_targetILNS1_3genE3ELNS1_11target_archE908ELNS1_3gpuE7ELNS1_3repE0EEENS1_30default_config_static_selectorELNS0_4arch9wavefront6targetE0EEEvT1_
                                        ; -- End function
	.section	.AMDGPU.csdata,"",@progbits
; Kernel info:
; codeLenInByte = 0
; NumSgprs: 0
; NumVgprs: 0
; ScratchSize: 0
; MemoryBound: 0
; FloatMode: 240
; IeeeMode: 1
; LDSByteSize: 0 bytes/workgroup (compile time only)
; SGPRBlocks: 0
; VGPRBlocks: 0
; NumSGPRsForWavesPerEU: 1
; NumVGPRsForWavesPerEU: 1
; Occupancy: 16
; WaveLimiterHint : 0
; COMPUTE_PGM_RSRC2:SCRATCH_EN: 0
; COMPUTE_PGM_RSRC2:USER_SGPR: 15
; COMPUTE_PGM_RSRC2:TRAP_HANDLER: 0
; COMPUTE_PGM_RSRC2:TGID_X_EN: 1
; COMPUTE_PGM_RSRC2:TGID_Y_EN: 0
; COMPUTE_PGM_RSRC2:TGID_Z_EN: 0
; COMPUTE_PGM_RSRC2:TIDIG_COMP_CNT: 0
	.section	.text._ZN7rocprim17ROCPRIM_400000_NS6detail17trampoline_kernelINS0_14default_configENS1_25partition_config_selectorILNS1_17partition_subalgoE9ExjbEEZZNS1_14partition_implILS5_9ELb0ES3_jN6thrust23THRUST_200600_302600_NS6detail15normal_iteratorINS9_10device_ptrIxEEEENSB_INSC_IjEEEEPNS0_10empty_typeENS0_5tupleIJSE_SH_EEENSJ_IJNS9_16discard_iteratorINS9_11use_defaultEEESI_EEENS0_18inequality_wrapperINS9_8equal_toIxEEEEPmJSH_EEE10hipError_tPvRmT3_T4_T5_T6_T7_T9_mT8_P12ihipStream_tbDpT10_ENKUlT_T0_E_clISt17integral_constantIbLb1EES1C_IbLb0EEEEDaS18_S19_EUlS18_E_NS1_11comp_targetILNS1_3genE2ELNS1_11target_archE906ELNS1_3gpuE6ELNS1_3repE0EEENS1_30default_config_static_selectorELNS0_4arch9wavefront6targetE0EEEvT1_,"axG",@progbits,_ZN7rocprim17ROCPRIM_400000_NS6detail17trampoline_kernelINS0_14default_configENS1_25partition_config_selectorILNS1_17partition_subalgoE9ExjbEEZZNS1_14partition_implILS5_9ELb0ES3_jN6thrust23THRUST_200600_302600_NS6detail15normal_iteratorINS9_10device_ptrIxEEEENSB_INSC_IjEEEEPNS0_10empty_typeENS0_5tupleIJSE_SH_EEENSJ_IJNS9_16discard_iteratorINS9_11use_defaultEEESI_EEENS0_18inequality_wrapperINS9_8equal_toIxEEEEPmJSH_EEE10hipError_tPvRmT3_T4_T5_T6_T7_T9_mT8_P12ihipStream_tbDpT10_ENKUlT_T0_E_clISt17integral_constantIbLb1EES1C_IbLb0EEEEDaS18_S19_EUlS18_E_NS1_11comp_targetILNS1_3genE2ELNS1_11target_archE906ELNS1_3gpuE6ELNS1_3repE0EEENS1_30default_config_static_selectorELNS0_4arch9wavefront6targetE0EEEvT1_,comdat
	.protected	_ZN7rocprim17ROCPRIM_400000_NS6detail17trampoline_kernelINS0_14default_configENS1_25partition_config_selectorILNS1_17partition_subalgoE9ExjbEEZZNS1_14partition_implILS5_9ELb0ES3_jN6thrust23THRUST_200600_302600_NS6detail15normal_iteratorINS9_10device_ptrIxEEEENSB_INSC_IjEEEEPNS0_10empty_typeENS0_5tupleIJSE_SH_EEENSJ_IJNS9_16discard_iteratorINS9_11use_defaultEEESI_EEENS0_18inequality_wrapperINS9_8equal_toIxEEEEPmJSH_EEE10hipError_tPvRmT3_T4_T5_T6_T7_T9_mT8_P12ihipStream_tbDpT10_ENKUlT_T0_E_clISt17integral_constantIbLb1EES1C_IbLb0EEEEDaS18_S19_EUlS18_E_NS1_11comp_targetILNS1_3genE2ELNS1_11target_archE906ELNS1_3gpuE6ELNS1_3repE0EEENS1_30default_config_static_selectorELNS0_4arch9wavefront6targetE0EEEvT1_ ; -- Begin function _ZN7rocprim17ROCPRIM_400000_NS6detail17trampoline_kernelINS0_14default_configENS1_25partition_config_selectorILNS1_17partition_subalgoE9ExjbEEZZNS1_14partition_implILS5_9ELb0ES3_jN6thrust23THRUST_200600_302600_NS6detail15normal_iteratorINS9_10device_ptrIxEEEENSB_INSC_IjEEEEPNS0_10empty_typeENS0_5tupleIJSE_SH_EEENSJ_IJNS9_16discard_iteratorINS9_11use_defaultEEESI_EEENS0_18inequality_wrapperINS9_8equal_toIxEEEEPmJSH_EEE10hipError_tPvRmT3_T4_T5_T6_T7_T9_mT8_P12ihipStream_tbDpT10_ENKUlT_T0_E_clISt17integral_constantIbLb1EES1C_IbLb0EEEEDaS18_S19_EUlS18_E_NS1_11comp_targetILNS1_3genE2ELNS1_11target_archE906ELNS1_3gpuE6ELNS1_3repE0EEENS1_30default_config_static_selectorELNS0_4arch9wavefront6targetE0EEEvT1_
	.globl	_ZN7rocprim17ROCPRIM_400000_NS6detail17trampoline_kernelINS0_14default_configENS1_25partition_config_selectorILNS1_17partition_subalgoE9ExjbEEZZNS1_14partition_implILS5_9ELb0ES3_jN6thrust23THRUST_200600_302600_NS6detail15normal_iteratorINS9_10device_ptrIxEEEENSB_INSC_IjEEEEPNS0_10empty_typeENS0_5tupleIJSE_SH_EEENSJ_IJNS9_16discard_iteratorINS9_11use_defaultEEESI_EEENS0_18inequality_wrapperINS9_8equal_toIxEEEEPmJSH_EEE10hipError_tPvRmT3_T4_T5_T6_T7_T9_mT8_P12ihipStream_tbDpT10_ENKUlT_T0_E_clISt17integral_constantIbLb1EES1C_IbLb0EEEEDaS18_S19_EUlS18_E_NS1_11comp_targetILNS1_3genE2ELNS1_11target_archE906ELNS1_3gpuE6ELNS1_3repE0EEENS1_30default_config_static_selectorELNS0_4arch9wavefront6targetE0EEEvT1_
	.p2align	8
	.type	_ZN7rocprim17ROCPRIM_400000_NS6detail17trampoline_kernelINS0_14default_configENS1_25partition_config_selectorILNS1_17partition_subalgoE9ExjbEEZZNS1_14partition_implILS5_9ELb0ES3_jN6thrust23THRUST_200600_302600_NS6detail15normal_iteratorINS9_10device_ptrIxEEEENSB_INSC_IjEEEEPNS0_10empty_typeENS0_5tupleIJSE_SH_EEENSJ_IJNS9_16discard_iteratorINS9_11use_defaultEEESI_EEENS0_18inequality_wrapperINS9_8equal_toIxEEEEPmJSH_EEE10hipError_tPvRmT3_T4_T5_T6_T7_T9_mT8_P12ihipStream_tbDpT10_ENKUlT_T0_E_clISt17integral_constantIbLb1EES1C_IbLb0EEEEDaS18_S19_EUlS18_E_NS1_11comp_targetILNS1_3genE2ELNS1_11target_archE906ELNS1_3gpuE6ELNS1_3repE0EEENS1_30default_config_static_selectorELNS0_4arch9wavefront6targetE0EEEvT1_,@function
_ZN7rocprim17ROCPRIM_400000_NS6detail17trampoline_kernelINS0_14default_configENS1_25partition_config_selectorILNS1_17partition_subalgoE9ExjbEEZZNS1_14partition_implILS5_9ELb0ES3_jN6thrust23THRUST_200600_302600_NS6detail15normal_iteratorINS9_10device_ptrIxEEEENSB_INSC_IjEEEEPNS0_10empty_typeENS0_5tupleIJSE_SH_EEENSJ_IJNS9_16discard_iteratorINS9_11use_defaultEEESI_EEENS0_18inequality_wrapperINS9_8equal_toIxEEEEPmJSH_EEE10hipError_tPvRmT3_T4_T5_T6_T7_T9_mT8_P12ihipStream_tbDpT10_ENKUlT_T0_E_clISt17integral_constantIbLb1EES1C_IbLb0EEEEDaS18_S19_EUlS18_E_NS1_11comp_targetILNS1_3genE2ELNS1_11target_archE906ELNS1_3gpuE6ELNS1_3repE0EEENS1_30default_config_static_selectorELNS0_4arch9wavefront6targetE0EEEvT1_: ; @_ZN7rocprim17ROCPRIM_400000_NS6detail17trampoline_kernelINS0_14default_configENS1_25partition_config_selectorILNS1_17partition_subalgoE9ExjbEEZZNS1_14partition_implILS5_9ELb0ES3_jN6thrust23THRUST_200600_302600_NS6detail15normal_iteratorINS9_10device_ptrIxEEEENSB_INSC_IjEEEEPNS0_10empty_typeENS0_5tupleIJSE_SH_EEENSJ_IJNS9_16discard_iteratorINS9_11use_defaultEEESI_EEENS0_18inequality_wrapperINS9_8equal_toIxEEEEPmJSH_EEE10hipError_tPvRmT3_T4_T5_T6_T7_T9_mT8_P12ihipStream_tbDpT10_ENKUlT_T0_E_clISt17integral_constantIbLb1EES1C_IbLb0EEEEDaS18_S19_EUlS18_E_NS1_11comp_targetILNS1_3genE2ELNS1_11target_archE906ELNS1_3gpuE6ELNS1_3repE0EEENS1_30default_config_static_selectorELNS0_4arch9wavefront6targetE0EEEvT1_
; %bb.0:
	.section	.rodata,"a",@progbits
	.p2align	6, 0x0
	.amdhsa_kernel _ZN7rocprim17ROCPRIM_400000_NS6detail17trampoline_kernelINS0_14default_configENS1_25partition_config_selectorILNS1_17partition_subalgoE9ExjbEEZZNS1_14partition_implILS5_9ELb0ES3_jN6thrust23THRUST_200600_302600_NS6detail15normal_iteratorINS9_10device_ptrIxEEEENSB_INSC_IjEEEEPNS0_10empty_typeENS0_5tupleIJSE_SH_EEENSJ_IJNS9_16discard_iteratorINS9_11use_defaultEEESI_EEENS0_18inequality_wrapperINS9_8equal_toIxEEEEPmJSH_EEE10hipError_tPvRmT3_T4_T5_T6_T7_T9_mT8_P12ihipStream_tbDpT10_ENKUlT_T0_E_clISt17integral_constantIbLb1EES1C_IbLb0EEEEDaS18_S19_EUlS18_E_NS1_11comp_targetILNS1_3genE2ELNS1_11target_archE906ELNS1_3gpuE6ELNS1_3repE0EEENS1_30default_config_static_selectorELNS0_4arch9wavefront6targetE0EEEvT1_
		.amdhsa_group_segment_fixed_size 0
		.amdhsa_private_segment_fixed_size 0
		.amdhsa_kernarg_size 120
		.amdhsa_user_sgpr_count 15
		.amdhsa_user_sgpr_dispatch_ptr 0
		.amdhsa_user_sgpr_queue_ptr 0
		.amdhsa_user_sgpr_kernarg_segment_ptr 1
		.amdhsa_user_sgpr_dispatch_id 0
		.amdhsa_user_sgpr_private_segment_size 0
		.amdhsa_wavefront_size32 1
		.amdhsa_uses_dynamic_stack 0
		.amdhsa_enable_private_segment 0
		.amdhsa_system_sgpr_workgroup_id_x 1
		.amdhsa_system_sgpr_workgroup_id_y 0
		.amdhsa_system_sgpr_workgroup_id_z 0
		.amdhsa_system_sgpr_workgroup_info 0
		.amdhsa_system_vgpr_workitem_id 0
		.amdhsa_next_free_vgpr 1
		.amdhsa_next_free_sgpr 1
		.amdhsa_reserve_vcc 0
		.amdhsa_float_round_mode_32 0
		.amdhsa_float_round_mode_16_64 0
		.amdhsa_float_denorm_mode_32 3
		.amdhsa_float_denorm_mode_16_64 3
		.amdhsa_dx10_clamp 1
		.amdhsa_ieee_mode 1
		.amdhsa_fp16_overflow 0
		.amdhsa_workgroup_processor_mode 1
		.amdhsa_memory_ordered 1
		.amdhsa_forward_progress 0
		.amdhsa_shared_vgpr_count 0
		.amdhsa_exception_fp_ieee_invalid_op 0
		.amdhsa_exception_fp_denorm_src 0
		.amdhsa_exception_fp_ieee_div_zero 0
		.amdhsa_exception_fp_ieee_overflow 0
		.amdhsa_exception_fp_ieee_underflow 0
		.amdhsa_exception_fp_ieee_inexact 0
		.amdhsa_exception_int_div_zero 0
	.end_amdhsa_kernel
	.section	.text._ZN7rocprim17ROCPRIM_400000_NS6detail17trampoline_kernelINS0_14default_configENS1_25partition_config_selectorILNS1_17partition_subalgoE9ExjbEEZZNS1_14partition_implILS5_9ELb0ES3_jN6thrust23THRUST_200600_302600_NS6detail15normal_iteratorINS9_10device_ptrIxEEEENSB_INSC_IjEEEEPNS0_10empty_typeENS0_5tupleIJSE_SH_EEENSJ_IJNS9_16discard_iteratorINS9_11use_defaultEEESI_EEENS0_18inequality_wrapperINS9_8equal_toIxEEEEPmJSH_EEE10hipError_tPvRmT3_T4_T5_T6_T7_T9_mT8_P12ihipStream_tbDpT10_ENKUlT_T0_E_clISt17integral_constantIbLb1EES1C_IbLb0EEEEDaS18_S19_EUlS18_E_NS1_11comp_targetILNS1_3genE2ELNS1_11target_archE906ELNS1_3gpuE6ELNS1_3repE0EEENS1_30default_config_static_selectorELNS0_4arch9wavefront6targetE0EEEvT1_,"axG",@progbits,_ZN7rocprim17ROCPRIM_400000_NS6detail17trampoline_kernelINS0_14default_configENS1_25partition_config_selectorILNS1_17partition_subalgoE9ExjbEEZZNS1_14partition_implILS5_9ELb0ES3_jN6thrust23THRUST_200600_302600_NS6detail15normal_iteratorINS9_10device_ptrIxEEEENSB_INSC_IjEEEEPNS0_10empty_typeENS0_5tupleIJSE_SH_EEENSJ_IJNS9_16discard_iteratorINS9_11use_defaultEEESI_EEENS0_18inequality_wrapperINS9_8equal_toIxEEEEPmJSH_EEE10hipError_tPvRmT3_T4_T5_T6_T7_T9_mT8_P12ihipStream_tbDpT10_ENKUlT_T0_E_clISt17integral_constantIbLb1EES1C_IbLb0EEEEDaS18_S19_EUlS18_E_NS1_11comp_targetILNS1_3genE2ELNS1_11target_archE906ELNS1_3gpuE6ELNS1_3repE0EEENS1_30default_config_static_selectorELNS0_4arch9wavefront6targetE0EEEvT1_,comdat
.Lfunc_end1033:
	.size	_ZN7rocprim17ROCPRIM_400000_NS6detail17trampoline_kernelINS0_14default_configENS1_25partition_config_selectorILNS1_17partition_subalgoE9ExjbEEZZNS1_14partition_implILS5_9ELb0ES3_jN6thrust23THRUST_200600_302600_NS6detail15normal_iteratorINS9_10device_ptrIxEEEENSB_INSC_IjEEEEPNS0_10empty_typeENS0_5tupleIJSE_SH_EEENSJ_IJNS9_16discard_iteratorINS9_11use_defaultEEESI_EEENS0_18inequality_wrapperINS9_8equal_toIxEEEEPmJSH_EEE10hipError_tPvRmT3_T4_T5_T6_T7_T9_mT8_P12ihipStream_tbDpT10_ENKUlT_T0_E_clISt17integral_constantIbLb1EES1C_IbLb0EEEEDaS18_S19_EUlS18_E_NS1_11comp_targetILNS1_3genE2ELNS1_11target_archE906ELNS1_3gpuE6ELNS1_3repE0EEENS1_30default_config_static_selectorELNS0_4arch9wavefront6targetE0EEEvT1_, .Lfunc_end1033-_ZN7rocprim17ROCPRIM_400000_NS6detail17trampoline_kernelINS0_14default_configENS1_25partition_config_selectorILNS1_17partition_subalgoE9ExjbEEZZNS1_14partition_implILS5_9ELb0ES3_jN6thrust23THRUST_200600_302600_NS6detail15normal_iteratorINS9_10device_ptrIxEEEENSB_INSC_IjEEEEPNS0_10empty_typeENS0_5tupleIJSE_SH_EEENSJ_IJNS9_16discard_iteratorINS9_11use_defaultEEESI_EEENS0_18inequality_wrapperINS9_8equal_toIxEEEEPmJSH_EEE10hipError_tPvRmT3_T4_T5_T6_T7_T9_mT8_P12ihipStream_tbDpT10_ENKUlT_T0_E_clISt17integral_constantIbLb1EES1C_IbLb0EEEEDaS18_S19_EUlS18_E_NS1_11comp_targetILNS1_3genE2ELNS1_11target_archE906ELNS1_3gpuE6ELNS1_3repE0EEENS1_30default_config_static_selectorELNS0_4arch9wavefront6targetE0EEEvT1_
                                        ; -- End function
	.section	.AMDGPU.csdata,"",@progbits
; Kernel info:
; codeLenInByte = 0
; NumSgprs: 0
; NumVgprs: 0
; ScratchSize: 0
; MemoryBound: 0
; FloatMode: 240
; IeeeMode: 1
; LDSByteSize: 0 bytes/workgroup (compile time only)
; SGPRBlocks: 0
; VGPRBlocks: 0
; NumSGPRsForWavesPerEU: 1
; NumVGPRsForWavesPerEU: 1
; Occupancy: 16
; WaveLimiterHint : 0
; COMPUTE_PGM_RSRC2:SCRATCH_EN: 0
; COMPUTE_PGM_RSRC2:USER_SGPR: 15
; COMPUTE_PGM_RSRC2:TRAP_HANDLER: 0
; COMPUTE_PGM_RSRC2:TGID_X_EN: 1
; COMPUTE_PGM_RSRC2:TGID_Y_EN: 0
; COMPUTE_PGM_RSRC2:TGID_Z_EN: 0
; COMPUTE_PGM_RSRC2:TIDIG_COMP_CNT: 0
	.section	.text._ZN7rocprim17ROCPRIM_400000_NS6detail17trampoline_kernelINS0_14default_configENS1_25partition_config_selectorILNS1_17partition_subalgoE9ExjbEEZZNS1_14partition_implILS5_9ELb0ES3_jN6thrust23THRUST_200600_302600_NS6detail15normal_iteratorINS9_10device_ptrIxEEEENSB_INSC_IjEEEEPNS0_10empty_typeENS0_5tupleIJSE_SH_EEENSJ_IJNS9_16discard_iteratorINS9_11use_defaultEEESI_EEENS0_18inequality_wrapperINS9_8equal_toIxEEEEPmJSH_EEE10hipError_tPvRmT3_T4_T5_T6_T7_T9_mT8_P12ihipStream_tbDpT10_ENKUlT_T0_E_clISt17integral_constantIbLb1EES1C_IbLb0EEEEDaS18_S19_EUlS18_E_NS1_11comp_targetILNS1_3genE10ELNS1_11target_archE1200ELNS1_3gpuE4ELNS1_3repE0EEENS1_30default_config_static_selectorELNS0_4arch9wavefront6targetE0EEEvT1_,"axG",@progbits,_ZN7rocprim17ROCPRIM_400000_NS6detail17trampoline_kernelINS0_14default_configENS1_25partition_config_selectorILNS1_17partition_subalgoE9ExjbEEZZNS1_14partition_implILS5_9ELb0ES3_jN6thrust23THRUST_200600_302600_NS6detail15normal_iteratorINS9_10device_ptrIxEEEENSB_INSC_IjEEEEPNS0_10empty_typeENS0_5tupleIJSE_SH_EEENSJ_IJNS9_16discard_iteratorINS9_11use_defaultEEESI_EEENS0_18inequality_wrapperINS9_8equal_toIxEEEEPmJSH_EEE10hipError_tPvRmT3_T4_T5_T6_T7_T9_mT8_P12ihipStream_tbDpT10_ENKUlT_T0_E_clISt17integral_constantIbLb1EES1C_IbLb0EEEEDaS18_S19_EUlS18_E_NS1_11comp_targetILNS1_3genE10ELNS1_11target_archE1200ELNS1_3gpuE4ELNS1_3repE0EEENS1_30default_config_static_selectorELNS0_4arch9wavefront6targetE0EEEvT1_,comdat
	.protected	_ZN7rocprim17ROCPRIM_400000_NS6detail17trampoline_kernelINS0_14default_configENS1_25partition_config_selectorILNS1_17partition_subalgoE9ExjbEEZZNS1_14partition_implILS5_9ELb0ES3_jN6thrust23THRUST_200600_302600_NS6detail15normal_iteratorINS9_10device_ptrIxEEEENSB_INSC_IjEEEEPNS0_10empty_typeENS0_5tupleIJSE_SH_EEENSJ_IJNS9_16discard_iteratorINS9_11use_defaultEEESI_EEENS0_18inequality_wrapperINS9_8equal_toIxEEEEPmJSH_EEE10hipError_tPvRmT3_T4_T5_T6_T7_T9_mT8_P12ihipStream_tbDpT10_ENKUlT_T0_E_clISt17integral_constantIbLb1EES1C_IbLb0EEEEDaS18_S19_EUlS18_E_NS1_11comp_targetILNS1_3genE10ELNS1_11target_archE1200ELNS1_3gpuE4ELNS1_3repE0EEENS1_30default_config_static_selectorELNS0_4arch9wavefront6targetE0EEEvT1_ ; -- Begin function _ZN7rocprim17ROCPRIM_400000_NS6detail17trampoline_kernelINS0_14default_configENS1_25partition_config_selectorILNS1_17partition_subalgoE9ExjbEEZZNS1_14partition_implILS5_9ELb0ES3_jN6thrust23THRUST_200600_302600_NS6detail15normal_iteratorINS9_10device_ptrIxEEEENSB_INSC_IjEEEEPNS0_10empty_typeENS0_5tupleIJSE_SH_EEENSJ_IJNS9_16discard_iteratorINS9_11use_defaultEEESI_EEENS0_18inequality_wrapperINS9_8equal_toIxEEEEPmJSH_EEE10hipError_tPvRmT3_T4_T5_T6_T7_T9_mT8_P12ihipStream_tbDpT10_ENKUlT_T0_E_clISt17integral_constantIbLb1EES1C_IbLb0EEEEDaS18_S19_EUlS18_E_NS1_11comp_targetILNS1_3genE10ELNS1_11target_archE1200ELNS1_3gpuE4ELNS1_3repE0EEENS1_30default_config_static_selectorELNS0_4arch9wavefront6targetE0EEEvT1_
	.globl	_ZN7rocprim17ROCPRIM_400000_NS6detail17trampoline_kernelINS0_14default_configENS1_25partition_config_selectorILNS1_17partition_subalgoE9ExjbEEZZNS1_14partition_implILS5_9ELb0ES3_jN6thrust23THRUST_200600_302600_NS6detail15normal_iteratorINS9_10device_ptrIxEEEENSB_INSC_IjEEEEPNS0_10empty_typeENS0_5tupleIJSE_SH_EEENSJ_IJNS9_16discard_iteratorINS9_11use_defaultEEESI_EEENS0_18inequality_wrapperINS9_8equal_toIxEEEEPmJSH_EEE10hipError_tPvRmT3_T4_T5_T6_T7_T9_mT8_P12ihipStream_tbDpT10_ENKUlT_T0_E_clISt17integral_constantIbLb1EES1C_IbLb0EEEEDaS18_S19_EUlS18_E_NS1_11comp_targetILNS1_3genE10ELNS1_11target_archE1200ELNS1_3gpuE4ELNS1_3repE0EEENS1_30default_config_static_selectorELNS0_4arch9wavefront6targetE0EEEvT1_
	.p2align	8
	.type	_ZN7rocprim17ROCPRIM_400000_NS6detail17trampoline_kernelINS0_14default_configENS1_25partition_config_selectorILNS1_17partition_subalgoE9ExjbEEZZNS1_14partition_implILS5_9ELb0ES3_jN6thrust23THRUST_200600_302600_NS6detail15normal_iteratorINS9_10device_ptrIxEEEENSB_INSC_IjEEEEPNS0_10empty_typeENS0_5tupleIJSE_SH_EEENSJ_IJNS9_16discard_iteratorINS9_11use_defaultEEESI_EEENS0_18inequality_wrapperINS9_8equal_toIxEEEEPmJSH_EEE10hipError_tPvRmT3_T4_T5_T6_T7_T9_mT8_P12ihipStream_tbDpT10_ENKUlT_T0_E_clISt17integral_constantIbLb1EES1C_IbLb0EEEEDaS18_S19_EUlS18_E_NS1_11comp_targetILNS1_3genE10ELNS1_11target_archE1200ELNS1_3gpuE4ELNS1_3repE0EEENS1_30default_config_static_selectorELNS0_4arch9wavefront6targetE0EEEvT1_,@function
_ZN7rocprim17ROCPRIM_400000_NS6detail17trampoline_kernelINS0_14default_configENS1_25partition_config_selectorILNS1_17partition_subalgoE9ExjbEEZZNS1_14partition_implILS5_9ELb0ES3_jN6thrust23THRUST_200600_302600_NS6detail15normal_iteratorINS9_10device_ptrIxEEEENSB_INSC_IjEEEEPNS0_10empty_typeENS0_5tupleIJSE_SH_EEENSJ_IJNS9_16discard_iteratorINS9_11use_defaultEEESI_EEENS0_18inequality_wrapperINS9_8equal_toIxEEEEPmJSH_EEE10hipError_tPvRmT3_T4_T5_T6_T7_T9_mT8_P12ihipStream_tbDpT10_ENKUlT_T0_E_clISt17integral_constantIbLb1EES1C_IbLb0EEEEDaS18_S19_EUlS18_E_NS1_11comp_targetILNS1_3genE10ELNS1_11target_archE1200ELNS1_3gpuE4ELNS1_3repE0EEENS1_30default_config_static_selectorELNS0_4arch9wavefront6targetE0EEEvT1_: ; @_ZN7rocprim17ROCPRIM_400000_NS6detail17trampoline_kernelINS0_14default_configENS1_25partition_config_selectorILNS1_17partition_subalgoE9ExjbEEZZNS1_14partition_implILS5_9ELb0ES3_jN6thrust23THRUST_200600_302600_NS6detail15normal_iteratorINS9_10device_ptrIxEEEENSB_INSC_IjEEEEPNS0_10empty_typeENS0_5tupleIJSE_SH_EEENSJ_IJNS9_16discard_iteratorINS9_11use_defaultEEESI_EEENS0_18inequality_wrapperINS9_8equal_toIxEEEEPmJSH_EEE10hipError_tPvRmT3_T4_T5_T6_T7_T9_mT8_P12ihipStream_tbDpT10_ENKUlT_T0_E_clISt17integral_constantIbLb1EES1C_IbLb0EEEEDaS18_S19_EUlS18_E_NS1_11comp_targetILNS1_3genE10ELNS1_11target_archE1200ELNS1_3gpuE4ELNS1_3repE0EEENS1_30default_config_static_selectorELNS0_4arch9wavefront6targetE0EEEvT1_
; %bb.0:
	.section	.rodata,"a",@progbits
	.p2align	6, 0x0
	.amdhsa_kernel _ZN7rocprim17ROCPRIM_400000_NS6detail17trampoline_kernelINS0_14default_configENS1_25partition_config_selectorILNS1_17partition_subalgoE9ExjbEEZZNS1_14partition_implILS5_9ELb0ES3_jN6thrust23THRUST_200600_302600_NS6detail15normal_iteratorINS9_10device_ptrIxEEEENSB_INSC_IjEEEEPNS0_10empty_typeENS0_5tupleIJSE_SH_EEENSJ_IJNS9_16discard_iteratorINS9_11use_defaultEEESI_EEENS0_18inequality_wrapperINS9_8equal_toIxEEEEPmJSH_EEE10hipError_tPvRmT3_T4_T5_T6_T7_T9_mT8_P12ihipStream_tbDpT10_ENKUlT_T0_E_clISt17integral_constantIbLb1EES1C_IbLb0EEEEDaS18_S19_EUlS18_E_NS1_11comp_targetILNS1_3genE10ELNS1_11target_archE1200ELNS1_3gpuE4ELNS1_3repE0EEENS1_30default_config_static_selectorELNS0_4arch9wavefront6targetE0EEEvT1_
		.amdhsa_group_segment_fixed_size 0
		.amdhsa_private_segment_fixed_size 0
		.amdhsa_kernarg_size 120
		.amdhsa_user_sgpr_count 15
		.amdhsa_user_sgpr_dispatch_ptr 0
		.amdhsa_user_sgpr_queue_ptr 0
		.amdhsa_user_sgpr_kernarg_segment_ptr 1
		.amdhsa_user_sgpr_dispatch_id 0
		.amdhsa_user_sgpr_private_segment_size 0
		.amdhsa_wavefront_size32 1
		.amdhsa_uses_dynamic_stack 0
		.amdhsa_enable_private_segment 0
		.amdhsa_system_sgpr_workgroup_id_x 1
		.amdhsa_system_sgpr_workgroup_id_y 0
		.amdhsa_system_sgpr_workgroup_id_z 0
		.amdhsa_system_sgpr_workgroup_info 0
		.amdhsa_system_vgpr_workitem_id 0
		.amdhsa_next_free_vgpr 1
		.amdhsa_next_free_sgpr 1
		.amdhsa_reserve_vcc 0
		.amdhsa_float_round_mode_32 0
		.amdhsa_float_round_mode_16_64 0
		.amdhsa_float_denorm_mode_32 3
		.amdhsa_float_denorm_mode_16_64 3
		.amdhsa_dx10_clamp 1
		.amdhsa_ieee_mode 1
		.amdhsa_fp16_overflow 0
		.amdhsa_workgroup_processor_mode 1
		.amdhsa_memory_ordered 1
		.amdhsa_forward_progress 0
		.amdhsa_shared_vgpr_count 0
		.amdhsa_exception_fp_ieee_invalid_op 0
		.amdhsa_exception_fp_denorm_src 0
		.amdhsa_exception_fp_ieee_div_zero 0
		.amdhsa_exception_fp_ieee_overflow 0
		.amdhsa_exception_fp_ieee_underflow 0
		.amdhsa_exception_fp_ieee_inexact 0
		.amdhsa_exception_int_div_zero 0
	.end_amdhsa_kernel
	.section	.text._ZN7rocprim17ROCPRIM_400000_NS6detail17trampoline_kernelINS0_14default_configENS1_25partition_config_selectorILNS1_17partition_subalgoE9ExjbEEZZNS1_14partition_implILS5_9ELb0ES3_jN6thrust23THRUST_200600_302600_NS6detail15normal_iteratorINS9_10device_ptrIxEEEENSB_INSC_IjEEEEPNS0_10empty_typeENS0_5tupleIJSE_SH_EEENSJ_IJNS9_16discard_iteratorINS9_11use_defaultEEESI_EEENS0_18inequality_wrapperINS9_8equal_toIxEEEEPmJSH_EEE10hipError_tPvRmT3_T4_T5_T6_T7_T9_mT8_P12ihipStream_tbDpT10_ENKUlT_T0_E_clISt17integral_constantIbLb1EES1C_IbLb0EEEEDaS18_S19_EUlS18_E_NS1_11comp_targetILNS1_3genE10ELNS1_11target_archE1200ELNS1_3gpuE4ELNS1_3repE0EEENS1_30default_config_static_selectorELNS0_4arch9wavefront6targetE0EEEvT1_,"axG",@progbits,_ZN7rocprim17ROCPRIM_400000_NS6detail17trampoline_kernelINS0_14default_configENS1_25partition_config_selectorILNS1_17partition_subalgoE9ExjbEEZZNS1_14partition_implILS5_9ELb0ES3_jN6thrust23THRUST_200600_302600_NS6detail15normal_iteratorINS9_10device_ptrIxEEEENSB_INSC_IjEEEEPNS0_10empty_typeENS0_5tupleIJSE_SH_EEENSJ_IJNS9_16discard_iteratorINS9_11use_defaultEEESI_EEENS0_18inequality_wrapperINS9_8equal_toIxEEEEPmJSH_EEE10hipError_tPvRmT3_T4_T5_T6_T7_T9_mT8_P12ihipStream_tbDpT10_ENKUlT_T0_E_clISt17integral_constantIbLb1EES1C_IbLb0EEEEDaS18_S19_EUlS18_E_NS1_11comp_targetILNS1_3genE10ELNS1_11target_archE1200ELNS1_3gpuE4ELNS1_3repE0EEENS1_30default_config_static_selectorELNS0_4arch9wavefront6targetE0EEEvT1_,comdat
.Lfunc_end1034:
	.size	_ZN7rocprim17ROCPRIM_400000_NS6detail17trampoline_kernelINS0_14default_configENS1_25partition_config_selectorILNS1_17partition_subalgoE9ExjbEEZZNS1_14partition_implILS5_9ELb0ES3_jN6thrust23THRUST_200600_302600_NS6detail15normal_iteratorINS9_10device_ptrIxEEEENSB_INSC_IjEEEEPNS0_10empty_typeENS0_5tupleIJSE_SH_EEENSJ_IJNS9_16discard_iteratorINS9_11use_defaultEEESI_EEENS0_18inequality_wrapperINS9_8equal_toIxEEEEPmJSH_EEE10hipError_tPvRmT3_T4_T5_T6_T7_T9_mT8_P12ihipStream_tbDpT10_ENKUlT_T0_E_clISt17integral_constantIbLb1EES1C_IbLb0EEEEDaS18_S19_EUlS18_E_NS1_11comp_targetILNS1_3genE10ELNS1_11target_archE1200ELNS1_3gpuE4ELNS1_3repE0EEENS1_30default_config_static_selectorELNS0_4arch9wavefront6targetE0EEEvT1_, .Lfunc_end1034-_ZN7rocprim17ROCPRIM_400000_NS6detail17trampoline_kernelINS0_14default_configENS1_25partition_config_selectorILNS1_17partition_subalgoE9ExjbEEZZNS1_14partition_implILS5_9ELb0ES3_jN6thrust23THRUST_200600_302600_NS6detail15normal_iteratorINS9_10device_ptrIxEEEENSB_INSC_IjEEEEPNS0_10empty_typeENS0_5tupleIJSE_SH_EEENSJ_IJNS9_16discard_iteratorINS9_11use_defaultEEESI_EEENS0_18inequality_wrapperINS9_8equal_toIxEEEEPmJSH_EEE10hipError_tPvRmT3_T4_T5_T6_T7_T9_mT8_P12ihipStream_tbDpT10_ENKUlT_T0_E_clISt17integral_constantIbLb1EES1C_IbLb0EEEEDaS18_S19_EUlS18_E_NS1_11comp_targetILNS1_3genE10ELNS1_11target_archE1200ELNS1_3gpuE4ELNS1_3repE0EEENS1_30default_config_static_selectorELNS0_4arch9wavefront6targetE0EEEvT1_
                                        ; -- End function
	.section	.AMDGPU.csdata,"",@progbits
; Kernel info:
; codeLenInByte = 0
; NumSgprs: 0
; NumVgprs: 0
; ScratchSize: 0
; MemoryBound: 0
; FloatMode: 240
; IeeeMode: 1
; LDSByteSize: 0 bytes/workgroup (compile time only)
; SGPRBlocks: 0
; VGPRBlocks: 0
; NumSGPRsForWavesPerEU: 1
; NumVGPRsForWavesPerEU: 1
; Occupancy: 15
; WaveLimiterHint : 0
; COMPUTE_PGM_RSRC2:SCRATCH_EN: 0
; COMPUTE_PGM_RSRC2:USER_SGPR: 15
; COMPUTE_PGM_RSRC2:TRAP_HANDLER: 0
; COMPUTE_PGM_RSRC2:TGID_X_EN: 1
; COMPUTE_PGM_RSRC2:TGID_Y_EN: 0
; COMPUTE_PGM_RSRC2:TGID_Z_EN: 0
; COMPUTE_PGM_RSRC2:TIDIG_COMP_CNT: 0
	.section	.text._ZN7rocprim17ROCPRIM_400000_NS6detail17trampoline_kernelINS0_14default_configENS1_25partition_config_selectorILNS1_17partition_subalgoE9ExjbEEZZNS1_14partition_implILS5_9ELb0ES3_jN6thrust23THRUST_200600_302600_NS6detail15normal_iteratorINS9_10device_ptrIxEEEENSB_INSC_IjEEEEPNS0_10empty_typeENS0_5tupleIJSE_SH_EEENSJ_IJNS9_16discard_iteratorINS9_11use_defaultEEESI_EEENS0_18inequality_wrapperINS9_8equal_toIxEEEEPmJSH_EEE10hipError_tPvRmT3_T4_T5_T6_T7_T9_mT8_P12ihipStream_tbDpT10_ENKUlT_T0_E_clISt17integral_constantIbLb1EES1C_IbLb0EEEEDaS18_S19_EUlS18_E_NS1_11comp_targetILNS1_3genE9ELNS1_11target_archE1100ELNS1_3gpuE3ELNS1_3repE0EEENS1_30default_config_static_selectorELNS0_4arch9wavefront6targetE0EEEvT1_,"axG",@progbits,_ZN7rocprim17ROCPRIM_400000_NS6detail17trampoline_kernelINS0_14default_configENS1_25partition_config_selectorILNS1_17partition_subalgoE9ExjbEEZZNS1_14partition_implILS5_9ELb0ES3_jN6thrust23THRUST_200600_302600_NS6detail15normal_iteratorINS9_10device_ptrIxEEEENSB_INSC_IjEEEEPNS0_10empty_typeENS0_5tupleIJSE_SH_EEENSJ_IJNS9_16discard_iteratorINS9_11use_defaultEEESI_EEENS0_18inequality_wrapperINS9_8equal_toIxEEEEPmJSH_EEE10hipError_tPvRmT3_T4_T5_T6_T7_T9_mT8_P12ihipStream_tbDpT10_ENKUlT_T0_E_clISt17integral_constantIbLb1EES1C_IbLb0EEEEDaS18_S19_EUlS18_E_NS1_11comp_targetILNS1_3genE9ELNS1_11target_archE1100ELNS1_3gpuE3ELNS1_3repE0EEENS1_30default_config_static_selectorELNS0_4arch9wavefront6targetE0EEEvT1_,comdat
	.protected	_ZN7rocprim17ROCPRIM_400000_NS6detail17trampoline_kernelINS0_14default_configENS1_25partition_config_selectorILNS1_17partition_subalgoE9ExjbEEZZNS1_14partition_implILS5_9ELb0ES3_jN6thrust23THRUST_200600_302600_NS6detail15normal_iteratorINS9_10device_ptrIxEEEENSB_INSC_IjEEEEPNS0_10empty_typeENS0_5tupleIJSE_SH_EEENSJ_IJNS9_16discard_iteratorINS9_11use_defaultEEESI_EEENS0_18inequality_wrapperINS9_8equal_toIxEEEEPmJSH_EEE10hipError_tPvRmT3_T4_T5_T6_T7_T9_mT8_P12ihipStream_tbDpT10_ENKUlT_T0_E_clISt17integral_constantIbLb1EES1C_IbLb0EEEEDaS18_S19_EUlS18_E_NS1_11comp_targetILNS1_3genE9ELNS1_11target_archE1100ELNS1_3gpuE3ELNS1_3repE0EEENS1_30default_config_static_selectorELNS0_4arch9wavefront6targetE0EEEvT1_ ; -- Begin function _ZN7rocprim17ROCPRIM_400000_NS6detail17trampoline_kernelINS0_14default_configENS1_25partition_config_selectorILNS1_17partition_subalgoE9ExjbEEZZNS1_14partition_implILS5_9ELb0ES3_jN6thrust23THRUST_200600_302600_NS6detail15normal_iteratorINS9_10device_ptrIxEEEENSB_INSC_IjEEEEPNS0_10empty_typeENS0_5tupleIJSE_SH_EEENSJ_IJNS9_16discard_iteratorINS9_11use_defaultEEESI_EEENS0_18inequality_wrapperINS9_8equal_toIxEEEEPmJSH_EEE10hipError_tPvRmT3_T4_T5_T6_T7_T9_mT8_P12ihipStream_tbDpT10_ENKUlT_T0_E_clISt17integral_constantIbLb1EES1C_IbLb0EEEEDaS18_S19_EUlS18_E_NS1_11comp_targetILNS1_3genE9ELNS1_11target_archE1100ELNS1_3gpuE3ELNS1_3repE0EEENS1_30default_config_static_selectorELNS0_4arch9wavefront6targetE0EEEvT1_
	.globl	_ZN7rocprim17ROCPRIM_400000_NS6detail17trampoline_kernelINS0_14default_configENS1_25partition_config_selectorILNS1_17partition_subalgoE9ExjbEEZZNS1_14partition_implILS5_9ELb0ES3_jN6thrust23THRUST_200600_302600_NS6detail15normal_iteratorINS9_10device_ptrIxEEEENSB_INSC_IjEEEEPNS0_10empty_typeENS0_5tupleIJSE_SH_EEENSJ_IJNS9_16discard_iteratorINS9_11use_defaultEEESI_EEENS0_18inequality_wrapperINS9_8equal_toIxEEEEPmJSH_EEE10hipError_tPvRmT3_T4_T5_T6_T7_T9_mT8_P12ihipStream_tbDpT10_ENKUlT_T0_E_clISt17integral_constantIbLb1EES1C_IbLb0EEEEDaS18_S19_EUlS18_E_NS1_11comp_targetILNS1_3genE9ELNS1_11target_archE1100ELNS1_3gpuE3ELNS1_3repE0EEENS1_30default_config_static_selectorELNS0_4arch9wavefront6targetE0EEEvT1_
	.p2align	8
	.type	_ZN7rocprim17ROCPRIM_400000_NS6detail17trampoline_kernelINS0_14default_configENS1_25partition_config_selectorILNS1_17partition_subalgoE9ExjbEEZZNS1_14partition_implILS5_9ELb0ES3_jN6thrust23THRUST_200600_302600_NS6detail15normal_iteratorINS9_10device_ptrIxEEEENSB_INSC_IjEEEEPNS0_10empty_typeENS0_5tupleIJSE_SH_EEENSJ_IJNS9_16discard_iteratorINS9_11use_defaultEEESI_EEENS0_18inequality_wrapperINS9_8equal_toIxEEEEPmJSH_EEE10hipError_tPvRmT3_T4_T5_T6_T7_T9_mT8_P12ihipStream_tbDpT10_ENKUlT_T0_E_clISt17integral_constantIbLb1EES1C_IbLb0EEEEDaS18_S19_EUlS18_E_NS1_11comp_targetILNS1_3genE9ELNS1_11target_archE1100ELNS1_3gpuE3ELNS1_3repE0EEENS1_30default_config_static_selectorELNS0_4arch9wavefront6targetE0EEEvT1_,@function
_ZN7rocprim17ROCPRIM_400000_NS6detail17trampoline_kernelINS0_14default_configENS1_25partition_config_selectorILNS1_17partition_subalgoE9ExjbEEZZNS1_14partition_implILS5_9ELb0ES3_jN6thrust23THRUST_200600_302600_NS6detail15normal_iteratorINS9_10device_ptrIxEEEENSB_INSC_IjEEEEPNS0_10empty_typeENS0_5tupleIJSE_SH_EEENSJ_IJNS9_16discard_iteratorINS9_11use_defaultEEESI_EEENS0_18inequality_wrapperINS9_8equal_toIxEEEEPmJSH_EEE10hipError_tPvRmT3_T4_T5_T6_T7_T9_mT8_P12ihipStream_tbDpT10_ENKUlT_T0_E_clISt17integral_constantIbLb1EES1C_IbLb0EEEEDaS18_S19_EUlS18_E_NS1_11comp_targetILNS1_3genE9ELNS1_11target_archE1100ELNS1_3gpuE3ELNS1_3repE0EEENS1_30default_config_static_selectorELNS0_4arch9wavefront6targetE0EEEvT1_: ; @_ZN7rocprim17ROCPRIM_400000_NS6detail17trampoline_kernelINS0_14default_configENS1_25partition_config_selectorILNS1_17partition_subalgoE9ExjbEEZZNS1_14partition_implILS5_9ELb0ES3_jN6thrust23THRUST_200600_302600_NS6detail15normal_iteratorINS9_10device_ptrIxEEEENSB_INSC_IjEEEEPNS0_10empty_typeENS0_5tupleIJSE_SH_EEENSJ_IJNS9_16discard_iteratorINS9_11use_defaultEEESI_EEENS0_18inequality_wrapperINS9_8equal_toIxEEEEPmJSH_EEE10hipError_tPvRmT3_T4_T5_T6_T7_T9_mT8_P12ihipStream_tbDpT10_ENKUlT_T0_E_clISt17integral_constantIbLb1EES1C_IbLb0EEEEDaS18_S19_EUlS18_E_NS1_11comp_targetILNS1_3genE9ELNS1_11target_archE1100ELNS1_3gpuE3ELNS1_3repE0EEENS1_30default_config_static_selectorELNS0_4arch9wavefront6targetE0EEEvT1_
; %bb.0:
	s_clause 0x4
	s_load_b128 s[4:7], s[0:1], 0x8
	s_load_b32 s14, s[0:1], 0x70
	s_load_b128 s[16:19], s[0:1], 0x48
	s_load_b64 s[2:3], s[0:1], 0x58
	s_load_b64 s[12:13], s[0:1], 0x18
	s_mov_b32 s9, 0
	v_lshlrev_b32_e32 v47, 3, v0
	v_lshrrev_b32_e32 v24, 2, v0
	v_or_b32_e32 v21, 0x200, v0
	v_or_b32_e32 v20, 0x400, v0
	;; [unrolled: 1-line block ×7, first 2 shown]
	s_waitcnt lgkmcnt(0)
	s_lshl_b64 s[10:11], s[6:7], 3
	s_delay_alu instid0(SALU_CYCLE_1)
	s_add_u32 s21, s4, s10
	s_addc_u32 s22, s5, s11
	s_add_i32 s20, s14, -1
	s_load_b64 s[10:11], s[18:19], 0x0
	s_lshl_b32 s4, s20, 12
	s_lshl_b32 s5, s14, 12
	s_add_i32 s4, s6, s4
	s_lshl_b32 s8, s15, 12
	s_sub_i32 s19, s2, s4
	s_add_u32 s4, s6, s5
	s_addc_u32 s5, s7, 0
	s_cmp_eq_u32 s15, s20
	v_cmp_ge_u64_e64 s2, s[4:5], s[2:3]
	s_cselect_b32 s14, -1, 0
	s_mov_b32 s5, -1
	s_delay_alu instid0(VALU_DEP_1)
	s_and_b32 s20, s14, s2
	s_lshl_b64 s[2:3], s[8:9], 3
	s_xor_b32 s18, s20, -1
	s_add_u32 s4, s21, s2
	s_addc_u32 s3, s22, s3
	s_and_b32 vcc_lo, exec_lo, s18
	s_cbranch_vccz .LBB1035_2
; %bb.1:
	v_add_co_u32 v1, s2, s4, v47
	s_delay_alu instid0(VALU_DEP_1) | instskip(SKIP_1) | instid1(VALU_DEP_3)
	v_add_co_ci_u32_e64 v2, null, s3, 0, s2
	v_lshrrev_b32_e32 v26, 2, v21
	v_add_co_u32 v3, vcc_lo, 0x1000, v1
	s_delay_alu instid0(VALU_DEP_3)
	v_add_co_ci_u32_e32 v4, vcc_lo, 0, v2, vcc_lo
	v_add_co_u32 v5, vcc_lo, 0x2000, v1
	v_add_co_ci_u32_e32 v6, vcc_lo, 0, v2, vcc_lo
	v_add_co_u32 v7, vcc_lo, 0x3000, v1
	;; [unrolled: 2-line block ×6, first 2 shown]
	v_add_co_ci_u32_e32 v16, vcc_lo, 0, v2, vcc_lo
	s_clause 0x7
	flat_load_b64 v[1:2], v[1:2]
	flat_load_b64 v[3:4], v[3:4]
	;; [unrolled: 1-line block ×8, first 2 shown]
	v_lshrrev_b32_e32 v27, 2, v20
	v_lshrrev_b32_e32 v28, 2, v23
	;; [unrolled: 1-line block ×3, first 2 shown]
	v_and_b32_e32 v25, 0x78, v24
	v_lshrrev_b32_e32 v30, 2, v18
	v_lshrrev_b32_e32 v31, 2, v17
	;; [unrolled: 1-line block ×3, first 2 shown]
	v_and_b32_e32 v26, 0xf8, v26
	v_and_b32_e32 v27, 0x178, v27
	;; [unrolled: 1-line block ×4, first 2 shown]
	v_add_nc_u32_e32 v25, v25, v47
	v_and_b32_e32 v30, 0x2f8, v30
	v_and_b32_e32 v31, 0x378, v31
	;; [unrolled: 1-line block ×3, first 2 shown]
	v_add_nc_u32_e32 v26, v26, v47
	v_add_nc_u32_e32 v27, v27, v47
	;; [unrolled: 1-line block ×4, first 2 shown]
	s_mov_b32 s5, s9
	v_add_nc_u32_e32 v30, v30, v47
	v_add_nc_u32_e32 v31, v31, v47
	;; [unrolled: 1-line block ×3, first 2 shown]
	s_waitcnt vmcnt(7) lgkmcnt(0)
	ds_store_b64 v25, v[1:2]
	s_waitcnt vmcnt(6)
	ds_store_b64 v26, v[3:4] offset:4096
	s_waitcnt vmcnt(5)
	ds_store_b64 v27, v[5:6] offset:8192
	;; [unrolled: 2-line block ×7, first 2 shown]
	s_waitcnt lgkmcnt(0)
	s_barrier
.LBB1035_2:
	v_cmp_gt_u32_e64 s2, s19, v0
	s_and_not1_b32 vcc_lo, exec_lo, s5
	s_cbranch_vccnz .LBB1035_20
; %bb.3:
                                        ; implicit-def: $vgpr1_vgpr2_vgpr3_vgpr4_vgpr5_vgpr6_vgpr7_vgpr8_vgpr9_vgpr10_vgpr11_vgpr12_vgpr13_vgpr14_vgpr15_vgpr16
	s_delay_alu instid0(VALU_DEP_1)
	s_and_saveexec_b32 s5, s2
	s_cbranch_execz .LBB1035_11
; %bb.4:
	v_add_co_u32 v1, s2, s4, v47
	s_delay_alu instid0(VALU_DEP_1) | instskip(SKIP_2) | instid1(SALU_CYCLE_1)
	v_add_co_ci_u32_e64 v2, null, s3, 0, s2
	flat_load_b64 v[1:2], v[1:2]
	s_or_b32 exec_lo, exec_lo, s5
	s_mov_b32 s2, exec_lo
	v_cmpx_gt_u32_e64 s19, v21
	s_cbranch_execnz .LBB1035_12
.LBB1035_5:
	s_or_b32 exec_lo, exec_lo, s2
	s_delay_alu instid0(SALU_CYCLE_1)
	s_mov_b32 s2, exec_lo
	v_cmpx_gt_u32_e64 s19, v20
	s_cbranch_execz .LBB1035_13
.LBB1035_6:
	v_lshlrev_b32_e32 v5, 3, v20
	s_delay_alu instid0(VALU_DEP_1) | instskip(NEXT) | instid1(VALU_DEP_1)
	v_add_co_u32 v5, s5, s4, v5
	v_add_co_ci_u32_e64 v6, null, s3, 0, s5
	flat_load_b64 v[5:6], v[5:6]
	s_or_b32 exec_lo, exec_lo, s2
	s_delay_alu instid0(SALU_CYCLE_1)
	s_mov_b32 s2, exec_lo
	v_cmpx_gt_u32_e64 s19, v23
	s_cbranch_execnz .LBB1035_14
.LBB1035_7:
	s_or_b32 exec_lo, exec_lo, s2
	s_delay_alu instid0(SALU_CYCLE_1)
	s_mov_b32 s2, exec_lo
	v_cmpx_gt_u32_e64 s19, v22
	s_cbranch_execz .LBB1035_15
.LBB1035_8:
	v_lshlrev_b32_e32 v9, 3, v22
	s_delay_alu instid0(VALU_DEP_1) | instskip(NEXT) | instid1(VALU_DEP_1)
	v_add_co_u32 v9, s5, s4, v9
	v_add_co_ci_u32_e64 v10, null, s3, 0, s5
	flat_load_b64 v[9:10], v[9:10]
	s_or_b32 exec_lo, exec_lo, s2
	s_delay_alu instid0(SALU_CYCLE_1)
	s_mov_b32 s2, exec_lo
	v_cmpx_gt_u32_e64 s19, v18
	s_cbranch_execnz .LBB1035_16
.LBB1035_9:
	s_or_b32 exec_lo, exec_lo, s2
	s_delay_alu instid0(SALU_CYCLE_1)
	s_mov_b32 s2, exec_lo
	v_cmpx_gt_u32_e64 s19, v17
	s_cbranch_execz .LBB1035_17
.LBB1035_10:
	v_lshlrev_b32_e32 v13, 3, v17
	s_delay_alu instid0(VALU_DEP_1) | instskip(NEXT) | instid1(VALU_DEP_1)
	v_add_co_u32 v13, s5, s4, v13
	v_add_co_ci_u32_e64 v14, null, s3, 0, s5
	flat_load_b64 v[13:14], v[13:14]
	s_or_b32 exec_lo, exec_lo, s2
	s_delay_alu instid0(SALU_CYCLE_1)
	s_mov_b32 s2, exec_lo
	v_cmpx_gt_u32_e64 s19, v19
	s_cbranch_execnz .LBB1035_18
	s_branch .LBB1035_19
.LBB1035_11:
	s_or_b32 exec_lo, exec_lo, s5
	s_delay_alu instid0(SALU_CYCLE_1)
	s_mov_b32 s2, exec_lo
	v_cmpx_gt_u32_e64 s19, v21
	s_cbranch_execz .LBB1035_5
.LBB1035_12:
	v_lshlrev_b32_e32 v3, 3, v21
	s_delay_alu instid0(VALU_DEP_1) | instskip(NEXT) | instid1(VALU_DEP_1)
	v_add_co_u32 v3, s5, s4, v3
	v_add_co_ci_u32_e64 v4, null, s3, 0, s5
	flat_load_b64 v[3:4], v[3:4]
	s_or_b32 exec_lo, exec_lo, s2
	s_delay_alu instid0(SALU_CYCLE_1)
	s_mov_b32 s2, exec_lo
	v_cmpx_gt_u32_e64 s19, v20
	s_cbranch_execnz .LBB1035_6
.LBB1035_13:
	s_or_b32 exec_lo, exec_lo, s2
	s_delay_alu instid0(SALU_CYCLE_1)
	s_mov_b32 s2, exec_lo
	v_cmpx_gt_u32_e64 s19, v23
	s_cbranch_execz .LBB1035_7
.LBB1035_14:
	v_lshlrev_b32_e32 v7, 3, v23
	s_delay_alu instid0(VALU_DEP_1) | instskip(NEXT) | instid1(VALU_DEP_1)
	v_add_co_u32 v7, s5, s4, v7
	v_add_co_ci_u32_e64 v8, null, s3, 0, s5
	flat_load_b64 v[7:8], v[7:8]
	s_or_b32 exec_lo, exec_lo, s2
	s_delay_alu instid0(SALU_CYCLE_1)
	s_mov_b32 s2, exec_lo
	v_cmpx_gt_u32_e64 s19, v22
	s_cbranch_execnz .LBB1035_8
.LBB1035_15:
	s_or_b32 exec_lo, exec_lo, s2
	s_delay_alu instid0(SALU_CYCLE_1)
	s_mov_b32 s2, exec_lo
	v_cmpx_gt_u32_e64 s19, v18
	s_cbranch_execz .LBB1035_9
.LBB1035_16:
	v_lshlrev_b32_e32 v11, 3, v18
	s_delay_alu instid0(VALU_DEP_1) | instskip(NEXT) | instid1(VALU_DEP_1)
	v_add_co_u32 v11, s5, s4, v11
	v_add_co_ci_u32_e64 v12, null, s3, 0, s5
	flat_load_b64 v[11:12], v[11:12]
	s_or_b32 exec_lo, exec_lo, s2
	s_delay_alu instid0(SALU_CYCLE_1)
	s_mov_b32 s2, exec_lo
	v_cmpx_gt_u32_e64 s19, v17
	s_cbranch_execnz .LBB1035_10
.LBB1035_17:
	s_or_b32 exec_lo, exec_lo, s2
	s_delay_alu instid0(SALU_CYCLE_1)
	s_mov_b32 s2, exec_lo
	v_cmpx_gt_u32_e64 s19, v19
	s_cbranch_execz .LBB1035_19
.LBB1035_18:
	v_lshlrev_b32_e32 v15, 3, v19
	s_delay_alu instid0(VALU_DEP_1) | instskip(NEXT) | instid1(VALU_DEP_1)
	v_add_co_u32 v15, s5, s4, v15
	v_add_co_ci_u32_e64 v16, null, s3, 0, s5
	flat_load_b64 v[15:16], v[15:16]
.LBB1035_19:
	s_or_b32 exec_lo, exec_lo, s2
	v_lshrrev_b32_e32 v25, 2, v21
	v_lshrrev_b32_e32 v26, 2, v20
	;; [unrolled: 1-line block ×4, first 2 shown]
	v_and_b32_e32 v27, 0x78, v24
	v_lshrrev_b32_e32 v30, 2, v18
	v_lshrrev_b32_e32 v31, 2, v17
	;; [unrolled: 1-line block ×3, first 2 shown]
	v_and_b32_e32 v25, 0xf8, v25
	v_and_b32_e32 v26, 0x1f8, v26
	;; [unrolled: 1-line block ×4, first 2 shown]
	v_add_nc_u32_e32 v27, v27, v47
	v_and_b32_e32 v30, 0x3f8, v30
	v_and_b32_e32 v31, 0x3f8, v31
	;; [unrolled: 1-line block ×3, first 2 shown]
	v_add_nc_u32_e32 v25, v25, v47
	v_add_nc_u32_e32 v26, v26, v47
	v_add_nc_u32_e32 v28, v28, v47
	v_add_nc_u32_e32 v29, v29, v47
	v_add_nc_u32_e32 v30, v30, v47
	v_add_nc_u32_e32 v31, v31, v47
	v_add_nc_u32_e32 v32, v32, v47
	s_waitcnt vmcnt(0) lgkmcnt(0)
	ds_store_b64 v27, v[1:2]
	ds_store_b64 v25, v[3:4] offset:4096
	ds_store_b64 v26, v[5:6] offset:8192
	;; [unrolled: 1-line block ×7, first 2 shown]
	s_waitcnt lgkmcnt(0)
	s_barrier
.LBB1035_20:
	v_add_nc_u32_e32 v24, v24, v47
	s_waitcnt lgkmcnt(0)
	buffer_gl0_inv
	s_lshl_b64 s[22:23], s[6:7], 2
	v_lshrrev_b32_e32 v26, 3, v0
	s_add_u32 s2, s12, s22
	v_lshlrev_b32_e32 v25, 3, v24
	s_addc_u32 s5, s13, s23
	s_lshl_b64 s[8:9], s[8:9], 2
	ds_load_2addr_b64 v[13:16], v25 offset1:1
	ds_load_2addr_b64 v[9:12], v25 offset0:2 offset1:3
	ds_load_2addr_b64 v[5:8], v25 offset0:4 offset1:5
	;; [unrolled: 1-line block ×3, first 2 shown]
	s_add_u32 s2, s2, s8
	s_addc_u32 s5, s5, s9
	s_and_b32 vcc_lo, exec_lo, s18
	s_mov_b32 s8, -1
	s_waitcnt lgkmcnt(0)
	s_barrier
	buffer_gl0_inv
	s_cbranch_vccz .LBB1035_22
; %bb.21:
	v_lshlrev_b32_e32 v35, 2, v0
	v_lshrrev_b32_e32 v37, 3, v21
	v_lshrrev_b32_e32 v38, 3, v20
	;; [unrolled: 1-line block ×4, first 2 shown]
	v_add_co_u32 v27, s8, s2, v35
	s_delay_alu instid0(VALU_DEP_1) | instskip(SKIP_1) | instid1(VALU_DEP_3)
	v_add_co_ci_u32_e64 v28, null, s5, 0, s8
	v_lshrrev_b32_e32 v41, 3, v18
	v_add_co_u32 v29, vcc_lo, 0x1000, v27
	s_delay_alu instid0(VALU_DEP_3)
	v_add_co_ci_u32_e32 v30, vcc_lo, 0, v28, vcc_lo
	v_add_co_u32 v31, vcc_lo, 0x2000, v27
	v_add_co_ci_u32_e32 v32, vcc_lo, 0, v28, vcc_lo
	v_add_co_u32 v33, vcc_lo, 0x3000, v27
	v_add_co_ci_u32_e32 v34, vcc_lo, 0, v28, vcc_lo
	s_clause 0x7
	flat_load_b32 v36, v[27:28]
	flat_load_b32 v27, v[27:28] offset:2048
	flat_load_b32 v28, v[29:30]
	flat_load_b32 v29, v[29:30] offset:2048
	;; [unrolled: 2-line block ×4, first 2 shown]
	v_and_b32_e32 v34, 60, v26
	v_lshrrev_b32_e32 v42, 3, v17
	v_lshrrev_b32_e32 v43, 3, v19
	v_and_b32_e32 v37, 0x7c, v37
	v_and_b32_e32 v38, 0xbc, v38
	;; [unrolled: 1-line block ×4, first 2 shown]
	v_add_nc_u32_e32 v34, v34, v35
	v_and_b32_e32 v41, 0x17c, v41
	v_and_b32_e32 v42, 0x1bc, v42
	;; [unrolled: 1-line block ×3, first 2 shown]
	v_add_nc_u32_e32 v37, v37, v35
	v_add_nc_u32_e32 v38, v38, v35
	;; [unrolled: 1-line block ×4, first 2 shown]
	s_mov_b32 s8, 0
	v_add_nc_u32_e32 v41, v41, v35
	v_add_nc_u32_e32 v42, v42, v35
	;; [unrolled: 1-line block ×3, first 2 shown]
	s_waitcnt vmcnt(7) lgkmcnt(7)
	ds_store_b32 v34, v36
	s_waitcnt vmcnt(6) lgkmcnt(7)
	ds_store_b32 v37, v27 offset:2048
	s_waitcnt vmcnt(5) lgkmcnt(7)
	ds_store_b32 v38, v28 offset:4096
	;; [unrolled: 2-line block ×7, first 2 shown]
	s_waitcnt lgkmcnt(0)
	s_barrier
.LBB1035_22:
	s_and_not1_b32 vcc_lo, exec_lo, s8
	s_cbranch_vccnz .LBB1035_40
; %bb.23:
	s_mov_b32 s8, exec_lo
                                        ; implicit-def: $vgpr27
	v_cmpx_gt_u32_e64 s19, v0
	s_cbranch_execz .LBB1035_25
; %bb.24:
	v_lshlrev_b32_e32 v27, 2, v0
	s_delay_alu instid0(VALU_DEP_1) | instskip(NEXT) | instid1(VALU_DEP_1)
	v_add_co_u32 v27, s9, s2, v27
	v_add_co_ci_u32_e64 v28, null, s5, 0, s9
	flat_load_b32 v27, v[27:28]
.LBB1035_25:
	s_or_b32 exec_lo, exec_lo, s8
	s_delay_alu instid0(SALU_CYCLE_1)
	s_mov_b32 s8, exec_lo
                                        ; implicit-def: $vgpr28
	v_cmpx_gt_u32_e64 s19, v21
	s_cbranch_execz .LBB1035_27
; %bb.26:
	v_lshlrev_b32_e32 v28, 2, v0
	s_delay_alu instid0(VALU_DEP_1) | instskip(NEXT) | instid1(VALU_DEP_1)
	v_add_co_u32 v28, s9, s2, v28
	v_add_co_ci_u32_e64 v29, null, s5, 0, s9
	flat_load_b32 v28, v[28:29] offset:2048
.LBB1035_27:
	s_or_b32 exec_lo, exec_lo, s8
	s_delay_alu instid0(SALU_CYCLE_1)
	s_mov_b32 s8, exec_lo
                                        ; implicit-def: $vgpr29
	v_cmpx_gt_u32_e64 s19, v20
	s_cbranch_execz .LBB1035_29
; %bb.28:
	v_lshlrev_b32_e32 v29, 2, v20
	s_delay_alu instid0(VALU_DEP_1) | instskip(NEXT) | instid1(VALU_DEP_1)
	v_add_co_u32 v29, s9, s2, v29
	v_add_co_ci_u32_e64 v30, null, s5, 0, s9
	flat_load_b32 v29, v[29:30]
.LBB1035_29:
	s_or_b32 exec_lo, exec_lo, s8
	s_delay_alu instid0(SALU_CYCLE_1)
	s_mov_b32 s8, exec_lo
                                        ; implicit-def: $vgpr30
	v_cmpx_gt_u32_e64 s19, v23
	s_cbranch_execz .LBB1035_31
; %bb.30:
	v_lshlrev_b32_e32 v30, 2, v23
	s_delay_alu instid0(VALU_DEP_1) | instskip(NEXT) | instid1(VALU_DEP_1)
	v_add_co_u32 v30, s9, s2, v30
	v_add_co_ci_u32_e64 v31, null, s5, 0, s9
	flat_load_b32 v30, v[30:31]
.LBB1035_31:
	s_or_b32 exec_lo, exec_lo, s8
	s_delay_alu instid0(SALU_CYCLE_1)
	s_mov_b32 s8, exec_lo
                                        ; implicit-def: $vgpr31
	v_cmpx_gt_u32_e64 s19, v22
	s_cbranch_execz .LBB1035_33
; %bb.32:
	v_lshlrev_b32_e32 v31, 2, v22
	s_delay_alu instid0(VALU_DEP_1) | instskip(NEXT) | instid1(VALU_DEP_1)
	v_add_co_u32 v31, s9, s2, v31
	v_add_co_ci_u32_e64 v32, null, s5, 0, s9
	flat_load_b32 v31, v[31:32]
.LBB1035_33:
	s_or_b32 exec_lo, exec_lo, s8
	s_delay_alu instid0(SALU_CYCLE_1)
	s_mov_b32 s8, exec_lo
                                        ; implicit-def: $vgpr32
	v_cmpx_gt_u32_e64 s19, v18
	s_cbranch_execz .LBB1035_35
; %bb.34:
	v_lshlrev_b32_e32 v32, 2, v18
	s_delay_alu instid0(VALU_DEP_1) | instskip(NEXT) | instid1(VALU_DEP_1)
	v_add_co_u32 v32, s9, s2, v32
	v_add_co_ci_u32_e64 v33, null, s5, 0, s9
	flat_load_b32 v32, v[32:33]
.LBB1035_35:
	s_or_b32 exec_lo, exec_lo, s8
	s_delay_alu instid0(SALU_CYCLE_1)
	s_mov_b32 s8, exec_lo
                                        ; implicit-def: $vgpr33
	v_cmpx_gt_u32_e64 s19, v17
	s_cbranch_execz .LBB1035_37
; %bb.36:
	v_lshlrev_b32_e32 v33, 2, v17
	s_delay_alu instid0(VALU_DEP_1) | instskip(NEXT) | instid1(VALU_DEP_1)
	v_add_co_u32 v33, s9, s2, v33
	v_add_co_ci_u32_e64 v34, null, s5, 0, s9
	flat_load_b32 v33, v[33:34]
.LBB1035_37:
	s_or_b32 exec_lo, exec_lo, s8
	s_delay_alu instid0(SALU_CYCLE_1)
	s_mov_b32 s8, exec_lo
                                        ; implicit-def: $vgpr34
	v_cmpx_gt_u32_e64 s19, v19
	s_cbranch_execz .LBB1035_39
; %bb.38:
	v_lshlrev_b32_e32 v34, 2, v19
	s_delay_alu instid0(VALU_DEP_1) | instskip(NEXT) | instid1(VALU_DEP_1)
	v_add_co_u32 v34, s2, s2, v34
	v_add_co_ci_u32_e64 v35, null, s5, 0, s2
	flat_load_b32 v34, v[34:35]
.LBB1035_39:
	s_or_b32 exec_lo, exec_lo, s8
	v_lshrrev_b32_e32 v21, 3, v21
	v_lshrrev_b32_e32 v20, 3, v20
	;; [unrolled: 1-line block ×4, first 2 shown]
	v_and_b32_e32 v26, 60, v26
	v_lshlrev_b32_e32 v35, 2, v0
	v_lshrrev_b32_e32 v18, 3, v18
	v_lshrrev_b32_e32 v17, 3, v17
	;; [unrolled: 1-line block ×3, first 2 shown]
	v_and_b32_e32 v21, 0x7c, v21
	v_and_b32_e32 v20, 0xfc, v20
	;; [unrolled: 1-line block ×4, first 2 shown]
	v_add_nc_u32_e32 v26, v26, v35
	v_and_b32_e32 v18, 0x1fc, v18
	v_and_b32_e32 v17, 0x1fc, v17
	;; [unrolled: 1-line block ×3, first 2 shown]
	v_add_nc_u32_e32 v21, v21, v35
	v_add_nc_u32_e32 v20, v20, v35
	;; [unrolled: 1-line block ×7, first 2 shown]
	s_waitcnt vmcnt(0) lgkmcnt(0)
	ds_store_b32 v26, v27
	ds_store_b32 v21, v28 offset:2048
	ds_store_b32 v20, v29 offset:4096
	;; [unrolled: 1-line block ×7, first 2 shown]
	s_waitcnt lgkmcnt(0)
	s_barrier
.LBB1035_40:
	v_lshlrev_b32_e32 v17, 2, v24
	buffer_gl0_inv
	s_cmp_lg_u32 s15, 0
	s_mov_b32 s12, 0
	s_cselect_b32 s9, -1, 0
	v_sub_nc_u32_e32 v17, v25, v17
	s_cmp_lg_u64 s[6:7], 0
	ds_load_2addr_b32 v[23:24], v17 offset1:1
	ds_load_2addr_b32 v[21:22], v17 offset0:2 offset1:3
	ds_load_2addr_b32 v[19:20], v17 offset0:4 offset1:5
	;; [unrolled: 1-line block ×3, first 2 shown]
	s_cselect_b32 s2, -1, 0
	s_waitcnt lgkmcnt(0)
	s_or_b32 s2, s9, s2
	s_barrier
	s_and_b32 vcc_lo, exec_lo, s2
	buffer_gl0_inv
	s_cbranch_vccz .LBB1035_45
; %bb.41:
	v_add_co_u32 v25, s2, -8, s4
	s_delay_alu instid0(VALU_DEP_1)
	v_add_co_ci_u32_e64 v26, null, -1, s3, s2
	s_mov_b32 s3, -1
	s_and_b32 vcc_lo, exec_lo, s18
	flat_load_b64 v[27:28], v[25:26]
	ds_store_b64 v47, v[3:4]
	s_cbranch_vccz .LBB1035_46
; %bb.42:
	s_waitcnt vmcnt(0) lgkmcnt(1)
	v_dual_mov_b32 v25, v27 :: v_dual_mov_b32 v26, v28
	s_mov_b32 s3, 0
	s_mov_b32 s2, exec_lo
	s_waitcnt lgkmcnt(0)
	s_barrier
	buffer_gl0_inv
	v_cmpx_ne_u32_e32 0, v0
	s_cbranch_execz .LBB1035_44
; %bb.43:
	v_add_nc_u32_e32 v25, -8, v47
	ds_load_b64 v[25:26], v25
.LBB1035_44:
	s_or_b32 exec_lo, exec_lo, s2
	v_cmp_ne_u64_e32 vcc_lo, v[1:2], v[3:4]
	s_waitcnt lgkmcnt(0)
	v_cmp_ne_u64_e64 s2, v[25:26], v[13:14]
	v_cndmask_b32_e64 v29, 0, 1, vcc_lo
	v_cmp_ne_u64_e32 vcc_lo, v[7:8], v[1:2]
	s_delay_alu instid0(VALU_DEP_2) | instskip(SKIP_2) | instid1(VALU_DEP_2)
	v_lshlrev_b16 v29, 8, v29
	v_cndmask_b32_e64 v30, 0, 1, vcc_lo
	v_cmp_ne_u64_e32 vcc_lo, v[5:6], v[7:8]
	v_or_b32_e32 v29, v30, v29
	v_cndmask_b32_e64 v31, 0, 1, vcc_lo
	v_cmp_ne_u64_e32 vcc_lo, v[9:10], v[11:12]
	s_delay_alu instid0(VALU_DEP_3) | instskip(NEXT) | instid1(VALU_DEP_3)
	v_lshlrev_b32_e32 v29, 16, v29
	v_lshlrev_b16 v31, 8, v31
	v_cndmask_b32_e64 v32, 0, 1, vcc_lo
	v_cmp_ne_u64_e32 vcc_lo, v[11:12], v[5:6]
	s_delay_alu instid0(VALU_DEP_2) | instskip(SKIP_2) | instid1(VALU_DEP_2)
	v_lshlrev_b16 v32, 8, v32
	v_cndmask_b32_e64 v33, 0, 1, vcc_lo
	v_cmp_ne_u64_e32 vcc_lo, v[15:16], v[9:10]
	v_or_b32_e32 v31, v33, v31
	v_cndmask_b32_e64 v34, 0, 1, vcc_lo
	v_cmp_ne_u64_e32 vcc_lo, v[13:14], v[15:16]
	s_delay_alu instid0(VALU_DEP_3) | instskip(NEXT) | instid1(VALU_DEP_3)
	v_and_b32_e32 v31, 0xffff, v31
	v_or_b32_e32 v32, v34, v32
	v_cndmask_b32_e64 v35, 0, 1, vcc_lo
	s_delay_alu instid0(VALU_DEP_3) | instskip(NEXT) | instid1(VALU_DEP_3)
	v_or_b32_e32 v26, v31, v29
	v_lshlrev_b32_e32 v30, 16, v32
	s_delay_alu instid0(VALU_DEP_3) | instskip(NEXT) | instid1(VALU_DEP_1)
	v_lshlrev_b16 v34, 8, v35
	v_and_b32_e32 v32, 0xffff, v34
	s_delay_alu instid0(VALU_DEP_1)
	v_or_b32_e32 v25, v32, v30
	s_and_b32 vcc_lo, exec_lo, s3
	s_cbranch_vccnz .LBB1035_47
	s_branch .LBB1035_50
.LBB1035_45:
                                        ; implicit-def: $sgpr2
                                        ; implicit-def: $vgpr26
	s_branch .LBB1035_51
.LBB1035_46:
                                        ; implicit-def: $sgpr2
                                        ; implicit-def: $vgpr26
	s_and_b32 vcc_lo, exec_lo, s3
	s_cbranch_vccz .LBB1035_50
.LBB1035_47:
	s_mov_b32 s2, exec_lo
	s_waitcnt vmcnt(0) lgkmcnt(0)
	s_barrier
	buffer_gl0_inv
	v_cmpx_ne_u32_e32 0, v0
	s_cbranch_execz .LBB1035_49
; %bb.48:
	v_add_nc_u32_e32 v25, -8, v47
	ds_load_b64 v[27:28], v25
.LBB1035_49:
	s_or_b32 exec_lo, exec_lo, s2
	v_or_b32_e32 v25, 7, v47
	v_or_b32_e32 v26, 6, v47
	v_cmp_ne_u64_e32 vcc_lo, v[1:2], v[3:4]
	v_or_b32_e32 v29, 5, v47
	v_cmp_ne_u64_e64 s3, v[7:8], v[1:2]
	v_cmp_gt_u32_e64 s2, s19, v25
	v_cmp_gt_u32_e64 s4, s19, v26
	v_cmp_ne_u64_e64 s5, v[5:6], v[7:8]
	v_cmp_gt_u32_e64 s6, s19, v29
	v_or_b32_e32 v29, 3, v47
	s_and_b32 s2, s2, vcc_lo
	v_or_b32_e32 v30, 4, v47
	v_cndmask_b32_e64 v25, 0, 1, s2
	s_and_b32 s2, s4, s3
	v_cmp_ne_u64_e32 vcc_lo, v[9:10], v[11:12]
	v_cndmask_b32_e64 v26, 0, 1, s2
	s_and_b32 s2, s6, s5
	v_cmp_gt_u32_e64 s3, s19, v30
	v_cndmask_b32_e64 v31, 0, 1, s2
	v_cmp_gt_u32_e64 s2, s19, v29
	v_or_b32_e32 v29, 2, v47
	v_or_b32_e32 v30, 1, v47
	v_cmp_ne_u64_e64 s4, v[11:12], v[5:6]
	v_cmp_ne_u64_e64 s6, v[13:14], v[15:16]
	s_and_b32 s2, s2, vcc_lo
	v_cmp_ne_u64_e32 vcc_lo, v[15:16], v[9:10]
	v_cndmask_b32_e64 v32, 0, 1, s2
	v_cmp_gt_u32_e64 s2, s19, v29
	v_cmp_gt_u32_e64 s5, s19, v30
	s_and_b32 s3, s3, s4
	v_lshlrev_b16 v31, 8, v31
	v_cndmask_b32_e64 v29, 0, 1, s3
	s_and_b32 s2, s2, vcc_lo
	v_lshlrev_b16 v32, 8, v32
	v_cndmask_b32_e64 v30, 0, 1, s2
	s_and_b32 s2, s5, s6
	v_lshlrev_b16 v25, 8, v25
	v_cndmask_b32_e64 v33, 0, 1, s2
	v_or_b32_e32 v29, v29, v31
	v_or_b32_e32 v30, v30, v32
	s_waitcnt lgkmcnt(0)
	v_cmp_ne_u64_e32 vcc_lo, v[27:28], v[13:14]
	v_or_b32_e32 v25, v26, v25
	v_lshlrev_b16 v32, 8, v33
	v_and_b32_e32 v29, 0xffff, v29
	v_lshlrev_b32_e32 v26, 16, v30
	v_cmp_gt_u32_e64 s2, s19, v47
	v_lshlrev_b32_e32 v31, 16, v25
	v_and_b32_e32 v30, 0xffff, v32
	s_delay_alu instid0(VALU_DEP_3) | instskip(NEXT) | instid1(VALU_DEP_1)
	s_and_b32 s2, s2, vcc_lo
	v_or_b32_e32 v25, v30, v26
	s_delay_alu instid0(VALU_DEP_3)
	v_or_b32_e32 v26, v29, v31
.LBB1035_50:
	s_mov_b32 s12, -1
	s_cbranch_execnz .LBB1035_59
.LBB1035_51:
	v_cmp_ne_u64_e64 s3, v[1:2], v[3:4]
	v_cmp_ne_u64_e64 s4, v[7:8], v[1:2]
	;; [unrolled: 1-line block ×7, first 2 shown]
	s_and_b32 vcc_lo, exec_lo, s18
	ds_store_b64 v47, v[3:4]
	s_cbranch_vccz .LBB1035_55
; %bb.52:
	v_cndmask_b32_e64 v25, 0, 1, s3
	s_waitcnt vmcnt(0) lgkmcnt(2)
	v_cndmask_b32_e64 v27, 0, 1, s5
	v_cndmask_b32_e64 v29, 0, 1, s7
	;; [unrolled: 1-line block ×6, first 2 shown]
	v_lshlrev_b16 v27, 8, v27
	v_lshlrev_b16 v25, 8, v25
	;; [unrolled: 1-line block ×4, first 2 shown]
	s_mov_b32 s3, 0
	v_or_b32_e32 v27, v28, v27
	v_or_b32_e32 v25, v26, v25
	;; [unrolled: 1-line block ×4, first 2 shown]
	s_mov_b32 s4, exec_lo
	v_and_b32_e32 v27, 0xffff, v27
	v_lshlrev_b32_e32 v25, 16, v25
	v_lshlrev_b32_e32 v29, 16, v26
	v_and_b32_e32 v28, 0xffff, v28
	s_waitcnt lgkmcnt(0)
	s_barrier
	v_or_b32_e32 v26, v27, v25
	buffer_gl0_inv
	v_or_b32_e32 v25, v28, v29
                                        ; implicit-def: $sgpr2
	v_cmpx_ne_u32_e32 0, v0
	s_xor_b32 s4, exec_lo, s4
	s_cbranch_execz .LBB1035_54
; %bb.53:
	v_add_nc_u32_e32 v27, -8, v47
	s_or_b32 s12, s12, exec_lo
	ds_load_b64 v[27:28], v27
	s_waitcnt lgkmcnt(0)
	v_cmp_ne_u64_e32 vcc_lo, v[27:28], v[13:14]
	s_and_b32 s2, vcc_lo, exec_lo
.LBB1035_54:
	s_or_b32 exec_lo, exec_lo, s4
	s_delay_alu instid0(SALU_CYCLE_1)
	s_and_b32 vcc_lo, exec_lo, s3
	s_cbranch_vccnz .LBB1035_56
	s_branch .LBB1035_59
.LBB1035_55:
                                        ; implicit-def: $sgpr2
                                        ; implicit-def: $vgpr26
	s_cbranch_execz .LBB1035_59
.LBB1035_56:
	v_or_b32_e32 v25, 7, v47
	v_or_b32_e32 v26, 6, v47
	v_cmp_ne_u64_e32 vcc_lo, v[1:2], v[3:4]
	v_cmp_ne_u64_e64 s2, v[7:8], v[1:2]
	s_waitcnt vmcnt(0) lgkmcnt(2)
	v_or_b32_e32 v27, 4, v47
	v_cmp_gt_u32_e64 s3, s19, v25
	v_or_b32_e32 v25, 5, v47
	v_cmp_gt_u32_e64 s5, s19, v26
	v_cmp_ne_u64_e64 s4, v[5:6], v[7:8]
	v_cmp_ne_u64_e64 s6, v[11:12], v[5:6]
	s_and_b32 s3, s3, vcc_lo
	v_cmp_gt_u32_e32 vcc_lo, s19, v25
	v_cndmask_b32_e64 v26, 0, 1, s3
	v_cmp_gt_u32_e64 s3, s19, v27
	s_and_b32 s2, s5, s2
	v_or_b32_e32 v28, 3, v47
	v_cndmask_b32_e64 v25, 0, 1, s2
	s_and_b32 s2, vcc_lo, s4
	v_or_b32_e32 v30, 1, v47
	v_cndmask_b32_e64 v27, 0, 1, s2
	s_and_b32 s2, s3, s6
	v_cmp_ne_u64_e32 vcc_lo, v[9:10], v[11:12]
	v_cndmask_b32_e64 v29, 0, 1, s2
	v_cmp_gt_u32_e64 s2, s19, v28
	v_cmp_ne_u64_e64 s3, v[13:14], v[15:16]
	v_or_b32_e32 v31, 2, v47
	v_cmp_gt_u32_e64 s4, s19, v30
	v_cmp_ne_u64_e64 s5, v[15:16], v[9:10]
	s_and_b32 s2, s2, vcc_lo
	v_lshlrev_b16 v27, 8, v27
	v_cmp_gt_u32_e64 s6, s19, v31
	v_cndmask_b32_e64 v28, 0, 1, s2
	s_and_b32 s2, s4, s3
	v_lshlrev_b16 v26, 8, v26
	v_cndmask_b32_e64 v30, 0, 1, s2
	s_and_b32 s2, s6, s5
	v_lshlrev_b16 v28, 8, v28
	v_cndmask_b32_e64 v31, 0, 1, s2
	v_or_b32_e32 v27, v29, v27
	v_lshlrev_b16 v30, 8, v30
	v_or_b32_e32 v25, v25, v26
	s_mov_b32 s3, exec_lo
	v_or_b32_e32 v26, v31, v28
	v_and_b32_e32 v27, 0xffff, v27
	v_or_b32_e32 v28, 1, v30
	v_lshlrev_b32_e32 v25, 16, v25
	s_waitcnt lgkmcnt(0)
	v_lshlrev_b32_e32 v29, 16, v26
	s_barrier
	v_and_b32_e32 v28, 0xffff, v28
	v_or_b32_e32 v26, v27, v25
	buffer_gl0_inv
                                        ; implicit-def: $sgpr2
	v_or_b32_e32 v25, v28, v29
	v_cmpx_ne_u32_e32 0, v0
	s_cbranch_execz .LBB1035_58
; %bb.57:
	v_add_nc_u32_e32 v27, -8, v47
	v_cmp_gt_u32_e64 s2, s19, v47
	s_or_b32 s12, s12, exec_lo
	ds_load_b64 v[27:28], v27
	s_waitcnt lgkmcnt(0)
	v_cmp_ne_u64_e32 vcc_lo, v[27:28], v[13:14]
	s_and_b32 s2, s2, vcc_lo
	s_delay_alu instid0(SALU_CYCLE_1)
	s_and_b32 s2, s2, exec_lo
.LBB1035_58:
	s_or_b32 exec_lo, exec_lo, s3
.LBB1035_59:
	s_and_saveexec_b32 s3, s12
	s_cbranch_execz .LBB1035_61
; %bb.60:
	s_waitcnt vmcnt(0) lgkmcnt(1)
	v_and_b32_e32 v27, 0xffffff00, v25
	v_cndmask_b32_e64 v28, 0, 1, s2
	s_delay_alu instid0(VALU_DEP_1) | instskip(NEXT) | instid1(VALU_DEP_1)
	v_or_b32_e32 v27, v28, v27
	v_and_b32_e32 v27, 0xffff, v27
	s_delay_alu instid0(VALU_DEP_1)
	v_and_or_b32 v25, 0xffff0000, v25, v27
.LBB1035_61:
	s_or_b32 exec_lo, exec_lo, s3
	s_load_b64 s[12:13], s[0:1], 0x68
	s_and_not1_b32 vcc_lo, exec_lo, s20
	s_cbranch_vccnz .LBB1035_63
; %bb.62:
	v_cmp_gt_u32_e32 vcc_lo, s19, v47
	s_waitcnt vmcnt(0) lgkmcnt(0)
	v_or_b32_e32 v28, 1, v47
	v_and_b32_e32 v29, 0xffffff00, v26
	v_or_b32_e32 v30, 2, v47
	v_cndmask_b32_e32 v27, 0, v25, vcc_lo
	s_delay_alu instid0(VALU_DEP_4) | instskip(SKIP_1) | instid1(VALU_DEP_4)
	v_cmp_gt_u32_e32 vcc_lo, s19, v28
	v_or_b32_e32 v28, 4, v47
	v_cmp_gt_u32_e64 s2, s19, v30
	v_or_b32_e32 v30, 3, v47
	v_and_b32_e32 v27, 0xff, v27
	s_delay_alu instid0(VALU_DEP_2) | instskip(NEXT) | instid1(VALU_DEP_2)
	v_cmp_gt_u32_e64 s3, s19, v30
	v_cndmask_b32_e32 v27, v27, v25, vcc_lo
	v_cmp_gt_u32_e32 vcc_lo, s19, v28
	v_cndmask_b32_e32 v28, v29, v26, vcc_lo
	v_or_b32_e32 v29, 5, v47
	s_delay_alu instid0(VALU_DEP_2) | instskip(SKIP_1) | instid1(VALU_DEP_1)
	v_and_b32_e32 v28, 0xffff00ff, v28
	v_and_b32_e32 v27, 0xffff, v27
	v_cndmask_b32_e64 v27, v27, v25, s2
	s_delay_alu instid0(VALU_DEP_4) | instskip(SKIP_1) | instid1(VALU_DEP_3)
	v_cmp_gt_u32_e64 s2, s19, v29
	v_or_b32_e32 v29, 6, v47
	v_and_b32_e32 v27, 0xffffff, v27
	s_delay_alu instid0(VALU_DEP_3) | instskip(NEXT) | instid1(VALU_DEP_2)
	v_cndmask_b32_e64 v28, v28, v26, s2
	v_cndmask_b32_e64 v27, v27, v25, s3
	s_delay_alu instid0(VALU_DEP_1) | instskip(SKIP_2) | instid1(VALU_DEP_3)
	v_dual_cndmask_b32 v27, v27, v25 :: v_dual_and_b32 v28, 0xff00ffff, v28
	v_cmp_gt_u32_e32 vcc_lo, s19, v29
	v_or_b32_e32 v29, 7, v47
	v_cndmask_b32_e64 v27, v27, v25, s2
	s_delay_alu instid0(VALU_DEP_1) | instskip(NEXT) | instid1(VALU_DEP_1)
	v_dual_cndmask_b32 v28, v28, v26 :: v_dual_cndmask_b32 v27, v27, v25
	v_and_b32_e32 v28, 0xffffff, v28
	s_delay_alu instid0(VALU_DEP_4) | instskip(NEXT) | instid1(VALU_DEP_2)
	v_cmp_gt_u32_e32 vcc_lo, s19, v29
	v_dual_cndmask_b32 v26, v28, v26 :: v_dual_cndmask_b32 v25, v27, v25
.LBB1035_63:
	s_delay_alu instid0(VALU_DEP_1) | instskip(SKIP_1) | instid1(VALU_DEP_2)
	v_and_b32_e32 v36, 0xff, v25
	s_waitcnt vmcnt(0) lgkmcnt(0)
	v_alignbit_b32 v27, v26, v25, 24
	v_bfe_u32 v38, v25, 8, 8
	v_bfe_u32 v40, v25, 16, 8
	v_and_b32_e32 v44, 0xff, v26
	v_bfe_u32 v46, v26, 8, 8
	v_and_b32_e32 v42, 0xff, v27
	v_add_nc_u32_e32 v27, v38, v36
	v_mbcnt_lo_u32_b32 v50, -1, 0
	v_bfe_u32 v49, v26, 16, 8
	v_lshrrev_b32_e32 v48, 24, v26
	v_lshrrev_b32_e32 v51, 5, v0
	v_add3_u32 v27, v27, v40, v42
	v_and_b32_e32 v28, 15, v50
	v_and_b32_e32 v29, 16, v50
	s_and_b32 vcc_lo, exec_lo, s9
	s_mov_b32 s19, -1
	v_add3_u32 v27, v27, v44, v46
	v_cmp_eq_u32_e64 s4, 0, v28
	v_cmp_lt_u32_e64 s2, 1, v28
	v_cmp_lt_u32_e64 s5, 3, v28
	;; [unrolled: 1-line block ×3, first 2 shown]
	v_add3_u32 v52, v27, v49, v48
	v_or_b32_e32 v27, 31, v0
	v_cmp_eq_u32_e64 s7, 0, v29
	s_barrier
	buffer_gl0_inv
	v_cmp_eq_u32_e64 s6, v27, v0
	s_cbranch_vccz .LBB1035_94
; %bb.64:
	v_mov_b32_dpp v27, v52 row_shr:1 row_mask:0xf bank_mask:0xf
	s_delay_alu instid0(VALU_DEP_1) | instskip(NEXT) | instid1(VALU_DEP_1)
	v_cndmask_b32_e64 v27, v27, 0, s4
	v_add_nc_u32_e32 v27, v27, v52
	s_delay_alu instid0(VALU_DEP_1) | instskip(NEXT) | instid1(VALU_DEP_1)
	v_mov_b32_dpp v28, v27 row_shr:2 row_mask:0xf bank_mask:0xf
	v_cndmask_b32_e64 v28, 0, v28, s2
	s_delay_alu instid0(VALU_DEP_1) | instskip(NEXT) | instid1(VALU_DEP_1)
	v_add_nc_u32_e32 v27, v27, v28
	v_mov_b32_dpp v28, v27 row_shr:4 row_mask:0xf bank_mask:0xf
	s_delay_alu instid0(VALU_DEP_1) | instskip(NEXT) | instid1(VALU_DEP_1)
	v_cndmask_b32_e64 v28, 0, v28, s5
	v_add_nc_u32_e32 v27, v27, v28
	s_delay_alu instid0(VALU_DEP_1) | instskip(NEXT) | instid1(VALU_DEP_1)
	v_mov_b32_dpp v28, v27 row_shr:8 row_mask:0xf bank_mask:0xf
	v_cndmask_b32_e64 v28, 0, v28, s3
	s_delay_alu instid0(VALU_DEP_1) | instskip(SKIP_3) | instid1(VALU_DEP_1)
	v_add_nc_u32_e32 v27, v27, v28
	ds_swizzle_b32 v28, v27 offset:swizzle(BROADCAST,32,15)
	s_waitcnt lgkmcnt(0)
	v_cndmask_b32_e64 v28, v28, 0, s7
	v_add_nc_u32_e32 v27, v27, v28
	s_and_saveexec_b32 s8, s6
	s_cbranch_execz .LBB1035_66
; %bb.65:
	v_lshlrev_b32_e32 v28, 2, v51
	ds_store_b32 v28, v27
.LBB1035_66:
	s_or_b32 exec_lo, exec_lo, s8
	s_delay_alu instid0(SALU_CYCLE_1)
	s_mov_b32 s8, exec_lo
	s_waitcnt lgkmcnt(0)
	s_barrier
	buffer_gl0_inv
	v_cmpx_gt_u32_e32 16, v0
	s_cbranch_execz .LBB1035_68
; %bb.67:
	v_lshlrev_b32_e32 v28, 2, v0
	ds_load_b32 v29, v28
	s_waitcnt lgkmcnt(0)
	v_mov_b32_dpp v30, v29 row_shr:1 row_mask:0xf bank_mask:0xf
	s_delay_alu instid0(VALU_DEP_1) | instskip(NEXT) | instid1(VALU_DEP_1)
	v_cndmask_b32_e64 v30, v30, 0, s4
	v_add_nc_u32_e32 v29, v30, v29
	s_delay_alu instid0(VALU_DEP_1) | instskip(NEXT) | instid1(VALU_DEP_1)
	v_mov_b32_dpp v30, v29 row_shr:2 row_mask:0xf bank_mask:0xf
	v_cndmask_b32_e64 v30, 0, v30, s2
	s_delay_alu instid0(VALU_DEP_1) | instskip(NEXT) | instid1(VALU_DEP_1)
	v_add_nc_u32_e32 v29, v29, v30
	v_mov_b32_dpp v30, v29 row_shr:4 row_mask:0xf bank_mask:0xf
	s_delay_alu instid0(VALU_DEP_1) | instskip(NEXT) | instid1(VALU_DEP_1)
	v_cndmask_b32_e64 v30, 0, v30, s5
	v_add_nc_u32_e32 v29, v29, v30
	s_delay_alu instid0(VALU_DEP_1) | instskip(NEXT) | instid1(VALU_DEP_1)
	v_mov_b32_dpp v30, v29 row_shr:8 row_mask:0xf bank_mask:0xf
	v_cndmask_b32_e64 v30, 0, v30, s3
	s_delay_alu instid0(VALU_DEP_1)
	v_add_nc_u32_e32 v29, v29, v30
	ds_store_b32 v28, v29
.LBB1035_68:
	s_or_b32 exec_lo, exec_lo, s8
	v_cmp_gt_u32_e32 vcc_lo, 32, v0
	s_mov_b32 s9, exec_lo
	s_waitcnt lgkmcnt(0)
	s_barrier
	buffer_gl0_inv
                                        ; implicit-def: $vgpr35
	v_cmpx_lt_u32_e32 31, v0
	s_cbranch_execz .LBB1035_70
; %bb.69:
	v_lshl_add_u32 v28, v51, 2, -4
	ds_load_b32 v35, v28
	s_waitcnt lgkmcnt(0)
	v_add_nc_u32_e32 v27, v35, v27
.LBB1035_70:
	s_or_b32 exec_lo, exec_lo, s9
	v_add_nc_u32_e32 v28, -1, v50
	s_delay_alu instid0(VALU_DEP_1) | instskip(NEXT) | instid1(VALU_DEP_1)
	v_cmp_gt_i32_e64 s8, 0, v28
	v_cndmask_b32_e64 v28, v28, v50, s8
	v_cmp_eq_u32_e64 s8, 0, v50
	s_delay_alu instid0(VALU_DEP_2)
	v_lshlrev_b32_e32 v28, 2, v28
	ds_bpermute_b32 v37, v28, v27
	s_and_saveexec_b32 s9, vcc_lo
	s_cbranch_execz .LBB1035_93
; %bb.71:
	v_mov_b32_e32 v31, 0
	ds_load_b32 v27, v31 offset:60
	s_and_saveexec_b32 s19, s8
	s_cbranch_execz .LBB1035_73
; %bb.72:
	s_add_i32 s20, s15, 32
	s_mov_b32 s21, 0
	v_mov_b32_e32 v28, 1
	s_lshl_b64 s[20:21], s[20:21], 3
	s_delay_alu instid0(SALU_CYCLE_1)
	s_add_u32 s20, s12, s20
	s_addc_u32 s21, s13, s21
	s_waitcnt lgkmcnt(0)
	global_store_b64 v31, v[27:28], s[20:21]
.LBB1035_73:
	s_or_b32 exec_lo, exec_lo, s19
	v_xad_u32 v29, v50, -1, s15
	s_mov_b32 s20, 0
	s_mov_b32 s19, exec_lo
	s_delay_alu instid0(VALU_DEP_1) | instskip(NEXT) | instid1(VALU_DEP_1)
	v_add_nc_u32_e32 v30, 32, v29
	v_lshlrev_b64 v[30:31], 3, v[30:31]
	s_delay_alu instid0(VALU_DEP_1) | instskip(NEXT) | instid1(VALU_DEP_2)
	v_add_co_u32 v33, vcc_lo, s12, v30
	v_add_co_ci_u32_e32 v34, vcc_lo, s13, v31, vcc_lo
	global_load_b64 v[31:32], v[33:34], off glc
	s_waitcnt vmcnt(0)
	v_and_b32_e32 v28, 0xff, v32
	s_delay_alu instid0(VALU_DEP_1)
	v_cmpx_eq_u16_e32 0, v28
	s_cbranch_execz .LBB1035_79
; %bb.74:
	s_mov_b32 s21, 1
	.p2align	6
.LBB1035_75:                            ; =>This Loop Header: Depth=1
                                        ;     Child Loop BB1035_76 Depth 2
	s_delay_alu instid0(SALU_CYCLE_1)
	s_max_u32 s22, s21, 1
.LBB1035_76:                            ;   Parent Loop BB1035_75 Depth=1
                                        ; =>  This Inner Loop Header: Depth=2
	s_delay_alu instid0(SALU_CYCLE_1)
	s_add_i32 s22, s22, -1
	s_sleep 1
	s_cmp_eq_u32 s22, 0
	s_cbranch_scc0 .LBB1035_76
; %bb.77:                               ;   in Loop: Header=BB1035_75 Depth=1
	global_load_b64 v[31:32], v[33:34], off glc
	s_cmp_lt_u32 s21, 32
	s_cselect_b32 s22, -1, 0
	s_delay_alu instid0(SALU_CYCLE_1) | instskip(SKIP_3) | instid1(VALU_DEP_1)
	s_cmp_lg_u32 s22, 0
	s_addc_u32 s21, s21, 0
	s_waitcnt vmcnt(0)
	v_and_b32_e32 v28, 0xff, v32
	v_cmp_ne_u16_e32 vcc_lo, 0, v28
	s_or_b32 s20, vcc_lo, s20
	s_delay_alu instid0(SALU_CYCLE_1)
	s_and_not1_b32 exec_lo, exec_lo, s20
	s_cbranch_execnz .LBB1035_75
; %bb.78:
	s_or_b32 exec_lo, exec_lo, s20
.LBB1035_79:
	s_delay_alu instid0(SALU_CYCLE_1)
	s_or_b32 exec_lo, exec_lo, s19
	v_cmp_ne_u32_e32 vcc_lo, 31, v50
	v_lshlrev_b32_e64 v41, v50, -1
	v_add_nc_u32_e32 v45, 2, v50
	v_add_nc_u32_e32 v58, 16, v50
	v_add_co_ci_u32_e32 v28, vcc_lo, 0, v50, vcc_lo
	s_delay_alu instid0(VALU_DEP_1)
	v_lshlrev_b32_e32 v39, 2, v28
	v_and_b32_e32 v28, 0xff, v32
	ds_bpermute_b32 v30, v39, v31
	v_cmp_eq_u16_e32 vcc_lo, 2, v28
	v_and_or_b32 v28, vcc_lo, v41, 0x80000000
	v_cmp_gt_u32_e32 vcc_lo, 30, v50
	s_delay_alu instid0(VALU_DEP_2) | instskip(SKIP_1) | instid1(VALU_DEP_2)
	v_ctz_i32_b32_e32 v28, v28
	v_cndmask_b32_e64 v33, 0, 1, vcc_lo
	v_cmp_lt_u32_e32 vcc_lo, v50, v28
	s_waitcnt lgkmcnt(0)
	s_delay_alu instid0(VALU_DEP_2) | instskip(NEXT) | instid1(VALU_DEP_1)
	v_dual_cndmask_b32 v30, 0, v30 :: v_dual_lshlrev_b32 v33, 1, v33
	v_add_lshl_u32 v43, v33, v50, 2
	v_cmp_gt_u32_e32 vcc_lo, 28, v50
	s_delay_alu instid0(VALU_DEP_3) | instskip(SKIP_4) | instid1(VALU_DEP_1)
	v_add_nc_u32_e32 v30, v30, v31
	v_cndmask_b32_e64 v33, 0, 1, vcc_lo
	v_cmp_le_u32_e32 vcc_lo, v45, v28
	ds_bpermute_b32 v31, v43, v30
	v_lshlrev_b32_e32 v33, 2, v33
	v_add_lshl_u32 v53, v33, v50, 2
	s_waitcnt lgkmcnt(0)
	v_cndmask_b32_e32 v31, 0, v31, vcc_lo
	v_cmp_gt_u32_e32 vcc_lo, 24, v50
	s_delay_alu instid0(VALU_DEP_2) | instskip(SKIP_4) | instid1(VALU_DEP_2)
	v_add_nc_u32_e32 v30, v30, v31
	v_cndmask_b32_e64 v33, 0, 1, vcc_lo
	ds_bpermute_b32 v31, v53, v30
	v_add_nc_u32_e32 v54, 4, v50
	v_lshlrev_b32_e32 v33, 3, v33
	v_cmp_le_u32_e32 vcc_lo, v54, v28
	s_delay_alu instid0(VALU_DEP_2) | instskip(SKIP_3) | instid1(VALU_DEP_2)
	v_add_lshl_u32 v55, v33, v50, 2
	s_waitcnt lgkmcnt(0)
	v_cndmask_b32_e32 v31, 0, v31, vcc_lo
	v_cmp_gt_u32_e32 vcc_lo, 16, v50
	v_add_nc_u32_e32 v30, v30, v31
	v_cndmask_b32_e64 v33, 0, 1, vcc_lo
	ds_bpermute_b32 v31, v55, v30
	v_add_nc_u32_e32 v56, 8, v50
	v_lshlrev_b32_e32 v33, 4, v33
	s_delay_alu instid0(VALU_DEP_2) | instskip(NEXT) | instid1(VALU_DEP_2)
	v_cmp_le_u32_e32 vcc_lo, v56, v28
	v_add_lshl_u32 v57, v33, v50, 2
	s_waitcnt lgkmcnt(0)
	v_cndmask_b32_e32 v31, 0, v31, vcc_lo
	v_cmp_le_u32_e32 vcc_lo, v58, v28
	s_delay_alu instid0(VALU_DEP_2) | instskip(SKIP_3) | instid1(VALU_DEP_1)
	v_add_nc_u32_e32 v30, v30, v31
	ds_bpermute_b32 v31, v57, v30
	s_waitcnt lgkmcnt(0)
	v_cndmask_b32_e32 v28, 0, v31, vcc_lo
	v_dual_mov_b32 v30, 0 :: v_dual_add_nc_u32 v31, v30, v28
	s_branch .LBB1035_81
.LBB1035_80:                            ;   in Loop: Header=BB1035_81 Depth=1
	s_or_b32 exec_lo, exec_lo, s19
	ds_bpermute_b32 v34, v39, v31
	v_and_b32_e32 v33, 0xff, v32
	v_subrev_nc_u32_e32 v29, 32, v29
	s_delay_alu instid0(VALU_DEP_2) | instskip(SKIP_1) | instid1(VALU_DEP_1)
	v_cmp_eq_u16_e32 vcc_lo, 2, v33
	v_and_or_b32 v33, vcc_lo, v41, 0x80000000
	v_ctz_i32_b32_e32 v33, v33
	s_delay_alu instid0(VALU_DEP_1) | instskip(SKIP_3) | instid1(VALU_DEP_2)
	v_cmp_lt_u32_e32 vcc_lo, v50, v33
	s_waitcnt lgkmcnt(0)
	v_cndmask_b32_e32 v34, 0, v34, vcc_lo
	v_cmp_le_u32_e32 vcc_lo, v45, v33
	v_add_nc_u32_e32 v31, v34, v31
	ds_bpermute_b32 v34, v43, v31
	s_waitcnt lgkmcnt(0)
	v_cndmask_b32_e32 v34, 0, v34, vcc_lo
	v_cmp_le_u32_e32 vcc_lo, v54, v33
	s_delay_alu instid0(VALU_DEP_2) | instskip(SKIP_4) | instid1(VALU_DEP_2)
	v_add_nc_u32_e32 v31, v31, v34
	ds_bpermute_b32 v34, v53, v31
	s_waitcnt lgkmcnt(0)
	v_cndmask_b32_e32 v34, 0, v34, vcc_lo
	v_cmp_le_u32_e32 vcc_lo, v56, v33
	v_add_nc_u32_e32 v31, v31, v34
	ds_bpermute_b32 v34, v55, v31
	s_waitcnt lgkmcnt(0)
	v_cndmask_b32_e32 v34, 0, v34, vcc_lo
	v_cmp_le_u32_e32 vcc_lo, v58, v33
	s_delay_alu instid0(VALU_DEP_2) | instskip(SKIP_3) | instid1(VALU_DEP_1)
	v_add_nc_u32_e32 v31, v31, v34
	ds_bpermute_b32 v34, v57, v31
	s_waitcnt lgkmcnt(0)
	v_cndmask_b32_e32 v33, 0, v34, vcc_lo
	v_add3_u32 v31, v33, v28, v31
.LBB1035_81:                            ; =>This Loop Header: Depth=1
                                        ;     Child Loop BB1035_84 Depth 2
                                        ;       Child Loop BB1035_85 Depth 3
	v_and_b32_e32 v28, 0xff, v32
	s_delay_alu instid0(VALU_DEP_1) | instskip(SKIP_2) | instid1(VALU_DEP_1)
	v_cmp_ne_u16_e32 vcc_lo, 2, v28
	v_cndmask_b32_e64 v28, 0, 1, vcc_lo
	;;#ASMSTART
	;;#ASMEND
	v_cmp_ne_u32_e32 vcc_lo, 0, v28
	v_mov_b32_e32 v28, v31
	s_cmp_lg_u32 vcc_lo, exec_lo
	s_cbranch_scc1 .LBB1035_88
; %bb.82:                               ;   in Loop: Header=BB1035_81 Depth=1
	v_lshlrev_b64 v[31:32], 3, v[29:30]
	s_mov_b32 s19, exec_lo
	s_delay_alu instid0(VALU_DEP_1) | instskip(NEXT) | instid1(VALU_DEP_2)
	v_add_co_u32 v33, vcc_lo, s12, v31
	v_add_co_ci_u32_e32 v34, vcc_lo, s13, v32, vcc_lo
	global_load_b64 v[31:32], v[33:34], off glc
	s_waitcnt vmcnt(0)
	v_and_b32_e32 v59, 0xff, v32
	s_delay_alu instid0(VALU_DEP_1)
	v_cmpx_eq_u16_e32 0, v59
	s_cbranch_execz .LBB1035_80
; %bb.83:                               ;   in Loop: Header=BB1035_81 Depth=1
	s_mov_b32 s21, 1
	s_mov_b32 s20, 0
	.p2align	6
.LBB1035_84:                            ;   Parent Loop BB1035_81 Depth=1
                                        ; =>  This Loop Header: Depth=2
                                        ;       Child Loop BB1035_85 Depth 3
	s_max_u32 s22, s21, 1
.LBB1035_85:                            ;   Parent Loop BB1035_81 Depth=1
                                        ;     Parent Loop BB1035_84 Depth=2
                                        ; =>    This Inner Loop Header: Depth=3
	s_delay_alu instid0(SALU_CYCLE_1)
	s_add_i32 s22, s22, -1
	s_sleep 1
	s_cmp_eq_u32 s22, 0
	s_cbranch_scc0 .LBB1035_85
; %bb.86:                               ;   in Loop: Header=BB1035_84 Depth=2
	global_load_b64 v[31:32], v[33:34], off glc
	s_cmp_lt_u32 s21, 32
	s_cselect_b32 s22, -1, 0
	s_delay_alu instid0(SALU_CYCLE_1) | instskip(SKIP_3) | instid1(VALU_DEP_1)
	s_cmp_lg_u32 s22, 0
	s_addc_u32 s21, s21, 0
	s_waitcnt vmcnt(0)
	v_and_b32_e32 v59, 0xff, v32
	v_cmp_ne_u16_e32 vcc_lo, 0, v59
	s_or_b32 s20, vcc_lo, s20
	s_delay_alu instid0(SALU_CYCLE_1)
	s_and_not1_b32 exec_lo, exec_lo, s20
	s_cbranch_execnz .LBB1035_84
; %bb.87:                               ;   in Loop: Header=BB1035_81 Depth=1
	s_or_b32 exec_lo, exec_lo, s20
	s_branch .LBB1035_80
.LBB1035_88:                            ;   in Loop: Header=BB1035_81 Depth=1
                                        ; implicit-def: $vgpr31
                                        ; implicit-def: $vgpr32
	s_cbranch_execz .LBB1035_81
; %bb.89:
	s_and_saveexec_b32 s19, s8
	s_cbranch_execz .LBB1035_91
; %bb.90:
	s_add_i32 s20, s15, 32
	s_mov_b32 s21, 0
	v_dual_mov_b32 v30, 2 :: v_dual_add_nc_u32 v29, v28, v27
	s_lshl_b64 s[20:21], s[20:21], 3
	v_mov_b32_e32 v31, 0
	s_add_u32 s20, s12, s20
	s_addc_u32 s21, s13, s21
	global_store_b64 v31, v[29:30], s[20:21]
	ds_store_b64 v31, v[27:28] offset:33792
.LBB1035_91:
	s_or_b32 exec_lo, exec_lo, s19
	v_cmp_eq_u32_e32 vcc_lo, 0, v0
	s_and_b32 exec_lo, exec_lo, vcc_lo
	s_cbranch_execz .LBB1035_93
; %bb.92:
	v_mov_b32_e32 v27, 0
	ds_store_b32 v27, v28 offset:60
.LBB1035_93:
	s_or_b32 exec_lo, exec_lo, s9
	v_mov_b32_e32 v27, 0
	s_waitcnt lgkmcnt(0)
	s_waitcnt_vscnt null, 0x0
	s_barrier
	buffer_gl0_inv
	v_cndmask_b32_e64 v29, v37, v35, s8
	ds_load_b32 v28, v27 offset:60
	v_cmp_ne_u32_e32 vcc_lo, 0, v0
	s_waitcnt lgkmcnt(0)
	s_barrier
	buffer_gl0_inv
	v_cndmask_b32_e32 v29, 0, v29, vcc_lo
	s_delay_alu instid0(VALU_DEP_1) | instskip(SKIP_2) | instid1(VALU_DEP_1)
	v_add_nc_u32_e32 v45, v28, v29
	ds_load_b64 v[27:28], v27 offset:33792
	v_add_nc_u32_e32 v43, v45, v36
	v_add_nc_u32_e32 v41, v43, v38
	s_delay_alu instid0(VALU_DEP_1) | instskip(NEXT) | instid1(VALU_DEP_1)
	v_add_nc_u32_e32 v39, v41, v40
	v_add_nc_u32_e32 v37, v39, v42
	s_delay_alu instid0(VALU_DEP_1) | instskip(NEXT) | instid1(VALU_DEP_1)
	v_add_nc_u32_e32 v35, v37, v44
	v_add_nc_u32_e32 v33, v35, v46
	s_delay_alu instid0(VALU_DEP_1)
	v_add_nc_u32_e32 v31, v33, v49
	s_load_b64 s[8:9], s[0:1], 0x28
	v_lshrrev_b64 v[29:30], 24, v[25:26]
	s_branch .LBB1035_104
.LBB1035_94:
                                        ; implicit-def: $vgpr31
                                        ; implicit-def: $vgpr33
                                        ; implicit-def: $vgpr35
                                        ; implicit-def: $vgpr37
                                        ; implicit-def: $vgpr39
                                        ; implicit-def: $vgpr41
                                        ; implicit-def: $vgpr43
                                        ; implicit-def: $vgpr45
                                        ; implicit-def: $vgpr28
	s_load_b64 s[8:9], s[0:1], 0x28
	v_lshrrev_b64 v[29:30], 24, v[25:26]
	s_and_b32 vcc_lo, exec_lo, s19
	s_cbranch_vccz .LBB1035_104
; %bb.95:
	s_waitcnt lgkmcnt(0)
	v_mov_b32_dpp v27, v52 row_shr:1 row_mask:0xf bank_mask:0xf
	s_delay_alu instid0(VALU_DEP_1) | instskip(NEXT) | instid1(VALU_DEP_1)
	v_cndmask_b32_e64 v27, v27, 0, s4
	v_add_nc_u32_e32 v27, v27, v52
	s_delay_alu instid0(VALU_DEP_1) | instskip(NEXT) | instid1(VALU_DEP_1)
	v_mov_b32_dpp v28, v27 row_shr:2 row_mask:0xf bank_mask:0xf
	v_cndmask_b32_e64 v28, 0, v28, s2
	s_delay_alu instid0(VALU_DEP_1) | instskip(NEXT) | instid1(VALU_DEP_1)
	v_add_nc_u32_e32 v27, v27, v28
	v_mov_b32_dpp v28, v27 row_shr:4 row_mask:0xf bank_mask:0xf
	s_delay_alu instid0(VALU_DEP_1) | instskip(NEXT) | instid1(VALU_DEP_1)
	v_cndmask_b32_e64 v28, 0, v28, s5
	v_add_nc_u32_e32 v27, v27, v28
	s_delay_alu instid0(VALU_DEP_1) | instskip(NEXT) | instid1(VALU_DEP_1)
	v_mov_b32_dpp v28, v27 row_shr:8 row_mask:0xf bank_mask:0xf
	v_cndmask_b32_e64 v28, 0, v28, s3
	s_delay_alu instid0(VALU_DEP_1) | instskip(SKIP_3) | instid1(VALU_DEP_1)
	v_add_nc_u32_e32 v27, v27, v28
	ds_swizzle_b32 v28, v27 offset:swizzle(BROADCAST,32,15)
	s_waitcnt lgkmcnt(0)
	v_cndmask_b32_e64 v28, v28, 0, s7
	v_add_nc_u32_e32 v27, v27, v28
	s_and_saveexec_b32 s0, s6
	s_cbranch_execz .LBB1035_97
; %bb.96:
	v_lshlrev_b32_e32 v28, 2, v51
	ds_store_b32 v28, v27
.LBB1035_97:
	s_or_b32 exec_lo, exec_lo, s0
	s_delay_alu instid0(SALU_CYCLE_1)
	s_mov_b32 s0, exec_lo
	s_waitcnt lgkmcnt(0)
	s_barrier
	buffer_gl0_inv
	v_cmpx_gt_u32_e32 16, v0
	s_cbranch_execz .LBB1035_99
; %bb.98:
	v_lshlrev_b32_e32 v28, 2, v0
	ds_load_b32 v30, v28
	s_waitcnt lgkmcnt(0)
	v_mov_b32_dpp v31, v30 row_shr:1 row_mask:0xf bank_mask:0xf
	s_delay_alu instid0(VALU_DEP_1) | instskip(NEXT) | instid1(VALU_DEP_1)
	v_cndmask_b32_e64 v31, v31, 0, s4
	v_add_nc_u32_e32 v30, v31, v30
	s_delay_alu instid0(VALU_DEP_1) | instskip(NEXT) | instid1(VALU_DEP_1)
	v_mov_b32_dpp v31, v30 row_shr:2 row_mask:0xf bank_mask:0xf
	v_cndmask_b32_e64 v31, 0, v31, s2
	s_delay_alu instid0(VALU_DEP_1) | instskip(NEXT) | instid1(VALU_DEP_1)
	v_add_nc_u32_e32 v30, v30, v31
	v_mov_b32_dpp v31, v30 row_shr:4 row_mask:0xf bank_mask:0xf
	s_delay_alu instid0(VALU_DEP_1) | instskip(NEXT) | instid1(VALU_DEP_1)
	v_cndmask_b32_e64 v31, 0, v31, s5
	v_add_nc_u32_e32 v30, v30, v31
	s_delay_alu instid0(VALU_DEP_1) | instskip(NEXT) | instid1(VALU_DEP_1)
	v_mov_b32_dpp v31, v30 row_shr:8 row_mask:0xf bank_mask:0xf
	v_cndmask_b32_e64 v31, 0, v31, s3
	s_delay_alu instid0(VALU_DEP_1)
	v_add_nc_u32_e32 v30, v30, v31
	ds_store_b32 v28, v30
.LBB1035_99:
	s_or_b32 exec_lo, exec_lo, s0
	v_mov_b32_e32 v28, 0
	v_mov_b32_e32 v30, 0
	s_mov_b32 s0, exec_lo
	s_waitcnt lgkmcnt(0)
	s_barrier
	buffer_gl0_inv
	v_cmpx_lt_u32_e32 31, v0
	s_cbranch_execz .LBB1035_101
; %bb.100:
	v_lshl_add_u32 v30, v51, 2, -4
	ds_load_b32 v30, v30
.LBB1035_101:
	s_or_b32 exec_lo, exec_lo, s0
	v_add_nc_u32_e32 v31, -1, v50
	s_waitcnt lgkmcnt(0)
	v_add_nc_u32_e32 v27, v30, v27
	s_delay_alu instid0(VALU_DEP_2) | instskip(SKIP_2) | instid1(VALU_DEP_2)
	v_cmp_gt_i32_e32 vcc_lo, 0, v31
	v_cndmask_b32_e32 v31, v31, v50, vcc_lo
	v_cmp_eq_u32_e32 vcc_lo, 0, v0
	v_lshlrev_b32_e32 v31, 2, v31
	ds_bpermute_b32 v31, v31, v27
	ds_load_b32 v27, v28 offset:60
	s_and_saveexec_b32 s0, vcc_lo
	s_cbranch_execz .LBB1035_103
; %bb.102:
	v_mov_b32_e32 v32, 0
	v_mov_b32_e32 v28, 2
	s_waitcnt lgkmcnt(0)
	global_store_b64 v32, v[27:28], s[12:13] offset:256
.LBB1035_103:
	s_or_b32 exec_lo, exec_lo, s0
	v_cmp_eq_u32_e64 s0, 0, v50
	s_waitcnt lgkmcnt(0)
	s_waitcnt_vscnt null, 0x0
	s_barrier
	buffer_gl0_inv
	v_cndmask_b32_e64 v28, v31, v30, s0
	s_delay_alu instid0(VALU_DEP_1) | instskip(NEXT) | instid1(VALU_DEP_1)
	v_cndmask_b32_e64 v45, v28, 0, vcc_lo
	v_dual_mov_b32 v28, 0 :: v_dual_add_nc_u32 v43, v45, v36
	s_delay_alu instid0(VALU_DEP_1) | instskip(NEXT) | instid1(VALU_DEP_1)
	v_add_nc_u32_e32 v41, v43, v38
	v_add_nc_u32_e32 v39, v41, v40
	s_delay_alu instid0(VALU_DEP_1) | instskip(NEXT) | instid1(VALU_DEP_1)
	v_add_nc_u32_e32 v37, v39, v42
	v_add_nc_u32_e32 v35, v37, v44
	;; [unrolled: 3-line block ×3, first 2 shown]
.LBB1035_104:
	s_waitcnt lgkmcnt(0)
	v_cmp_gt_u32_e32 vcc_lo, 0x201, v27
	v_lshrrev_b32_e32 v51, 8, v25
	v_lshrrev_b32_e32 v50, 16, v25
	;; [unrolled: 1-line block ×4, first 2 shown]
	v_cmp_lt_u32_e64 s0, 0x200, v27
	s_mov_b32 s1, -1
	s_cbranch_vccz .LBB1035_130
; %bb.105:
	v_add_nc_u32_e32 v32, v28, v27
	s_lshl_b64 s[2:3], s[10:11], 3
	s_delay_alu instid0(SALU_CYCLE_1) | instskip(SKIP_1) | instid1(VALU_DEP_1)
	s_add_u32 s1, s8, s2
	s_addc_u32 s2, s9, s3
	v_cmp_lt_u32_e32 vcc_lo, v45, v32
	s_or_b32 s4, s18, vcc_lo
	s_delay_alu instid0(SALU_CYCLE_1)
	s_and_saveexec_b32 s3, s4
	s_cbranch_execz .LBB1035_108
; %bb.106:
	v_and_b32_e32 v34, 1, v25
	s_delay_alu instid0(VALU_DEP_1)
	v_cmp_eq_u32_e32 vcc_lo, 1, v34
	s_and_b32 exec_lo, exec_lo, vcc_lo
	s_cbranch_execz .LBB1035_108
; %bb.107:
	v_mov_b32_e32 v46, 0
	s_delay_alu instid0(VALU_DEP_1) | instskip(NEXT) | instid1(VALU_DEP_1)
	v_lshlrev_b64 v[52:53], 3, v[45:46]
	v_add_co_u32 v52, vcc_lo, s1, v52
	s_delay_alu instid0(VALU_DEP_2)
	v_add_co_ci_u32_e32 v53, vcc_lo, s2, v53, vcc_lo
	global_store_b64 v[52:53], v[13:14], off
.LBB1035_108:
	s_or_b32 exec_lo, exec_lo, s3
	v_cmp_lt_u32_e32 vcc_lo, v43, v32
	s_or_b32 s4, s18, vcc_lo
	s_delay_alu instid0(SALU_CYCLE_1)
	s_and_saveexec_b32 s3, s4
	s_cbranch_execz .LBB1035_111
; %bb.109:
	v_and_b32_e32 v34, 1, v51
	s_delay_alu instid0(VALU_DEP_1)
	v_cmp_eq_u32_e32 vcc_lo, 1, v34
	s_and_b32 exec_lo, exec_lo, vcc_lo
	s_cbranch_execz .LBB1035_111
; %bb.110:
	v_mov_b32_e32 v44, 0
	s_delay_alu instid0(VALU_DEP_1) | instskip(NEXT) | instid1(VALU_DEP_1)
	v_lshlrev_b64 v[52:53], 3, v[43:44]
	v_add_co_u32 v52, vcc_lo, s1, v52
	s_delay_alu instid0(VALU_DEP_2)
	v_add_co_ci_u32_e32 v53, vcc_lo, s2, v53, vcc_lo
	global_store_b64 v[52:53], v[15:16], off
.LBB1035_111:
	s_or_b32 exec_lo, exec_lo, s3
	;; [unrolled: 21-line block ×8, first 2 shown]
	s_mov_b32 s1, 0
.LBB1035_130:
	v_and_b32_e32 v25, 1, v25
	s_and_b32 vcc_lo, exec_lo, s1
	s_delay_alu instid0(VALU_DEP_1)
	v_cmp_eq_u32_e64 s1, 1, v25
	s_cbranch_vccz .LBB1035_151
; %bb.131:
	s_delay_alu instid0(VALU_DEP_1)
	s_and_saveexec_b32 s2, s1
	s_cbranch_execz .LBB1035_133
; %bb.132:
	v_sub_nc_u32_e32 v32, v45, v28
	s_delay_alu instid0(VALU_DEP_1)
	v_lshlrev_b32_e32 v32, 3, v32
	ds_store_b64 v32, v[13:14]
.LBB1035_133:
	s_or_b32 exec_lo, exec_lo, s2
	v_and_b32_e32 v13, 1, v51
	s_mov_b32 s1, exec_lo
	s_delay_alu instid0(VALU_DEP_1)
	v_cmpx_eq_u32_e32 1, v13
	s_cbranch_execz .LBB1035_135
; %bb.134:
	v_sub_nc_u32_e32 v13, v43, v28
	s_delay_alu instid0(VALU_DEP_1)
	v_lshlrev_b32_e32 v13, 3, v13
	ds_store_b64 v13, v[15:16]
.LBB1035_135:
	s_or_b32 exec_lo, exec_lo, s1
	v_and_b32_e32 v13, 1, v50
	s_mov_b32 s1, exec_lo
	s_delay_alu instid0(VALU_DEP_1)
	v_cmpx_eq_u32_e32 1, v13
	;; [unrolled: 12-line block ×7, first 2 shown]
	s_cbranch_execz .LBB1035_147
; %bb.146:
	v_sub_nc_u32_e32 v1, v31, v28
	s_delay_alu instid0(VALU_DEP_1)
	v_lshlrev_b32_e32 v1, 3, v1
	ds_store_b64 v1, v[3:4]
.LBB1035_147:
	s_or_b32 exec_lo, exec_lo, s1
	s_delay_alu instid0(SALU_CYCLE_1)
	s_mov_b32 s2, exec_lo
	s_waitcnt lgkmcnt(0)
	s_waitcnt_vscnt null, 0x0
	s_barrier
	buffer_gl0_inv
	v_cmpx_lt_u32_e64 v0, v27
	s_cbranch_execz .LBB1035_150
; %bb.148:
	v_dual_mov_b32 v2, 0 :: v_dual_mov_b32 v1, v28
	s_lshl_b64 s[4:5], s[10:11], 3
	v_mov_b32_e32 v3, v0
	s_mov_b32 s3, 0
	s_delay_alu instid0(VALU_DEP_2) | instskip(NEXT) | instid1(VALU_DEP_1)
	v_lshlrev_b64 v[1:2], 3, v[1:2]
	v_add_co_u32 v1, vcc_lo, s4, v1
	s_delay_alu instid0(VALU_DEP_2) | instskip(NEXT) | instid1(VALU_DEP_2)
	v_add_co_ci_u32_e32 v2, vcc_lo, s5, v2, vcc_lo
	v_add_co_u32 v1, vcc_lo, s8, v1
	s_delay_alu instid0(VALU_DEP_2) | instskip(NEXT) | instid1(VALU_DEP_2)
	v_add_co_ci_u32_e32 v2, vcc_lo, s9, v2, vcc_lo
	v_add_co_u32 v1, vcc_lo, v1, v47
	s_delay_alu instid0(VALU_DEP_2)
	v_add_co_ci_u32_e32 v2, vcc_lo, 0, v2, vcc_lo
	.p2align	6
.LBB1035_149:                           ; =>This Inner Loop Header: Depth=1
	ds_load_b64 v[4:5], v47
	v_add_nc_u32_e32 v3, 0x200, v3
	v_add_nc_u32_e32 v47, 0x1000, v47
	s_delay_alu instid0(VALU_DEP_2) | instskip(SKIP_4) | instid1(VALU_DEP_1)
	v_cmp_ge_u32_e32 vcc_lo, v3, v27
	s_or_b32 s3, vcc_lo, s3
	s_waitcnt lgkmcnt(0)
	global_store_b64 v[1:2], v[4:5], off
	v_add_co_u32 v1, s1, 0x1000, v1
	v_add_co_ci_u32_e64 v2, s1, 0, v2, s1
	s_and_not1_b32 exec_lo, exec_lo, s3
	s_cbranch_execnz .LBB1035_149
.LBB1035_150:
	s_or_b32 exec_lo, exec_lo, s2
.LBB1035_151:
	s_delay_alu instid0(SALU_CYCLE_1)
	s_and_not1_b32 vcc_lo, exec_lo, s0
	s_waitcnt_vscnt null, 0x0
	s_barrier
	buffer_gl0_inv
	s_cbranch_vccnz .LBB1035_170
; %bb.152:
	s_mov_b32 s0, exec_lo
	v_cmpx_eq_u32_e32 1, v25
	s_cbranch_execz .LBB1035_154
; %bb.153:
	v_sub_nc_u32_e32 v1, v45, v28
	s_delay_alu instid0(VALU_DEP_1)
	v_lshlrev_b32_e32 v1, 2, v1
	ds_store_b32 v1, v23
.LBB1035_154:
	s_or_b32 exec_lo, exec_lo, s0
	v_and_b32_e32 v1, 1, v51
	s_mov_b32 s0, exec_lo
	s_delay_alu instid0(VALU_DEP_1)
	v_cmpx_eq_u32_e32 1, v1
	s_cbranch_execz .LBB1035_156
; %bb.155:
	v_sub_nc_u32_e32 v1, v43, v28
	s_delay_alu instid0(VALU_DEP_1)
	v_lshlrev_b32_e32 v1, 2, v1
	ds_store_b32 v1, v24
.LBB1035_156:
	s_or_b32 exec_lo, exec_lo, s0
	v_and_b32_e32 v1, 1, v50
	s_mov_b32 s0, exec_lo
	s_delay_alu instid0(VALU_DEP_1)
	;; [unrolled: 12-line block ×7, first 2 shown]
	v_cmpx_eq_u32_e32 1, v1
	s_cbranch_execz .LBB1035_168
; %bb.167:
	v_sub_nc_u32_e32 v1, v31, v28
	s_delay_alu instid0(VALU_DEP_1)
	v_lshlrev_b32_e32 v1, 2, v1
	ds_store_b32 v1, v18
.LBB1035_168:
	s_or_b32 exec_lo, exec_lo, s0
	s_waitcnt lgkmcnt(0)
	s_barrier
	buffer_gl0_inv
	v_cmp_eq_u32_e32 vcc_lo, 0, v0
	s_and_b32 s0, vcc_lo, s14
	s_delay_alu instid0(SALU_CYCLE_1)
	s_and_saveexec_b32 s1, s0
	s_cbranch_execnz .LBB1035_171
.LBB1035_169:
	s_endpgm
.LBB1035_170:
	v_cmp_eq_u32_e32 vcc_lo, 0, v0
	s_and_b32 s0, vcc_lo, s14
	s_delay_alu instid0(SALU_CYCLE_1)
	s_and_saveexec_b32 s1, s0
	s_cbranch_execz .LBB1035_169
.LBB1035_171:
	v_add_co_u32 v0, s0, s10, v27
	s_delay_alu instid0(VALU_DEP_1) | instskip(SKIP_1) | instid1(VALU_DEP_3)
	v_add_co_ci_u32_e64 v1, null, s11, 0, s0
	v_mov_b32_e32 v2, 0
	v_add_co_u32 v0, vcc_lo, v0, v28
	s_delay_alu instid0(VALU_DEP_3)
	v_add_co_ci_u32_e32 v1, vcc_lo, 0, v1, vcc_lo
	global_store_b64 v2, v[0:1], s[16:17]
	s_nop 0
	s_sendmsg sendmsg(MSG_DEALLOC_VGPRS)
	s_endpgm
	.section	.rodata,"a",@progbits
	.p2align	6, 0x0
	.amdhsa_kernel _ZN7rocprim17ROCPRIM_400000_NS6detail17trampoline_kernelINS0_14default_configENS1_25partition_config_selectorILNS1_17partition_subalgoE9ExjbEEZZNS1_14partition_implILS5_9ELb0ES3_jN6thrust23THRUST_200600_302600_NS6detail15normal_iteratorINS9_10device_ptrIxEEEENSB_INSC_IjEEEEPNS0_10empty_typeENS0_5tupleIJSE_SH_EEENSJ_IJNS9_16discard_iteratorINS9_11use_defaultEEESI_EEENS0_18inequality_wrapperINS9_8equal_toIxEEEEPmJSH_EEE10hipError_tPvRmT3_T4_T5_T6_T7_T9_mT8_P12ihipStream_tbDpT10_ENKUlT_T0_E_clISt17integral_constantIbLb1EES1C_IbLb0EEEEDaS18_S19_EUlS18_E_NS1_11comp_targetILNS1_3genE9ELNS1_11target_archE1100ELNS1_3gpuE3ELNS1_3repE0EEENS1_30default_config_static_selectorELNS0_4arch9wavefront6targetE0EEEvT1_
		.amdhsa_group_segment_fixed_size 33800
		.amdhsa_private_segment_fixed_size 0
		.amdhsa_kernarg_size 120
		.amdhsa_user_sgpr_count 15
		.amdhsa_user_sgpr_dispatch_ptr 0
		.amdhsa_user_sgpr_queue_ptr 0
		.amdhsa_user_sgpr_kernarg_segment_ptr 1
		.amdhsa_user_sgpr_dispatch_id 0
		.amdhsa_user_sgpr_private_segment_size 0
		.amdhsa_wavefront_size32 1
		.amdhsa_uses_dynamic_stack 0
		.amdhsa_enable_private_segment 0
		.amdhsa_system_sgpr_workgroup_id_x 1
		.amdhsa_system_sgpr_workgroup_id_y 0
		.amdhsa_system_sgpr_workgroup_id_z 0
		.amdhsa_system_sgpr_workgroup_info 0
		.amdhsa_system_vgpr_workitem_id 0
		.amdhsa_next_free_vgpr 60
		.amdhsa_next_free_sgpr 24
		.amdhsa_reserve_vcc 1
		.amdhsa_float_round_mode_32 0
		.amdhsa_float_round_mode_16_64 0
		.amdhsa_float_denorm_mode_32 3
		.amdhsa_float_denorm_mode_16_64 3
		.amdhsa_dx10_clamp 1
		.amdhsa_ieee_mode 1
		.amdhsa_fp16_overflow 0
		.amdhsa_workgroup_processor_mode 1
		.amdhsa_memory_ordered 1
		.amdhsa_forward_progress 0
		.amdhsa_shared_vgpr_count 0
		.amdhsa_exception_fp_ieee_invalid_op 0
		.amdhsa_exception_fp_denorm_src 0
		.amdhsa_exception_fp_ieee_div_zero 0
		.amdhsa_exception_fp_ieee_overflow 0
		.amdhsa_exception_fp_ieee_underflow 0
		.amdhsa_exception_fp_ieee_inexact 0
		.amdhsa_exception_int_div_zero 0
	.end_amdhsa_kernel
	.section	.text._ZN7rocprim17ROCPRIM_400000_NS6detail17trampoline_kernelINS0_14default_configENS1_25partition_config_selectorILNS1_17partition_subalgoE9ExjbEEZZNS1_14partition_implILS5_9ELb0ES3_jN6thrust23THRUST_200600_302600_NS6detail15normal_iteratorINS9_10device_ptrIxEEEENSB_INSC_IjEEEEPNS0_10empty_typeENS0_5tupleIJSE_SH_EEENSJ_IJNS9_16discard_iteratorINS9_11use_defaultEEESI_EEENS0_18inequality_wrapperINS9_8equal_toIxEEEEPmJSH_EEE10hipError_tPvRmT3_T4_T5_T6_T7_T9_mT8_P12ihipStream_tbDpT10_ENKUlT_T0_E_clISt17integral_constantIbLb1EES1C_IbLb0EEEEDaS18_S19_EUlS18_E_NS1_11comp_targetILNS1_3genE9ELNS1_11target_archE1100ELNS1_3gpuE3ELNS1_3repE0EEENS1_30default_config_static_selectorELNS0_4arch9wavefront6targetE0EEEvT1_,"axG",@progbits,_ZN7rocprim17ROCPRIM_400000_NS6detail17trampoline_kernelINS0_14default_configENS1_25partition_config_selectorILNS1_17partition_subalgoE9ExjbEEZZNS1_14partition_implILS5_9ELb0ES3_jN6thrust23THRUST_200600_302600_NS6detail15normal_iteratorINS9_10device_ptrIxEEEENSB_INSC_IjEEEEPNS0_10empty_typeENS0_5tupleIJSE_SH_EEENSJ_IJNS9_16discard_iteratorINS9_11use_defaultEEESI_EEENS0_18inequality_wrapperINS9_8equal_toIxEEEEPmJSH_EEE10hipError_tPvRmT3_T4_T5_T6_T7_T9_mT8_P12ihipStream_tbDpT10_ENKUlT_T0_E_clISt17integral_constantIbLb1EES1C_IbLb0EEEEDaS18_S19_EUlS18_E_NS1_11comp_targetILNS1_3genE9ELNS1_11target_archE1100ELNS1_3gpuE3ELNS1_3repE0EEENS1_30default_config_static_selectorELNS0_4arch9wavefront6targetE0EEEvT1_,comdat
.Lfunc_end1035:
	.size	_ZN7rocprim17ROCPRIM_400000_NS6detail17trampoline_kernelINS0_14default_configENS1_25partition_config_selectorILNS1_17partition_subalgoE9ExjbEEZZNS1_14partition_implILS5_9ELb0ES3_jN6thrust23THRUST_200600_302600_NS6detail15normal_iteratorINS9_10device_ptrIxEEEENSB_INSC_IjEEEEPNS0_10empty_typeENS0_5tupleIJSE_SH_EEENSJ_IJNS9_16discard_iteratorINS9_11use_defaultEEESI_EEENS0_18inequality_wrapperINS9_8equal_toIxEEEEPmJSH_EEE10hipError_tPvRmT3_T4_T5_T6_T7_T9_mT8_P12ihipStream_tbDpT10_ENKUlT_T0_E_clISt17integral_constantIbLb1EES1C_IbLb0EEEEDaS18_S19_EUlS18_E_NS1_11comp_targetILNS1_3genE9ELNS1_11target_archE1100ELNS1_3gpuE3ELNS1_3repE0EEENS1_30default_config_static_selectorELNS0_4arch9wavefront6targetE0EEEvT1_, .Lfunc_end1035-_ZN7rocprim17ROCPRIM_400000_NS6detail17trampoline_kernelINS0_14default_configENS1_25partition_config_selectorILNS1_17partition_subalgoE9ExjbEEZZNS1_14partition_implILS5_9ELb0ES3_jN6thrust23THRUST_200600_302600_NS6detail15normal_iteratorINS9_10device_ptrIxEEEENSB_INSC_IjEEEEPNS0_10empty_typeENS0_5tupleIJSE_SH_EEENSJ_IJNS9_16discard_iteratorINS9_11use_defaultEEESI_EEENS0_18inequality_wrapperINS9_8equal_toIxEEEEPmJSH_EEE10hipError_tPvRmT3_T4_T5_T6_T7_T9_mT8_P12ihipStream_tbDpT10_ENKUlT_T0_E_clISt17integral_constantIbLb1EES1C_IbLb0EEEEDaS18_S19_EUlS18_E_NS1_11comp_targetILNS1_3genE9ELNS1_11target_archE1100ELNS1_3gpuE3ELNS1_3repE0EEENS1_30default_config_static_selectorELNS0_4arch9wavefront6targetE0EEEvT1_
                                        ; -- End function
	.section	.AMDGPU.csdata,"",@progbits
; Kernel info:
; codeLenInByte = 8572
; NumSgprs: 26
; NumVgprs: 60
; ScratchSize: 0
; MemoryBound: 0
; FloatMode: 240
; IeeeMode: 1
; LDSByteSize: 33800 bytes/workgroup (compile time only)
; SGPRBlocks: 3
; VGPRBlocks: 7
; NumSGPRsForWavesPerEU: 26
; NumVGPRsForWavesPerEU: 60
; Occupancy: 12
; WaveLimiterHint : 1
; COMPUTE_PGM_RSRC2:SCRATCH_EN: 0
; COMPUTE_PGM_RSRC2:USER_SGPR: 15
; COMPUTE_PGM_RSRC2:TRAP_HANDLER: 0
; COMPUTE_PGM_RSRC2:TGID_X_EN: 1
; COMPUTE_PGM_RSRC2:TGID_Y_EN: 0
; COMPUTE_PGM_RSRC2:TGID_Z_EN: 0
; COMPUTE_PGM_RSRC2:TIDIG_COMP_CNT: 0
	.section	.text._ZN7rocprim17ROCPRIM_400000_NS6detail17trampoline_kernelINS0_14default_configENS1_25partition_config_selectorILNS1_17partition_subalgoE9ExjbEEZZNS1_14partition_implILS5_9ELb0ES3_jN6thrust23THRUST_200600_302600_NS6detail15normal_iteratorINS9_10device_ptrIxEEEENSB_INSC_IjEEEEPNS0_10empty_typeENS0_5tupleIJSE_SH_EEENSJ_IJNS9_16discard_iteratorINS9_11use_defaultEEESI_EEENS0_18inequality_wrapperINS9_8equal_toIxEEEEPmJSH_EEE10hipError_tPvRmT3_T4_T5_T6_T7_T9_mT8_P12ihipStream_tbDpT10_ENKUlT_T0_E_clISt17integral_constantIbLb1EES1C_IbLb0EEEEDaS18_S19_EUlS18_E_NS1_11comp_targetILNS1_3genE8ELNS1_11target_archE1030ELNS1_3gpuE2ELNS1_3repE0EEENS1_30default_config_static_selectorELNS0_4arch9wavefront6targetE0EEEvT1_,"axG",@progbits,_ZN7rocprim17ROCPRIM_400000_NS6detail17trampoline_kernelINS0_14default_configENS1_25partition_config_selectorILNS1_17partition_subalgoE9ExjbEEZZNS1_14partition_implILS5_9ELb0ES3_jN6thrust23THRUST_200600_302600_NS6detail15normal_iteratorINS9_10device_ptrIxEEEENSB_INSC_IjEEEEPNS0_10empty_typeENS0_5tupleIJSE_SH_EEENSJ_IJNS9_16discard_iteratorINS9_11use_defaultEEESI_EEENS0_18inequality_wrapperINS9_8equal_toIxEEEEPmJSH_EEE10hipError_tPvRmT3_T4_T5_T6_T7_T9_mT8_P12ihipStream_tbDpT10_ENKUlT_T0_E_clISt17integral_constantIbLb1EES1C_IbLb0EEEEDaS18_S19_EUlS18_E_NS1_11comp_targetILNS1_3genE8ELNS1_11target_archE1030ELNS1_3gpuE2ELNS1_3repE0EEENS1_30default_config_static_selectorELNS0_4arch9wavefront6targetE0EEEvT1_,comdat
	.protected	_ZN7rocprim17ROCPRIM_400000_NS6detail17trampoline_kernelINS0_14default_configENS1_25partition_config_selectorILNS1_17partition_subalgoE9ExjbEEZZNS1_14partition_implILS5_9ELb0ES3_jN6thrust23THRUST_200600_302600_NS6detail15normal_iteratorINS9_10device_ptrIxEEEENSB_INSC_IjEEEEPNS0_10empty_typeENS0_5tupleIJSE_SH_EEENSJ_IJNS9_16discard_iteratorINS9_11use_defaultEEESI_EEENS0_18inequality_wrapperINS9_8equal_toIxEEEEPmJSH_EEE10hipError_tPvRmT3_T4_T5_T6_T7_T9_mT8_P12ihipStream_tbDpT10_ENKUlT_T0_E_clISt17integral_constantIbLb1EES1C_IbLb0EEEEDaS18_S19_EUlS18_E_NS1_11comp_targetILNS1_3genE8ELNS1_11target_archE1030ELNS1_3gpuE2ELNS1_3repE0EEENS1_30default_config_static_selectorELNS0_4arch9wavefront6targetE0EEEvT1_ ; -- Begin function _ZN7rocprim17ROCPRIM_400000_NS6detail17trampoline_kernelINS0_14default_configENS1_25partition_config_selectorILNS1_17partition_subalgoE9ExjbEEZZNS1_14partition_implILS5_9ELb0ES3_jN6thrust23THRUST_200600_302600_NS6detail15normal_iteratorINS9_10device_ptrIxEEEENSB_INSC_IjEEEEPNS0_10empty_typeENS0_5tupleIJSE_SH_EEENSJ_IJNS9_16discard_iteratorINS9_11use_defaultEEESI_EEENS0_18inequality_wrapperINS9_8equal_toIxEEEEPmJSH_EEE10hipError_tPvRmT3_T4_T5_T6_T7_T9_mT8_P12ihipStream_tbDpT10_ENKUlT_T0_E_clISt17integral_constantIbLb1EES1C_IbLb0EEEEDaS18_S19_EUlS18_E_NS1_11comp_targetILNS1_3genE8ELNS1_11target_archE1030ELNS1_3gpuE2ELNS1_3repE0EEENS1_30default_config_static_selectorELNS0_4arch9wavefront6targetE0EEEvT1_
	.globl	_ZN7rocprim17ROCPRIM_400000_NS6detail17trampoline_kernelINS0_14default_configENS1_25partition_config_selectorILNS1_17partition_subalgoE9ExjbEEZZNS1_14partition_implILS5_9ELb0ES3_jN6thrust23THRUST_200600_302600_NS6detail15normal_iteratorINS9_10device_ptrIxEEEENSB_INSC_IjEEEEPNS0_10empty_typeENS0_5tupleIJSE_SH_EEENSJ_IJNS9_16discard_iteratorINS9_11use_defaultEEESI_EEENS0_18inequality_wrapperINS9_8equal_toIxEEEEPmJSH_EEE10hipError_tPvRmT3_T4_T5_T6_T7_T9_mT8_P12ihipStream_tbDpT10_ENKUlT_T0_E_clISt17integral_constantIbLb1EES1C_IbLb0EEEEDaS18_S19_EUlS18_E_NS1_11comp_targetILNS1_3genE8ELNS1_11target_archE1030ELNS1_3gpuE2ELNS1_3repE0EEENS1_30default_config_static_selectorELNS0_4arch9wavefront6targetE0EEEvT1_
	.p2align	8
	.type	_ZN7rocprim17ROCPRIM_400000_NS6detail17trampoline_kernelINS0_14default_configENS1_25partition_config_selectorILNS1_17partition_subalgoE9ExjbEEZZNS1_14partition_implILS5_9ELb0ES3_jN6thrust23THRUST_200600_302600_NS6detail15normal_iteratorINS9_10device_ptrIxEEEENSB_INSC_IjEEEEPNS0_10empty_typeENS0_5tupleIJSE_SH_EEENSJ_IJNS9_16discard_iteratorINS9_11use_defaultEEESI_EEENS0_18inequality_wrapperINS9_8equal_toIxEEEEPmJSH_EEE10hipError_tPvRmT3_T4_T5_T6_T7_T9_mT8_P12ihipStream_tbDpT10_ENKUlT_T0_E_clISt17integral_constantIbLb1EES1C_IbLb0EEEEDaS18_S19_EUlS18_E_NS1_11comp_targetILNS1_3genE8ELNS1_11target_archE1030ELNS1_3gpuE2ELNS1_3repE0EEENS1_30default_config_static_selectorELNS0_4arch9wavefront6targetE0EEEvT1_,@function
_ZN7rocprim17ROCPRIM_400000_NS6detail17trampoline_kernelINS0_14default_configENS1_25partition_config_selectorILNS1_17partition_subalgoE9ExjbEEZZNS1_14partition_implILS5_9ELb0ES3_jN6thrust23THRUST_200600_302600_NS6detail15normal_iteratorINS9_10device_ptrIxEEEENSB_INSC_IjEEEEPNS0_10empty_typeENS0_5tupleIJSE_SH_EEENSJ_IJNS9_16discard_iteratorINS9_11use_defaultEEESI_EEENS0_18inequality_wrapperINS9_8equal_toIxEEEEPmJSH_EEE10hipError_tPvRmT3_T4_T5_T6_T7_T9_mT8_P12ihipStream_tbDpT10_ENKUlT_T0_E_clISt17integral_constantIbLb1EES1C_IbLb0EEEEDaS18_S19_EUlS18_E_NS1_11comp_targetILNS1_3genE8ELNS1_11target_archE1030ELNS1_3gpuE2ELNS1_3repE0EEENS1_30default_config_static_selectorELNS0_4arch9wavefront6targetE0EEEvT1_: ; @_ZN7rocprim17ROCPRIM_400000_NS6detail17trampoline_kernelINS0_14default_configENS1_25partition_config_selectorILNS1_17partition_subalgoE9ExjbEEZZNS1_14partition_implILS5_9ELb0ES3_jN6thrust23THRUST_200600_302600_NS6detail15normal_iteratorINS9_10device_ptrIxEEEENSB_INSC_IjEEEEPNS0_10empty_typeENS0_5tupleIJSE_SH_EEENSJ_IJNS9_16discard_iteratorINS9_11use_defaultEEESI_EEENS0_18inequality_wrapperINS9_8equal_toIxEEEEPmJSH_EEE10hipError_tPvRmT3_T4_T5_T6_T7_T9_mT8_P12ihipStream_tbDpT10_ENKUlT_T0_E_clISt17integral_constantIbLb1EES1C_IbLb0EEEEDaS18_S19_EUlS18_E_NS1_11comp_targetILNS1_3genE8ELNS1_11target_archE1030ELNS1_3gpuE2ELNS1_3repE0EEENS1_30default_config_static_selectorELNS0_4arch9wavefront6targetE0EEEvT1_
; %bb.0:
	.section	.rodata,"a",@progbits
	.p2align	6, 0x0
	.amdhsa_kernel _ZN7rocprim17ROCPRIM_400000_NS6detail17trampoline_kernelINS0_14default_configENS1_25partition_config_selectorILNS1_17partition_subalgoE9ExjbEEZZNS1_14partition_implILS5_9ELb0ES3_jN6thrust23THRUST_200600_302600_NS6detail15normal_iteratorINS9_10device_ptrIxEEEENSB_INSC_IjEEEEPNS0_10empty_typeENS0_5tupleIJSE_SH_EEENSJ_IJNS9_16discard_iteratorINS9_11use_defaultEEESI_EEENS0_18inequality_wrapperINS9_8equal_toIxEEEEPmJSH_EEE10hipError_tPvRmT3_T4_T5_T6_T7_T9_mT8_P12ihipStream_tbDpT10_ENKUlT_T0_E_clISt17integral_constantIbLb1EES1C_IbLb0EEEEDaS18_S19_EUlS18_E_NS1_11comp_targetILNS1_3genE8ELNS1_11target_archE1030ELNS1_3gpuE2ELNS1_3repE0EEENS1_30default_config_static_selectorELNS0_4arch9wavefront6targetE0EEEvT1_
		.amdhsa_group_segment_fixed_size 0
		.amdhsa_private_segment_fixed_size 0
		.amdhsa_kernarg_size 120
		.amdhsa_user_sgpr_count 15
		.amdhsa_user_sgpr_dispatch_ptr 0
		.amdhsa_user_sgpr_queue_ptr 0
		.amdhsa_user_sgpr_kernarg_segment_ptr 1
		.amdhsa_user_sgpr_dispatch_id 0
		.amdhsa_user_sgpr_private_segment_size 0
		.amdhsa_wavefront_size32 1
		.amdhsa_uses_dynamic_stack 0
		.amdhsa_enable_private_segment 0
		.amdhsa_system_sgpr_workgroup_id_x 1
		.amdhsa_system_sgpr_workgroup_id_y 0
		.amdhsa_system_sgpr_workgroup_id_z 0
		.amdhsa_system_sgpr_workgroup_info 0
		.amdhsa_system_vgpr_workitem_id 0
		.amdhsa_next_free_vgpr 1
		.amdhsa_next_free_sgpr 1
		.amdhsa_reserve_vcc 0
		.amdhsa_float_round_mode_32 0
		.amdhsa_float_round_mode_16_64 0
		.amdhsa_float_denorm_mode_32 3
		.amdhsa_float_denorm_mode_16_64 3
		.amdhsa_dx10_clamp 1
		.amdhsa_ieee_mode 1
		.amdhsa_fp16_overflow 0
		.amdhsa_workgroup_processor_mode 1
		.amdhsa_memory_ordered 1
		.amdhsa_forward_progress 0
		.amdhsa_shared_vgpr_count 0
		.amdhsa_exception_fp_ieee_invalid_op 0
		.amdhsa_exception_fp_denorm_src 0
		.amdhsa_exception_fp_ieee_div_zero 0
		.amdhsa_exception_fp_ieee_overflow 0
		.amdhsa_exception_fp_ieee_underflow 0
		.amdhsa_exception_fp_ieee_inexact 0
		.amdhsa_exception_int_div_zero 0
	.end_amdhsa_kernel
	.section	.text._ZN7rocprim17ROCPRIM_400000_NS6detail17trampoline_kernelINS0_14default_configENS1_25partition_config_selectorILNS1_17partition_subalgoE9ExjbEEZZNS1_14partition_implILS5_9ELb0ES3_jN6thrust23THRUST_200600_302600_NS6detail15normal_iteratorINS9_10device_ptrIxEEEENSB_INSC_IjEEEEPNS0_10empty_typeENS0_5tupleIJSE_SH_EEENSJ_IJNS9_16discard_iteratorINS9_11use_defaultEEESI_EEENS0_18inequality_wrapperINS9_8equal_toIxEEEEPmJSH_EEE10hipError_tPvRmT3_T4_T5_T6_T7_T9_mT8_P12ihipStream_tbDpT10_ENKUlT_T0_E_clISt17integral_constantIbLb1EES1C_IbLb0EEEEDaS18_S19_EUlS18_E_NS1_11comp_targetILNS1_3genE8ELNS1_11target_archE1030ELNS1_3gpuE2ELNS1_3repE0EEENS1_30default_config_static_selectorELNS0_4arch9wavefront6targetE0EEEvT1_,"axG",@progbits,_ZN7rocprim17ROCPRIM_400000_NS6detail17trampoline_kernelINS0_14default_configENS1_25partition_config_selectorILNS1_17partition_subalgoE9ExjbEEZZNS1_14partition_implILS5_9ELb0ES3_jN6thrust23THRUST_200600_302600_NS6detail15normal_iteratorINS9_10device_ptrIxEEEENSB_INSC_IjEEEEPNS0_10empty_typeENS0_5tupleIJSE_SH_EEENSJ_IJNS9_16discard_iteratorINS9_11use_defaultEEESI_EEENS0_18inequality_wrapperINS9_8equal_toIxEEEEPmJSH_EEE10hipError_tPvRmT3_T4_T5_T6_T7_T9_mT8_P12ihipStream_tbDpT10_ENKUlT_T0_E_clISt17integral_constantIbLb1EES1C_IbLb0EEEEDaS18_S19_EUlS18_E_NS1_11comp_targetILNS1_3genE8ELNS1_11target_archE1030ELNS1_3gpuE2ELNS1_3repE0EEENS1_30default_config_static_selectorELNS0_4arch9wavefront6targetE0EEEvT1_,comdat
.Lfunc_end1036:
	.size	_ZN7rocprim17ROCPRIM_400000_NS6detail17trampoline_kernelINS0_14default_configENS1_25partition_config_selectorILNS1_17partition_subalgoE9ExjbEEZZNS1_14partition_implILS5_9ELb0ES3_jN6thrust23THRUST_200600_302600_NS6detail15normal_iteratorINS9_10device_ptrIxEEEENSB_INSC_IjEEEEPNS0_10empty_typeENS0_5tupleIJSE_SH_EEENSJ_IJNS9_16discard_iteratorINS9_11use_defaultEEESI_EEENS0_18inequality_wrapperINS9_8equal_toIxEEEEPmJSH_EEE10hipError_tPvRmT3_T4_T5_T6_T7_T9_mT8_P12ihipStream_tbDpT10_ENKUlT_T0_E_clISt17integral_constantIbLb1EES1C_IbLb0EEEEDaS18_S19_EUlS18_E_NS1_11comp_targetILNS1_3genE8ELNS1_11target_archE1030ELNS1_3gpuE2ELNS1_3repE0EEENS1_30default_config_static_selectorELNS0_4arch9wavefront6targetE0EEEvT1_, .Lfunc_end1036-_ZN7rocprim17ROCPRIM_400000_NS6detail17trampoline_kernelINS0_14default_configENS1_25partition_config_selectorILNS1_17partition_subalgoE9ExjbEEZZNS1_14partition_implILS5_9ELb0ES3_jN6thrust23THRUST_200600_302600_NS6detail15normal_iteratorINS9_10device_ptrIxEEEENSB_INSC_IjEEEEPNS0_10empty_typeENS0_5tupleIJSE_SH_EEENSJ_IJNS9_16discard_iteratorINS9_11use_defaultEEESI_EEENS0_18inequality_wrapperINS9_8equal_toIxEEEEPmJSH_EEE10hipError_tPvRmT3_T4_T5_T6_T7_T9_mT8_P12ihipStream_tbDpT10_ENKUlT_T0_E_clISt17integral_constantIbLb1EES1C_IbLb0EEEEDaS18_S19_EUlS18_E_NS1_11comp_targetILNS1_3genE8ELNS1_11target_archE1030ELNS1_3gpuE2ELNS1_3repE0EEENS1_30default_config_static_selectorELNS0_4arch9wavefront6targetE0EEEvT1_
                                        ; -- End function
	.section	.AMDGPU.csdata,"",@progbits
; Kernel info:
; codeLenInByte = 0
; NumSgprs: 0
; NumVgprs: 0
; ScratchSize: 0
; MemoryBound: 0
; FloatMode: 240
; IeeeMode: 1
; LDSByteSize: 0 bytes/workgroup (compile time only)
; SGPRBlocks: 0
; VGPRBlocks: 0
; NumSGPRsForWavesPerEU: 1
; NumVGPRsForWavesPerEU: 1
; Occupancy: 16
; WaveLimiterHint : 0
; COMPUTE_PGM_RSRC2:SCRATCH_EN: 0
; COMPUTE_PGM_RSRC2:USER_SGPR: 15
; COMPUTE_PGM_RSRC2:TRAP_HANDLER: 0
; COMPUTE_PGM_RSRC2:TGID_X_EN: 1
; COMPUTE_PGM_RSRC2:TGID_Y_EN: 0
; COMPUTE_PGM_RSRC2:TGID_Z_EN: 0
; COMPUTE_PGM_RSRC2:TIDIG_COMP_CNT: 0
	.section	.text._ZN7rocprim17ROCPRIM_400000_NS6detail17trampoline_kernelINS0_14default_configENS1_25partition_config_selectorILNS1_17partition_subalgoE9ExjbEEZZNS1_14partition_implILS5_9ELb0ES3_jN6thrust23THRUST_200600_302600_NS6detail15normal_iteratorINS9_10device_ptrIxEEEENSB_INSC_IjEEEEPNS0_10empty_typeENS0_5tupleIJSE_SH_EEENSJ_IJNS9_16discard_iteratorINS9_11use_defaultEEESI_EEENS0_18inequality_wrapperINS9_8equal_toIxEEEEPmJSH_EEE10hipError_tPvRmT3_T4_T5_T6_T7_T9_mT8_P12ihipStream_tbDpT10_ENKUlT_T0_E_clISt17integral_constantIbLb0EES1C_IbLb1EEEEDaS18_S19_EUlS18_E_NS1_11comp_targetILNS1_3genE0ELNS1_11target_archE4294967295ELNS1_3gpuE0ELNS1_3repE0EEENS1_30default_config_static_selectorELNS0_4arch9wavefront6targetE0EEEvT1_,"axG",@progbits,_ZN7rocprim17ROCPRIM_400000_NS6detail17trampoline_kernelINS0_14default_configENS1_25partition_config_selectorILNS1_17partition_subalgoE9ExjbEEZZNS1_14partition_implILS5_9ELb0ES3_jN6thrust23THRUST_200600_302600_NS6detail15normal_iteratorINS9_10device_ptrIxEEEENSB_INSC_IjEEEEPNS0_10empty_typeENS0_5tupleIJSE_SH_EEENSJ_IJNS9_16discard_iteratorINS9_11use_defaultEEESI_EEENS0_18inequality_wrapperINS9_8equal_toIxEEEEPmJSH_EEE10hipError_tPvRmT3_T4_T5_T6_T7_T9_mT8_P12ihipStream_tbDpT10_ENKUlT_T0_E_clISt17integral_constantIbLb0EES1C_IbLb1EEEEDaS18_S19_EUlS18_E_NS1_11comp_targetILNS1_3genE0ELNS1_11target_archE4294967295ELNS1_3gpuE0ELNS1_3repE0EEENS1_30default_config_static_selectorELNS0_4arch9wavefront6targetE0EEEvT1_,comdat
	.protected	_ZN7rocprim17ROCPRIM_400000_NS6detail17trampoline_kernelINS0_14default_configENS1_25partition_config_selectorILNS1_17partition_subalgoE9ExjbEEZZNS1_14partition_implILS5_9ELb0ES3_jN6thrust23THRUST_200600_302600_NS6detail15normal_iteratorINS9_10device_ptrIxEEEENSB_INSC_IjEEEEPNS0_10empty_typeENS0_5tupleIJSE_SH_EEENSJ_IJNS9_16discard_iteratorINS9_11use_defaultEEESI_EEENS0_18inequality_wrapperINS9_8equal_toIxEEEEPmJSH_EEE10hipError_tPvRmT3_T4_T5_T6_T7_T9_mT8_P12ihipStream_tbDpT10_ENKUlT_T0_E_clISt17integral_constantIbLb0EES1C_IbLb1EEEEDaS18_S19_EUlS18_E_NS1_11comp_targetILNS1_3genE0ELNS1_11target_archE4294967295ELNS1_3gpuE0ELNS1_3repE0EEENS1_30default_config_static_selectorELNS0_4arch9wavefront6targetE0EEEvT1_ ; -- Begin function _ZN7rocprim17ROCPRIM_400000_NS6detail17trampoline_kernelINS0_14default_configENS1_25partition_config_selectorILNS1_17partition_subalgoE9ExjbEEZZNS1_14partition_implILS5_9ELb0ES3_jN6thrust23THRUST_200600_302600_NS6detail15normal_iteratorINS9_10device_ptrIxEEEENSB_INSC_IjEEEEPNS0_10empty_typeENS0_5tupleIJSE_SH_EEENSJ_IJNS9_16discard_iteratorINS9_11use_defaultEEESI_EEENS0_18inequality_wrapperINS9_8equal_toIxEEEEPmJSH_EEE10hipError_tPvRmT3_T4_T5_T6_T7_T9_mT8_P12ihipStream_tbDpT10_ENKUlT_T0_E_clISt17integral_constantIbLb0EES1C_IbLb1EEEEDaS18_S19_EUlS18_E_NS1_11comp_targetILNS1_3genE0ELNS1_11target_archE4294967295ELNS1_3gpuE0ELNS1_3repE0EEENS1_30default_config_static_selectorELNS0_4arch9wavefront6targetE0EEEvT1_
	.globl	_ZN7rocprim17ROCPRIM_400000_NS6detail17trampoline_kernelINS0_14default_configENS1_25partition_config_selectorILNS1_17partition_subalgoE9ExjbEEZZNS1_14partition_implILS5_9ELb0ES3_jN6thrust23THRUST_200600_302600_NS6detail15normal_iteratorINS9_10device_ptrIxEEEENSB_INSC_IjEEEEPNS0_10empty_typeENS0_5tupleIJSE_SH_EEENSJ_IJNS9_16discard_iteratorINS9_11use_defaultEEESI_EEENS0_18inequality_wrapperINS9_8equal_toIxEEEEPmJSH_EEE10hipError_tPvRmT3_T4_T5_T6_T7_T9_mT8_P12ihipStream_tbDpT10_ENKUlT_T0_E_clISt17integral_constantIbLb0EES1C_IbLb1EEEEDaS18_S19_EUlS18_E_NS1_11comp_targetILNS1_3genE0ELNS1_11target_archE4294967295ELNS1_3gpuE0ELNS1_3repE0EEENS1_30default_config_static_selectorELNS0_4arch9wavefront6targetE0EEEvT1_
	.p2align	8
	.type	_ZN7rocprim17ROCPRIM_400000_NS6detail17trampoline_kernelINS0_14default_configENS1_25partition_config_selectorILNS1_17partition_subalgoE9ExjbEEZZNS1_14partition_implILS5_9ELb0ES3_jN6thrust23THRUST_200600_302600_NS6detail15normal_iteratorINS9_10device_ptrIxEEEENSB_INSC_IjEEEEPNS0_10empty_typeENS0_5tupleIJSE_SH_EEENSJ_IJNS9_16discard_iteratorINS9_11use_defaultEEESI_EEENS0_18inequality_wrapperINS9_8equal_toIxEEEEPmJSH_EEE10hipError_tPvRmT3_T4_T5_T6_T7_T9_mT8_P12ihipStream_tbDpT10_ENKUlT_T0_E_clISt17integral_constantIbLb0EES1C_IbLb1EEEEDaS18_S19_EUlS18_E_NS1_11comp_targetILNS1_3genE0ELNS1_11target_archE4294967295ELNS1_3gpuE0ELNS1_3repE0EEENS1_30default_config_static_selectorELNS0_4arch9wavefront6targetE0EEEvT1_,@function
_ZN7rocprim17ROCPRIM_400000_NS6detail17trampoline_kernelINS0_14default_configENS1_25partition_config_selectorILNS1_17partition_subalgoE9ExjbEEZZNS1_14partition_implILS5_9ELb0ES3_jN6thrust23THRUST_200600_302600_NS6detail15normal_iteratorINS9_10device_ptrIxEEEENSB_INSC_IjEEEEPNS0_10empty_typeENS0_5tupleIJSE_SH_EEENSJ_IJNS9_16discard_iteratorINS9_11use_defaultEEESI_EEENS0_18inequality_wrapperINS9_8equal_toIxEEEEPmJSH_EEE10hipError_tPvRmT3_T4_T5_T6_T7_T9_mT8_P12ihipStream_tbDpT10_ENKUlT_T0_E_clISt17integral_constantIbLb0EES1C_IbLb1EEEEDaS18_S19_EUlS18_E_NS1_11comp_targetILNS1_3genE0ELNS1_11target_archE4294967295ELNS1_3gpuE0ELNS1_3repE0EEENS1_30default_config_static_selectorELNS0_4arch9wavefront6targetE0EEEvT1_: ; @_ZN7rocprim17ROCPRIM_400000_NS6detail17trampoline_kernelINS0_14default_configENS1_25partition_config_selectorILNS1_17partition_subalgoE9ExjbEEZZNS1_14partition_implILS5_9ELb0ES3_jN6thrust23THRUST_200600_302600_NS6detail15normal_iteratorINS9_10device_ptrIxEEEENSB_INSC_IjEEEEPNS0_10empty_typeENS0_5tupleIJSE_SH_EEENSJ_IJNS9_16discard_iteratorINS9_11use_defaultEEESI_EEENS0_18inequality_wrapperINS9_8equal_toIxEEEEPmJSH_EEE10hipError_tPvRmT3_T4_T5_T6_T7_T9_mT8_P12ihipStream_tbDpT10_ENKUlT_T0_E_clISt17integral_constantIbLb0EES1C_IbLb1EEEEDaS18_S19_EUlS18_E_NS1_11comp_targetILNS1_3genE0ELNS1_11target_archE4294967295ELNS1_3gpuE0ELNS1_3repE0EEENS1_30default_config_static_selectorELNS0_4arch9wavefront6targetE0EEEvT1_
; %bb.0:
	.section	.rodata,"a",@progbits
	.p2align	6, 0x0
	.amdhsa_kernel _ZN7rocprim17ROCPRIM_400000_NS6detail17trampoline_kernelINS0_14default_configENS1_25partition_config_selectorILNS1_17partition_subalgoE9ExjbEEZZNS1_14partition_implILS5_9ELb0ES3_jN6thrust23THRUST_200600_302600_NS6detail15normal_iteratorINS9_10device_ptrIxEEEENSB_INSC_IjEEEEPNS0_10empty_typeENS0_5tupleIJSE_SH_EEENSJ_IJNS9_16discard_iteratorINS9_11use_defaultEEESI_EEENS0_18inequality_wrapperINS9_8equal_toIxEEEEPmJSH_EEE10hipError_tPvRmT3_T4_T5_T6_T7_T9_mT8_P12ihipStream_tbDpT10_ENKUlT_T0_E_clISt17integral_constantIbLb0EES1C_IbLb1EEEEDaS18_S19_EUlS18_E_NS1_11comp_targetILNS1_3genE0ELNS1_11target_archE4294967295ELNS1_3gpuE0ELNS1_3repE0EEENS1_30default_config_static_selectorELNS0_4arch9wavefront6targetE0EEEvT1_
		.amdhsa_group_segment_fixed_size 0
		.amdhsa_private_segment_fixed_size 0
		.amdhsa_kernarg_size 136
		.amdhsa_user_sgpr_count 15
		.amdhsa_user_sgpr_dispatch_ptr 0
		.amdhsa_user_sgpr_queue_ptr 0
		.amdhsa_user_sgpr_kernarg_segment_ptr 1
		.amdhsa_user_sgpr_dispatch_id 0
		.amdhsa_user_sgpr_private_segment_size 0
		.amdhsa_wavefront_size32 1
		.amdhsa_uses_dynamic_stack 0
		.amdhsa_enable_private_segment 0
		.amdhsa_system_sgpr_workgroup_id_x 1
		.amdhsa_system_sgpr_workgroup_id_y 0
		.amdhsa_system_sgpr_workgroup_id_z 0
		.amdhsa_system_sgpr_workgroup_info 0
		.amdhsa_system_vgpr_workitem_id 0
		.amdhsa_next_free_vgpr 1
		.amdhsa_next_free_sgpr 1
		.amdhsa_reserve_vcc 0
		.amdhsa_float_round_mode_32 0
		.amdhsa_float_round_mode_16_64 0
		.amdhsa_float_denorm_mode_32 3
		.amdhsa_float_denorm_mode_16_64 3
		.amdhsa_dx10_clamp 1
		.amdhsa_ieee_mode 1
		.amdhsa_fp16_overflow 0
		.amdhsa_workgroup_processor_mode 1
		.amdhsa_memory_ordered 1
		.amdhsa_forward_progress 0
		.amdhsa_shared_vgpr_count 0
		.amdhsa_exception_fp_ieee_invalid_op 0
		.amdhsa_exception_fp_denorm_src 0
		.amdhsa_exception_fp_ieee_div_zero 0
		.amdhsa_exception_fp_ieee_overflow 0
		.amdhsa_exception_fp_ieee_underflow 0
		.amdhsa_exception_fp_ieee_inexact 0
		.amdhsa_exception_int_div_zero 0
	.end_amdhsa_kernel
	.section	.text._ZN7rocprim17ROCPRIM_400000_NS6detail17trampoline_kernelINS0_14default_configENS1_25partition_config_selectorILNS1_17partition_subalgoE9ExjbEEZZNS1_14partition_implILS5_9ELb0ES3_jN6thrust23THRUST_200600_302600_NS6detail15normal_iteratorINS9_10device_ptrIxEEEENSB_INSC_IjEEEEPNS0_10empty_typeENS0_5tupleIJSE_SH_EEENSJ_IJNS9_16discard_iteratorINS9_11use_defaultEEESI_EEENS0_18inequality_wrapperINS9_8equal_toIxEEEEPmJSH_EEE10hipError_tPvRmT3_T4_T5_T6_T7_T9_mT8_P12ihipStream_tbDpT10_ENKUlT_T0_E_clISt17integral_constantIbLb0EES1C_IbLb1EEEEDaS18_S19_EUlS18_E_NS1_11comp_targetILNS1_3genE0ELNS1_11target_archE4294967295ELNS1_3gpuE0ELNS1_3repE0EEENS1_30default_config_static_selectorELNS0_4arch9wavefront6targetE0EEEvT1_,"axG",@progbits,_ZN7rocprim17ROCPRIM_400000_NS6detail17trampoline_kernelINS0_14default_configENS1_25partition_config_selectorILNS1_17partition_subalgoE9ExjbEEZZNS1_14partition_implILS5_9ELb0ES3_jN6thrust23THRUST_200600_302600_NS6detail15normal_iteratorINS9_10device_ptrIxEEEENSB_INSC_IjEEEEPNS0_10empty_typeENS0_5tupleIJSE_SH_EEENSJ_IJNS9_16discard_iteratorINS9_11use_defaultEEESI_EEENS0_18inequality_wrapperINS9_8equal_toIxEEEEPmJSH_EEE10hipError_tPvRmT3_T4_T5_T6_T7_T9_mT8_P12ihipStream_tbDpT10_ENKUlT_T0_E_clISt17integral_constantIbLb0EES1C_IbLb1EEEEDaS18_S19_EUlS18_E_NS1_11comp_targetILNS1_3genE0ELNS1_11target_archE4294967295ELNS1_3gpuE0ELNS1_3repE0EEENS1_30default_config_static_selectorELNS0_4arch9wavefront6targetE0EEEvT1_,comdat
.Lfunc_end1037:
	.size	_ZN7rocprim17ROCPRIM_400000_NS6detail17trampoline_kernelINS0_14default_configENS1_25partition_config_selectorILNS1_17partition_subalgoE9ExjbEEZZNS1_14partition_implILS5_9ELb0ES3_jN6thrust23THRUST_200600_302600_NS6detail15normal_iteratorINS9_10device_ptrIxEEEENSB_INSC_IjEEEEPNS0_10empty_typeENS0_5tupleIJSE_SH_EEENSJ_IJNS9_16discard_iteratorINS9_11use_defaultEEESI_EEENS0_18inequality_wrapperINS9_8equal_toIxEEEEPmJSH_EEE10hipError_tPvRmT3_T4_T5_T6_T7_T9_mT8_P12ihipStream_tbDpT10_ENKUlT_T0_E_clISt17integral_constantIbLb0EES1C_IbLb1EEEEDaS18_S19_EUlS18_E_NS1_11comp_targetILNS1_3genE0ELNS1_11target_archE4294967295ELNS1_3gpuE0ELNS1_3repE0EEENS1_30default_config_static_selectorELNS0_4arch9wavefront6targetE0EEEvT1_, .Lfunc_end1037-_ZN7rocprim17ROCPRIM_400000_NS6detail17trampoline_kernelINS0_14default_configENS1_25partition_config_selectorILNS1_17partition_subalgoE9ExjbEEZZNS1_14partition_implILS5_9ELb0ES3_jN6thrust23THRUST_200600_302600_NS6detail15normal_iteratorINS9_10device_ptrIxEEEENSB_INSC_IjEEEEPNS0_10empty_typeENS0_5tupleIJSE_SH_EEENSJ_IJNS9_16discard_iteratorINS9_11use_defaultEEESI_EEENS0_18inequality_wrapperINS9_8equal_toIxEEEEPmJSH_EEE10hipError_tPvRmT3_T4_T5_T6_T7_T9_mT8_P12ihipStream_tbDpT10_ENKUlT_T0_E_clISt17integral_constantIbLb0EES1C_IbLb1EEEEDaS18_S19_EUlS18_E_NS1_11comp_targetILNS1_3genE0ELNS1_11target_archE4294967295ELNS1_3gpuE0ELNS1_3repE0EEENS1_30default_config_static_selectorELNS0_4arch9wavefront6targetE0EEEvT1_
                                        ; -- End function
	.section	.AMDGPU.csdata,"",@progbits
; Kernel info:
; codeLenInByte = 0
; NumSgprs: 0
; NumVgprs: 0
; ScratchSize: 0
; MemoryBound: 0
; FloatMode: 240
; IeeeMode: 1
; LDSByteSize: 0 bytes/workgroup (compile time only)
; SGPRBlocks: 0
; VGPRBlocks: 0
; NumSGPRsForWavesPerEU: 1
; NumVGPRsForWavesPerEU: 1
; Occupancy: 16
; WaveLimiterHint : 0
; COMPUTE_PGM_RSRC2:SCRATCH_EN: 0
; COMPUTE_PGM_RSRC2:USER_SGPR: 15
; COMPUTE_PGM_RSRC2:TRAP_HANDLER: 0
; COMPUTE_PGM_RSRC2:TGID_X_EN: 1
; COMPUTE_PGM_RSRC2:TGID_Y_EN: 0
; COMPUTE_PGM_RSRC2:TGID_Z_EN: 0
; COMPUTE_PGM_RSRC2:TIDIG_COMP_CNT: 0
	.section	.text._ZN7rocprim17ROCPRIM_400000_NS6detail17trampoline_kernelINS0_14default_configENS1_25partition_config_selectorILNS1_17partition_subalgoE9ExjbEEZZNS1_14partition_implILS5_9ELb0ES3_jN6thrust23THRUST_200600_302600_NS6detail15normal_iteratorINS9_10device_ptrIxEEEENSB_INSC_IjEEEEPNS0_10empty_typeENS0_5tupleIJSE_SH_EEENSJ_IJNS9_16discard_iteratorINS9_11use_defaultEEESI_EEENS0_18inequality_wrapperINS9_8equal_toIxEEEEPmJSH_EEE10hipError_tPvRmT3_T4_T5_T6_T7_T9_mT8_P12ihipStream_tbDpT10_ENKUlT_T0_E_clISt17integral_constantIbLb0EES1C_IbLb1EEEEDaS18_S19_EUlS18_E_NS1_11comp_targetILNS1_3genE5ELNS1_11target_archE942ELNS1_3gpuE9ELNS1_3repE0EEENS1_30default_config_static_selectorELNS0_4arch9wavefront6targetE0EEEvT1_,"axG",@progbits,_ZN7rocprim17ROCPRIM_400000_NS6detail17trampoline_kernelINS0_14default_configENS1_25partition_config_selectorILNS1_17partition_subalgoE9ExjbEEZZNS1_14partition_implILS5_9ELb0ES3_jN6thrust23THRUST_200600_302600_NS6detail15normal_iteratorINS9_10device_ptrIxEEEENSB_INSC_IjEEEEPNS0_10empty_typeENS0_5tupleIJSE_SH_EEENSJ_IJNS9_16discard_iteratorINS9_11use_defaultEEESI_EEENS0_18inequality_wrapperINS9_8equal_toIxEEEEPmJSH_EEE10hipError_tPvRmT3_T4_T5_T6_T7_T9_mT8_P12ihipStream_tbDpT10_ENKUlT_T0_E_clISt17integral_constantIbLb0EES1C_IbLb1EEEEDaS18_S19_EUlS18_E_NS1_11comp_targetILNS1_3genE5ELNS1_11target_archE942ELNS1_3gpuE9ELNS1_3repE0EEENS1_30default_config_static_selectorELNS0_4arch9wavefront6targetE0EEEvT1_,comdat
	.protected	_ZN7rocprim17ROCPRIM_400000_NS6detail17trampoline_kernelINS0_14default_configENS1_25partition_config_selectorILNS1_17partition_subalgoE9ExjbEEZZNS1_14partition_implILS5_9ELb0ES3_jN6thrust23THRUST_200600_302600_NS6detail15normal_iteratorINS9_10device_ptrIxEEEENSB_INSC_IjEEEEPNS0_10empty_typeENS0_5tupleIJSE_SH_EEENSJ_IJNS9_16discard_iteratorINS9_11use_defaultEEESI_EEENS0_18inequality_wrapperINS9_8equal_toIxEEEEPmJSH_EEE10hipError_tPvRmT3_T4_T5_T6_T7_T9_mT8_P12ihipStream_tbDpT10_ENKUlT_T0_E_clISt17integral_constantIbLb0EES1C_IbLb1EEEEDaS18_S19_EUlS18_E_NS1_11comp_targetILNS1_3genE5ELNS1_11target_archE942ELNS1_3gpuE9ELNS1_3repE0EEENS1_30default_config_static_selectorELNS0_4arch9wavefront6targetE0EEEvT1_ ; -- Begin function _ZN7rocprim17ROCPRIM_400000_NS6detail17trampoline_kernelINS0_14default_configENS1_25partition_config_selectorILNS1_17partition_subalgoE9ExjbEEZZNS1_14partition_implILS5_9ELb0ES3_jN6thrust23THRUST_200600_302600_NS6detail15normal_iteratorINS9_10device_ptrIxEEEENSB_INSC_IjEEEEPNS0_10empty_typeENS0_5tupleIJSE_SH_EEENSJ_IJNS9_16discard_iteratorINS9_11use_defaultEEESI_EEENS0_18inequality_wrapperINS9_8equal_toIxEEEEPmJSH_EEE10hipError_tPvRmT3_T4_T5_T6_T7_T9_mT8_P12ihipStream_tbDpT10_ENKUlT_T0_E_clISt17integral_constantIbLb0EES1C_IbLb1EEEEDaS18_S19_EUlS18_E_NS1_11comp_targetILNS1_3genE5ELNS1_11target_archE942ELNS1_3gpuE9ELNS1_3repE0EEENS1_30default_config_static_selectorELNS0_4arch9wavefront6targetE0EEEvT1_
	.globl	_ZN7rocprim17ROCPRIM_400000_NS6detail17trampoline_kernelINS0_14default_configENS1_25partition_config_selectorILNS1_17partition_subalgoE9ExjbEEZZNS1_14partition_implILS5_9ELb0ES3_jN6thrust23THRUST_200600_302600_NS6detail15normal_iteratorINS9_10device_ptrIxEEEENSB_INSC_IjEEEEPNS0_10empty_typeENS0_5tupleIJSE_SH_EEENSJ_IJNS9_16discard_iteratorINS9_11use_defaultEEESI_EEENS0_18inequality_wrapperINS9_8equal_toIxEEEEPmJSH_EEE10hipError_tPvRmT3_T4_T5_T6_T7_T9_mT8_P12ihipStream_tbDpT10_ENKUlT_T0_E_clISt17integral_constantIbLb0EES1C_IbLb1EEEEDaS18_S19_EUlS18_E_NS1_11comp_targetILNS1_3genE5ELNS1_11target_archE942ELNS1_3gpuE9ELNS1_3repE0EEENS1_30default_config_static_selectorELNS0_4arch9wavefront6targetE0EEEvT1_
	.p2align	8
	.type	_ZN7rocprim17ROCPRIM_400000_NS6detail17trampoline_kernelINS0_14default_configENS1_25partition_config_selectorILNS1_17partition_subalgoE9ExjbEEZZNS1_14partition_implILS5_9ELb0ES3_jN6thrust23THRUST_200600_302600_NS6detail15normal_iteratorINS9_10device_ptrIxEEEENSB_INSC_IjEEEEPNS0_10empty_typeENS0_5tupleIJSE_SH_EEENSJ_IJNS9_16discard_iteratorINS9_11use_defaultEEESI_EEENS0_18inequality_wrapperINS9_8equal_toIxEEEEPmJSH_EEE10hipError_tPvRmT3_T4_T5_T6_T7_T9_mT8_P12ihipStream_tbDpT10_ENKUlT_T0_E_clISt17integral_constantIbLb0EES1C_IbLb1EEEEDaS18_S19_EUlS18_E_NS1_11comp_targetILNS1_3genE5ELNS1_11target_archE942ELNS1_3gpuE9ELNS1_3repE0EEENS1_30default_config_static_selectorELNS0_4arch9wavefront6targetE0EEEvT1_,@function
_ZN7rocprim17ROCPRIM_400000_NS6detail17trampoline_kernelINS0_14default_configENS1_25partition_config_selectorILNS1_17partition_subalgoE9ExjbEEZZNS1_14partition_implILS5_9ELb0ES3_jN6thrust23THRUST_200600_302600_NS6detail15normal_iteratorINS9_10device_ptrIxEEEENSB_INSC_IjEEEEPNS0_10empty_typeENS0_5tupleIJSE_SH_EEENSJ_IJNS9_16discard_iteratorINS9_11use_defaultEEESI_EEENS0_18inequality_wrapperINS9_8equal_toIxEEEEPmJSH_EEE10hipError_tPvRmT3_T4_T5_T6_T7_T9_mT8_P12ihipStream_tbDpT10_ENKUlT_T0_E_clISt17integral_constantIbLb0EES1C_IbLb1EEEEDaS18_S19_EUlS18_E_NS1_11comp_targetILNS1_3genE5ELNS1_11target_archE942ELNS1_3gpuE9ELNS1_3repE0EEENS1_30default_config_static_selectorELNS0_4arch9wavefront6targetE0EEEvT1_: ; @_ZN7rocprim17ROCPRIM_400000_NS6detail17trampoline_kernelINS0_14default_configENS1_25partition_config_selectorILNS1_17partition_subalgoE9ExjbEEZZNS1_14partition_implILS5_9ELb0ES3_jN6thrust23THRUST_200600_302600_NS6detail15normal_iteratorINS9_10device_ptrIxEEEENSB_INSC_IjEEEEPNS0_10empty_typeENS0_5tupleIJSE_SH_EEENSJ_IJNS9_16discard_iteratorINS9_11use_defaultEEESI_EEENS0_18inequality_wrapperINS9_8equal_toIxEEEEPmJSH_EEE10hipError_tPvRmT3_T4_T5_T6_T7_T9_mT8_P12ihipStream_tbDpT10_ENKUlT_T0_E_clISt17integral_constantIbLb0EES1C_IbLb1EEEEDaS18_S19_EUlS18_E_NS1_11comp_targetILNS1_3genE5ELNS1_11target_archE942ELNS1_3gpuE9ELNS1_3repE0EEENS1_30default_config_static_selectorELNS0_4arch9wavefront6targetE0EEEvT1_
; %bb.0:
	.section	.rodata,"a",@progbits
	.p2align	6, 0x0
	.amdhsa_kernel _ZN7rocprim17ROCPRIM_400000_NS6detail17trampoline_kernelINS0_14default_configENS1_25partition_config_selectorILNS1_17partition_subalgoE9ExjbEEZZNS1_14partition_implILS5_9ELb0ES3_jN6thrust23THRUST_200600_302600_NS6detail15normal_iteratorINS9_10device_ptrIxEEEENSB_INSC_IjEEEEPNS0_10empty_typeENS0_5tupleIJSE_SH_EEENSJ_IJNS9_16discard_iteratorINS9_11use_defaultEEESI_EEENS0_18inequality_wrapperINS9_8equal_toIxEEEEPmJSH_EEE10hipError_tPvRmT3_T4_T5_T6_T7_T9_mT8_P12ihipStream_tbDpT10_ENKUlT_T0_E_clISt17integral_constantIbLb0EES1C_IbLb1EEEEDaS18_S19_EUlS18_E_NS1_11comp_targetILNS1_3genE5ELNS1_11target_archE942ELNS1_3gpuE9ELNS1_3repE0EEENS1_30default_config_static_selectorELNS0_4arch9wavefront6targetE0EEEvT1_
		.amdhsa_group_segment_fixed_size 0
		.amdhsa_private_segment_fixed_size 0
		.amdhsa_kernarg_size 136
		.amdhsa_user_sgpr_count 15
		.amdhsa_user_sgpr_dispatch_ptr 0
		.amdhsa_user_sgpr_queue_ptr 0
		.amdhsa_user_sgpr_kernarg_segment_ptr 1
		.amdhsa_user_sgpr_dispatch_id 0
		.amdhsa_user_sgpr_private_segment_size 0
		.amdhsa_wavefront_size32 1
		.amdhsa_uses_dynamic_stack 0
		.amdhsa_enable_private_segment 0
		.amdhsa_system_sgpr_workgroup_id_x 1
		.amdhsa_system_sgpr_workgroup_id_y 0
		.amdhsa_system_sgpr_workgroup_id_z 0
		.amdhsa_system_sgpr_workgroup_info 0
		.amdhsa_system_vgpr_workitem_id 0
		.amdhsa_next_free_vgpr 1
		.amdhsa_next_free_sgpr 1
		.amdhsa_reserve_vcc 0
		.amdhsa_float_round_mode_32 0
		.amdhsa_float_round_mode_16_64 0
		.amdhsa_float_denorm_mode_32 3
		.amdhsa_float_denorm_mode_16_64 3
		.amdhsa_dx10_clamp 1
		.amdhsa_ieee_mode 1
		.amdhsa_fp16_overflow 0
		.amdhsa_workgroup_processor_mode 1
		.amdhsa_memory_ordered 1
		.amdhsa_forward_progress 0
		.amdhsa_shared_vgpr_count 0
		.amdhsa_exception_fp_ieee_invalid_op 0
		.amdhsa_exception_fp_denorm_src 0
		.amdhsa_exception_fp_ieee_div_zero 0
		.amdhsa_exception_fp_ieee_overflow 0
		.amdhsa_exception_fp_ieee_underflow 0
		.amdhsa_exception_fp_ieee_inexact 0
		.amdhsa_exception_int_div_zero 0
	.end_amdhsa_kernel
	.section	.text._ZN7rocprim17ROCPRIM_400000_NS6detail17trampoline_kernelINS0_14default_configENS1_25partition_config_selectorILNS1_17partition_subalgoE9ExjbEEZZNS1_14partition_implILS5_9ELb0ES3_jN6thrust23THRUST_200600_302600_NS6detail15normal_iteratorINS9_10device_ptrIxEEEENSB_INSC_IjEEEEPNS0_10empty_typeENS0_5tupleIJSE_SH_EEENSJ_IJNS9_16discard_iteratorINS9_11use_defaultEEESI_EEENS0_18inequality_wrapperINS9_8equal_toIxEEEEPmJSH_EEE10hipError_tPvRmT3_T4_T5_T6_T7_T9_mT8_P12ihipStream_tbDpT10_ENKUlT_T0_E_clISt17integral_constantIbLb0EES1C_IbLb1EEEEDaS18_S19_EUlS18_E_NS1_11comp_targetILNS1_3genE5ELNS1_11target_archE942ELNS1_3gpuE9ELNS1_3repE0EEENS1_30default_config_static_selectorELNS0_4arch9wavefront6targetE0EEEvT1_,"axG",@progbits,_ZN7rocprim17ROCPRIM_400000_NS6detail17trampoline_kernelINS0_14default_configENS1_25partition_config_selectorILNS1_17partition_subalgoE9ExjbEEZZNS1_14partition_implILS5_9ELb0ES3_jN6thrust23THRUST_200600_302600_NS6detail15normal_iteratorINS9_10device_ptrIxEEEENSB_INSC_IjEEEEPNS0_10empty_typeENS0_5tupleIJSE_SH_EEENSJ_IJNS9_16discard_iteratorINS9_11use_defaultEEESI_EEENS0_18inequality_wrapperINS9_8equal_toIxEEEEPmJSH_EEE10hipError_tPvRmT3_T4_T5_T6_T7_T9_mT8_P12ihipStream_tbDpT10_ENKUlT_T0_E_clISt17integral_constantIbLb0EES1C_IbLb1EEEEDaS18_S19_EUlS18_E_NS1_11comp_targetILNS1_3genE5ELNS1_11target_archE942ELNS1_3gpuE9ELNS1_3repE0EEENS1_30default_config_static_selectorELNS0_4arch9wavefront6targetE0EEEvT1_,comdat
.Lfunc_end1038:
	.size	_ZN7rocprim17ROCPRIM_400000_NS6detail17trampoline_kernelINS0_14default_configENS1_25partition_config_selectorILNS1_17partition_subalgoE9ExjbEEZZNS1_14partition_implILS5_9ELb0ES3_jN6thrust23THRUST_200600_302600_NS6detail15normal_iteratorINS9_10device_ptrIxEEEENSB_INSC_IjEEEEPNS0_10empty_typeENS0_5tupleIJSE_SH_EEENSJ_IJNS9_16discard_iteratorINS9_11use_defaultEEESI_EEENS0_18inequality_wrapperINS9_8equal_toIxEEEEPmJSH_EEE10hipError_tPvRmT3_T4_T5_T6_T7_T9_mT8_P12ihipStream_tbDpT10_ENKUlT_T0_E_clISt17integral_constantIbLb0EES1C_IbLb1EEEEDaS18_S19_EUlS18_E_NS1_11comp_targetILNS1_3genE5ELNS1_11target_archE942ELNS1_3gpuE9ELNS1_3repE0EEENS1_30default_config_static_selectorELNS0_4arch9wavefront6targetE0EEEvT1_, .Lfunc_end1038-_ZN7rocprim17ROCPRIM_400000_NS6detail17trampoline_kernelINS0_14default_configENS1_25partition_config_selectorILNS1_17partition_subalgoE9ExjbEEZZNS1_14partition_implILS5_9ELb0ES3_jN6thrust23THRUST_200600_302600_NS6detail15normal_iteratorINS9_10device_ptrIxEEEENSB_INSC_IjEEEEPNS0_10empty_typeENS0_5tupleIJSE_SH_EEENSJ_IJNS9_16discard_iteratorINS9_11use_defaultEEESI_EEENS0_18inequality_wrapperINS9_8equal_toIxEEEEPmJSH_EEE10hipError_tPvRmT3_T4_T5_T6_T7_T9_mT8_P12ihipStream_tbDpT10_ENKUlT_T0_E_clISt17integral_constantIbLb0EES1C_IbLb1EEEEDaS18_S19_EUlS18_E_NS1_11comp_targetILNS1_3genE5ELNS1_11target_archE942ELNS1_3gpuE9ELNS1_3repE0EEENS1_30default_config_static_selectorELNS0_4arch9wavefront6targetE0EEEvT1_
                                        ; -- End function
	.section	.AMDGPU.csdata,"",@progbits
; Kernel info:
; codeLenInByte = 0
; NumSgprs: 0
; NumVgprs: 0
; ScratchSize: 0
; MemoryBound: 0
; FloatMode: 240
; IeeeMode: 1
; LDSByteSize: 0 bytes/workgroup (compile time only)
; SGPRBlocks: 0
; VGPRBlocks: 0
; NumSGPRsForWavesPerEU: 1
; NumVGPRsForWavesPerEU: 1
; Occupancy: 16
; WaveLimiterHint : 0
; COMPUTE_PGM_RSRC2:SCRATCH_EN: 0
; COMPUTE_PGM_RSRC2:USER_SGPR: 15
; COMPUTE_PGM_RSRC2:TRAP_HANDLER: 0
; COMPUTE_PGM_RSRC2:TGID_X_EN: 1
; COMPUTE_PGM_RSRC2:TGID_Y_EN: 0
; COMPUTE_PGM_RSRC2:TGID_Z_EN: 0
; COMPUTE_PGM_RSRC2:TIDIG_COMP_CNT: 0
	.section	.text._ZN7rocprim17ROCPRIM_400000_NS6detail17trampoline_kernelINS0_14default_configENS1_25partition_config_selectorILNS1_17partition_subalgoE9ExjbEEZZNS1_14partition_implILS5_9ELb0ES3_jN6thrust23THRUST_200600_302600_NS6detail15normal_iteratorINS9_10device_ptrIxEEEENSB_INSC_IjEEEEPNS0_10empty_typeENS0_5tupleIJSE_SH_EEENSJ_IJNS9_16discard_iteratorINS9_11use_defaultEEESI_EEENS0_18inequality_wrapperINS9_8equal_toIxEEEEPmJSH_EEE10hipError_tPvRmT3_T4_T5_T6_T7_T9_mT8_P12ihipStream_tbDpT10_ENKUlT_T0_E_clISt17integral_constantIbLb0EES1C_IbLb1EEEEDaS18_S19_EUlS18_E_NS1_11comp_targetILNS1_3genE4ELNS1_11target_archE910ELNS1_3gpuE8ELNS1_3repE0EEENS1_30default_config_static_selectorELNS0_4arch9wavefront6targetE0EEEvT1_,"axG",@progbits,_ZN7rocprim17ROCPRIM_400000_NS6detail17trampoline_kernelINS0_14default_configENS1_25partition_config_selectorILNS1_17partition_subalgoE9ExjbEEZZNS1_14partition_implILS5_9ELb0ES3_jN6thrust23THRUST_200600_302600_NS6detail15normal_iteratorINS9_10device_ptrIxEEEENSB_INSC_IjEEEEPNS0_10empty_typeENS0_5tupleIJSE_SH_EEENSJ_IJNS9_16discard_iteratorINS9_11use_defaultEEESI_EEENS0_18inequality_wrapperINS9_8equal_toIxEEEEPmJSH_EEE10hipError_tPvRmT3_T4_T5_T6_T7_T9_mT8_P12ihipStream_tbDpT10_ENKUlT_T0_E_clISt17integral_constantIbLb0EES1C_IbLb1EEEEDaS18_S19_EUlS18_E_NS1_11comp_targetILNS1_3genE4ELNS1_11target_archE910ELNS1_3gpuE8ELNS1_3repE0EEENS1_30default_config_static_selectorELNS0_4arch9wavefront6targetE0EEEvT1_,comdat
	.protected	_ZN7rocprim17ROCPRIM_400000_NS6detail17trampoline_kernelINS0_14default_configENS1_25partition_config_selectorILNS1_17partition_subalgoE9ExjbEEZZNS1_14partition_implILS5_9ELb0ES3_jN6thrust23THRUST_200600_302600_NS6detail15normal_iteratorINS9_10device_ptrIxEEEENSB_INSC_IjEEEEPNS0_10empty_typeENS0_5tupleIJSE_SH_EEENSJ_IJNS9_16discard_iteratorINS9_11use_defaultEEESI_EEENS0_18inequality_wrapperINS9_8equal_toIxEEEEPmJSH_EEE10hipError_tPvRmT3_T4_T5_T6_T7_T9_mT8_P12ihipStream_tbDpT10_ENKUlT_T0_E_clISt17integral_constantIbLb0EES1C_IbLb1EEEEDaS18_S19_EUlS18_E_NS1_11comp_targetILNS1_3genE4ELNS1_11target_archE910ELNS1_3gpuE8ELNS1_3repE0EEENS1_30default_config_static_selectorELNS0_4arch9wavefront6targetE0EEEvT1_ ; -- Begin function _ZN7rocprim17ROCPRIM_400000_NS6detail17trampoline_kernelINS0_14default_configENS1_25partition_config_selectorILNS1_17partition_subalgoE9ExjbEEZZNS1_14partition_implILS5_9ELb0ES3_jN6thrust23THRUST_200600_302600_NS6detail15normal_iteratorINS9_10device_ptrIxEEEENSB_INSC_IjEEEEPNS0_10empty_typeENS0_5tupleIJSE_SH_EEENSJ_IJNS9_16discard_iteratorINS9_11use_defaultEEESI_EEENS0_18inequality_wrapperINS9_8equal_toIxEEEEPmJSH_EEE10hipError_tPvRmT3_T4_T5_T6_T7_T9_mT8_P12ihipStream_tbDpT10_ENKUlT_T0_E_clISt17integral_constantIbLb0EES1C_IbLb1EEEEDaS18_S19_EUlS18_E_NS1_11comp_targetILNS1_3genE4ELNS1_11target_archE910ELNS1_3gpuE8ELNS1_3repE0EEENS1_30default_config_static_selectorELNS0_4arch9wavefront6targetE0EEEvT1_
	.globl	_ZN7rocprim17ROCPRIM_400000_NS6detail17trampoline_kernelINS0_14default_configENS1_25partition_config_selectorILNS1_17partition_subalgoE9ExjbEEZZNS1_14partition_implILS5_9ELb0ES3_jN6thrust23THRUST_200600_302600_NS6detail15normal_iteratorINS9_10device_ptrIxEEEENSB_INSC_IjEEEEPNS0_10empty_typeENS0_5tupleIJSE_SH_EEENSJ_IJNS9_16discard_iteratorINS9_11use_defaultEEESI_EEENS0_18inequality_wrapperINS9_8equal_toIxEEEEPmJSH_EEE10hipError_tPvRmT3_T4_T5_T6_T7_T9_mT8_P12ihipStream_tbDpT10_ENKUlT_T0_E_clISt17integral_constantIbLb0EES1C_IbLb1EEEEDaS18_S19_EUlS18_E_NS1_11comp_targetILNS1_3genE4ELNS1_11target_archE910ELNS1_3gpuE8ELNS1_3repE0EEENS1_30default_config_static_selectorELNS0_4arch9wavefront6targetE0EEEvT1_
	.p2align	8
	.type	_ZN7rocprim17ROCPRIM_400000_NS6detail17trampoline_kernelINS0_14default_configENS1_25partition_config_selectorILNS1_17partition_subalgoE9ExjbEEZZNS1_14partition_implILS5_9ELb0ES3_jN6thrust23THRUST_200600_302600_NS6detail15normal_iteratorINS9_10device_ptrIxEEEENSB_INSC_IjEEEEPNS0_10empty_typeENS0_5tupleIJSE_SH_EEENSJ_IJNS9_16discard_iteratorINS9_11use_defaultEEESI_EEENS0_18inequality_wrapperINS9_8equal_toIxEEEEPmJSH_EEE10hipError_tPvRmT3_T4_T5_T6_T7_T9_mT8_P12ihipStream_tbDpT10_ENKUlT_T0_E_clISt17integral_constantIbLb0EES1C_IbLb1EEEEDaS18_S19_EUlS18_E_NS1_11comp_targetILNS1_3genE4ELNS1_11target_archE910ELNS1_3gpuE8ELNS1_3repE0EEENS1_30default_config_static_selectorELNS0_4arch9wavefront6targetE0EEEvT1_,@function
_ZN7rocprim17ROCPRIM_400000_NS6detail17trampoline_kernelINS0_14default_configENS1_25partition_config_selectorILNS1_17partition_subalgoE9ExjbEEZZNS1_14partition_implILS5_9ELb0ES3_jN6thrust23THRUST_200600_302600_NS6detail15normal_iteratorINS9_10device_ptrIxEEEENSB_INSC_IjEEEEPNS0_10empty_typeENS0_5tupleIJSE_SH_EEENSJ_IJNS9_16discard_iteratorINS9_11use_defaultEEESI_EEENS0_18inequality_wrapperINS9_8equal_toIxEEEEPmJSH_EEE10hipError_tPvRmT3_T4_T5_T6_T7_T9_mT8_P12ihipStream_tbDpT10_ENKUlT_T0_E_clISt17integral_constantIbLb0EES1C_IbLb1EEEEDaS18_S19_EUlS18_E_NS1_11comp_targetILNS1_3genE4ELNS1_11target_archE910ELNS1_3gpuE8ELNS1_3repE0EEENS1_30default_config_static_selectorELNS0_4arch9wavefront6targetE0EEEvT1_: ; @_ZN7rocprim17ROCPRIM_400000_NS6detail17trampoline_kernelINS0_14default_configENS1_25partition_config_selectorILNS1_17partition_subalgoE9ExjbEEZZNS1_14partition_implILS5_9ELb0ES3_jN6thrust23THRUST_200600_302600_NS6detail15normal_iteratorINS9_10device_ptrIxEEEENSB_INSC_IjEEEEPNS0_10empty_typeENS0_5tupleIJSE_SH_EEENSJ_IJNS9_16discard_iteratorINS9_11use_defaultEEESI_EEENS0_18inequality_wrapperINS9_8equal_toIxEEEEPmJSH_EEE10hipError_tPvRmT3_T4_T5_T6_T7_T9_mT8_P12ihipStream_tbDpT10_ENKUlT_T0_E_clISt17integral_constantIbLb0EES1C_IbLb1EEEEDaS18_S19_EUlS18_E_NS1_11comp_targetILNS1_3genE4ELNS1_11target_archE910ELNS1_3gpuE8ELNS1_3repE0EEENS1_30default_config_static_selectorELNS0_4arch9wavefront6targetE0EEEvT1_
; %bb.0:
	.section	.rodata,"a",@progbits
	.p2align	6, 0x0
	.amdhsa_kernel _ZN7rocprim17ROCPRIM_400000_NS6detail17trampoline_kernelINS0_14default_configENS1_25partition_config_selectorILNS1_17partition_subalgoE9ExjbEEZZNS1_14partition_implILS5_9ELb0ES3_jN6thrust23THRUST_200600_302600_NS6detail15normal_iteratorINS9_10device_ptrIxEEEENSB_INSC_IjEEEEPNS0_10empty_typeENS0_5tupleIJSE_SH_EEENSJ_IJNS9_16discard_iteratorINS9_11use_defaultEEESI_EEENS0_18inequality_wrapperINS9_8equal_toIxEEEEPmJSH_EEE10hipError_tPvRmT3_T4_T5_T6_T7_T9_mT8_P12ihipStream_tbDpT10_ENKUlT_T0_E_clISt17integral_constantIbLb0EES1C_IbLb1EEEEDaS18_S19_EUlS18_E_NS1_11comp_targetILNS1_3genE4ELNS1_11target_archE910ELNS1_3gpuE8ELNS1_3repE0EEENS1_30default_config_static_selectorELNS0_4arch9wavefront6targetE0EEEvT1_
		.amdhsa_group_segment_fixed_size 0
		.amdhsa_private_segment_fixed_size 0
		.amdhsa_kernarg_size 136
		.amdhsa_user_sgpr_count 15
		.amdhsa_user_sgpr_dispatch_ptr 0
		.amdhsa_user_sgpr_queue_ptr 0
		.amdhsa_user_sgpr_kernarg_segment_ptr 1
		.amdhsa_user_sgpr_dispatch_id 0
		.amdhsa_user_sgpr_private_segment_size 0
		.amdhsa_wavefront_size32 1
		.amdhsa_uses_dynamic_stack 0
		.amdhsa_enable_private_segment 0
		.amdhsa_system_sgpr_workgroup_id_x 1
		.amdhsa_system_sgpr_workgroup_id_y 0
		.amdhsa_system_sgpr_workgroup_id_z 0
		.amdhsa_system_sgpr_workgroup_info 0
		.amdhsa_system_vgpr_workitem_id 0
		.amdhsa_next_free_vgpr 1
		.amdhsa_next_free_sgpr 1
		.amdhsa_reserve_vcc 0
		.amdhsa_float_round_mode_32 0
		.amdhsa_float_round_mode_16_64 0
		.amdhsa_float_denorm_mode_32 3
		.amdhsa_float_denorm_mode_16_64 3
		.amdhsa_dx10_clamp 1
		.amdhsa_ieee_mode 1
		.amdhsa_fp16_overflow 0
		.amdhsa_workgroup_processor_mode 1
		.amdhsa_memory_ordered 1
		.amdhsa_forward_progress 0
		.amdhsa_shared_vgpr_count 0
		.amdhsa_exception_fp_ieee_invalid_op 0
		.amdhsa_exception_fp_denorm_src 0
		.amdhsa_exception_fp_ieee_div_zero 0
		.amdhsa_exception_fp_ieee_overflow 0
		.amdhsa_exception_fp_ieee_underflow 0
		.amdhsa_exception_fp_ieee_inexact 0
		.amdhsa_exception_int_div_zero 0
	.end_amdhsa_kernel
	.section	.text._ZN7rocprim17ROCPRIM_400000_NS6detail17trampoline_kernelINS0_14default_configENS1_25partition_config_selectorILNS1_17partition_subalgoE9ExjbEEZZNS1_14partition_implILS5_9ELb0ES3_jN6thrust23THRUST_200600_302600_NS6detail15normal_iteratorINS9_10device_ptrIxEEEENSB_INSC_IjEEEEPNS0_10empty_typeENS0_5tupleIJSE_SH_EEENSJ_IJNS9_16discard_iteratorINS9_11use_defaultEEESI_EEENS0_18inequality_wrapperINS9_8equal_toIxEEEEPmJSH_EEE10hipError_tPvRmT3_T4_T5_T6_T7_T9_mT8_P12ihipStream_tbDpT10_ENKUlT_T0_E_clISt17integral_constantIbLb0EES1C_IbLb1EEEEDaS18_S19_EUlS18_E_NS1_11comp_targetILNS1_3genE4ELNS1_11target_archE910ELNS1_3gpuE8ELNS1_3repE0EEENS1_30default_config_static_selectorELNS0_4arch9wavefront6targetE0EEEvT1_,"axG",@progbits,_ZN7rocprim17ROCPRIM_400000_NS6detail17trampoline_kernelINS0_14default_configENS1_25partition_config_selectorILNS1_17partition_subalgoE9ExjbEEZZNS1_14partition_implILS5_9ELb0ES3_jN6thrust23THRUST_200600_302600_NS6detail15normal_iteratorINS9_10device_ptrIxEEEENSB_INSC_IjEEEEPNS0_10empty_typeENS0_5tupleIJSE_SH_EEENSJ_IJNS9_16discard_iteratorINS9_11use_defaultEEESI_EEENS0_18inequality_wrapperINS9_8equal_toIxEEEEPmJSH_EEE10hipError_tPvRmT3_T4_T5_T6_T7_T9_mT8_P12ihipStream_tbDpT10_ENKUlT_T0_E_clISt17integral_constantIbLb0EES1C_IbLb1EEEEDaS18_S19_EUlS18_E_NS1_11comp_targetILNS1_3genE4ELNS1_11target_archE910ELNS1_3gpuE8ELNS1_3repE0EEENS1_30default_config_static_selectorELNS0_4arch9wavefront6targetE0EEEvT1_,comdat
.Lfunc_end1039:
	.size	_ZN7rocprim17ROCPRIM_400000_NS6detail17trampoline_kernelINS0_14default_configENS1_25partition_config_selectorILNS1_17partition_subalgoE9ExjbEEZZNS1_14partition_implILS5_9ELb0ES3_jN6thrust23THRUST_200600_302600_NS6detail15normal_iteratorINS9_10device_ptrIxEEEENSB_INSC_IjEEEEPNS0_10empty_typeENS0_5tupleIJSE_SH_EEENSJ_IJNS9_16discard_iteratorINS9_11use_defaultEEESI_EEENS0_18inequality_wrapperINS9_8equal_toIxEEEEPmJSH_EEE10hipError_tPvRmT3_T4_T5_T6_T7_T9_mT8_P12ihipStream_tbDpT10_ENKUlT_T0_E_clISt17integral_constantIbLb0EES1C_IbLb1EEEEDaS18_S19_EUlS18_E_NS1_11comp_targetILNS1_3genE4ELNS1_11target_archE910ELNS1_3gpuE8ELNS1_3repE0EEENS1_30default_config_static_selectorELNS0_4arch9wavefront6targetE0EEEvT1_, .Lfunc_end1039-_ZN7rocprim17ROCPRIM_400000_NS6detail17trampoline_kernelINS0_14default_configENS1_25partition_config_selectorILNS1_17partition_subalgoE9ExjbEEZZNS1_14partition_implILS5_9ELb0ES3_jN6thrust23THRUST_200600_302600_NS6detail15normal_iteratorINS9_10device_ptrIxEEEENSB_INSC_IjEEEEPNS0_10empty_typeENS0_5tupleIJSE_SH_EEENSJ_IJNS9_16discard_iteratorINS9_11use_defaultEEESI_EEENS0_18inequality_wrapperINS9_8equal_toIxEEEEPmJSH_EEE10hipError_tPvRmT3_T4_T5_T6_T7_T9_mT8_P12ihipStream_tbDpT10_ENKUlT_T0_E_clISt17integral_constantIbLb0EES1C_IbLb1EEEEDaS18_S19_EUlS18_E_NS1_11comp_targetILNS1_3genE4ELNS1_11target_archE910ELNS1_3gpuE8ELNS1_3repE0EEENS1_30default_config_static_selectorELNS0_4arch9wavefront6targetE0EEEvT1_
                                        ; -- End function
	.section	.AMDGPU.csdata,"",@progbits
; Kernel info:
; codeLenInByte = 0
; NumSgprs: 0
; NumVgprs: 0
; ScratchSize: 0
; MemoryBound: 0
; FloatMode: 240
; IeeeMode: 1
; LDSByteSize: 0 bytes/workgroup (compile time only)
; SGPRBlocks: 0
; VGPRBlocks: 0
; NumSGPRsForWavesPerEU: 1
; NumVGPRsForWavesPerEU: 1
; Occupancy: 15
; WaveLimiterHint : 0
; COMPUTE_PGM_RSRC2:SCRATCH_EN: 0
; COMPUTE_PGM_RSRC2:USER_SGPR: 15
; COMPUTE_PGM_RSRC2:TRAP_HANDLER: 0
; COMPUTE_PGM_RSRC2:TGID_X_EN: 1
; COMPUTE_PGM_RSRC2:TGID_Y_EN: 0
; COMPUTE_PGM_RSRC2:TGID_Z_EN: 0
; COMPUTE_PGM_RSRC2:TIDIG_COMP_CNT: 0
	.section	.text._ZN7rocprim17ROCPRIM_400000_NS6detail17trampoline_kernelINS0_14default_configENS1_25partition_config_selectorILNS1_17partition_subalgoE9ExjbEEZZNS1_14partition_implILS5_9ELb0ES3_jN6thrust23THRUST_200600_302600_NS6detail15normal_iteratorINS9_10device_ptrIxEEEENSB_INSC_IjEEEEPNS0_10empty_typeENS0_5tupleIJSE_SH_EEENSJ_IJNS9_16discard_iteratorINS9_11use_defaultEEESI_EEENS0_18inequality_wrapperINS9_8equal_toIxEEEEPmJSH_EEE10hipError_tPvRmT3_T4_T5_T6_T7_T9_mT8_P12ihipStream_tbDpT10_ENKUlT_T0_E_clISt17integral_constantIbLb0EES1C_IbLb1EEEEDaS18_S19_EUlS18_E_NS1_11comp_targetILNS1_3genE3ELNS1_11target_archE908ELNS1_3gpuE7ELNS1_3repE0EEENS1_30default_config_static_selectorELNS0_4arch9wavefront6targetE0EEEvT1_,"axG",@progbits,_ZN7rocprim17ROCPRIM_400000_NS6detail17trampoline_kernelINS0_14default_configENS1_25partition_config_selectorILNS1_17partition_subalgoE9ExjbEEZZNS1_14partition_implILS5_9ELb0ES3_jN6thrust23THRUST_200600_302600_NS6detail15normal_iteratorINS9_10device_ptrIxEEEENSB_INSC_IjEEEEPNS0_10empty_typeENS0_5tupleIJSE_SH_EEENSJ_IJNS9_16discard_iteratorINS9_11use_defaultEEESI_EEENS0_18inequality_wrapperINS9_8equal_toIxEEEEPmJSH_EEE10hipError_tPvRmT3_T4_T5_T6_T7_T9_mT8_P12ihipStream_tbDpT10_ENKUlT_T0_E_clISt17integral_constantIbLb0EES1C_IbLb1EEEEDaS18_S19_EUlS18_E_NS1_11comp_targetILNS1_3genE3ELNS1_11target_archE908ELNS1_3gpuE7ELNS1_3repE0EEENS1_30default_config_static_selectorELNS0_4arch9wavefront6targetE0EEEvT1_,comdat
	.protected	_ZN7rocprim17ROCPRIM_400000_NS6detail17trampoline_kernelINS0_14default_configENS1_25partition_config_selectorILNS1_17partition_subalgoE9ExjbEEZZNS1_14partition_implILS5_9ELb0ES3_jN6thrust23THRUST_200600_302600_NS6detail15normal_iteratorINS9_10device_ptrIxEEEENSB_INSC_IjEEEEPNS0_10empty_typeENS0_5tupleIJSE_SH_EEENSJ_IJNS9_16discard_iteratorINS9_11use_defaultEEESI_EEENS0_18inequality_wrapperINS9_8equal_toIxEEEEPmJSH_EEE10hipError_tPvRmT3_T4_T5_T6_T7_T9_mT8_P12ihipStream_tbDpT10_ENKUlT_T0_E_clISt17integral_constantIbLb0EES1C_IbLb1EEEEDaS18_S19_EUlS18_E_NS1_11comp_targetILNS1_3genE3ELNS1_11target_archE908ELNS1_3gpuE7ELNS1_3repE0EEENS1_30default_config_static_selectorELNS0_4arch9wavefront6targetE0EEEvT1_ ; -- Begin function _ZN7rocprim17ROCPRIM_400000_NS6detail17trampoline_kernelINS0_14default_configENS1_25partition_config_selectorILNS1_17partition_subalgoE9ExjbEEZZNS1_14partition_implILS5_9ELb0ES3_jN6thrust23THRUST_200600_302600_NS6detail15normal_iteratorINS9_10device_ptrIxEEEENSB_INSC_IjEEEEPNS0_10empty_typeENS0_5tupleIJSE_SH_EEENSJ_IJNS9_16discard_iteratorINS9_11use_defaultEEESI_EEENS0_18inequality_wrapperINS9_8equal_toIxEEEEPmJSH_EEE10hipError_tPvRmT3_T4_T5_T6_T7_T9_mT8_P12ihipStream_tbDpT10_ENKUlT_T0_E_clISt17integral_constantIbLb0EES1C_IbLb1EEEEDaS18_S19_EUlS18_E_NS1_11comp_targetILNS1_3genE3ELNS1_11target_archE908ELNS1_3gpuE7ELNS1_3repE0EEENS1_30default_config_static_selectorELNS0_4arch9wavefront6targetE0EEEvT1_
	.globl	_ZN7rocprim17ROCPRIM_400000_NS6detail17trampoline_kernelINS0_14default_configENS1_25partition_config_selectorILNS1_17partition_subalgoE9ExjbEEZZNS1_14partition_implILS5_9ELb0ES3_jN6thrust23THRUST_200600_302600_NS6detail15normal_iteratorINS9_10device_ptrIxEEEENSB_INSC_IjEEEEPNS0_10empty_typeENS0_5tupleIJSE_SH_EEENSJ_IJNS9_16discard_iteratorINS9_11use_defaultEEESI_EEENS0_18inequality_wrapperINS9_8equal_toIxEEEEPmJSH_EEE10hipError_tPvRmT3_T4_T5_T6_T7_T9_mT8_P12ihipStream_tbDpT10_ENKUlT_T0_E_clISt17integral_constantIbLb0EES1C_IbLb1EEEEDaS18_S19_EUlS18_E_NS1_11comp_targetILNS1_3genE3ELNS1_11target_archE908ELNS1_3gpuE7ELNS1_3repE0EEENS1_30default_config_static_selectorELNS0_4arch9wavefront6targetE0EEEvT1_
	.p2align	8
	.type	_ZN7rocprim17ROCPRIM_400000_NS6detail17trampoline_kernelINS0_14default_configENS1_25partition_config_selectorILNS1_17partition_subalgoE9ExjbEEZZNS1_14partition_implILS5_9ELb0ES3_jN6thrust23THRUST_200600_302600_NS6detail15normal_iteratorINS9_10device_ptrIxEEEENSB_INSC_IjEEEEPNS0_10empty_typeENS0_5tupleIJSE_SH_EEENSJ_IJNS9_16discard_iteratorINS9_11use_defaultEEESI_EEENS0_18inequality_wrapperINS9_8equal_toIxEEEEPmJSH_EEE10hipError_tPvRmT3_T4_T5_T6_T7_T9_mT8_P12ihipStream_tbDpT10_ENKUlT_T0_E_clISt17integral_constantIbLb0EES1C_IbLb1EEEEDaS18_S19_EUlS18_E_NS1_11comp_targetILNS1_3genE3ELNS1_11target_archE908ELNS1_3gpuE7ELNS1_3repE0EEENS1_30default_config_static_selectorELNS0_4arch9wavefront6targetE0EEEvT1_,@function
_ZN7rocprim17ROCPRIM_400000_NS6detail17trampoline_kernelINS0_14default_configENS1_25partition_config_selectorILNS1_17partition_subalgoE9ExjbEEZZNS1_14partition_implILS5_9ELb0ES3_jN6thrust23THRUST_200600_302600_NS6detail15normal_iteratorINS9_10device_ptrIxEEEENSB_INSC_IjEEEEPNS0_10empty_typeENS0_5tupleIJSE_SH_EEENSJ_IJNS9_16discard_iteratorINS9_11use_defaultEEESI_EEENS0_18inequality_wrapperINS9_8equal_toIxEEEEPmJSH_EEE10hipError_tPvRmT3_T4_T5_T6_T7_T9_mT8_P12ihipStream_tbDpT10_ENKUlT_T0_E_clISt17integral_constantIbLb0EES1C_IbLb1EEEEDaS18_S19_EUlS18_E_NS1_11comp_targetILNS1_3genE3ELNS1_11target_archE908ELNS1_3gpuE7ELNS1_3repE0EEENS1_30default_config_static_selectorELNS0_4arch9wavefront6targetE0EEEvT1_: ; @_ZN7rocprim17ROCPRIM_400000_NS6detail17trampoline_kernelINS0_14default_configENS1_25partition_config_selectorILNS1_17partition_subalgoE9ExjbEEZZNS1_14partition_implILS5_9ELb0ES3_jN6thrust23THRUST_200600_302600_NS6detail15normal_iteratorINS9_10device_ptrIxEEEENSB_INSC_IjEEEEPNS0_10empty_typeENS0_5tupleIJSE_SH_EEENSJ_IJNS9_16discard_iteratorINS9_11use_defaultEEESI_EEENS0_18inequality_wrapperINS9_8equal_toIxEEEEPmJSH_EEE10hipError_tPvRmT3_T4_T5_T6_T7_T9_mT8_P12ihipStream_tbDpT10_ENKUlT_T0_E_clISt17integral_constantIbLb0EES1C_IbLb1EEEEDaS18_S19_EUlS18_E_NS1_11comp_targetILNS1_3genE3ELNS1_11target_archE908ELNS1_3gpuE7ELNS1_3repE0EEENS1_30default_config_static_selectorELNS0_4arch9wavefront6targetE0EEEvT1_
; %bb.0:
	.section	.rodata,"a",@progbits
	.p2align	6, 0x0
	.amdhsa_kernel _ZN7rocprim17ROCPRIM_400000_NS6detail17trampoline_kernelINS0_14default_configENS1_25partition_config_selectorILNS1_17partition_subalgoE9ExjbEEZZNS1_14partition_implILS5_9ELb0ES3_jN6thrust23THRUST_200600_302600_NS6detail15normal_iteratorINS9_10device_ptrIxEEEENSB_INSC_IjEEEEPNS0_10empty_typeENS0_5tupleIJSE_SH_EEENSJ_IJNS9_16discard_iteratorINS9_11use_defaultEEESI_EEENS0_18inequality_wrapperINS9_8equal_toIxEEEEPmJSH_EEE10hipError_tPvRmT3_T4_T5_T6_T7_T9_mT8_P12ihipStream_tbDpT10_ENKUlT_T0_E_clISt17integral_constantIbLb0EES1C_IbLb1EEEEDaS18_S19_EUlS18_E_NS1_11comp_targetILNS1_3genE3ELNS1_11target_archE908ELNS1_3gpuE7ELNS1_3repE0EEENS1_30default_config_static_selectorELNS0_4arch9wavefront6targetE0EEEvT1_
		.amdhsa_group_segment_fixed_size 0
		.amdhsa_private_segment_fixed_size 0
		.amdhsa_kernarg_size 136
		.amdhsa_user_sgpr_count 15
		.amdhsa_user_sgpr_dispatch_ptr 0
		.amdhsa_user_sgpr_queue_ptr 0
		.amdhsa_user_sgpr_kernarg_segment_ptr 1
		.amdhsa_user_sgpr_dispatch_id 0
		.amdhsa_user_sgpr_private_segment_size 0
		.amdhsa_wavefront_size32 1
		.amdhsa_uses_dynamic_stack 0
		.amdhsa_enable_private_segment 0
		.amdhsa_system_sgpr_workgroup_id_x 1
		.amdhsa_system_sgpr_workgroup_id_y 0
		.amdhsa_system_sgpr_workgroup_id_z 0
		.amdhsa_system_sgpr_workgroup_info 0
		.amdhsa_system_vgpr_workitem_id 0
		.amdhsa_next_free_vgpr 1
		.amdhsa_next_free_sgpr 1
		.amdhsa_reserve_vcc 0
		.amdhsa_float_round_mode_32 0
		.amdhsa_float_round_mode_16_64 0
		.amdhsa_float_denorm_mode_32 3
		.amdhsa_float_denorm_mode_16_64 3
		.amdhsa_dx10_clamp 1
		.amdhsa_ieee_mode 1
		.amdhsa_fp16_overflow 0
		.amdhsa_workgroup_processor_mode 1
		.amdhsa_memory_ordered 1
		.amdhsa_forward_progress 0
		.amdhsa_shared_vgpr_count 0
		.amdhsa_exception_fp_ieee_invalid_op 0
		.amdhsa_exception_fp_denorm_src 0
		.amdhsa_exception_fp_ieee_div_zero 0
		.amdhsa_exception_fp_ieee_overflow 0
		.amdhsa_exception_fp_ieee_underflow 0
		.amdhsa_exception_fp_ieee_inexact 0
		.amdhsa_exception_int_div_zero 0
	.end_amdhsa_kernel
	.section	.text._ZN7rocprim17ROCPRIM_400000_NS6detail17trampoline_kernelINS0_14default_configENS1_25partition_config_selectorILNS1_17partition_subalgoE9ExjbEEZZNS1_14partition_implILS5_9ELb0ES3_jN6thrust23THRUST_200600_302600_NS6detail15normal_iteratorINS9_10device_ptrIxEEEENSB_INSC_IjEEEEPNS0_10empty_typeENS0_5tupleIJSE_SH_EEENSJ_IJNS9_16discard_iteratorINS9_11use_defaultEEESI_EEENS0_18inequality_wrapperINS9_8equal_toIxEEEEPmJSH_EEE10hipError_tPvRmT3_T4_T5_T6_T7_T9_mT8_P12ihipStream_tbDpT10_ENKUlT_T0_E_clISt17integral_constantIbLb0EES1C_IbLb1EEEEDaS18_S19_EUlS18_E_NS1_11comp_targetILNS1_3genE3ELNS1_11target_archE908ELNS1_3gpuE7ELNS1_3repE0EEENS1_30default_config_static_selectorELNS0_4arch9wavefront6targetE0EEEvT1_,"axG",@progbits,_ZN7rocprim17ROCPRIM_400000_NS6detail17trampoline_kernelINS0_14default_configENS1_25partition_config_selectorILNS1_17partition_subalgoE9ExjbEEZZNS1_14partition_implILS5_9ELb0ES3_jN6thrust23THRUST_200600_302600_NS6detail15normal_iteratorINS9_10device_ptrIxEEEENSB_INSC_IjEEEEPNS0_10empty_typeENS0_5tupleIJSE_SH_EEENSJ_IJNS9_16discard_iteratorINS9_11use_defaultEEESI_EEENS0_18inequality_wrapperINS9_8equal_toIxEEEEPmJSH_EEE10hipError_tPvRmT3_T4_T5_T6_T7_T9_mT8_P12ihipStream_tbDpT10_ENKUlT_T0_E_clISt17integral_constantIbLb0EES1C_IbLb1EEEEDaS18_S19_EUlS18_E_NS1_11comp_targetILNS1_3genE3ELNS1_11target_archE908ELNS1_3gpuE7ELNS1_3repE0EEENS1_30default_config_static_selectorELNS0_4arch9wavefront6targetE0EEEvT1_,comdat
.Lfunc_end1040:
	.size	_ZN7rocprim17ROCPRIM_400000_NS6detail17trampoline_kernelINS0_14default_configENS1_25partition_config_selectorILNS1_17partition_subalgoE9ExjbEEZZNS1_14partition_implILS5_9ELb0ES3_jN6thrust23THRUST_200600_302600_NS6detail15normal_iteratorINS9_10device_ptrIxEEEENSB_INSC_IjEEEEPNS0_10empty_typeENS0_5tupleIJSE_SH_EEENSJ_IJNS9_16discard_iteratorINS9_11use_defaultEEESI_EEENS0_18inequality_wrapperINS9_8equal_toIxEEEEPmJSH_EEE10hipError_tPvRmT3_T4_T5_T6_T7_T9_mT8_P12ihipStream_tbDpT10_ENKUlT_T0_E_clISt17integral_constantIbLb0EES1C_IbLb1EEEEDaS18_S19_EUlS18_E_NS1_11comp_targetILNS1_3genE3ELNS1_11target_archE908ELNS1_3gpuE7ELNS1_3repE0EEENS1_30default_config_static_selectorELNS0_4arch9wavefront6targetE0EEEvT1_, .Lfunc_end1040-_ZN7rocprim17ROCPRIM_400000_NS6detail17trampoline_kernelINS0_14default_configENS1_25partition_config_selectorILNS1_17partition_subalgoE9ExjbEEZZNS1_14partition_implILS5_9ELb0ES3_jN6thrust23THRUST_200600_302600_NS6detail15normal_iteratorINS9_10device_ptrIxEEEENSB_INSC_IjEEEEPNS0_10empty_typeENS0_5tupleIJSE_SH_EEENSJ_IJNS9_16discard_iteratorINS9_11use_defaultEEESI_EEENS0_18inequality_wrapperINS9_8equal_toIxEEEEPmJSH_EEE10hipError_tPvRmT3_T4_T5_T6_T7_T9_mT8_P12ihipStream_tbDpT10_ENKUlT_T0_E_clISt17integral_constantIbLb0EES1C_IbLb1EEEEDaS18_S19_EUlS18_E_NS1_11comp_targetILNS1_3genE3ELNS1_11target_archE908ELNS1_3gpuE7ELNS1_3repE0EEENS1_30default_config_static_selectorELNS0_4arch9wavefront6targetE0EEEvT1_
                                        ; -- End function
	.section	.AMDGPU.csdata,"",@progbits
; Kernel info:
; codeLenInByte = 0
; NumSgprs: 0
; NumVgprs: 0
; ScratchSize: 0
; MemoryBound: 0
; FloatMode: 240
; IeeeMode: 1
; LDSByteSize: 0 bytes/workgroup (compile time only)
; SGPRBlocks: 0
; VGPRBlocks: 0
; NumSGPRsForWavesPerEU: 1
; NumVGPRsForWavesPerEU: 1
; Occupancy: 16
; WaveLimiterHint : 0
; COMPUTE_PGM_RSRC2:SCRATCH_EN: 0
; COMPUTE_PGM_RSRC2:USER_SGPR: 15
; COMPUTE_PGM_RSRC2:TRAP_HANDLER: 0
; COMPUTE_PGM_RSRC2:TGID_X_EN: 1
; COMPUTE_PGM_RSRC2:TGID_Y_EN: 0
; COMPUTE_PGM_RSRC2:TGID_Z_EN: 0
; COMPUTE_PGM_RSRC2:TIDIG_COMP_CNT: 0
	.section	.text._ZN7rocprim17ROCPRIM_400000_NS6detail17trampoline_kernelINS0_14default_configENS1_25partition_config_selectorILNS1_17partition_subalgoE9ExjbEEZZNS1_14partition_implILS5_9ELb0ES3_jN6thrust23THRUST_200600_302600_NS6detail15normal_iteratorINS9_10device_ptrIxEEEENSB_INSC_IjEEEEPNS0_10empty_typeENS0_5tupleIJSE_SH_EEENSJ_IJNS9_16discard_iteratorINS9_11use_defaultEEESI_EEENS0_18inequality_wrapperINS9_8equal_toIxEEEEPmJSH_EEE10hipError_tPvRmT3_T4_T5_T6_T7_T9_mT8_P12ihipStream_tbDpT10_ENKUlT_T0_E_clISt17integral_constantIbLb0EES1C_IbLb1EEEEDaS18_S19_EUlS18_E_NS1_11comp_targetILNS1_3genE2ELNS1_11target_archE906ELNS1_3gpuE6ELNS1_3repE0EEENS1_30default_config_static_selectorELNS0_4arch9wavefront6targetE0EEEvT1_,"axG",@progbits,_ZN7rocprim17ROCPRIM_400000_NS6detail17trampoline_kernelINS0_14default_configENS1_25partition_config_selectorILNS1_17partition_subalgoE9ExjbEEZZNS1_14partition_implILS5_9ELb0ES3_jN6thrust23THRUST_200600_302600_NS6detail15normal_iteratorINS9_10device_ptrIxEEEENSB_INSC_IjEEEEPNS0_10empty_typeENS0_5tupleIJSE_SH_EEENSJ_IJNS9_16discard_iteratorINS9_11use_defaultEEESI_EEENS0_18inequality_wrapperINS9_8equal_toIxEEEEPmJSH_EEE10hipError_tPvRmT3_T4_T5_T6_T7_T9_mT8_P12ihipStream_tbDpT10_ENKUlT_T0_E_clISt17integral_constantIbLb0EES1C_IbLb1EEEEDaS18_S19_EUlS18_E_NS1_11comp_targetILNS1_3genE2ELNS1_11target_archE906ELNS1_3gpuE6ELNS1_3repE0EEENS1_30default_config_static_selectorELNS0_4arch9wavefront6targetE0EEEvT1_,comdat
	.protected	_ZN7rocprim17ROCPRIM_400000_NS6detail17trampoline_kernelINS0_14default_configENS1_25partition_config_selectorILNS1_17partition_subalgoE9ExjbEEZZNS1_14partition_implILS5_9ELb0ES3_jN6thrust23THRUST_200600_302600_NS6detail15normal_iteratorINS9_10device_ptrIxEEEENSB_INSC_IjEEEEPNS0_10empty_typeENS0_5tupleIJSE_SH_EEENSJ_IJNS9_16discard_iteratorINS9_11use_defaultEEESI_EEENS0_18inequality_wrapperINS9_8equal_toIxEEEEPmJSH_EEE10hipError_tPvRmT3_T4_T5_T6_T7_T9_mT8_P12ihipStream_tbDpT10_ENKUlT_T0_E_clISt17integral_constantIbLb0EES1C_IbLb1EEEEDaS18_S19_EUlS18_E_NS1_11comp_targetILNS1_3genE2ELNS1_11target_archE906ELNS1_3gpuE6ELNS1_3repE0EEENS1_30default_config_static_selectorELNS0_4arch9wavefront6targetE0EEEvT1_ ; -- Begin function _ZN7rocprim17ROCPRIM_400000_NS6detail17trampoline_kernelINS0_14default_configENS1_25partition_config_selectorILNS1_17partition_subalgoE9ExjbEEZZNS1_14partition_implILS5_9ELb0ES3_jN6thrust23THRUST_200600_302600_NS6detail15normal_iteratorINS9_10device_ptrIxEEEENSB_INSC_IjEEEEPNS0_10empty_typeENS0_5tupleIJSE_SH_EEENSJ_IJNS9_16discard_iteratorINS9_11use_defaultEEESI_EEENS0_18inequality_wrapperINS9_8equal_toIxEEEEPmJSH_EEE10hipError_tPvRmT3_T4_T5_T6_T7_T9_mT8_P12ihipStream_tbDpT10_ENKUlT_T0_E_clISt17integral_constantIbLb0EES1C_IbLb1EEEEDaS18_S19_EUlS18_E_NS1_11comp_targetILNS1_3genE2ELNS1_11target_archE906ELNS1_3gpuE6ELNS1_3repE0EEENS1_30default_config_static_selectorELNS0_4arch9wavefront6targetE0EEEvT1_
	.globl	_ZN7rocprim17ROCPRIM_400000_NS6detail17trampoline_kernelINS0_14default_configENS1_25partition_config_selectorILNS1_17partition_subalgoE9ExjbEEZZNS1_14partition_implILS5_9ELb0ES3_jN6thrust23THRUST_200600_302600_NS6detail15normal_iteratorINS9_10device_ptrIxEEEENSB_INSC_IjEEEEPNS0_10empty_typeENS0_5tupleIJSE_SH_EEENSJ_IJNS9_16discard_iteratorINS9_11use_defaultEEESI_EEENS0_18inequality_wrapperINS9_8equal_toIxEEEEPmJSH_EEE10hipError_tPvRmT3_T4_T5_T6_T7_T9_mT8_P12ihipStream_tbDpT10_ENKUlT_T0_E_clISt17integral_constantIbLb0EES1C_IbLb1EEEEDaS18_S19_EUlS18_E_NS1_11comp_targetILNS1_3genE2ELNS1_11target_archE906ELNS1_3gpuE6ELNS1_3repE0EEENS1_30default_config_static_selectorELNS0_4arch9wavefront6targetE0EEEvT1_
	.p2align	8
	.type	_ZN7rocprim17ROCPRIM_400000_NS6detail17trampoline_kernelINS0_14default_configENS1_25partition_config_selectorILNS1_17partition_subalgoE9ExjbEEZZNS1_14partition_implILS5_9ELb0ES3_jN6thrust23THRUST_200600_302600_NS6detail15normal_iteratorINS9_10device_ptrIxEEEENSB_INSC_IjEEEEPNS0_10empty_typeENS0_5tupleIJSE_SH_EEENSJ_IJNS9_16discard_iteratorINS9_11use_defaultEEESI_EEENS0_18inequality_wrapperINS9_8equal_toIxEEEEPmJSH_EEE10hipError_tPvRmT3_T4_T5_T6_T7_T9_mT8_P12ihipStream_tbDpT10_ENKUlT_T0_E_clISt17integral_constantIbLb0EES1C_IbLb1EEEEDaS18_S19_EUlS18_E_NS1_11comp_targetILNS1_3genE2ELNS1_11target_archE906ELNS1_3gpuE6ELNS1_3repE0EEENS1_30default_config_static_selectorELNS0_4arch9wavefront6targetE0EEEvT1_,@function
_ZN7rocprim17ROCPRIM_400000_NS6detail17trampoline_kernelINS0_14default_configENS1_25partition_config_selectorILNS1_17partition_subalgoE9ExjbEEZZNS1_14partition_implILS5_9ELb0ES3_jN6thrust23THRUST_200600_302600_NS6detail15normal_iteratorINS9_10device_ptrIxEEEENSB_INSC_IjEEEEPNS0_10empty_typeENS0_5tupleIJSE_SH_EEENSJ_IJNS9_16discard_iteratorINS9_11use_defaultEEESI_EEENS0_18inequality_wrapperINS9_8equal_toIxEEEEPmJSH_EEE10hipError_tPvRmT3_T4_T5_T6_T7_T9_mT8_P12ihipStream_tbDpT10_ENKUlT_T0_E_clISt17integral_constantIbLb0EES1C_IbLb1EEEEDaS18_S19_EUlS18_E_NS1_11comp_targetILNS1_3genE2ELNS1_11target_archE906ELNS1_3gpuE6ELNS1_3repE0EEENS1_30default_config_static_selectorELNS0_4arch9wavefront6targetE0EEEvT1_: ; @_ZN7rocprim17ROCPRIM_400000_NS6detail17trampoline_kernelINS0_14default_configENS1_25partition_config_selectorILNS1_17partition_subalgoE9ExjbEEZZNS1_14partition_implILS5_9ELb0ES3_jN6thrust23THRUST_200600_302600_NS6detail15normal_iteratorINS9_10device_ptrIxEEEENSB_INSC_IjEEEEPNS0_10empty_typeENS0_5tupleIJSE_SH_EEENSJ_IJNS9_16discard_iteratorINS9_11use_defaultEEESI_EEENS0_18inequality_wrapperINS9_8equal_toIxEEEEPmJSH_EEE10hipError_tPvRmT3_T4_T5_T6_T7_T9_mT8_P12ihipStream_tbDpT10_ENKUlT_T0_E_clISt17integral_constantIbLb0EES1C_IbLb1EEEEDaS18_S19_EUlS18_E_NS1_11comp_targetILNS1_3genE2ELNS1_11target_archE906ELNS1_3gpuE6ELNS1_3repE0EEENS1_30default_config_static_selectorELNS0_4arch9wavefront6targetE0EEEvT1_
; %bb.0:
	.section	.rodata,"a",@progbits
	.p2align	6, 0x0
	.amdhsa_kernel _ZN7rocprim17ROCPRIM_400000_NS6detail17trampoline_kernelINS0_14default_configENS1_25partition_config_selectorILNS1_17partition_subalgoE9ExjbEEZZNS1_14partition_implILS5_9ELb0ES3_jN6thrust23THRUST_200600_302600_NS6detail15normal_iteratorINS9_10device_ptrIxEEEENSB_INSC_IjEEEEPNS0_10empty_typeENS0_5tupleIJSE_SH_EEENSJ_IJNS9_16discard_iteratorINS9_11use_defaultEEESI_EEENS0_18inequality_wrapperINS9_8equal_toIxEEEEPmJSH_EEE10hipError_tPvRmT3_T4_T5_T6_T7_T9_mT8_P12ihipStream_tbDpT10_ENKUlT_T0_E_clISt17integral_constantIbLb0EES1C_IbLb1EEEEDaS18_S19_EUlS18_E_NS1_11comp_targetILNS1_3genE2ELNS1_11target_archE906ELNS1_3gpuE6ELNS1_3repE0EEENS1_30default_config_static_selectorELNS0_4arch9wavefront6targetE0EEEvT1_
		.amdhsa_group_segment_fixed_size 0
		.amdhsa_private_segment_fixed_size 0
		.amdhsa_kernarg_size 136
		.amdhsa_user_sgpr_count 15
		.amdhsa_user_sgpr_dispatch_ptr 0
		.amdhsa_user_sgpr_queue_ptr 0
		.amdhsa_user_sgpr_kernarg_segment_ptr 1
		.amdhsa_user_sgpr_dispatch_id 0
		.amdhsa_user_sgpr_private_segment_size 0
		.amdhsa_wavefront_size32 1
		.amdhsa_uses_dynamic_stack 0
		.amdhsa_enable_private_segment 0
		.amdhsa_system_sgpr_workgroup_id_x 1
		.amdhsa_system_sgpr_workgroup_id_y 0
		.amdhsa_system_sgpr_workgroup_id_z 0
		.amdhsa_system_sgpr_workgroup_info 0
		.amdhsa_system_vgpr_workitem_id 0
		.amdhsa_next_free_vgpr 1
		.amdhsa_next_free_sgpr 1
		.amdhsa_reserve_vcc 0
		.amdhsa_float_round_mode_32 0
		.amdhsa_float_round_mode_16_64 0
		.amdhsa_float_denorm_mode_32 3
		.amdhsa_float_denorm_mode_16_64 3
		.amdhsa_dx10_clamp 1
		.amdhsa_ieee_mode 1
		.amdhsa_fp16_overflow 0
		.amdhsa_workgroup_processor_mode 1
		.amdhsa_memory_ordered 1
		.amdhsa_forward_progress 0
		.amdhsa_shared_vgpr_count 0
		.amdhsa_exception_fp_ieee_invalid_op 0
		.amdhsa_exception_fp_denorm_src 0
		.amdhsa_exception_fp_ieee_div_zero 0
		.amdhsa_exception_fp_ieee_overflow 0
		.amdhsa_exception_fp_ieee_underflow 0
		.amdhsa_exception_fp_ieee_inexact 0
		.amdhsa_exception_int_div_zero 0
	.end_amdhsa_kernel
	.section	.text._ZN7rocprim17ROCPRIM_400000_NS6detail17trampoline_kernelINS0_14default_configENS1_25partition_config_selectorILNS1_17partition_subalgoE9ExjbEEZZNS1_14partition_implILS5_9ELb0ES3_jN6thrust23THRUST_200600_302600_NS6detail15normal_iteratorINS9_10device_ptrIxEEEENSB_INSC_IjEEEEPNS0_10empty_typeENS0_5tupleIJSE_SH_EEENSJ_IJNS9_16discard_iteratorINS9_11use_defaultEEESI_EEENS0_18inequality_wrapperINS9_8equal_toIxEEEEPmJSH_EEE10hipError_tPvRmT3_T4_T5_T6_T7_T9_mT8_P12ihipStream_tbDpT10_ENKUlT_T0_E_clISt17integral_constantIbLb0EES1C_IbLb1EEEEDaS18_S19_EUlS18_E_NS1_11comp_targetILNS1_3genE2ELNS1_11target_archE906ELNS1_3gpuE6ELNS1_3repE0EEENS1_30default_config_static_selectorELNS0_4arch9wavefront6targetE0EEEvT1_,"axG",@progbits,_ZN7rocprim17ROCPRIM_400000_NS6detail17trampoline_kernelINS0_14default_configENS1_25partition_config_selectorILNS1_17partition_subalgoE9ExjbEEZZNS1_14partition_implILS5_9ELb0ES3_jN6thrust23THRUST_200600_302600_NS6detail15normal_iteratorINS9_10device_ptrIxEEEENSB_INSC_IjEEEEPNS0_10empty_typeENS0_5tupleIJSE_SH_EEENSJ_IJNS9_16discard_iteratorINS9_11use_defaultEEESI_EEENS0_18inequality_wrapperINS9_8equal_toIxEEEEPmJSH_EEE10hipError_tPvRmT3_T4_T5_T6_T7_T9_mT8_P12ihipStream_tbDpT10_ENKUlT_T0_E_clISt17integral_constantIbLb0EES1C_IbLb1EEEEDaS18_S19_EUlS18_E_NS1_11comp_targetILNS1_3genE2ELNS1_11target_archE906ELNS1_3gpuE6ELNS1_3repE0EEENS1_30default_config_static_selectorELNS0_4arch9wavefront6targetE0EEEvT1_,comdat
.Lfunc_end1041:
	.size	_ZN7rocprim17ROCPRIM_400000_NS6detail17trampoline_kernelINS0_14default_configENS1_25partition_config_selectorILNS1_17partition_subalgoE9ExjbEEZZNS1_14partition_implILS5_9ELb0ES3_jN6thrust23THRUST_200600_302600_NS6detail15normal_iteratorINS9_10device_ptrIxEEEENSB_INSC_IjEEEEPNS0_10empty_typeENS0_5tupleIJSE_SH_EEENSJ_IJNS9_16discard_iteratorINS9_11use_defaultEEESI_EEENS0_18inequality_wrapperINS9_8equal_toIxEEEEPmJSH_EEE10hipError_tPvRmT3_T4_T5_T6_T7_T9_mT8_P12ihipStream_tbDpT10_ENKUlT_T0_E_clISt17integral_constantIbLb0EES1C_IbLb1EEEEDaS18_S19_EUlS18_E_NS1_11comp_targetILNS1_3genE2ELNS1_11target_archE906ELNS1_3gpuE6ELNS1_3repE0EEENS1_30default_config_static_selectorELNS0_4arch9wavefront6targetE0EEEvT1_, .Lfunc_end1041-_ZN7rocprim17ROCPRIM_400000_NS6detail17trampoline_kernelINS0_14default_configENS1_25partition_config_selectorILNS1_17partition_subalgoE9ExjbEEZZNS1_14partition_implILS5_9ELb0ES3_jN6thrust23THRUST_200600_302600_NS6detail15normal_iteratorINS9_10device_ptrIxEEEENSB_INSC_IjEEEEPNS0_10empty_typeENS0_5tupleIJSE_SH_EEENSJ_IJNS9_16discard_iteratorINS9_11use_defaultEEESI_EEENS0_18inequality_wrapperINS9_8equal_toIxEEEEPmJSH_EEE10hipError_tPvRmT3_T4_T5_T6_T7_T9_mT8_P12ihipStream_tbDpT10_ENKUlT_T0_E_clISt17integral_constantIbLb0EES1C_IbLb1EEEEDaS18_S19_EUlS18_E_NS1_11comp_targetILNS1_3genE2ELNS1_11target_archE906ELNS1_3gpuE6ELNS1_3repE0EEENS1_30default_config_static_selectorELNS0_4arch9wavefront6targetE0EEEvT1_
                                        ; -- End function
	.section	.AMDGPU.csdata,"",@progbits
; Kernel info:
; codeLenInByte = 0
; NumSgprs: 0
; NumVgprs: 0
; ScratchSize: 0
; MemoryBound: 0
; FloatMode: 240
; IeeeMode: 1
; LDSByteSize: 0 bytes/workgroup (compile time only)
; SGPRBlocks: 0
; VGPRBlocks: 0
; NumSGPRsForWavesPerEU: 1
; NumVGPRsForWavesPerEU: 1
; Occupancy: 16
; WaveLimiterHint : 0
; COMPUTE_PGM_RSRC2:SCRATCH_EN: 0
; COMPUTE_PGM_RSRC2:USER_SGPR: 15
; COMPUTE_PGM_RSRC2:TRAP_HANDLER: 0
; COMPUTE_PGM_RSRC2:TGID_X_EN: 1
; COMPUTE_PGM_RSRC2:TGID_Y_EN: 0
; COMPUTE_PGM_RSRC2:TGID_Z_EN: 0
; COMPUTE_PGM_RSRC2:TIDIG_COMP_CNT: 0
	.section	.text._ZN7rocprim17ROCPRIM_400000_NS6detail17trampoline_kernelINS0_14default_configENS1_25partition_config_selectorILNS1_17partition_subalgoE9ExjbEEZZNS1_14partition_implILS5_9ELb0ES3_jN6thrust23THRUST_200600_302600_NS6detail15normal_iteratorINS9_10device_ptrIxEEEENSB_INSC_IjEEEEPNS0_10empty_typeENS0_5tupleIJSE_SH_EEENSJ_IJNS9_16discard_iteratorINS9_11use_defaultEEESI_EEENS0_18inequality_wrapperINS9_8equal_toIxEEEEPmJSH_EEE10hipError_tPvRmT3_T4_T5_T6_T7_T9_mT8_P12ihipStream_tbDpT10_ENKUlT_T0_E_clISt17integral_constantIbLb0EES1C_IbLb1EEEEDaS18_S19_EUlS18_E_NS1_11comp_targetILNS1_3genE10ELNS1_11target_archE1200ELNS1_3gpuE4ELNS1_3repE0EEENS1_30default_config_static_selectorELNS0_4arch9wavefront6targetE0EEEvT1_,"axG",@progbits,_ZN7rocprim17ROCPRIM_400000_NS6detail17trampoline_kernelINS0_14default_configENS1_25partition_config_selectorILNS1_17partition_subalgoE9ExjbEEZZNS1_14partition_implILS5_9ELb0ES3_jN6thrust23THRUST_200600_302600_NS6detail15normal_iteratorINS9_10device_ptrIxEEEENSB_INSC_IjEEEEPNS0_10empty_typeENS0_5tupleIJSE_SH_EEENSJ_IJNS9_16discard_iteratorINS9_11use_defaultEEESI_EEENS0_18inequality_wrapperINS9_8equal_toIxEEEEPmJSH_EEE10hipError_tPvRmT3_T4_T5_T6_T7_T9_mT8_P12ihipStream_tbDpT10_ENKUlT_T0_E_clISt17integral_constantIbLb0EES1C_IbLb1EEEEDaS18_S19_EUlS18_E_NS1_11comp_targetILNS1_3genE10ELNS1_11target_archE1200ELNS1_3gpuE4ELNS1_3repE0EEENS1_30default_config_static_selectorELNS0_4arch9wavefront6targetE0EEEvT1_,comdat
	.protected	_ZN7rocprim17ROCPRIM_400000_NS6detail17trampoline_kernelINS0_14default_configENS1_25partition_config_selectorILNS1_17partition_subalgoE9ExjbEEZZNS1_14partition_implILS5_9ELb0ES3_jN6thrust23THRUST_200600_302600_NS6detail15normal_iteratorINS9_10device_ptrIxEEEENSB_INSC_IjEEEEPNS0_10empty_typeENS0_5tupleIJSE_SH_EEENSJ_IJNS9_16discard_iteratorINS9_11use_defaultEEESI_EEENS0_18inequality_wrapperINS9_8equal_toIxEEEEPmJSH_EEE10hipError_tPvRmT3_T4_T5_T6_T7_T9_mT8_P12ihipStream_tbDpT10_ENKUlT_T0_E_clISt17integral_constantIbLb0EES1C_IbLb1EEEEDaS18_S19_EUlS18_E_NS1_11comp_targetILNS1_3genE10ELNS1_11target_archE1200ELNS1_3gpuE4ELNS1_3repE0EEENS1_30default_config_static_selectorELNS0_4arch9wavefront6targetE0EEEvT1_ ; -- Begin function _ZN7rocprim17ROCPRIM_400000_NS6detail17trampoline_kernelINS0_14default_configENS1_25partition_config_selectorILNS1_17partition_subalgoE9ExjbEEZZNS1_14partition_implILS5_9ELb0ES3_jN6thrust23THRUST_200600_302600_NS6detail15normal_iteratorINS9_10device_ptrIxEEEENSB_INSC_IjEEEEPNS0_10empty_typeENS0_5tupleIJSE_SH_EEENSJ_IJNS9_16discard_iteratorINS9_11use_defaultEEESI_EEENS0_18inequality_wrapperINS9_8equal_toIxEEEEPmJSH_EEE10hipError_tPvRmT3_T4_T5_T6_T7_T9_mT8_P12ihipStream_tbDpT10_ENKUlT_T0_E_clISt17integral_constantIbLb0EES1C_IbLb1EEEEDaS18_S19_EUlS18_E_NS1_11comp_targetILNS1_3genE10ELNS1_11target_archE1200ELNS1_3gpuE4ELNS1_3repE0EEENS1_30default_config_static_selectorELNS0_4arch9wavefront6targetE0EEEvT1_
	.globl	_ZN7rocprim17ROCPRIM_400000_NS6detail17trampoline_kernelINS0_14default_configENS1_25partition_config_selectorILNS1_17partition_subalgoE9ExjbEEZZNS1_14partition_implILS5_9ELb0ES3_jN6thrust23THRUST_200600_302600_NS6detail15normal_iteratorINS9_10device_ptrIxEEEENSB_INSC_IjEEEEPNS0_10empty_typeENS0_5tupleIJSE_SH_EEENSJ_IJNS9_16discard_iteratorINS9_11use_defaultEEESI_EEENS0_18inequality_wrapperINS9_8equal_toIxEEEEPmJSH_EEE10hipError_tPvRmT3_T4_T5_T6_T7_T9_mT8_P12ihipStream_tbDpT10_ENKUlT_T0_E_clISt17integral_constantIbLb0EES1C_IbLb1EEEEDaS18_S19_EUlS18_E_NS1_11comp_targetILNS1_3genE10ELNS1_11target_archE1200ELNS1_3gpuE4ELNS1_3repE0EEENS1_30default_config_static_selectorELNS0_4arch9wavefront6targetE0EEEvT1_
	.p2align	8
	.type	_ZN7rocprim17ROCPRIM_400000_NS6detail17trampoline_kernelINS0_14default_configENS1_25partition_config_selectorILNS1_17partition_subalgoE9ExjbEEZZNS1_14partition_implILS5_9ELb0ES3_jN6thrust23THRUST_200600_302600_NS6detail15normal_iteratorINS9_10device_ptrIxEEEENSB_INSC_IjEEEEPNS0_10empty_typeENS0_5tupleIJSE_SH_EEENSJ_IJNS9_16discard_iteratorINS9_11use_defaultEEESI_EEENS0_18inequality_wrapperINS9_8equal_toIxEEEEPmJSH_EEE10hipError_tPvRmT3_T4_T5_T6_T7_T9_mT8_P12ihipStream_tbDpT10_ENKUlT_T0_E_clISt17integral_constantIbLb0EES1C_IbLb1EEEEDaS18_S19_EUlS18_E_NS1_11comp_targetILNS1_3genE10ELNS1_11target_archE1200ELNS1_3gpuE4ELNS1_3repE0EEENS1_30default_config_static_selectorELNS0_4arch9wavefront6targetE0EEEvT1_,@function
_ZN7rocprim17ROCPRIM_400000_NS6detail17trampoline_kernelINS0_14default_configENS1_25partition_config_selectorILNS1_17partition_subalgoE9ExjbEEZZNS1_14partition_implILS5_9ELb0ES3_jN6thrust23THRUST_200600_302600_NS6detail15normal_iteratorINS9_10device_ptrIxEEEENSB_INSC_IjEEEEPNS0_10empty_typeENS0_5tupleIJSE_SH_EEENSJ_IJNS9_16discard_iteratorINS9_11use_defaultEEESI_EEENS0_18inequality_wrapperINS9_8equal_toIxEEEEPmJSH_EEE10hipError_tPvRmT3_T4_T5_T6_T7_T9_mT8_P12ihipStream_tbDpT10_ENKUlT_T0_E_clISt17integral_constantIbLb0EES1C_IbLb1EEEEDaS18_S19_EUlS18_E_NS1_11comp_targetILNS1_3genE10ELNS1_11target_archE1200ELNS1_3gpuE4ELNS1_3repE0EEENS1_30default_config_static_selectorELNS0_4arch9wavefront6targetE0EEEvT1_: ; @_ZN7rocprim17ROCPRIM_400000_NS6detail17trampoline_kernelINS0_14default_configENS1_25partition_config_selectorILNS1_17partition_subalgoE9ExjbEEZZNS1_14partition_implILS5_9ELb0ES3_jN6thrust23THRUST_200600_302600_NS6detail15normal_iteratorINS9_10device_ptrIxEEEENSB_INSC_IjEEEEPNS0_10empty_typeENS0_5tupleIJSE_SH_EEENSJ_IJNS9_16discard_iteratorINS9_11use_defaultEEESI_EEENS0_18inequality_wrapperINS9_8equal_toIxEEEEPmJSH_EEE10hipError_tPvRmT3_T4_T5_T6_T7_T9_mT8_P12ihipStream_tbDpT10_ENKUlT_T0_E_clISt17integral_constantIbLb0EES1C_IbLb1EEEEDaS18_S19_EUlS18_E_NS1_11comp_targetILNS1_3genE10ELNS1_11target_archE1200ELNS1_3gpuE4ELNS1_3repE0EEENS1_30default_config_static_selectorELNS0_4arch9wavefront6targetE0EEEvT1_
; %bb.0:
	.section	.rodata,"a",@progbits
	.p2align	6, 0x0
	.amdhsa_kernel _ZN7rocprim17ROCPRIM_400000_NS6detail17trampoline_kernelINS0_14default_configENS1_25partition_config_selectorILNS1_17partition_subalgoE9ExjbEEZZNS1_14partition_implILS5_9ELb0ES3_jN6thrust23THRUST_200600_302600_NS6detail15normal_iteratorINS9_10device_ptrIxEEEENSB_INSC_IjEEEEPNS0_10empty_typeENS0_5tupleIJSE_SH_EEENSJ_IJNS9_16discard_iteratorINS9_11use_defaultEEESI_EEENS0_18inequality_wrapperINS9_8equal_toIxEEEEPmJSH_EEE10hipError_tPvRmT3_T4_T5_T6_T7_T9_mT8_P12ihipStream_tbDpT10_ENKUlT_T0_E_clISt17integral_constantIbLb0EES1C_IbLb1EEEEDaS18_S19_EUlS18_E_NS1_11comp_targetILNS1_3genE10ELNS1_11target_archE1200ELNS1_3gpuE4ELNS1_3repE0EEENS1_30default_config_static_selectorELNS0_4arch9wavefront6targetE0EEEvT1_
		.amdhsa_group_segment_fixed_size 0
		.amdhsa_private_segment_fixed_size 0
		.amdhsa_kernarg_size 136
		.amdhsa_user_sgpr_count 15
		.amdhsa_user_sgpr_dispatch_ptr 0
		.amdhsa_user_sgpr_queue_ptr 0
		.amdhsa_user_sgpr_kernarg_segment_ptr 1
		.amdhsa_user_sgpr_dispatch_id 0
		.amdhsa_user_sgpr_private_segment_size 0
		.amdhsa_wavefront_size32 1
		.amdhsa_uses_dynamic_stack 0
		.amdhsa_enable_private_segment 0
		.amdhsa_system_sgpr_workgroup_id_x 1
		.amdhsa_system_sgpr_workgroup_id_y 0
		.amdhsa_system_sgpr_workgroup_id_z 0
		.amdhsa_system_sgpr_workgroup_info 0
		.amdhsa_system_vgpr_workitem_id 0
		.amdhsa_next_free_vgpr 1
		.amdhsa_next_free_sgpr 1
		.amdhsa_reserve_vcc 0
		.amdhsa_float_round_mode_32 0
		.amdhsa_float_round_mode_16_64 0
		.amdhsa_float_denorm_mode_32 3
		.amdhsa_float_denorm_mode_16_64 3
		.amdhsa_dx10_clamp 1
		.amdhsa_ieee_mode 1
		.amdhsa_fp16_overflow 0
		.amdhsa_workgroup_processor_mode 1
		.amdhsa_memory_ordered 1
		.amdhsa_forward_progress 0
		.amdhsa_shared_vgpr_count 0
		.amdhsa_exception_fp_ieee_invalid_op 0
		.amdhsa_exception_fp_denorm_src 0
		.amdhsa_exception_fp_ieee_div_zero 0
		.amdhsa_exception_fp_ieee_overflow 0
		.amdhsa_exception_fp_ieee_underflow 0
		.amdhsa_exception_fp_ieee_inexact 0
		.amdhsa_exception_int_div_zero 0
	.end_amdhsa_kernel
	.section	.text._ZN7rocprim17ROCPRIM_400000_NS6detail17trampoline_kernelINS0_14default_configENS1_25partition_config_selectorILNS1_17partition_subalgoE9ExjbEEZZNS1_14partition_implILS5_9ELb0ES3_jN6thrust23THRUST_200600_302600_NS6detail15normal_iteratorINS9_10device_ptrIxEEEENSB_INSC_IjEEEEPNS0_10empty_typeENS0_5tupleIJSE_SH_EEENSJ_IJNS9_16discard_iteratorINS9_11use_defaultEEESI_EEENS0_18inequality_wrapperINS9_8equal_toIxEEEEPmJSH_EEE10hipError_tPvRmT3_T4_T5_T6_T7_T9_mT8_P12ihipStream_tbDpT10_ENKUlT_T0_E_clISt17integral_constantIbLb0EES1C_IbLb1EEEEDaS18_S19_EUlS18_E_NS1_11comp_targetILNS1_3genE10ELNS1_11target_archE1200ELNS1_3gpuE4ELNS1_3repE0EEENS1_30default_config_static_selectorELNS0_4arch9wavefront6targetE0EEEvT1_,"axG",@progbits,_ZN7rocprim17ROCPRIM_400000_NS6detail17trampoline_kernelINS0_14default_configENS1_25partition_config_selectorILNS1_17partition_subalgoE9ExjbEEZZNS1_14partition_implILS5_9ELb0ES3_jN6thrust23THRUST_200600_302600_NS6detail15normal_iteratorINS9_10device_ptrIxEEEENSB_INSC_IjEEEEPNS0_10empty_typeENS0_5tupleIJSE_SH_EEENSJ_IJNS9_16discard_iteratorINS9_11use_defaultEEESI_EEENS0_18inequality_wrapperINS9_8equal_toIxEEEEPmJSH_EEE10hipError_tPvRmT3_T4_T5_T6_T7_T9_mT8_P12ihipStream_tbDpT10_ENKUlT_T0_E_clISt17integral_constantIbLb0EES1C_IbLb1EEEEDaS18_S19_EUlS18_E_NS1_11comp_targetILNS1_3genE10ELNS1_11target_archE1200ELNS1_3gpuE4ELNS1_3repE0EEENS1_30default_config_static_selectorELNS0_4arch9wavefront6targetE0EEEvT1_,comdat
.Lfunc_end1042:
	.size	_ZN7rocprim17ROCPRIM_400000_NS6detail17trampoline_kernelINS0_14default_configENS1_25partition_config_selectorILNS1_17partition_subalgoE9ExjbEEZZNS1_14partition_implILS5_9ELb0ES3_jN6thrust23THRUST_200600_302600_NS6detail15normal_iteratorINS9_10device_ptrIxEEEENSB_INSC_IjEEEEPNS0_10empty_typeENS0_5tupleIJSE_SH_EEENSJ_IJNS9_16discard_iteratorINS9_11use_defaultEEESI_EEENS0_18inequality_wrapperINS9_8equal_toIxEEEEPmJSH_EEE10hipError_tPvRmT3_T4_T5_T6_T7_T9_mT8_P12ihipStream_tbDpT10_ENKUlT_T0_E_clISt17integral_constantIbLb0EES1C_IbLb1EEEEDaS18_S19_EUlS18_E_NS1_11comp_targetILNS1_3genE10ELNS1_11target_archE1200ELNS1_3gpuE4ELNS1_3repE0EEENS1_30default_config_static_selectorELNS0_4arch9wavefront6targetE0EEEvT1_, .Lfunc_end1042-_ZN7rocprim17ROCPRIM_400000_NS6detail17trampoline_kernelINS0_14default_configENS1_25partition_config_selectorILNS1_17partition_subalgoE9ExjbEEZZNS1_14partition_implILS5_9ELb0ES3_jN6thrust23THRUST_200600_302600_NS6detail15normal_iteratorINS9_10device_ptrIxEEEENSB_INSC_IjEEEEPNS0_10empty_typeENS0_5tupleIJSE_SH_EEENSJ_IJNS9_16discard_iteratorINS9_11use_defaultEEESI_EEENS0_18inequality_wrapperINS9_8equal_toIxEEEEPmJSH_EEE10hipError_tPvRmT3_T4_T5_T6_T7_T9_mT8_P12ihipStream_tbDpT10_ENKUlT_T0_E_clISt17integral_constantIbLb0EES1C_IbLb1EEEEDaS18_S19_EUlS18_E_NS1_11comp_targetILNS1_3genE10ELNS1_11target_archE1200ELNS1_3gpuE4ELNS1_3repE0EEENS1_30default_config_static_selectorELNS0_4arch9wavefront6targetE0EEEvT1_
                                        ; -- End function
	.section	.AMDGPU.csdata,"",@progbits
; Kernel info:
; codeLenInByte = 0
; NumSgprs: 0
; NumVgprs: 0
; ScratchSize: 0
; MemoryBound: 0
; FloatMode: 240
; IeeeMode: 1
; LDSByteSize: 0 bytes/workgroup (compile time only)
; SGPRBlocks: 0
; VGPRBlocks: 0
; NumSGPRsForWavesPerEU: 1
; NumVGPRsForWavesPerEU: 1
; Occupancy: 15
; WaveLimiterHint : 0
; COMPUTE_PGM_RSRC2:SCRATCH_EN: 0
; COMPUTE_PGM_RSRC2:USER_SGPR: 15
; COMPUTE_PGM_RSRC2:TRAP_HANDLER: 0
; COMPUTE_PGM_RSRC2:TGID_X_EN: 1
; COMPUTE_PGM_RSRC2:TGID_Y_EN: 0
; COMPUTE_PGM_RSRC2:TGID_Z_EN: 0
; COMPUTE_PGM_RSRC2:TIDIG_COMP_CNT: 0
	.section	.text._ZN7rocprim17ROCPRIM_400000_NS6detail17trampoline_kernelINS0_14default_configENS1_25partition_config_selectorILNS1_17partition_subalgoE9ExjbEEZZNS1_14partition_implILS5_9ELb0ES3_jN6thrust23THRUST_200600_302600_NS6detail15normal_iteratorINS9_10device_ptrIxEEEENSB_INSC_IjEEEEPNS0_10empty_typeENS0_5tupleIJSE_SH_EEENSJ_IJNS9_16discard_iteratorINS9_11use_defaultEEESI_EEENS0_18inequality_wrapperINS9_8equal_toIxEEEEPmJSH_EEE10hipError_tPvRmT3_T4_T5_T6_T7_T9_mT8_P12ihipStream_tbDpT10_ENKUlT_T0_E_clISt17integral_constantIbLb0EES1C_IbLb1EEEEDaS18_S19_EUlS18_E_NS1_11comp_targetILNS1_3genE9ELNS1_11target_archE1100ELNS1_3gpuE3ELNS1_3repE0EEENS1_30default_config_static_selectorELNS0_4arch9wavefront6targetE0EEEvT1_,"axG",@progbits,_ZN7rocprim17ROCPRIM_400000_NS6detail17trampoline_kernelINS0_14default_configENS1_25partition_config_selectorILNS1_17partition_subalgoE9ExjbEEZZNS1_14partition_implILS5_9ELb0ES3_jN6thrust23THRUST_200600_302600_NS6detail15normal_iteratorINS9_10device_ptrIxEEEENSB_INSC_IjEEEEPNS0_10empty_typeENS0_5tupleIJSE_SH_EEENSJ_IJNS9_16discard_iteratorINS9_11use_defaultEEESI_EEENS0_18inequality_wrapperINS9_8equal_toIxEEEEPmJSH_EEE10hipError_tPvRmT3_T4_T5_T6_T7_T9_mT8_P12ihipStream_tbDpT10_ENKUlT_T0_E_clISt17integral_constantIbLb0EES1C_IbLb1EEEEDaS18_S19_EUlS18_E_NS1_11comp_targetILNS1_3genE9ELNS1_11target_archE1100ELNS1_3gpuE3ELNS1_3repE0EEENS1_30default_config_static_selectorELNS0_4arch9wavefront6targetE0EEEvT1_,comdat
	.protected	_ZN7rocprim17ROCPRIM_400000_NS6detail17trampoline_kernelINS0_14default_configENS1_25partition_config_selectorILNS1_17partition_subalgoE9ExjbEEZZNS1_14partition_implILS5_9ELb0ES3_jN6thrust23THRUST_200600_302600_NS6detail15normal_iteratorINS9_10device_ptrIxEEEENSB_INSC_IjEEEEPNS0_10empty_typeENS0_5tupleIJSE_SH_EEENSJ_IJNS9_16discard_iteratorINS9_11use_defaultEEESI_EEENS0_18inequality_wrapperINS9_8equal_toIxEEEEPmJSH_EEE10hipError_tPvRmT3_T4_T5_T6_T7_T9_mT8_P12ihipStream_tbDpT10_ENKUlT_T0_E_clISt17integral_constantIbLb0EES1C_IbLb1EEEEDaS18_S19_EUlS18_E_NS1_11comp_targetILNS1_3genE9ELNS1_11target_archE1100ELNS1_3gpuE3ELNS1_3repE0EEENS1_30default_config_static_selectorELNS0_4arch9wavefront6targetE0EEEvT1_ ; -- Begin function _ZN7rocprim17ROCPRIM_400000_NS6detail17trampoline_kernelINS0_14default_configENS1_25partition_config_selectorILNS1_17partition_subalgoE9ExjbEEZZNS1_14partition_implILS5_9ELb0ES3_jN6thrust23THRUST_200600_302600_NS6detail15normal_iteratorINS9_10device_ptrIxEEEENSB_INSC_IjEEEEPNS0_10empty_typeENS0_5tupleIJSE_SH_EEENSJ_IJNS9_16discard_iteratorINS9_11use_defaultEEESI_EEENS0_18inequality_wrapperINS9_8equal_toIxEEEEPmJSH_EEE10hipError_tPvRmT3_T4_T5_T6_T7_T9_mT8_P12ihipStream_tbDpT10_ENKUlT_T0_E_clISt17integral_constantIbLb0EES1C_IbLb1EEEEDaS18_S19_EUlS18_E_NS1_11comp_targetILNS1_3genE9ELNS1_11target_archE1100ELNS1_3gpuE3ELNS1_3repE0EEENS1_30default_config_static_selectorELNS0_4arch9wavefront6targetE0EEEvT1_
	.globl	_ZN7rocprim17ROCPRIM_400000_NS6detail17trampoline_kernelINS0_14default_configENS1_25partition_config_selectorILNS1_17partition_subalgoE9ExjbEEZZNS1_14partition_implILS5_9ELb0ES3_jN6thrust23THRUST_200600_302600_NS6detail15normal_iteratorINS9_10device_ptrIxEEEENSB_INSC_IjEEEEPNS0_10empty_typeENS0_5tupleIJSE_SH_EEENSJ_IJNS9_16discard_iteratorINS9_11use_defaultEEESI_EEENS0_18inequality_wrapperINS9_8equal_toIxEEEEPmJSH_EEE10hipError_tPvRmT3_T4_T5_T6_T7_T9_mT8_P12ihipStream_tbDpT10_ENKUlT_T0_E_clISt17integral_constantIbLb0EES1C_IbLb1EEEEDaS18_S19_EUlS18_E_NS1_11comp_targetILNS1_3genE9ELNS1_11target_archE1100ELNS1_3gpuE3ELNS1_3repE0EEENS1_30default_config_static_selectorELNS0_4arch9wavefront6targetE0EEEvT1_
	.p2align	8
	.type	_ZN7rocprim17ROCPRIM_400000_NS6detail17trampoline_kernelINS0_14default_configENS1_25partition_config_selectorILNS1_17partition_subalgoE9ExjbEEZZNS1_14partition_implILS5_9ELb0ES3_jN6thrust23THRUST_200600_302600_NS6detail15normal_iteratorINS9_10device_ptrIxEEEENSB_INSC_IjEEEEPNS0_10empty_typeENS0_5tupleIJSE_SH_EEENSJ_IJNS9_16discard_iteratorINS9_11use_defaultEEESI_EEENS0_18inequality_wrapperINS9_8equal_toIxEEEEPmJSH_EEE10hipError_tPvRmT3_T4_T5_T6_T7_T9_mT8_P12ihipStream_tbDpT10_ENKUlT_T0_E_clISt17integral_constantIbLb0EES1C_IbLb1EEEEDaS18_S19_EUlS18_E_NS1_11comp_targetILNS1_3genE9ELNS1_11target_archE1100ELNS1_3gpuE3ELNS1_3repE0EEENS1_30default_config_static_selectorELNS0_4arch9wavefront6targetE0EEEvT1_,@function
_ZN7rocprim17ROCPRIM_400000_NS6detail17trampoline_kernelINS0_14default_configENS1_25partition_config_selectorILNS1_17partition_subalgoE9ExjbEEZZNS1_14partition_implILS5_9ELb0ES3_jN6thrust23THRUST_200600_302600_NS6detail15normal_iteratorINS9_10device_ptrIxEEEENSB_INSC_IjEEEEPNS0_10empty_typeENS0_5tupleIJSE_SH_EEENSJ_IJNS9_16discard_iteratorINS9_11use_defaultEEESI_EEENS0_18inequality_wrapperINS9_8equal_toIxEEEEPmJSH_EEE10hipError_tPvRmT3_T4_T5_T6_T7_T9_mT8_P12ihipStream_tbDpT10_ENKUlT_T0_E_clISt17integral_constantIbLb0EES1C_IbLb1EEEEDaS18_S19_EUlS18_E_NS1_11comp_targetILNS1_3genE9ELNS1_11target_archE1100ELNS1_3gpuE3ELNS1_3repE0EEENS1_30default_config_static_selectorELNS0_4arch9wavefront6targetE0EEEvT1_: ; @_ZN7rocprim17ROCPRIM_400000_NS6detail17trampoline_kernelINS0_14default_configENS1_25partition_config_selectorILNS1_17partition_subalgoE9ExjbEEZZNS1_14partition_implILS5_9ELb0ES3_jN6thrust23THRUST_200600_302600_NS6detail15normal_iteratorINS9_10device_ptrIxEEEENSB_INSC_IjEEEEPNS0_10empty_typeENS0_5tupleIJSE_SH_EEENSJ_IJNS9_16discard_iteratorINS9_11use_defaultEEESI_EEENS0_18inequality_wrapperINS9_8equal_toIxEEEEPmJSH_EEE10hipError_tPvRmT3_T4_T5_T6_T7_T9_mT8_P12ihipStream_tbDpT10_ENKUlT_T0_E_clISt17integral_constantIbLb0EES1C_IbLb1EEEEDaS18_S19_EUlS18_E_NS1_11comp_targetILNS1_3genE9ELNS1_11target_archE1100ELNS1_3gpuE3ELNS1_3repE0EEENS1_30default_config_static_selectorELNS0_4arch9wavefront6targetE0EEEvT1_
; %bb.0:
	s_clause 0x5
	s_load_b128 s[4:7], s[0:1], 0x8
	s_load_b64 s[8:9], s[0:1], 0x18
	s_load_b64 s[10:11], s[0:1], 0x28
	s_load_b128 s[12:15], s[0:1], 0x48
	s_load_b64 s[18:19], s[0:1], 0x58
	s_load_b64 s[16:17], s[0:1], 0x68
	v_cmp_ne_u32_e64 s3, 0, v0
	v_cmp_eq_u32_e64 s2, 0, v0
	s_delay_alu instid0(VALU_DEP_1)
	s_and_saveexec_b32 s20, s2
	s_cbranch_execz .LBB1043_4
; %bb.1:
	s_mov_b32 s22, exec_lo
	s_mov_b32 s21, exec_lo
	v_mbcnt_lo_u32_b32 v1, s22, 0
                                        ; implicit-def: $vgpr2
	s_delay_alu instid0(VALU_DEP_1)
	v_cmpx_eq_u32_e32 0, v1
	s_cbranch_execz .LBB1043_3
; %bb.2:
	s_load_b64 s[24:25], s[0:1], 0x78
	s_bcnt1_i32_b32 s22, s22
	s_delay_alu instid0(SALU_CYCLE_1)
	v_dual_mov_b32 v2, 0 :: v_dual_mov_b32 v3, s22
	s_waitcnt lgkmcnt(0)
	global_atomic_add_u32 v2, v2, v3, s[24:25] glc
.LBB1043_3:
	s_or_b32 exec_lo, exec_lo, s21
	s_waitcnt vmcnt(0)
	v_readfirstlane_b32 s21, v2
	s_delay_alu instid0(VALU_DEP_1)
	v_dual_mov_b32 v2, 0 :: v_dual_add_nc_u32 v1, s21, v1
	ds_store_b32 v2, v1
.LBB1043_4:
	s_or_b32 exec_lo, exec_lo, s20
	v_mov_b32_e32 v1, 0
	s_waitcnt lgkmcnt(0)
	s_barrier
	buffer_gl0_inv
	s_load_b32 s0, s[0:1], 0x70
	ds_load_b32 v2, v1
	s_waitcnt lgkmcnt(0)
	s_barrier
	buffer_gl0_inv
	global_load_b64 v[17:18], v1, s[14:15]
	s_lshl_b64 s[14:15], s[6:7], 3
	v_lshlrev_b32_e32 v49, 3, v0
	s_add_u32 s22, s4, s14
	s_addc_u32 s23, s5, s15
	v_lshrrev_b32_e32 v26, 2, v0
	v_or_b32_e32 v25, 0x200, v0
	v_or_b32_e32 v24, 0x400, v0
	;; [unrolled: 1-line block ×7, first 2 shown]
	s_add_i32 s5, s0, -1
	v_readfirstlane_b32 s20, v2
	s_lshl_b32 s1, s5, 12
	s_lshl_b32 s0, s0, 12
	s_add_i32 s1, s6, s1
	s_delay_alu instid0(SALU_CYCLE_1)
	s_sub_i32 s21, s18, s1
	s_lshl_b32 s4, s20, 12
	s_add_u32 s0, s6, s0
	s_addc_u32 s1, s7, 0
	s_cmp_eq_u32 s20, s5
	v_cmp_ge_u64_e64 s0, s[0:1], s[18:19]
	s_cselect_b32 s14, -1, 0
	s_mov_b32 s5, 0
	s_delay_alu instid0(VALU_DEP_1)
	s_and_b32 s18, s0, s14
	s_lshl_b64 s[0:1], s[4:5], 3
	s_xor_b32 s15, s18, -1
	s_add_u32 s19, s22, s0
	s_addc_u32 s1, s23, s1
	s_and_b32 vcc_lo, exec_lo, s15
	s_mov_b32 s22, -1
	s_cbranch_vccz .LBB1043_6
; %bb.5:
	v_add_co_u32 v1, s0, s19, v49
	s_delay_alu instid0(VALU_DEP_1) | instskip(SKIP_1) | instid1(VALU_DEP_3)
	v_add_co_ci_u32_e64 v2, null, s1, 0, s0
	v_lshrrev_b32_e32 v28, 2, v25
	v_add_co_u32 v3, vcc_lo, 0x1000, v1
	s_delay_alu instid0(VALU_DEP_3)
	v_add_co_ci_u32_e32 v4, vcc_lo, 0, v2, vcc_lo
	v_add_co_u32 v5, vcc_lo, 0x2000, v1
	v_add_co_ci_u32_e32 v6, vcc_lo, 0, v2, vcc_lo
	v_add_co_u32 v7, vcc_lo, 0x3000, v1
	;; [unrolled: 2-line block ×6, first 2 shown]
	v_add_co_ci_u32_e32 v16, vcc_lo, 0, v2, vcc_lo
	s_clause 0x7
	flat_load_b64 v[1:2], v[1:2]
	flat_load_b64 v[3:4], v[3:4]
	;; [unrolled: 1-line block ×8, first 2 shown]
	v_lshrrev_b32_e32 v29, 2, v24
	v_lshrrev_b32_e32 v30, 2, v23
	;; [unrolled: 1-line block ×3, first 2 shown]
	v_and_b32_e32 v27, 0x78, v26
	v_lshrrev_b32_e32 v32, 2, v21
	v_lshrrev_b32_e32 v33, 2, v20
	;; [unrolled: 1-line block ×3, first 2 shown]
	v_and_b32_e32 v28, 0xf8, v28
	v_and_b32_e32 v29, 0x178, v29
	;; [unrolled: 1-line block ×4, first 2 shown]
	v_add_nc_u32_e32 v27, v27, v49
	v_and_b32_e32 v32, 0x2f8, v32
	v_and_b32_e32 v33, 0x378, v33
	;; [unrolled: 1-line block ×3, first 2 shown]
	v_add_nc_u32_e32 v28, v28, v49
	v_add_nc_u32_e32 v29, v29, v49
	;; [unrolled: 1-line block ×4, first 2 shown]
	s_mov_b32 s22, s5
	v_add_nc_u32_e32 v32, v32, v49
	v_add_nc_u32_e32 v33, v33, v49
	;; [unrolled: 1-line block ×3, first 2 shown]
	s_waitcnt vmcnt(7) lgkmcnt(7)
	ds_store_b64 v27, v[1:2]
	s_waitcnt vmcnt(6) lgkmcnt(7)
	ds_store_b64 v28, v[3:4] offset:4096
	s_waitcnt vmcnt(5) lgkmcnt(7)
	ds_store_b64 v29, v[5:6] offset:8192
	;; [unrolled: 2-line block ×7, first 2 shown]
	s_waitcnt lgkmcnt(0)
	s_barrier
.LBB1043_6:
	v_cmp_gt_u32_e64 s0, s21, v0
	s_and_not1_b32 vcc_lo, exec_lo, s22
	s_cbranch_vccnz .LBB1043_24
; %bb.7:
                                        ; implicit-def: $vgpr1_vgpr2_vgpr3_vgpr4_vgpr5_vgpr6_vgpr7_vgpr8_vgpr9_vgpr10_vgpr11_vgpr12_vgpr13_vgpr14_vgpr15_vgpr16
	s_delay_alu instid0(VALU_DEP_1)
	s_and_saveexec_b32 s22, s0
	s_cbranch_execz .LBB1043_15
; %bb.8:
	v_add_co_u32 v1, s0, s19, v49
	s_delay_alu instid0(VALU_DEP_1) | instskip(SKIP_2) | instid1(SALU_CYCLE_1)
	v_add_co_ci_u32_e64 v2, null, s1, 0, s0
	flat_load_b64 v[1:2], v[1:2]
	s_or_b32 exec_lo, exec_lo, s22
	s_mov_b32 s0, exec_lo
	v_cmpx_gt_u32_e64 s21, v25
	s_cbranch_execnz .LBB1043_16
.LBB1043_9:
	s_or_b32 exec_lo, exec_lo, s0
	s_delay_alu instid0(SALU_CYCLE_1)
	s_mov_b32 s0, exec_lo
	v_cmpx_gt_u32_e64 s21, v24
	s_cbranch_execz .LBB1043_17
.LBB1043_10:
	v_lshlrev_b32_e32 v5, 3, v24
	s_delay_alu instid0(VALU_DEP_1) | instskip(NEXT) | instid1(VALU_DEP_1)
	v_add_co_u32 v5, s22, s19, v5
	v_add_co_ci_u32_e64 v6, null, s1, 0, s22
	flat_load_b64 v[5:6], v[5:6]
	s_or_b32 exec_lo, exec_lo, s0
	s_delay_alu instid0(SALU_CYCLE_1)
	s_mov_b32 s0, exec_lo
	v_cmpx_gt_u32_e64 s21, v23
	s_cbranch_execnz .LBB1043_18
.LBB1043_11:
	s_or_b32 exec_lo, exec_lo, s0
	s_delay_alu instid0(SALU_CYCLE_1)
	s_mov_b32 s0, exec_lo
	v_cmpx_gt_u32_e64 s21, v22
	s_cbranch_execz .LBB1043_19
.LBB1043_12:
	v_lshlrev_b32_e32 v9, 3, v22
	s_delay_alu instid0(VALU_DEP_1) | instskip(NEXT) | instid1(VALU_DEP_1)
	v_add_co_u32 v9, s22, s19, v9
	v_add_co_ci_u32_e64 v10, null, s1, 0, s22
	flat_load_b64 v[9:10], v[9:10]
	s_or_b32 exec_lo, exec_lo, s0
	s_delay_alu instid0(SALU_CYCLE_1)
	s_mov_b32 s0, exec_lo
	v_cmpx_gt_u32_e64 s21, v21
	s_cbranch_execnz .LBB1043_20
.LBB1043_13:
	s_or_b32 exec_lo, exec_lo, s0
	s_delay_alu instid0(SALU_CYCLE_1)
	s_mov_b32 s0, exec_lo
	v_cmpx_gt_u32_e64 s21, v20
	s_cbranch_execz .LBB1043_21
.LBB1043_14:
	v_lshlrev_b32_e32 v13, 3, v20
	s_delay_alu instid0(VALU_DEP_1) | instskip(NEXT) | instid1(VALU_DEP_1)
	v_add_co_u32 v13, s22, s19, v13
	v_add_co_ci_u32_e64 v14, null, s1, 0, s22
	flat_load_b64 v[13:14], v[13:14]
	s_or_b32 exec_lo, exec_lo, s0
	s_delay_alu instid0(SALU_CYCLE_1)
	s_mov_b32 s0, exec_lo
	v_cmpx_gt_u32_e64 s21, v19
	s_cbranch_execnz .LBB1043_22
	s_branch .LBB1043_23
.LBB1043_15:
	s_or_b32 exec_lo, exec_lo, s22
	s_delay_alu instid0(SALU_CYCLE_1)
	s_mov_b32 s0, exec_lo
	v_cmpx_gt_u32_e64 s21, v25
	s_cbranch_execz .LBB1043_9
.LBB1043_16:
	v_lshlrev_b32_e32 v3, 3, v25
	s_delay_alu instid0(VALU_DEP_1) | instskip(NEXT) | instid1(VALU_DEP_1)
	v_add_co_u32 v3, s22, s19, v3
	v_add_co_ci_u32_e64 v4, null, s1, 0, s22
	flat_load_b64 v[3:4], v[3:4]
	s_or_b32 exec_lo, exec_lo, s0
	s_delay_alu instid0(SALU_CYCLE_1)
	s_mov_b32 s0, exec_lo
	v_cmpx_gt_u32_e64 s21, v24
	s_cbranch_execnz .LBB1043_10
.LBB1043_17:
	s_or_b32 exec_lo, exec_lo, s0
	s_delay_alu instid0(SALU_CYCLE_1)
	s_mov_b32 s0, exec_lo
	v_cmpx_gt_u32_e64 s21, v23
	s_cbranch_execz .LBB1043_11
.LBB1043_18:
	v_lshlrev_b32_e32 v7, 3, v23
	s_delay_alu instid0(VALU_DEP_1) | instskip(NEXT) | instid1(VALU_DEP_1)
	v_add_co_u32 v7, s22, s19, v7
	v_add_co_ci_u32_e64 v8, null, s1, 0, s22
	flat_load_b64 v[7:8], v[7:8]
	s_or_b32 exec_lo, exec_lo, s0
	s_delay_alu instid0(SALU_CYCLE_1)
	s_mov_b32 s0, exec_lo
	v_cmpx_gt_u32_e64 s21, v22
	s_cbranch_execnz .LBB1043_12
.LBB1043_19:
	s_or_b32 exec_lo, exec_lo, s0
	s_delay_alu instid0(SALU_CYCLE_1)
	s_mov_b32 s0, exec_lo
	v_cmpx_gt_u32_e64 s21, v21
	s_cbranch_execz .LBB1043_13
.LBB1043_20:
	v_lshlrev_b32_e32 v11, 3, v21
	s_delay_alu instid0(VALU_DEP_1) | instskip(NEXT) | instid1(VALU_DEP_1)
	v_add_co_u32 v11, s22, s19, v11
	v_add_co_ci_u32_e64 v12, null, s1, 0, s22
	flat_load_b64 v[11:12], v[11:12]
	s_or_b32 exec_lo, exec_lo, s0
	s_delay_alu instid0(SALU_CYCLE_1)
	s_mov_b32 s0, exec_lo
	v_cmpx_gt_u32_e64 s21, v20
	s_cbranch_execnz .LBB1043_14
.LBB1043_21:
	s_or_b32 exec_lo, exec_lo, s0
	s_delay_alu instid0(SALU_CYCLE_1)
	s_mov_b32 s0, exec_lo
	v_cmpx_gt_u32_e64 s21, v19
	s_cbranch_execz .LBB1043_23
.LBB1043_22:
	v_lshlrev_b32_e32 v15, 3, v19
	s_delay_alu instid0(VALU_DEP_1) | instskip(NEXT) | instid1(VALU_DEP_1)
	v_add_co_u32 v15, s22, s19, v15
	v_add_co_ci_u32_e64 v16, null, s1, 0, s22
	flat_load_b64 v[15:16], v[15:16]
.LBB1043_23:
	s_or_b32 exec_lo, exec_lo, s0
	v_lshrrev_b32_e32 v27, 2, v25
	v_lshrrev_b32_e32 v28, 2, v24
	;; [unrolled: 1-line block ×4, first 2 shown]
	v_and_b32_e32 v29, 0x78, v26
	v_lshrrev_b32_e32 v32, 2, v21
	v_lshrrev_b32_e32 v33, 2, v20
	;; [unrolled: 1-line block ×3, first 2 shown]
	v_and_b32_e32 v27, 0xf8, v27
	v_and_b32_e32 v28, 0x1f8, v28
	;; [unrolled: 1-line block ×4, first 2 shown]
	v_add_nc_u32_e32 v29, v29, v49
	v_and_b32_e32 v32, 0x3f8, v32
	v_and_b32_e32 v33, 0x3f8, v33
	;; [unrolled: 1-line block ×3, first 2 shown]
	v_add_nc_u32_e32 v27, v27, v49
	v_add_nc_u32_e32 v28, v28, v49
	;; [unrolled: 1-line block ×7, first 2 shown]
	s_waitcnt vmcnt(0) lgkmcnt(0)
	ds_store_b64 v29, v[1:2]
	ds_store_b64 v27, v[3:4] offset:4096
	ds_store_b64 v28, v[5:6] offset:8192
	ds_store_b64 v30, v[7:8] offset:12288
	ds_store_b64 v31, v[9:10] offset:16384
	ds_store_b64 v32, v[11:12] offset:20480
	ds_store_b64 v33, v[13:14] offset:24576
	ds_store_b64 v34, v[15:16] offset:28672
	s_waitcnt lgkmcnt(0)
	s_barrier
.LBB1043_24:
	v_add_nc_u32_e32 v26, v26, v49
	s_waitcnt vmcnt(0)
	buffer_gl0_inv
	s_lshl_b64 s[22:23], s[6:7], 2
	v_lshrrev_b32_e32 v28, 3, v0
	s_add_u32 s0, s8, s22
	v_lshlrev_b32_e32 v27, 3, v26
	s_addc_u32 s8, s9, s23
	s_lshl_b64 s[4:5], s[4:5], 2
	ds_load_2addr_b64 v[13:16], v27 offset1:1
	ds_load_2addr_b64 v[9:12], v27 offset0:2 offset1:3
	ds_load_2addr_b64 v[5:8], v27 offset0:4 offset1:5
	;; [unrolled: 1-line block ×3, first 2 shown]
	s_add_u32 s0, s0, s4
	s_addc_u32 s4, s8, s5
	s_and_b32 vcc_lo, exec_lo, s15
	s_mov_b32 s5, -1
	s_waitcnt lgkmcnt(0)
	s_barrier
	buffer_gl0_inv
	s_cbranch_vccz .LBB1043_26
; %bb.25:
	v_lshlrev_b32_e32 v37, 2, v0
	v_lshrrev_b32_e32 v39, 3, v25
	v_lshrrev_b32_e32 v40, 3, v24
	;; [unrolled: 1-line block ×4, first 2 shown]
	v_add_co_u32 v29, s5, s0, v37
	s_delay_alu instid0(VALU_DEP_1) | instskip(SKIP_1) | instid1(VALU_DEP_3)
	v_add_co_ci_u32_e64 v30, null, s4, 0, s5
	v_lshrrev_b32_e32 v43, 3, v21
	v_add_co_u32 v31, vcc_lo, 0x1000, v29
	s_delay_alu instid0(VALU_DEP_3)
	v_add_co_ci_u32_e32 v32, vcc_lo, 0, v30, vcc_lo
	v_add_co_u32 v33, vcc_lo, 0x2000, v29
	v_add_co_ci_u32_e32 v34, vcc_lo, 0, v30, vcc_lo
	v_add_co_u32 v35, vcc_lo, 0x3000, v29
	v_add_co_ci_u32_e32 v36, vcc_lo, 0, v30, vcc_lo
	s_clause 0x7
	flat_load_b32 v38, v[29:30]
	flat_load_b32 v29, v[29:30] offset:2048
	flat_load_b32 v30, v[31:32]
	flat_load_b32 v31, v[31:32] offset:2048
	;; [unrolled: 2-line block ×4, first 2 shown]
	v_and_b32_e32 v36, 60, v28
	v_lshrrev_b32_e32 v44, 3, v20
	v_lshrrev_b32_e32 v45, 3, v19
	v_and_b32_e32 v39, 0x7c, v39
	v_and_b32_e32 v40, 0xbc, v40
	v_and_b32_e32 v41, 0xfc, v41
	v_and_b32_e32 v42, 0x13c, v42
	v_add_nc_u32_e32 v36, v36, v37
	v_and_b32_e32 v43, 0x17c, v43
	v_and_b32_e32 v44, 0x1bc, v44
	;; [unrolled: 1-line block ×3, first 2 shown]
	v_add_nc_u32_e32 v39, v39, v37
	v_add_nc_u32_e32 v40, v40, v37
	;; [unrolled: 1-line block ×4, first 2 shown]
	s_mov_b32 s5, 0
	v_add_nc_u32_e32 v43, v43, v37
	v_add_nc_u32_e32 v44, v44, v37
	;; [unrolled: 1-line block ×3, first 2 shown]
	s_waitcnt vmcnt(7) lgkmcnt(7)
	ds_store_b32 v36, v38
	s_waitcnt vmcnt(6) lgkmcnt(7)
	ds_store_b32 v39, v29 offset:2048
	s_waitcnt vmcnt(5) lgkmcnt(7)
	ds_store_b32 v40, v30 offset:4096
	;; [unrolled: 2-line block ×7, first 2 shown]
	s_waitcnt lgkmcnt(0)
	s_barrier
.LBB1043_26:
	s_and_not1_b32 vcc_lo, exec_lo, s5
	s_cbranch_vccnz .LBB1043_44
; %bb.27:
	s_mov_b32 s5, exec_lo
                                        ; implicit-def: $vgpr29
	v_cmpx_gt_u32_e64 s21, v0
	s_cbranch_execz .LBB1043_29
; %bb.28:
	v_lshlrev_b32_e32 v29, 2, v0
	s_delay_alu instid0(VALU_DEP_1) | instskip(NEXT) | instid1(VALU_DEP_1)
	v_add_co_u32 v29, s8, s0, v29
	v_add_co_ci_u32_e64 v30, null, s4, 0, s8
	flat_load_b32 v29, v[29:30]
.LBB1043_29:
	s_or_b32 exec_lo, exec_lo, s5
	s_delay_alu instid0(SALU_CYCLE_1)
	s_mov_b32 s5, exec_lo
                                        ; implicit-def: $vgpr30
	v_cmpx_gt_u32_e64 s21, v25
	s_cbranch_execz .LBB1043_31
; %bb.30:
	v_lshlrev_b32_e32 v30, 2, v0
	s_delay_alu instid0(VALU_DEP_1) | instskip(NEXT) | instid1(VALU_DEP_1)
	v_add_co_u32 v30, s8, s0, v30
	v_add_co_ci_u32_e64 v31, null, s4, 0, s8
	flat_load_b32 v30, v[30:31] offset:2048
.LBB1043_31:
	s_or_b32 exec_lo, exec_lo, s5
	s_delay_alu instid0(SALU_CYCLE_1)
	s_mov_b32 s5, exec_lo
                                        ; implicit-def: $vgpr31
	v_cmpx_gt_u32_e64 s21, v24
	s_cbranch_execz .LBB1043_33
; %bb.32:
	v_lshlrev_b32_e32 v31, 2, v24
	s_delay_alu instid0(VALU_DEP_1) | instskip(NEXT) | instid1(VALU_DEP_1)
	v_add_co_u32 v31, s8, s0, v31
	v_add_co_ci_u32_e64 v32, null, s4, 0, s8
	flat_load_b32 v31, v[31:32]
.LBB1043_33:
	s_or_b32 exec_lo, exec_lo, s5
	s_delay_alu instid0(SALU_CYCLE_1)
	s_mov_b32 s5, exec_lo
                                        ; implicit-def: $vgpr32
	v_cmpx_gt_u32_e64 s21, v23
	s_cbranch_execz .LBB1043_35
; %bb.34:
	v_lshlrev_b32_e32 v32, 2, v23
	s_delay_alu instid0(VALU_DEP_1) | instskip(NEXT) | instid1(VALU_DEP_1)
	v_add_co_u32 v32, s8, s0, v32
	v_add_co_ci_u32_e64 v33, null, s4, 0, s8
	flat_load_b32 v32, v[32:33]
.LBB1043_35:
	s_or_b32 exec_lo, exec_lo, s5
	s_delay_alu instid0(SALU_CYCLE_1)
	s_mov_b32 s5, exec_lo
                                        ; implicit-def: $vgpr33
	v_cmpx_gt_u32_e64 s21, v22
	s_cbranch_execz .LBB1043_37
; %bb.36:
	v_lshlrev_b32_e32 v33, 2, v22
	s_delay_alu instid0(VALU_DEP_1) | instskip(NEXT) | instid1(VALU_DEP_1)
	v_add_co_u32 v33, s8, s0, v33
	v_add_co_ci_u32_e64 v34, null, s4, 0, s8
	flat_load_b32 v33, v[33:34]
.LBB1043_37:
	s_or_b32 exec_lo, exec_lo, s5
	s_delay_alu instid0(SALU_CYCLE_1)
	s_mov_b32 s5, exec_lo
                                        ; implicit-def: $vgpr34
	v_cmpx_gt_u32_e64 s21, v21
	s_cbranch_execz .LBB1043_39
; %bb.38:
	v_lshlrev_b32_e32 v34, 2, v21
	s_delay_alu instid0(VALU_DEP_1) | instskip(NEXT) | instid1(VALU_DEP_1)
	v_add_co_u32 v34, s8, s0, v34
	v_add_co_ci_u32_e64 v35, null, s4, 0, s8
	flat_load_b32 v34, v[34:35]
.LBB1043_39:
	s_or_b32 exec_lo, exec_lo, s5
	s_delay_alu instid0(SALU_CYCLE_1)
	s_mov_b32 s5, exec_lo
                                        ; implicit-def: $vgpr35
	v_cmpx_gt_u32_e64 s21, v20
	s_cbranch_execz .LBB1043_41
; %bb.40:
	v_lshlrev_b32_e32 v35, 2, v20
	s_delay_alu instid0(VALU_DEP_1) | instskip(NEXT) | instid1(VALU_DEP_1)
	v_add_co_u32 v35, s8, s0, v35
	v_add_co_ci_u32_e64 v36, null, s4, 0, s8
	flat_load_b32 v35, v[35:36]
.LBB1043_41:
	s_or_b32 exec_lo, exec_lo, s5
	s_delay_alu instid0(SALU_CYCLE_1)
	s_mov_b32 s5, exec_lo
                                        ; implicit-def: $vgpr36
	v_cmpx_gt_u32_e64 s21, v19
	s_cbranch_execz .LBB1043_43
; %bb.42:
	v_lshlrev_b32_e32 v36, 2, v19
	s_delay_alu instid0(VALU_DEP_1) | instskip(NEXT) | instid1(VALU_DEP_1)
	v_add_co_u32 v36, s0, s0, v36
	v_add_co_ci_u32_e64 v37, null, s4, 0, s0
	flat_load_b32 v36, v[36:37]
.LBB1043_43:
	s_or_b32 exec_lo, exec_lo, s5
	v_lshrrev_b32_e32 v25, 3, v25
	v_lshrrev_b32_e32 v24, 3, v24
	;; [unrolled: 1-line block ×4, first 2 shown]
	v_and_b32_e32 v28, 60, v28
	v_lshlrev_b32_e32 v37, 2, v0
	v_lshrrev_b32_e32 v21, 3, v21
	v_lshrrev_b32_e32 v20, 3, v20
	;; [unrolled: 1-line block ×3, first 2 shown]
	v_and_b32_e32 v25, 0x7c, v25
	v_and_b32_e32 v24, 0xfc, v24
	;; [unrolled: 1-line block ×4, first 2 shown]
	v_add_nc_u32_e32 v28, v28, v37
	v_and_b32_e32 v21, 0x1fc, v21
	v_and_b32_e32 v20, 0x1fc, v20
	;; [unrolled: 1-line block ×3, first 2 shown]
	v_add_nc_u32_e32 v25, v25, v37
	v_add_nc_u32_e32 v24, v24, v37
	;; [unrolled: 1-line block ×7, first 2 shown]
	s_waitcnt vmcnt(0) lgkmcnt(0)
	ds_store_b32 v28, v29
	ds_store_b32 v25, v30 offset:2048
	ds_store_b32 v24, v31 offset:4096
	;; [unrolled: 1-line block ×7, first 2 shown]
	s_waitcnt lgkmcnt(0)
	s_barrier
.LBB1043_44:
	v_lshlrev_b32_e32 v19, 2, v26
	buffer_gl0_inv
	s_cmp_lg_u32 s20, 0
	s_mov_b32 s22, 0
	s_cselect_b32 s9, -1, 0
	v_sub_nc_u32_e32 v19, v27, v19
	s_cmp_lg_u64 s[6:7], 0
	ds_load_2addr_b32 v[25:26], v19 offset1:1
	ds_load_2addr_b32 v[23:24], v19 offset0:2 offset1:3
	ds_load_2addr_b32 v[21:22], v19 offset0:4 offset1:5
	;; [unrolled: 1-line block ×3, first 2 shown]
	s_cselect_b32 s0, -1, 0
	s_waitcnt lgkmcnt(0)
	s_or_b32 s0, s0, s9
	s_barrier
	s_and_b32 vcc_lo, exec_lo, s0
	buffer_gl0_inv
	s_cbranch_vccz .LBB1043_49
; %bb.45:
	v_add_co_u32 v27, s0, -8, s19
	s_delay_alu instid0(VALU_DEP_1)
	v_add_co_ci_u32_e64 v28, null, -1, s1, s0
	s_mov_b32 s1, -1
	s_and_b32 vcc_lo, exec_lo, s15
	flat_load_b64 v[29:30], v[27:28]
	ds_store_b64 v49, v[3:4]
	s_cbranch_vccz .LBB1043_50
; %bb.46:
	s_waitcnt vmcnt(0) lgkmcnt(1)
	v_dual_mov_b32 v27, v29 :: v_dual_mov_b32 v28, v30
	s_waitcnt lgkmcnt(0)
	s_barrier
	buffer_gl0_inv
	s_and_saveexec_b32 s0, s3
	s_cbranch_execz .LBB1043_48
; %bb.47:
	v_add_nc_u32_e32 v27, -8, v49
	ds_load_b64 v[27:28], v27
.LBB1043_48:
	s_or_b32 exec_lo, exec_lo, s0
	v_cmp_ne_u64_e32 vcc_lo, v[1:2], v[3:4]
	s_waitcnt lgkmcnt(0)
	v_cmp_ne_u64_e64 s0, v[27:28], v[13:14]
	v_cndmask_b32_e64 v31, 0, 1, vcc_lo
	v_cmp_ne_u64_e32 vcc_lo, v[7:8], v[1:2]
	s_delay_alu instid0(VALU_DEP_2) | instskip(SKIP_2) | instid1(VALU_DEP_2)
	v_lshlrev_b16 v31, 8, v31
	v_cndmask_b32_e64 v32, 0, 1, vcc_lo
	v_cmp_ne_u64_e32 vcc_lo, v[5:6], v[7:8]
	v_or_b32_e32 v31, v32, v31
	v_cndmask_b32_e64 v33, 0, 1, vcc_lo
	v_cmp_ne_u64_e32 vcc_lo, v[9:10], v[11:12]
	s_delay_alu instid0(VALU_DEP_3) | instskip(NEXT) | instid1(VALU_DEP_3)
	v_lshlrev_b32_e32 v31, 16, v31
	v_lshlrev_b16 v33, 8, v33
	v_cndmask_b32_e64 v34, 0, 1, vcc_lo
	v_cmp_ne_u64_e32 vcc_lo, v[11:12], v[5:6]
	s_delay_alu instid0(VALU_DEP_2) | instskip(SKIP_2) | instid1(VALU_DEP_2)
	v_lshlrev_b16 v34, 8, v34
	v_cndmask_b32_e64 v35, 0, 1, vcc_lo
	v_cmp_ne_u64_e32 vcc_lo, v[15:16], v[9:10]
	v_or_b32_e32 v33, v35, v33
	v_cndmask_b32_e64 v36, 0, 1, vcc_lo
	v_cmp_ne_u64_e32 vcc_lo, v[13:14], v[15:16]
	s_delay_alu instid0(VALU_DEP_3) | instskip(NEXT) | instid1(VALU_DEP_3)
	v_and_b32_e32 v33, 0xffff, v33
	v_or_b32_e32 v34, v36, v34
	v_cndmask_b32_e64 v37, 0, 1, vcc_lo
	s_delay_alu instid0(VALU_DEP_3) | instskip(NEXT) | instid1(VALU_DEP_3)
	v_or_b32_e32 v28, v33, v31
	v_lshlrev_b32_e32 v32, 16, v34
	s_delay_alu instid0(VALU_DEP_3) | instskip(NEXT) | instid1(VALU_DEP_1)
	v_lshlrev_b16 v36, 8, v37
	v_and_b32_e32 v34, 0xffff, v36
	s_delay_alu instid0(VALU_DEP_1)
	v_or_b32_e32 v27, v34, v32
	s_branch .LBB1043_54
.LBB1043_49:
                                        ; implicit-def: $sgpr0
                                        ; implicit-def: $vgpr28
	s_branch .LBB1043_55
.LBB1043_50:
                                        ; implicit-def: $sgpr0
                                        ; implicit-def: $vgpr28
	s_and_b32 vcc_lo, exec_lo, s1
	s_cbranch_vccz .LBB1043_54
; %bb.51:
	s_waitcnt vmcnt(0) lgkmcnt(0)
	s_barrier
	buffer_gl0_inv
	s_and_saveexec_b32 s0, s3
	s_cbranch_execz .LBB1043_53
; %bb.52:
	v_add_nc_u32_e32 v27, -8, v49
	ds_load_b64 v[29:30], v27
.LBB1043_53:
	s_or_b32 exec_lo, exec_lo, s0
	v_or_b32_e32 v27, 7, v49
	v_or_b32_e32 v28, 6, v49
	v_cmp_ne_u64_e32 vcc_lo, v[1:2], v[3:4]
	v_or_b32_e32 v31, 5, v49
	v_cmp_ne_u64_e64 s1, v[7:8], v[1:2]
	v_cmp_gt_u32_e64 s0, s21, v27
	v_cmp_gt_u32_e64 s4, s21, v28
	v_cmp_ne_u64_e64 s5, v[5:6], v[7:8]
	v_cmp_gt_u32_e64 s6, s21, v31
	v_or_b32_e32 v31, 3, v49
	s_and_b32 s0, s0, vcc_lo
	v_or_b32_e32 v32, 4, v49
	v_cndmask_b32_e64 v27, 0, 1, s0
	s_and_b32 s0, s4, s1
	v_cmp_ne_u64_e32 vcc_lo, v[9:10], v[11:12]
	v_cndmask_b32_e64 v28, 0, 1, s0
	s_and_b32 s0, s6, s5
	v_cmp_gt_u32_e64 s1, s21, v32
	v_cndmask_b32_e64 v33, 0, 1, s0
	v_cmp_gt_u32_e64 s0, s21, v31
	v_or_b32_e32 v31, 2, v49
	v_or_b32_e32 v32, 1, v49
	v_cmp_ne_u64_e64 s4, v[11:12], v[5:6]
	v_cmp_ne_u64_e64 s6, v[13:14], v[15:16]
	s_and_b32 s0, s0, vcc_lo
	v_cmp_ne_u64_e32 vcc_lo, v[15:16], v[9:10]
	v_cndmask_b32_e64 v34, 0, 1, s0
	v_cmp_gt_u32_e64 s0, s21, v31
	v_cmp_gt_u32_e64 s5, s21, v32
	s_and_b32 s1, s1, s4
	v_lshlrev_b16 v33, 8, v33
	v_cndmask_b32_e64 v31, 0, 1, s1
	s_and_b32 s0, s0, vcc_lo
	v_lshlrev_b16 v34, 8, v34
	v_cndmask_b32_e64 v32, 0, 1, s0
	s_and_b32 s0, s5, s6
	v_lshlrev_b16 v27, 8, v27
	v_cndmask_b32_e64 v35, 0, 1, s0
	v_or_b32_e32 v31, v31, v33
	v_or_b32_e32 v32, v32, v34
	s_waitcnt lgkmcnt(0)
	v_cmp_ne_u64_e32 vcc_lo, v[29:30], v[13:14]
	v_or_b32_e32 v27, v28, v27
	v_lshlrev_b16 v34, 8, v35
	v_and_b32_e32 v31, 0xffff, v31
	v_lshlrev_b32_e32 v28, 16, v32
	v_cmp_gt_u32_e64 s0, s21, v49
	v_lshlrev_b32_e32 v33, 16, v27
	v_and_b32_e32 v32, 0xffff, v34
	s_delay_alu instid0(VALU_DEP_3) | instskip(NEXT) | instid1(VALU_DEP_1)
	s_and_b32 s0, s0, vcc_lo
	v_or_b32_e32 v27, v32, v28
	s_delay_alu instid0(VALU_DEP_3)
	v_or_b32_e32 v28, v31, v33
.LBB1043_54:
	s_mov_b32 s22, -1
	s_cbranch_execnz .LBB1043_63
.LBB1043_55:
	v_cmp_ne_u64_e64 s1, v[1:2], v[3:4]
	v_cmp_ne_u64_e64 s4, v[7:8], v[1:2]
	;; [unrolled: 1-line block ×7, first 2 shown]
	s_and_b32 vcc_lo, exec_lo, s15
	ds_store_b64 v49, v[3:4]
	s_cbranch_vccz .LBB1043_59
; %bb.56:
	v_cndmask_b32_e64 v27, 0, 1, s1
	s_waitcnt vmcnt(0) lgkmcnt(2)
	v_cndmask_b32_e64 v29, 0, 1, s5
	v_cndmask_b32_e64 v31, 0, 1, s7
	;; [unrolled: 1-line block ×6, first 2 shown]
	v_lshlrev_b16 v29, 8, v29
	v_lshlrev_b16 v27, 8, v27
	;; [unrolled: 1-line block ×4, first 2 shown]
	s_waitcnt lgkmcnt(0)
	v_or_b32_e32 v29, v30, v29
	v_or_b32_e32 v27, v28, v27
	;; [unrolled: 1-line block ×4, first 2 shown]
	s_barrier
	v_and_b32_e32 v29, 0xffff, v29
	v_lshlrev_b32_e32 v27, 16, v27
	v_lshlrev_b32_e32 v31, 16, v28
	v_and_b32_e32 v30, 0xffff, v30
	buffer_gl0_inv
                                        ; implicit-def: $sgpr0
	v_or_b32_e32 v28, v29, v27
	v_or_b32_e32 v27, v30, v31
	s_and_saveexec_b32 s1, s3
	s_delay_alu instid0(SALU_CYCLE_1)
	s_xor_b32 s1, exec_lo, s1
	s_cbranch_execz .LBB1043_58
; %bb.57:
	v_add_nc_u32_e32 v29, -8, v49
	s_or_b32 s22, s22, exec_lo
	ds_load_b64 v[29:30], v29
	s_waitcnt lgkmcnt(0)
	v_cmp_ne_u64_e32 vcc_lo, v[29:30], v[13:14]
	s_and_b32 s0, vcc_lo, exec_lo
.LBB1043_58:
	s_or_b32 exec_lo, exec_lo, s1
	s_branch .LBB1043_63
.LBB1043_59:
                                        ; implicit-def: $sgpr0
                                        ; implicit-def: $vgpr28
	s_cbranch_execz .LBB1043_63
; %bb.60:
	v_or_b32_e32 v27, 7, v49
	v_or_b32_e32 v28, 6, v49
	v_cmp_ne_u64_e32 vcc_lo, v[1:2], v[3:4]
	v_cmp_ne_u64_e64 s0, v[7:8], v[1:2]
	s_waitcnt vmcnt(0) lgkmcnt(2)
	v_or_b32_e32 v29, 4, v49
	v_cmp_gt_u32_e64 s1, s21, v27
	v_or_b32_e32 v27, 5, v49
	v_cmp_gt_u32_e64 s5, s21, v28
	v_cmp_ne_u64_e64 s4, v[5:6], v[7:8]
	v_cmp_ne_u64_e64 s6, v[11:12], v[5:6]
	s_and_b32 s1, s1, vcc_lo
	v_cmp_gt_u32_e32 vcc_lo, s21, v27
	v_cndmask_b32_e64 v28, 0, 1, s1
	v_cmp_gt_u32_e64 s1, s21, v29
	s_and_b32 s0, s5, s0
	v_or_b32_e32 v30, 3, v49
	v_cndmask_b32_e64 v27, 0, 1, s0
	s_and_b32 s0, vcc_lo, s4
	v_or_b32_e32 v32, 1, v49
	v_cndmask_b32_e64 v29, 0, 1, s0
	s_and_b32 s0, s1, s6
	v_cmp_ne_u64_e32 vcc_lo, v[9:10], v[11:12]
	v_cndmask_b32_e64 v31, 0, 1, s0
	v_cmp_gt_u32_e64 s0, s21, v30
	v_cmp_ne_u64_e64 s1, v[13:14], v[15:16]
	v_or_b32_e32 v33, 2, v49
	v_cmp_gt_u32_e64 s4, s21, v32
	v_cmp_ne_u64_e64 s5, v[15:16], v[9:10]
	s_and_b32 s0, s0, vcc_lo
	v_lshlrev_b16 v29, 8, v29
	v_cmp_gt_u32_e64 s6, s21, v33
	v_cndmask_b32_e64 v30, 0, 1, s0
	s_and_b32 s0, s4, s1
	v_lshlrev_b16 v28, 8, v28
	v_cndmask_b32_e64 v32, 0, 1, s0
	s_and_b32 s0, s6, s5
	v_lshlrev_b16 v30, 8, v30
	v_cndmask_b32_e64 v33, 0, 1, s0
	v_or_b32_e32 v29, v31, v29
	v_lshlrev_b16 v32, 8, v32
	v_or_b32_e32 v27, v27, v28
	s_waitcnt lgkmcnt(0)
	v_or_b32_e32 v28, v33, v30
	v_and_b32_e32 v29, 0xffff, v29
	v_or_b32_e32 v30, 1, v32
	v_lshlrev_b32_e32 v27, 16, v27
	s_barrier
	v_lshlrev_b32_e32 v31, 16, v28
	buffer_gl0_inv
	v_and_b32_e32 v30, 0xffff, v30
	v_or_b32_e32 v28, v29, v27
                                        ; implicit-def: $sgpr0
	s_delay_alu instid0(VALU_DEP_2)
	v_or_b32_e32 v27, v30, v31
	s_and_saveexec_b32 s1, s3
	s_cbranch_execz .LBB1043_62
; %bb.61:
	v_add_nc_u32_e32 v29, -8, v49
	v_cmp_gt_u32_e64 s0, s21, v49
	s_or_b32 s22, s22, exec_lo
	ds_load_b64 v[29:30], v29
	s_waitcnt lgkmcnt(0)
	v_cmp_ne_u64_e32 vcc_lo, v[29:30], v[13:14]
	s_and_b32 s0, s0, vcc_lo
	s_delay_alu instid0(SALU_CYCLE_1)
	s_and_b32 s0, s0, exec_lo
.LBB1043_62:
	s_or_b32 exec_lo, exec_lo, s1
.LBB1043_63:
	s_and_saveexec_b32 s1, s22
	s_cbranch_execz .LBB1043_65
; %bb.64:
	s_waitcnt vmcnt(0) lgkmcnt(1)
	v_and_b32_e32 v29, 0xffffff00, v27
	v_cndmask_b32_e64 v30, 0, 1, s0
	s_delay_alu instid0(VALU_DEP_1) | instskip(NEXT) | instid1(VALU_DEP_1)
	v_or_b32_e32 v29, v30, v29
	v_and_b32_e32 v29, 0xffff, v29
	s_delay_alu instid0(VALU_DEP_1)
	v_and_or_b32 v27, 0xffff0000, v27, v29
.LBB1043_65:
	s_or_b32 exec_lo, exec_lo, s1
	s_delay_alu instid0(SALU_CYCLE_1)
	s_and_not1_b32 vcc_lo, exec_lo, s18
	s_cbranch_vccnz .LBB1043_67
; %bb.66:
	v_cmp_gt_u32_e32 vcc_lo, s21, v49
	s_waitcnt vmcnt(0) lgkmcnt(1)
	v_or_b32_e32 v30, 1, v49
	v_and_b32_e32 v31, 0xffffff00, v28
	v_or_b32_e32 v32, 2, v49
	v_cndmask_b32_e32 v29, 0, v27, vcc_lo
	s_delay_alu instid0(VALU_DEP_4) | instskip(SKIP_1) | instid1(VALU_DEP_4)
	v_cmp_gt_u32_e32 vcc_lo, s21, v30
	v_or_b32_e32 v30, 4, v49
	v_cmp_gt_u32_e64 s0, s21, v32
	v_or_b32_e32 v32, 3, v49
	v_and_b32_e32 v29, 0xff, v29
	s_delay_alu instid0(VALU_DEP_2) | instskip(NEXT) | instid1(VALU_DEP_2)
	v_cmp_gt_u32_e64 s1, s21, v32
	v_cndmask_b32_e32 v29, v29, v27, vcc_lo
	v_cmp_gt_u32_e32 vcc_lo, s21, v30
	v_cndmask_b32_e32 v30, v31, v28, vcc_lo
	v_or_b32_e32 v31, 5, v49
	s_delay_alu instid0(VALU_DEP_2) | instskip(SKIP_1) | instid1(VALU_DEP_1)
	v_and_b32_e32 v30, 0xffff00ff, v30
	v_and_b32_e32 v29, 0xffff, v29
	v_cndmask_b32_e64 v29, v29, v27, s0
	s_delay_alu instid0(VALU_DEP_4) | instskip(SKIP_1) | instid1(VALU_DEP_3)
	v_cmp_gt_u32_e64 s0, s21, v31
	v_or_b32_e32 v31, 6, v49
	v_and_b32_e32 v29, 0xffffff, v29
	s_delay_alu instid0(VALU_DEP_3) | instskip(NEXT) | instid1(VALU_DEP_2)
	v_cndmask_b32_e64 v30, v30, v28, s0
	v_cndmask_b32_e64 v29, v29, v27, s1
	s_delay_alu instid0(VALU_DEP_1) | instskip(SKIP_2) | instid1(VALU_DEP_3)
	v_dual_cndmask_b32 v29, v29, v27 :: v_dual_and_b32 v30, 0xff00ffff, v30
	v_cmp_gt_u32_e32 vcc_lo, s21, v31
	v_or_b32_e32 v31, 7, v49
	v_cndmask_b32_e64 v29, v29, v27, s0
	s_delay_alu instid0(VALU_DEP_1) | instskip(NEXT) | instid1(VALU_DEP_1)
	v_dual_cndmask_b32 v30, v30, v28 :: v_dual_cndmask_b32 v29, v29, v27
	v_and_b32_e32 v30, 0xffffff, v30
	s_delay_alu instid0(VALU_DEP_4) | instskip(NEXT) | instid1(VALU_DEP_2)
	v_cmp_gt_u32_e32 vcc_lo, s21, v31
	v_dual_cndmask_b32 v28, v30, v28 :: v_dual_cndmask_b32 v27, v29, v27
.LBB1043_67:
	s_delay_alu instid0(VALU_DEP_1) | instskip(SKIP_1) | instid1(VALU_DEP_2)
	v_and_b32_e32 v38, 0xff, v27
	s_waitcnt vmcnt(0) lgkmcnt(1)
	v_alignbit_b32 v29, v28, v27, 24
	v_bfe_u32 v40, v27, 8, 8
	v_bfe_u32 v42, v27, 16, 8
	v_and_b32_e32 v46, 0xff, v28
	v_bfe_u32 v48, v28, 8, 8
	v_and_b32_e32 v44, 0xff, v29
	v_add_nc_u32_e32 v29, v40, v38
	v_mbcnt_lo_u32_b32 v52, -1, 0
	v_bfe_u32 v51, v28, 16, 8
	v_lshrrev_b32_e32 v50, 24, v28
	v_lshrrev_b32_e32 v53, 5, v0
	v_add3_u32 v29, v29, v42, v44
	v_and_b32_e32 v30, 15, v52
	v_and_b32_e32 v31, 16, v52
	s_and_b32 vcc_lo, exec_lo, s9
	s_mov_b32 s7, -1
	v_add3_u32 v29, v29, v46, v48
	v_cmp_eq_u32_e64 s3, 0, v30
	v_cmp_lt_u32_e64 s0, 1, v30
	v_cmp_lt_u32_e64 s4, 3, v30
	;; [unrolled: 1-line block ×3, first 2 shown]
	v_add3_u32 v54, v29, v51, v50
	v_or_b32_e32 v29, 31, v0
	v_cmp_eq_u32_e64 s6, 0, v31
	s_waitcnt lgkmcnt(0)
	s_barrier
	buffer_gl0_inv
	v_cmp_eq_u32_e64 s5, v29, v0
	s_cbranch_vccz .LBB1043_93
; %bb.68:
	v_mov_b32_dpp v29, v54 row_shr:1 row_mask:0xf bank_mask:0xf
	s_delay_alu instid0(VALU_DEP_1) | instskip(NEXT) | instid1(VALU_DEP_1)
	v_cndmask_b32_e64 v29, v29, 0, s3
	v_add_nc_u32_e32 v29, v29, v54
	s_delay_alu instid0(VALU_DEP_1) | instskip(NEXT) | instid1(VALU_DEP_1)
	v_mov_b32_dpp v30, v29 row_shr:2 row_mask:0xf bank_mask:0xf
	v_cndmask_b32_e64 v30, 0, v30, s0
	s_delay_alu instid0(VALU_DEP_1) | instskip(NEXT) | instid1(VALU_DEP_1)
	v_add_nc_u32_e32 v29, v29, v30
	v_mov_b32_dpp v30, v29 row_shr:4 row_mask:0xf bank_mask:0xf
	s_delay_alu instid0(VALU_DEP_1) | instskip(NEXT) | instid1(VALU_DEP_1)
	v_cndmask_b32_e64 v30, 0, v30, s4
	v_add_nc_u32_e32 v29, v29, v30
	s_delay_alu instid0(VALU_DEP_1) | instskip(NEXT) | instid1(VALU_DEP_1)
	v_mov_b32_dpp v30, v29 row_shr:8 row_mask:0xf bank_mask:0xf
	v_cndmask_b32_e64 v30, 0, v30, s1
	s_delay_alu instid0(VALU_DEP_1) | instskip(SKIP_3) | instid1(VALU_DEP_1)
	v_add_nc_u32_e32 v29, v29, v30
	ds_swizzle_b32 v30, v29 offset:swizzle(BROADCAST,32,15)
	s_waitcnt lgkmcnt(0)
	v_cndmask_b32_e64 v30, v30, 0, s6
	v_add_nc_u32_e32 v29, v29, v30
	s_and_saveexec_b32 s7, s5
	s_cbranch_execz .LBB1043_70
; %bb.69:
	v_lshlrev_b32_e32 v30, 2, v53
	ds_store_b32 v30, v29
.LBB1043_70:
	s_or_b32 exec_lo, exec_lo, s7
	s_delay_alu instid0(SALU_CYCLE_1)
	s_mov_b32 s7, exec_lo
	s_waitcnt lgkmcnt(0)
	s_barrier
	buffer_gl0_inv
	v_cmpx_gt_u32_e32 16, v0
	s_cbranch_execz .LBB1043_72
; %bb.71:
	v_lshlrev_b32_e32 v30, 2, v0
	ds_load_b32 v31, v30
	s_waitcnt lgkmcnt(0)
	v_mov_b32_dpp v32, v31 row_shr:1 row_mask:0xf bank_mask:0xf
	s_delay_alu instid0(VALU_DEP_1) | instskip(NEXT) | instid1(VALU_DEP_1)
	v_cndmask_b32_e64 v32, v32, 0, s3
	v_add_nc_u32_e32 v31, v32, v31
	s_delay_alu instid0(VALU_DEP_1) | instskip(NEXT) | instid1(VALU_DEP_1)
	v_mov_b32_dpp v32, v31 row_shr:2 row_mask:0xf bank_mask:0xf
	v_cndmask_b32_e64 v32, 0, v32, s0
	s_delay_alu instid0(VALU_DEP_1) | instskip(NEXT) | instid1(VALU_DEP_1)
	v_add_nc_u32_e32 v31, v31, v32
	v_mov_b32_dpp v32, v31 row_shr:4 row_mask:0xf bank_mask:0xf
	s_delay_alu instid0(VALU_DEP_1) | instskip(NEXT) | instid1(VALU_DEP_1)
	v_cndmask_b32_e64 v32, 0, v32, s4
	v_add_nc_u32_e32 v31, v31, v32
	s_delay_alu instid0(VALU_DEP_1) | instskip(NEXT) | instid1(VALU_DEP_1)
	v_mov_b32_dpp v32, v31 row_shr:8 row_mask:0xf bank_mask:0xf
	v_cndmask_b32_e64 v32, 0, v32, s1
	s_delay_alu instid0(VALU_DEP_1)
	v_add_nc_u32_e32 v31, v31, v32
	ds_store_b32 v30, v31
.LBB1043_72:
	s_or_b32 exec_lo, exec_lo, s7
	v_cmp_gt_u32_e32 vcc_lo, 32, v0
	s_mov_b32 s8, exec_lo
	s_waitcnt lgkmcnt(0)
	s_barrier
	buffer_gl0_inv
                                        ; implicit-def: $vgpr37
	v_cmpx_lt_u32_e32 31, v0
	s_cbranch_execz .LBB1043_74
; %bb.73:
	v_lshl_add_u32 v30, v53, 2, -4
	ds_load_b32 v37, v30
	s_waitcnt lgkmcnt(0)
	v_add_nc_u32_e32 v29, v37, v29
.LBB1043_74:
	s_or_b32 exec_lo, exec_lo, s8
	v_add_nc_u32_e32 v30, -1, v52
	s_delay_alu instid0(VALU_DEP_1) | instskip(NEXT) | instid1(VALU_DEP_1)
	v_cmp_gt_i32_e64 s7, 0, v30
	v_cndmask_b32_e64 v30, v30, v52, s7
	v_cmp_eq_u32_e64 s7, 0, v52
	s_delay_alu instid0(VALU_DEP_2)
	v_lshlrev_b32_e32 v30, 2, v30
	ds_bpermute_b32 v39, v30, v29
	s_and_saveexec_b32 s8, vcc_lo
	s_cbranch_execz .LBB1043_92
; %bb.75:
	v_mov_b32_e32 v33, 0
	ds_load_b32 v29, v33 offset:60
	s_and_saveexec_b32 s9, s7
	s_cbranch_execz .LBB1043_77
; %bb.76:
	s_add_i32 s18, s20, 32
	s_mov_b32 s19, 0
	v_mov_b32_e32 v30, 1
	s_lshl_b64 s[18:19], s[18:19], 3
	s_delay_alu instid0(SALU_CYCLE_1)
	s_add_u32 s18, s16, s18
	s_addc_u32 s19, s17, s19
	s_waitcnt lgkmcnt(0)
	global_store_b64 v33, v[29:30], s[18:19]
.LBB1043_77:
	s_or_b32 exec_lo, exec_lo, s9
	v_xad_u32 v31, v52, -1, s20
	s_mov_b32 s18, 0
	s_mov_b32 s9, exec_lo
	s_delay_alu instid0(VALU_DEP_1) | instskip(NEXT) | instid1(VALU_DEP_1)
	v_add_nc_u32_e32 v32, 32, v31
	v_lshlrev_b64 v[32:33], 3, v[32:33]
	s_delay_alu instid0(VALU_DEP_1) | instskip(NEXT) | instid1(VALU_DEP_2)
	v_add_co_u32 v35, vcc_lo, s16, v32
	v_add_co_ci_u32_e32 v36, vcc_lo, s17, v33, vcc_lo
	global_load_b64 v[33:34], v[35:36], off glc
	s_waitcnt vmcnt(0)
	v_and_b32_e32 v30, 0xff, v34
	s_delay_alu instid0(VALU_DEP_1)
	v_cmpx_eq_u16_e32 0, v30
	s_cbranch_execz .LBB1043_80
.LBB1043_78:                            ; =>This Inner Loop Header: Depth=1
	global_load_b64 v[33:34], v[35:36], off glc
	s_waitcnt vmcnt(0)
	v_and_b32_e32 v30, 0xff, v34
	s_delay_alu instid0(VALU_DEP_1) | instskip(SKIP_1) | instid1(SALU_CYCLE_1)
	v_cmp_ne_u16_e32 vcc_lo, 0, v30
	s_or_b32 s18, vcc_lo, s18
	s_and_not1_b32 exec_lo, exec_lo, s18
	s_cbranch_execnz .LBB1043_78
; %bb.79:
	s_or_b32 exec_lo, exec_lo, s18
.LBB1043_80:
	s_delay_alu instid0(SALU_CYCLE_1)
	s_or_b32 exec_lo, exec_lo, s9
	v_cmp_ne_u32_e32 vcc_lo, 31, v52
	v_lshlrev_b32_e64 v43, v52, -1
	v_add_nc_u32_e32 v47, 2, v52
	v_add_nc_u32_e32 v60, 16, v52
	v_add_co_ci_u32_e32 v30, vcc_lo, 0, v52, vcc_lo
	s_delay_alu instid0(VALU_DEP_1)
	v_lshlrev_b32_e32 v41, 2, v30
	v_and_b32_e32 v30, 0xff, v34
	ds_bpermute_b32 v32, v41, v33
	v_cmp_eq_u16_e32 vcc_lo, 2, v30
	v_and_or_b32 v30, vcc_lo, v43, 0x80000000
	v_cmp_gt_u32_e32 vcc_lo, 30, v52
	s_delay_alu instid0(VALU_DEP_2) | instskip(SKIP_1) | instid1(VALU_DEP_2)
	v_ctz_i32_b32_e32 v30, v30
	v_cndmask_b32_e64 v35, 0, 1, vcc_lo
	v_cmp_lt_u32_e32 vcc_lo, v52, v30
	s_waitcnt lgkmcnt(0)
	s_delay_alu instid0(VALU_DEP_2) | instskip(NEXT) | instid1(VALU_DEP_1)
	v_dual_cndmask_b32 v32, 0, v32 :: v_dual_lshlrev_b32 v35, 1, v35
	v_add_lshl_u32 v45, v35, v52, 2
	v_cmp_gt_u32_e32 vcc_lo, 28, v52
	s_delay_alu instid0(VALU_DEP_3) | instskip(SKIP_4) | instid1(VALU_DEP_1)
	v_add_nc_u32_e32 v32, v32, v33
	v_cndmask_b32_e64 v35, 0, 1, vcc_lo
	v_cmp_le_u32_e32 vcc_lo, v47, v30
	ds_bpermute_b32 v33, v45, v32
	v_lshlrev_b32_e32 v35, 2, v35
	v_add_lshl_u32 v55, v35, v52, 2
	s_waitcnt lgkmcnt(0)
	v_cndmask_b32_e32 v33, 0, v33, vcc_lo
	v_cmp_gt_u32_e32 vcc_lo, 24, v52
	s_delay_alu instid0(VALU_DEP_2) | instskip(SKIP_4) | instid1(VALU_DEP_2)
	v_add_nc_u32_e32 v32, v32, v33
	v_cndmask_b32_e64 v35, 0, 1, vcc_lo
	ds_bpermute_b32 v33, v55, v32
	v_add_nc_u32_e32 v56, 4, v52
	v_lshlrev_b32_e32 v35, 3, v35
	v_cmp_le_u32_e32 vcc_lo, v56, v30
	s_delay_alu instid0(VALU_DEP_2) | instskip(SKIP_3) | instid1(VALU_DEP_2)
	v_add_lshl_u32 v57, v35, v52, 2
	s_waitcnt lgkmcnt(0)
	v_cndmask_b32_e32 v33, 0, v33, vcc_lo
	v_cmp_gt_u32_e32 vcc_lo, 16, v52
	v_add_nc_u32_e32 v32, v32, v33
	v_cndmask_b32_e64 v35, 0, 1, vcc_lo
	ds_bpermute_b32 v33, v57, v32
	v_add_nc_u32_e32 v58, 8, v52
	v_lshlrev_b32_e32 v35, 4, v35
	s_delay_alu instid0(VALU_DEP_2) | instskip(NEXT) | instid1(VALU_DEP_2)
	v_cmp_le_u32_e32 vcc_lo, v58, v30
	v_add_lshl_u32 v59, v35, v52, 2
	s_waitcnt lgkmcnt(0)
	v_cndmask_b32_e32 v33, 0, v33, vcc_lo
	v_cmp_le_u32_e32 vcc_lo, v60, v30
	s_delay_alu instid0(VALU_DEP_2) | instskip(SKIP_3) | instid1(VALU_DEP_1)
	v_add_nc_u32_e32 v32, v32, v33
	ds_bpermute_b32 v33, v59, v32
	s_waitcnt lgkmcnt(0)
	v_cndmask_b32_e32 v30, 0, v33, vcc_lo
	v_dual_mov_b32 v32, 0 :: v_dual_add_nc_u32 v33, v32, v30
	s_branch .LBB1043_82
.LBB1043_81:                            ;   in Loop: Header=BB1043_82 Depth=1
	s_or_b32 exec_lo, exec_lo, s9
	ds_bpermute_b32 v36, v41, v33
	v_and_b32_e32 v35, 0xff, v34
	v_subrev_nc_u32_e32 v31, 32, v31
	s_delay_alu instid0(VALU_DEP_2) | instskip(SKIP_1) | instid1(VALU_DEP_1)
	v_cmp_eq_u16_e32 vcc_lo, 2, v35
	v_and_or_b32 v35, vcc_lo, v43, 0x80000000
	v_ctz_i32_b32_e32 v35, v35
	s_delay_alu instid0(VALU_DEP_1) | instskip(SKIP_3) | instid1(VALU_DEP_2)
	v_cmp_lt_u32_e32 vcc_lo, v52, v35
	s_waitcnt lgkmcnt(0)
	v_cndmask_b32_e32 v36, 0, v36, vcc_lo
	v_cmp_le_u32_e32 vcc_lo, v47, v35
	v_add_nc_u32_e32 v33, v36, v33
	ds_bpermute_b32 v36, v45, v33
	s_waitcnt lgkmcnt(0)
	v_cndmask_b32_e32 v36, 0, v36, vcc_lo
	v_cmp_le_u32_e32 vcc_lo, v56, v35
	s_delay_alu instid0(VALU_DEP_2) | instskip(SKIP_4) | instid1(VALU_DEP_2)
	v_add_nc_u32_e32 v33, v33, v36
	ds_bpermute_b32 v36, v55, v33
	s_waitcnt lgkmcnt(0)
	v_cndmask_b32_e32 v36, 0, v36, vcc_lo
	v_cmp_le_u32_e32 vcc_lo, v58, v35
	v_add_nc_u32_e32 v33, v33, v36
	ds_bpermute_b32 v36, v57, v33
	s_waitcnt lgkmcnt(0)
	v_cndmask_b32_e32 v36, 0, v36, vcc_lo
	v_cmp_le_u32_e32 vcc_lo, v60, v35
	s_delay_alu instid0(VALU_DEP_2) | instskip(SKIP_3) | instid1(VALU_DEP_1)
	v_add_nc_u32_e32 v33, v33, v36
	ds_bpermute_b32 v36, v59, v33
	s_waitcnt lgkmcnt(0)
	v_cndmask_b32_e32 v35, 0, v36, vcc_lo
	v_add3_u32 v33, v35, v30, v33
.LBB1043_82:                            ; =>This Loop Header: Depth=1
                                        ;     Child Loop BB1043_85 Depth 2
	v_and_b32_e32 v30, 0xff, v34
	s_delay_alu instid0(VALU_DEP_1) | instskip(SKIP_2) | instid1(VALU_DEP_1)
	v_cmp_ne_u16_e32 vcc_lo, 2, v30
	v_cndmask_b32_e64 v30, 0, 1, vcc_lo
	;;#ASMSTART
	;;#ASMEND
	v_cmp_ne_u32_e32 vcc_lo, 0, v30
	v_mov_b32_e32 v30, v33
	s_cmp_lg_u32 vcc_lo, exec_lo
	s_cbranch_scc1 .LBB1043_87
; %bb.83:                               ;   in Loop: Header=BB1043_82 Depth=1
	v_lshlrev_b64 v[33:34], 3, v[31:32]
	s_mov_b32 s9, exec_lo
	s_delay_alu instid0(VALU_DEP_1) | instskip(NEXT) | instid1(VALU_DEP_2)
	v_add_co_u32 v35, vcc_lo, s16, v33
	v_add_co_ci_u32_e32 v36, vcc_lo, s17, v34, vcc_lo
	global_load_b64 v[33:34], v[35:36], off glc
	s_waitcnt vmcnt(0)
	v_and_b32_e32 v61, 0xff, v34
	s_delay_alu instid0(VALU_DEP_1)
	v_cmpx_eq_u16_e32 0, v61
	s_cbranch_execz .LBB1043_81
; %bb.84:                               ;   in Loop: Header=BB1043_82 Depth=1
	s_mov_b32 s18, 0
.LBB1043_85:                            ;   Parent Loop BB1043_82 Depth=1
                                        ; =>  This Inner Loop Header: Depth=2
	global_load_b64 v[33:34], v[35:36], off glc
	s_waitcnt vmcnt(0)
	v_and_b32_e32 v61, 0xff, v34
	s_delay_alu instid0(VALU_DEP_1) | instskip(SKIP_1) | instid1(SALU_CYCLE_1)
	v_cmp_ne_u16_e32 vcc_lo, 0, v61
	s_or_b32 s18, vcc_lo, s18
	s_and_not1_b32 exec_lo, exec_lo, s18
	s_cbranch_execnz .LBB1043_85
; %bb.86:                               ;   in Loop: Header=BB1043_82 Depth=1
	s_or_b32 exec_lo, exec_lo, s18
	s_branch .LBB1043_81
.LBB1043_87:                            ;   in Loop: Header=BB1043_82 Depth=1
                                        ; implicit-def: $vgpr33
                                        ; implicit-def: $vgpr34
	s_cbranch_execz .LBB1043_82
; %bb.88:
	s_and_saveexec_b32 s9, s7
	s_cbranch_execz .LBB1043_90
; %bb.89:
	s_add_i32 s18, s20, 32
	s_mov_b32 s19, 0
	v_dual_mov_b32 v32, 2 :: v_dual_add_nc_u32 v31, v30, v29
	s_lshl_b64 s[18:19], s[18:19], 3
	v_mov_b32_e32 v33, 0
	s_add_u32 s18, s16, s18
	s_addc_u32 s19, s17, s19
	global_store_b64 v33, v[31:32], s[18:19]
	ds_store_b64 v33, v[29:30] offset:33792
.LBB1043_90:
	s_or_b32 exec_lo, exec_lo, s9
	s_delay_alu instid0(SALU_CYCLE_1)
	s_and_b32 exec_lo, exec_lo, s2
	s_cbranch_execz .LBB1043_92
; %bb.91:
	v_mov_b32_e32 v29, 0
	ds_store_b32 v29, v30 offset:60
.LBB1043_92:
	s_or_b32 exec_lo, exec_lo, s8
	v_mov_b32_e32 v29, 0
	s_waitcnt lgkmcnt(0)
	s_waitcnt_vscnt null, 0x0
	s_barrier
	buffer_gl0_inv
	v_cndmask_b32_e64 v31, v39, v37, s7
	ds_load_b32 v30, v29 offset:60
	s_waitcnt lgkmcnt(0)
	s_barrier
	buffer_gl0_inv
	v_cndmask_b32_e64 v31, v31, 0, s2
	s_delay_alu instid0(VALU_DEP_1) | instskip(SKIP_2) | instid1(VALU_DEP_1)
	v_add_nc_u32_e32 v47, v30, v31
	ds_load_b64 v[29:30], v29 offset:33792
	v_add_nc_u32_e32 v45, v47, v38
	v_add_nc_u32_e32 v43, v45, v40
	s_delay_alu instid0(VALU_DEP_1) | instskip(NEXT) | instid1(VALU_DEP_1)
	v_add_nc_u32_e32 v41, v43, v42
	v_add_nc_u32_e32 v39, v41, v44
	s_delay_alu instid0(VALU_DEP_1) | instskip(NEXT) | instid1(VALU_DEP_1)
	v_add_nc_u32_e32 v37, v39, v46
	v_add_nc_u32_e32 v35, v37, v48
	s_delay_alu instid0(VALU_DEP_1)
	v_add_nc_u32_e32 v33, v35, v51
	v_lshrrev_b64 v[31:32], 24, v[27:28]
	s_branch .LBB1043_103
.LBB1043_93:
                                        ; implicit-def: $vgpr33
                                        ; implicit-def: $vgpr35
                                        ; implicit-def: $vgpr37
                                        ; implicit-def: $vgpr39
                                        ; implicit-def: $vgpr41
                                        ; implicit-def: $vgpr43
                                        ; implicit-def: $vgpr45
                                        ; implicit-def: $vgpr47
                                        ; implicit-def: $vgpr30
	v_lshrrev_b64 v[31:32], 24, v[27:28]
	s_and_b32 vcc_lo, exec_lo, s7
	s_cbranch_vccz .LBB1043_103
; %bb.94:
	s_waitcnt lgkmcnt(0)
	v_mov_b32_dpp v29, v54 row_shr:1 row_mask:0xf bank_mask:0xf
	s_delay_alu instid0(VALU_DEP_1) | instskip(NEXT) | instid1(VALU_DEP_1)
	v_cndmask_b32_e64 v29, v29, 0, s3
	v_add_nc_u32_e32 v29, v29, v54
	s_delay_alu instid0(VALU_DEP_1) | instskip(NEXT) | instid1(VALU_DEP_1)
	v_mov_b32_dpp v30, v29 row_shr:2 row_mask:0xf bank_mask:0xf
	v_cndmask_b32_e64 v30, 0, v30, s0
	s_delay_alu instid0(VALU_DEP_1) | instskip(NEXT) | instid1(VALU_DEP_1)
	v_add_nc_u32_e32 v29, v29, v30
	v_mov_b32_dpp v30, v29 row_shr:4 row_mask:0xf bank_mask:0xf
	s_delay_alu instid0(VALU_DEP_1) | instskip(NEXT) | instid1(VALU_DEP_1)
	v_cndmask_b32_e64 v30, 0, v30, s4
	v_add_nc_u32_e32 v29, v29, v30
	s_delay_alu instid0(VALU_DEP_1) | instskip(NEXT) | instid1(VALU_DEP_1)
	v_mov_b32_dpp v30, v29 row_shr:8 row_mask:0xf bank_mask:0xf
	v_cndmask_b32_e64 v30, 0, v30, s1
	s_delay_alu instid0(VALU_DEP_1) | instskip(SKIP_3) | instid1(VALU_DEP_1)
	v_add_nc_u32_e32 v29, v29, v30
	ds_swizzle_b32 v30, v29 offset:swizzle(BROADCAST,32,15)
	s_waitcnt lgkmcnt(0)
	v_cndmask_b32_e64 v30, v30, 0, s6
	v_add_nc_u32_e32 v29, v29, v30
	s_and_saveexec_b32 s6, s5
	s_cbranch_execz .LBB1043_96
; %bb.95:
	v_lshlrev_b32_e32 v30, 2, v53
	ds_store_b32 v30, v29
.LBB1043_96:
	s_or_b32 exec_lo, exec_lo, s6
	s_delay_alu instid0(SALU_CYCLE_1)
	s_mov_b32 s5, exec_lo
	s_waitcnt lgkmcnt(0)
	s_barrier
	buffer_gl0_inv
	v_cmpx_gt_u32_e32 16, v0
	s_cbranch_execz .LBB1043_98
; %bb.97:
	v_lshlrev_b32_e32 v30, 2, v0
	ds_load_b32 v32, v30
	s_waitcnt lgkmcnt(0)
	v_mov_b32_dpp v33, v32 row_shr:1 row_mask:0xf bank_mask:0xf
	s_delay_alu instid0(VALU_DEP_1) | instskip(NEXT) | instid1(VALU_DEP_1)
	v_cndmask_b32_e64 v33, v33, 0, s3
	v_add_nc_u32_e32 v32, v33, v32
	s_delay_alu instid0(VALU_DEP_1) | instskip(NEXT) | instid1(VALU_DEP_1)
	v_mov_b32_dpp v33, v32 row_shr:2 row_mask:0xf bank_mask:0xf
	v_cndmask_b32_e64 v33, 0, v33, s0
	s_delay_alu instid0(VALU_DEP_1) | instskip(NEXT) | instid1(VALU_DEP_1)
	v_add_nc_u32_e32 v32, v32, v33
	v_mov_b32_dpp v33, v32 row_shr:4 row_mask:0xf bank_mask:0xf
	s_delay_alu instid0(VALU_DEP_1) | instskip(NEXT) | instid1(VALU_DEP_1)
	v_cndmask_b32_e64 v33, 0, v33, s4
	v_add_nc_u32_e32 v32, v32, v33
	s_delay_alu instid0(VALU_DEP_1) | instskip(NEXT) | instid1(VALU_DEP_1)
	v_mov_b32_dpp v33, v32 row_shr:8 row_mask:0xf bank_mask:0xf
	v_cndmask_b32_e64 v33, 0, v33, s1
	s_delay_alu instid0(VALU_DEP_1)
	v_add_nc_u32_e32 v32, v32, v33
	ds_store_b32 v30, v32
.LBB1043_98:
	s_or_b32 exec_lo, exec_lo, s5
	v_mov_b32_e32 v30, 0
	v_mov_b32_e32 v32, 0
	s_mov_b32 s0, exec_lo
	s_waitcnt lgkmcnt(0)
	s_barrier
	buffer_gl0_inv
	v_cmpx_lt_u32_e32 31, v0
	s_cbranch_execz .LBB1043_100
; %bb.99:
	v_lshl_add_u32 v32, v53, 2, -4
	ds_load_b32 v32, v32
.LBB1043_100:
	s_or_b32 exec_lo, exec_lo, s0
	v_add_nc_u32_e32 v33, -1, v52
	s_waitcnt lgkmcnt(0)
	v_add_nc_u32_e32 v29, v32, v29
	s_delay_alu instid0(VALU_DEP_2) | instskip(SKIP_1) | instid1(VALU_DEP_1)
	v_cmp_gt_i32_e32 vcc_lo, 0, v33
	v_cndmask_b32_e32 v33, v33, v52, vcc_lo
	v_lshlrev_b32_e32 v33, 2, v33
	ds_bpermute_b32 v33, v33, v29
	ds_load_b32 v29, v30 offset:60
	s_and_saveexec_b32 s0, s2
	s_cbranch_execz .LBB1043_102
; %bb.101:
	v_mov_b32_e32 v34, 0
	v_mov_b32_e32 v30, 2
	s_waitcnt lgkmcnt(0)
	global_store_b64 v34, v[29:30], s[16:17] offset:256
.LBB1043_102:
	s_or_b32 exec_lo, exec_lo, s0
	v_cmp_eq_u32_e32 vcc_lo, 0, v52
	s_waitcnt lgkmcnt(0)
	s_waitcnt_vscnt null, 0x0
	s_barrier
	buffer_gl0_inv
	v_cndmask_b32_e32 v30, v33, v32, vcc_lo
	s_delay_alu instid0(VALU_DEP_1) | instskip(NEXT) | instid1(VALU_DEP_1)
	v_cndmask_b32_e64 v47, v30, 0, s2
	v_dual_mov_b32 v30, 0 :: v_dual_add_nc_u32 v45, v47, v38
	s_delay_alu instid0(VALU_DEP_1) | instskip(NEXT) | instid1(VALU_DEP_1)
	v_add_nc_u32_e32 v43, v45, v40
	v_add_nc_u32_e32 v41, v43, v42
	s_delay_alu instid0(VALU_DEP_1) | instskip(NEXT) | instid1(VALU_DEP_1)
	v_add_nc_u32_e32 v39, v41, v44
	v_add_nc_u32_e32 v37, v39, v46
	s_delay_alu instid0(VALU_DEP_1) | instskip(NEXT) | instid1(VALU_DEP_1)
	v_add_nc_u32_e32 v35, v37, v48
	v_add_nc_u32_e32 v33, v35, v51
.LBB1043_103:
	s_waitcnt lgkmcnt(0)
	v_cmp_gt_u32_e32 vcc_lo, 0x201, v29
	v_lshrrev_b32_e32 v53, 8, v27
	v_lshrrev_b32_e32 v52, 16, v27
	;; [unrolled: 1-line block ×4, first 2 shown]
	v_cmp_lt_u32_e64 s0, 0x200, v29
	s_mov_b32 s1, -1
	s_cbranch_vccz .LBB1043_129
; %bb.104:
	v_lshlrev_b64 v[54:55], 3, v[17:18]
	v_add_nc_u32_e32 v34, v30, v29
	s_delay_alu instid0(VALU_DEP_1) | instskip(NEXT) | instid1(VALU_DEP_3)
	v_cmp_lt_u32_e32 vcc_lo, v47, v34
	v_add_co_u32 v54, s1, s10, v54
	s_delay_alu instid0(VALU_DEP_1) | instskip(SKIP_1) | instid1(SALU_CYCLE_1)
	v_add_co_ci_u32_e64 v55, s1, s11, v55, s1
	s_or_b32 s3, s15, vcc_lo
	s_and_saveexec_b32 s1, s3
	s_cbranch_execz .LBB1043_107
; %bb.105:
	v_and_b32_e32 v36, 1, v27
	s_delay_alu instid0(VALU_DEP_1)
	v_cmp_eq_u32_e32 vcc_lo, 1, v36
	s_and_b32 exec_lo, exec_lo, vcc_lo
	s_cbranch_execz .LBB1043_107
; %bb.106:
	v_mov_b32_e32 v48, 0
	s_delay_alu instid0(VALU_DEP_1) | instskip(NEXT) | instid1(VALU_DEP_1)
	v_lshlrev_b64 v[56:57], 3, v[47:48]
	v_add_co_u32 v56, vcc_lo, v54, v56
	s_delay_alu instid0(VALU_DEP_2)
	v_add_co_ci_u32_e32 v57, vcc_lo, v55, v57, vcc_lo
	global_store_b64 v[56:57], v[13:14], off
.LBB1043_107:
	s_or_b32 exec_lo, exec_lo, s1
	v_cmp_lt_u32_e32 vcc_lo, v45, v34
	s_or_b32 s3, s15, vcc_lo
	s_delay_alu instid0(SALU_CYCLE_1)
	s_and_saveexec_b32 s1, s3
	s_cbranch_execz .LBB1043_110
; %bb.108:
	v_and_b32_e32 v36, 1, v53
	s_delay_alu instid0(VALU_DEP_1)
	v_cmp_eq_u32_e32 vcc_lo, 1, v36
	s_and_b32 exec_lo, exec_lo, vcc_lo
	s_cbranch_execz .LBB1043_110
; %bb.109:
	v_mov_b32_e32 v46, 0
	s_delay_alu instid0(VALU_DEP_1) | instskip(NEXT) | instid1(VALU_DEP_1)
	v_lshlrev_b64 v[56:57], 3, v[45:46]
	v_add_co_u32 v56, vcc_lo, v54, v56
	s_delay_alu instid0(VALU_DEP_2)
	v_add_co_ci_u32_e32 v57, vcc_lo, v55, v57, vcc_lo
	global_store_b64 v[56:57], v[15:16], off
.LBB1043_110:
	s_or_b32 exec_lo, exec_lo, s1
	v_cmp_lt_u32_e32 vcc_lo, v43, v34
	s_or_b32 s3, s15, vcc_lo
	s_delay_alu instid0(SALU_CYCLE_1)
	;; [unrolled: 21-line block ×7, first 2 shown]
	s_and_saveexec_b32 s1, s3
	s_cbranch_execz .LBB1043_128
; %bb.126:
	v_and_b32_e32 v34, 1, v50
	s_delay_alu instid0(VALU_DEP_1)
	v_cmp_eq_u32_e32 vcc_lo, 1, v34
	s_and_b32 exec_lo, exec_lo, vcc_lo
	s_cbranch_execz .LBB1043_128
; %bb.127:
	v_mov_b32_e32 v34, 0
	s_delay_alu instid0(VALU_DEP_1) | instskip(NEXT) | instid1(VALU_DEP_1)
	v_lshlrev_b64 v[56:57], 3, v[33:34]
	v_add_co_u32 v54, vcc_lo, v54, v56
	s_delay_alu instid0(VALU_DEP_2)
	v_add_co_ci_u32_e32 v55, vcc_lo, v55, v57, vcc_lo
	global_store_b64 v[54:55], v[3:4], off
.LBB1043_128:
	s_or_b32 exec_lo, exec_lo, s1
	s_mov_b32 s1, 0
.LBB1043_129:
	v_and_b32_e32 v27, 1, v27
	s_and_b32 vcc_lo, exec_lo, s1
	s_delay_alu instid0(VALU_DEP_1)
	v_cmp_eq_u32_e64 s1, 1, v27
	s_cbranch_vccz .LBB1043_150
; %bb.130:
	s_delay_alu instid0(VALU_DEP_1)
	s_and_saveexec_b32 s3, s1
	s_cbranch_execz .LBB1043_132
; %bb.131:
	v_sub_nc_u32_e32 v34, v47, v30
	s_delay_alu instid0(VALU_DEP_1)
	v_lshlrev_b32_e32 v34, 3, v34
	ds_store_b64 v34, v[13:14]
.LBB1043_132:
	s_or_b32 exec_lo, exec_lo, s3
	v_and_b32_e32 v13, 1, v53
	s_mov_b32 s1, exec_lo
	s_delay_alu instid0(VALU_DEP_1)
	v_cmpx_eq_u32_e32 1, v13
	s_cbranch_execz .LBB1043_134
; %bb.133:
	v_sub_nc_u32_e32 v13, v45, v30
	s_delay_alu instid0(VALU_DEP_1)
	v_lshlrev_b32_e32 v13, 3, v13
	ds_store_b64 v13, v[15:16]
.LBB1043_134:
	s_or_b32 exec_lo, exec_lo, s1
	v_and_b32_e32 v13, 1, v52
	s_mov_b32 s1, exec_lo
	s_delay_alu instid0(VALU_DEP_1)
	v_cmpx_eq_u32_e32 1, v13
	;; [unrolled: 12-line block ×7, first 2 shown]
	s_cbranch_execz .LBB1043_146
; %bb.145:
	v_sub_nc_u32_e32 v1, v33, v30
	s_delay_alu instid0(VALU_DEP_1)
	v_lshlrev_b32_e32 v1, 3, v1
	ds_store_b64 v1, v[3:4]
.LBB1043_146:
	s_or_b32 exec_lo, exec_lo, s1
	s_delay_alu instid0(SALU_CYCLE_1)
	s_mov_b32 s3, exec_lo
	s_waitcnt lgkmcnt(0)
	s_waitcnt_vscnt null, 0x0
	s_barrier
	buffer_gl0_inv
	v_cmpx_lt_u32_e64 v0, v29
	s_cbranch_execz .LBB1043_149
; %bb.147:
	v_dual_mov_b32 v2, 0 :: v_dual_mov_b32 v1, v30
	v_lshlrev_b64 v[3:4], 3, v[17:18]
	s_mov_b32 s4, 0
	s_delay_alu instid0(VALU_DEP_2) | instskip(NEXT) | instid1(VALU_DEP_1)
	v_lshlrev_b64 v[1:2], 3, v[1:2]
	v_add_co_u32 v1, vcc_lo, v3, v1
	s_delay_alu instid0(VALU_DEP_2) | instskip(NEXT) | instid1(VALU_DEP_2)
	v_add_co_ci_u32_e32 v2, vcc_lo, v4, v2, vcc_lo
	v_add_co_u32 v1, vcc_lo, s10, v1
	s_delay_alu instid0(VALU_DEP_2) | instskip(NEXT) | instid1(VALU_DEP_2)
	v_add_co_ci_u32_e32 v2, vcc_lo, s11, v2, vcc_lo
	v_add_co_u32 v1, vcc_lo, v1, v49
	s_delay_alu instid0(VALU_DEP_2)
	v_add_co_ci_u32_e32 v2, vcc_lo, 0, v2, vcc_lo
	.p2align	6
.LBB1043_148:                           ; =>This Inner Loop Header: Depth=1
	ds_load_b64 v[3:4], v49
	v_add_nc_u32_e32 v0, 0x200, v0
	v_add_nc_u32_e32 v49, 0x1000, v49
	s_delay_alu instid0(VALU_DEP_2) | instskip(SKIP_4) | instid1(VALU_DEP_1)
	v_cmp_ge_u32_e32 vcc_lo, v0, v29
	s_or_b32 s4, vcc_lo, s4
	s_waitcnt lgkmcnt(0)
	global_store_b64 v[1:2], v[3:4], off
	v_add_co_u32 v1, s1, 0x1000, v1
	v_add_co_ci_u32_e64 v2, s1, 0, v2, s1
	s_and_not1_b32 exec_lo, exec_lo, s4
	s_cbranch_execnz .LBB1043_148
.LBB1043_149:
	s_or_b32 exec_lo, exec_lo, s3
.LBB1043_150:
	s_delay_alu instid0(SALU_CYCLE_1)
	s_and_not1_b32 vcc_lo, exec_lo, s0
	s_waitcnt_vscnt null, 0x0
	s_barrier
	buffer_gl0_inv
	s_cbranch_vccnz .LBB1043_169
; %bb.151:
	s_mov_b32 s0, exec_lo
	v_cmpx_eq_u32_e32 1, v27
	s_cbranch_execz .LBB1043_153
; %bb.152:
	v_sub_nc_u32_e32 v0, v47, v30
	s_delay_alu instid0(VALU_DEP_1)
	v_lshlrev_b32_e32 v0, 2, v0
	ds_store_b32 v0, v25
.LBB1043_153:
	s_or_b32 exec_lo, exec_lo, s0
	v_and_b32_e32 v0, 1, v53
	s_mov_b32 s0, exec_lo
	s_delay_alu instid0(VALU_DEP_1)
	v_cmpx_eq_u32_e32 1, v0
	s_cbranch_execz .LBB1043_155
; %bb.154:
	v_sub_nc_u32_e32 v0, v45, v30
	s_delay_alu instid0(VALU_DEP_1)
	v_lshlrev_b32_e32 v0, 2, v0
	ds_store_b32 v0, v26
.LBB1043_155:
	s_or_b32 exec_lo, exec_lo, s0
	v_and_b32_e32 v0, 1, v52
	s_mov_b32 s0, exec_lo
	s_delay_alu instid0(VALU_DEP_1)
	;; [unrolled: 12-line block ×7, first 2 shown]
	v_cmpx_eq_u32_e32 1, v0
	s_cbranch_execz .LBB1043_167
; %bb.166:
	v_sub_nc_u32_e32 v0, v33, v30
	s_delay_alu instid0(VALU_DEP_1)
	v_lshlrev_b32_e32 v0, 2, v0
	ds_store_b32 v0, v20
.LBB1043_167:
	s_or_b32 exec_lo, exec_lo, s0
	s_waitcnt lgkmcnt(0)
	s_barrier
	buffer_gl0_inv
	s_and_b32 s0, s2, s14
	s_delay_alu instid0(SALU_CYCLE_1)
	s_and_saveexec_b32 s1, s0
	s_cbranch_execnz .LBB1043_170
.LBB1043_168:
	s_endpgm
.LBB1043_169:
	s_and_b32 s0, s2, s14
	s_delay_alu instid0(SALU_CYCLE_1)
	s_and_saveexec_b32 s1, s0
	s_cbranch_execz .LBB1043_168
.LBB1043_170:
	v_add_co_u32 v0, vcc_lo, v17, v29
	v_add_co_ci_u32_e32 v1, vcc_lo, 0, v18, vcc_lo
	v_mov_b32_e32 v2, 0
	s_delay_alu instid0(VALU_DEP_3) | instskip(NEXT) | instid1(VALU_DEP_3)
	v_add_co_u32 v0, vcc_lo, v0, v30
	v_add_co_ci_u32_e32 v1, vcc_lo, 0, v1, vcc_lo
	global_store_b64 v2, v[0:1], s[12:13]
	s_nop 0
	s_sendmsg sendmsg(MSG_DEALLOC_VGPRS)
	s_endpgm
	.section	.rodata,"a",@progbits
	.p2align	6, 0x0
	.amdhsa_kernel _ZN7rocprim17ROCPRIM_400000_NS6detail17trampoline_kernelINS0_14default_configENS1_25partition_config_selectorILNS1_17partition_subalgoE9ExjbEEZZNS1_14partition_implILS5_9ELb0ES3_jN6thrust23THRUST_200600_302600_NS6detail15normal_iteratorINS9_10device_ptrIxEEEENSB_INSC_IjEEEEPNS0_10empty_typeENS0_5tupleIJSE_SH_EEENSJ_IJNS9_16discard_iteratorINS9_11use_defaultEEESI_EEENS0_18inequality_wrapperINS9_8equal_toIxEEEEPmJSH_EEE10hipError_tPvRmT3_T4_T5_T6_T7_T9_mT8_P12ihipStream_tbDpT10_ENKUlT_T0_E_clISt17integral_constantIbLb0EES1C_IbLb1EEEEDaS18_S19_EUlS18_E_NS1_11comp_targetILNS1_3genE9ELNS1_11target_archE1100ELNS1_3gpuE3ELNS1_3repE0EEENS1_30default_config_static_selectorELNS0_4arch9wavefront6targetE0EEEvT1_
		.amdhsa_group_segment_fixed_size 33800
		.amdhsa_private_segment_fixed_size 0
		.amdhsa_kernarg_size 136
		.amdhsa_user_sgpr_count 15
		.amdhsa_user_sgpr_dispatch_ptr 0
		.amdhsa_user_sgpr_queue_ptr 0
		.amdhsa_user_sgpr_kernarg_segment_ptr 1
		.amdhsa_user_sgpr_dispatch_id 0
		.amdhsa_user_sgpr_private_segment_size 0
		.amdhsa_wavefront_size32 1
		.amdhsa_uses_dynamic_stack 0
		.amdhsa_enable_private_segment 0
		.amdhsa_system_sgpr_workgroup_id_x 1
		.amdhsa_system_sgpr_workgroup_id_y 0
		.amdhsa_system_sgpr_workgroup_id_z 0
		.amdhsa_system_sgpr_workgroup_info 0
		.amdhsa_system_vgpr_workitem_id 0
		.amdhsa_next_free_vgpr 62
		.amdhsa_next_free_sgpr 26
		.amdhsa_reserve_vcc 1
		.amdhsa_float_round_mode_32 0
		.amdhsa_float_round_mode_16_64 0
		.amdhsa_float_denorm_mode_32 3
		.amdhsa_float_denorm_mode_16_64 3
		.amdhsa_dx10_clamp 1
		.amdhsa_ieee_mode 1
		.amdhsa_fp16_overflow 0
		.amdhsa_workgroup_processor_mode 1
		.amdhsa_memory_ordered 1
		.amdhsa_forward_progress 0
		.amdhsa_shared_vgpr_count 0
		.amdhsa_exception_fp_ieee_invalid_op 0
		.amdhsa_exception_fp_denorm_src 0
		.amdhsa_exception_fp_ieee_div_zero 0
		.amdhsa_exception_fp_ieee_overflow 0
		.amdhsa_exception_fp_ieee_underflow 0
		.amdhsa_exception_fp_ieee_inexact 0
		.amdhsa_exception_int_div_zero 0
	.end_amdhsa_kernel
	.section	.text._ZN7rocprim17ROCPRIM_400000_NS6detail17trampoline_kernelINS0_14default_configENS1_25partition_config_selectorILNS1_17partition_subalgoE9ExjbEEZZNS1_14partition_implILS5_9ELb0ES3_jN6thrust23THRUST_200600_302600_NS6detail15normal_iteratorINS9_10device_ptrIxEEEENSB_INSC_IjEEEEPNS0_10empty_typeENS0_5tupleIJSE_SH_EEENSJ_IJNS9_16discard_iteratorINS9_11use_defaultEEESI_EEENS0_18inequality_wrapperINS9_8equal_toIxEEEEPmJSH_EEE10hipError_tPvRmT3_T4_T5_T6_T7_T9_mT8_P12ihipStream_tbDpT10_ENKUlT_T0_E_clISt17integral_constantIbLb0EES1C_IbLb1EEEEDaS18_S19_EUlS18_E_NS1_11comp_targetILNS1_3genE9ELNS1_11target_archE1100ELNS1_3gpuE3ELNS1_3repE0EEENS1_30default_config_static_selectorELNS0_4arch9wavefront6targetE0EEEvT1_,"axG",@progbits,_ZN7rocprim17ROCPRIM_400000_NS6detail17trampoline_kernelINS0_14default_configENS1_25partition_config_selectorILNS1_17partition_subalgoE9ExjbEEZZNS1_14partition_implILS5_9ELb0ES3_jN6thrust23THRUST_200600_302600_NS6detail15normal_iteratorINS9_10device_ptrIxEEEENSB_INSC_IjEEEEPNS0_10empty_typeENS0_5tupleIJSE_SH_EEENSJ_IJNS9_16discard_iteratorINS9_11use_defaultEEESI_EEENS0_18inequality_wrapperINS9_8equal_toIxEEEEPmJSH_EEE10hipError_tPvRmT3_T4_T5_T6_T7_T9_mT8_P12ihipStream_tbDpT10_ENKUlT_T0_E_clISt17integral_constantIbLb0EES1C_IbLb1EEEEDaS18_S19_EUlS18_E_NS1_11comp_targetILNS1_3genE9ELNS1_11target_archE1100ELNS1_3gpuE3ELNS1_3repE0EEENS1_30default_config_static_selectorELNS0_4arch9wavefront6targetE0EEEvT1_,comdat
.Lfunc_end1043:
	.size	_ZN7rocprim17ROCPRIM_400000_NS6detail17trampoline_kernelINS0_14default_configENS1_25partition_config_selectorILNS1_17partition_subalgoE9ExjbEEZZNS1_14partition_implILS5_9ELb0ES3_jN6thrust23THRUST_200600_302600_NS6detail15normal_iteratorINS9_10device_ptrIxEEEENSB_INSC_IjEEEEPNS0_10empty_typeENS0_5tupleIJSE_SH_EEENSJ_IJNS9_16discard_iteratorINS9_11use_defaultEEESI_EEENS0_18inequality_wrapperINS9_8equal_toIxEEEEPmJSH_EEE10hipError_tPvRmT3_T4_T5_T6_T7_T9_mT8_P12ihipStream_tbDpT10_ENKUlT_T0_E_clISt17integral_constantIbLb0EES1C_IbLb1EEEEDaS18_S19_EUlS18_E_NS1_11comp_targetILNS1_3genE9ELNS1_11target_archE1100ELNS1_3gpuE3ELNS1_3repE0EEENS1_30default_config_static_selectorELNS0_4arch9wavefront6targetE0EEEvT1_, .Lfunc_end1043-_ZN7rocprim17ROCPRIM_400000_NS6detail17trampoline_kernelINS0_14default_configENS1_25partition_config_selectorILNS1_17partition_subalgoE9ExjbEEZZNS1_14partition_implILS5_9ELb0ES3_jN6thrust23THRUST_200600_302600_NS6detail15normal_iteratorINS9_10device_ptrIxEEEENSB_INSC_IjEEEEPNS0_10empty_typeENS0_5tupleIJSE_SH_EEENSJ_IJNS9_16discard_iteratorINS9_11use_defaultEEESI_EEENS0_18inequality_wrapperINS9_8equal_toIxEEEEPmJSH_EEE10hipError_tPvRmT3_T4_T5_T6_T7_T9_mT8_P12ihipStream_tbDpT10_ENKUlT_T0_E_clISt17integral_constantIbLb0EES1C_IbLb1EEEEDaS18_S19_EUlS18_E_NS1_11comp_targetILNS1_3genE9ELNS1_11target_archE1100ELNS1_3gpuE3ELNS1_3repE0EEENS1_30default_config_static_selectorELNS0_4arch9wavefront6targetE0EEEvT1_
                                        ; -- End function
	.section	.AMDGPU.csdata,"",@progbits
; Kernel info:
; codeLenInByte = 8592
; NumSgprs: 28
; NumVgprs: 62
; ScratchSize: 0
; MemoryBound: 0
; FloatMode: 240
; IeeeMode: 1
; LDSByteSize: 33800 bytes/workgroup (compile time only)
; SGPRBlocks: 3
; VGPRBlocks: 7
; NumSGPRsForWavesPerEU: 28
; NumVGPRsForWavesPerEU: 62
; Occupancy: 12
; WaveLimiterHint : 1
; COMPUTE_PGM_RSRC2:SCRATCH_EN: 0
; COMPUTE_PGM_RSRC2:USER_SGPR: 15
; COMPUTE_PGM_RSRC2:TRAP_HANDLER: 0
; COMPUTE_PGM_RSRC2:TGID_X_EN: 1
; COMPUTE_PGM_RSRC2:TGID_Y_EN: 0
; COMPUTE_PGM_RSRC2:TGID_Z_EN: 0
; COMPUTE_PGM_RSRC2:TIDIG_COMP_CNT: 0
	.section	.text._ZN7rocprim17ROCPRIM_400000_NS6detail17trampoline_kernelINS0_14default_configENS1_25partition_config_selectorILNS1_17partition_subalgoE9ExjbEEZZNS1_14partition_implILS5_9ELb0ES3_jN6thrust23THRUST_200600_302600_NS6detail15normal_iteratorINS9_10device_ptrIxEEEENSB_INSC_IjEEEEPNS0_10empty_typeENS0_5tupleIJSE_SH_EEENSJ_IJNS9_16discard_iteratorINS9_11use_defaultEEESI_EEENS0_18inequality_wrapperINS9_8equal_toIxEEEEPmJSH_EEE10hipError_tPvRmT3_T4_T5_T6_T7_T9_mT8_P12ihipStream_tbDpT10_ENKUlT_T0_E_clISt17integral_constantIbLb0EES1C_IbLb1EEEEDaS18_S19_EUlS18_E_NS1_11comp_targetILNS1_3genE8ELNS1_11target_archE1030ELNS1_3gpuE2ELNS1_3repE0EEENS1_30default_config_static_selectorELNS0_4arch9wavefront6targetE0EEEvT1_,"axG",@progbits,_ZN7rocprim17ROCPRIM_400000_NS6detail17trampoline_kernelINS0_14default_configENS1_25partition_config_selectorILNS1_17partition_subalgoE9ExjbEEZZNS1_14partition_implILS5_9ELb0ES3_jN6thrust23THRUST_200600_302600_NS6detail15normal_iteratorINS9_10device_ptrIxEEEENSB_INSC_IjEEEEPNS0_10empty_typeENS0_5tupleIJSE_SH_EEENSJ_IJNS9_16discard_iteratorINS9_11use_defaultEEESI_EEENS0_18inequality_wrapperINS9_8equal_toIxEEEEPmJSH_EEE10hipError_tPvRmT3_T4_T5_T6_T7_T9_mT8_P12ihipStream_tbDpT10_ENKUlT_T0_E_clISt17integral_constantIbLb0EES1C_IbLb1EEEEDaS18_S19_EUlS18_E_NS1_11comp_targetILNS1_3genE8ELNS1_11target_archE1030ELNS1_3gpuE2ELNS1_3repE0EEENS1_30default_config_static_selectorELNS0_4arch9wavefront6targetE0EEEvT1_,comdat
	.protected	_ZN7rocprim17ROCPRIM_400000_NS6detail17trampoline_kernelINS0_14default_configENS1_25partition_config_selectorILNS1_17partition_subalgoE9ExjbEEZZNS1_14partition_implILS5_9ELb0ES3_jN6thrust23THRUST_200600_302600_NS6detail15normal_iteratorINS9_10device_ptrIxEEEENSB_INSC_IjEEEEPNS0_10empty_typeENS0_5tupleIJSE_SH_EEENSJ_IJNS9_16discard_iteratorINS9_11use_defaultEEESI_EEENS0_18inequality_wrapperINS9_8equal_toIxEEEEPmJSH_EEE10hipError_tPvRmT3_T4_T5_T6_T7_T9_mT8_P12ihipStream_tbDpT10_ENKUlT_T0_E_clISt17integral_constantIbLb0EES1C_IbLb1EEEEDaS18_S19_EUlS18_E_NS1_11comp_targetILNS1_3genE8ELNS1_11target_archE1030ELNS1_3gpuE2ELNS1_3repE0EEENS1_30default_config_static_selectorELNS0_4arch9wavefront6targetE0EEEvT1_ ; -- Begin function _ZN7rocprim17ROCPRIM_400000_NS6detail17trampoline_kernelINS0_14default_configENS1_25partition_config_selectorILNS1_17partition_subalgoE9ExjbEEZZNS1_14partition_implILS5_9ELb0ES3_jN6thrust23THRUST_200600_302600_NS6detail15normal_iteratorINS9_10device_ptrIxEEEENSB_INSC_IjEEEEPNS0_10empty_typeENS0_5tupleIJSE_SH_EEENSJ_IJNS9_16discard_iteratorINS9_11use_defaultEEESI_EEENS0_18inequality_wrapperINS9_8equal_toIxEEEEPmJSH_EEE10hipError_tPvRmT3_T4_T5_T6_T7_T9_mT8_P12ihipStream_tbDpT10_ENKUlT_T0_E_clISt17integral_constantIbLb0EES1C_IbLb1EEEEDaS18_S19_EUlS18_E_NS1_11comp_targetILNS1_3genE8ELNS1_11target_archE1030ELNS1_3gpuE2ELNS1_3repE0EEENS1_30default_config_static_selectorELNS0_4arch9wavefront6targetE0EEEvT1_
	.globl	_ZN7rocprim17ROCPRIM_400000_NS6detail17trampoline_kernelINS0_14default_configENS1_25partition_config_selectorILNS1_17partition_subalgoE9ExjbEEZZNS1_14partition_implILS5_9ELb0ES3_jN6thrust23THRUST_200600_302600_NS6detail15normal_iteratorINS9_10device_ptrIxEEEENSB_INSC_IjEEEEPNS0_10empty_typeENS0_5tupleIJSE_SH_EEENSJ_IJNS9_16discard_iteratorINS9_11use_defaultEEESI_EEENS0_18inequality_wrapperINS9_8equal_toIxEEEEPmJSH_EEE10hipError_tPvRmT3_T4_T5_T6_T7_T9_mT8_P12ihipStream_tbDpT10_ENKUlT_T0_E_clISt17integral_constantIbLb0EES1C_IbLb1EEEEDaS18_S19_EUlS18_E_NS1_11comp_targetILNS1_3genE8ELNS1_11target_archE1030ELNS1_3gpuE2ELNS1_3repE0EEENS1_30default_config_static_selectorELNS0_4arch9wavefront6targetE0EEEvT1_
	.p2align	8
	.type	_ZN7rocprim17ROCPRIM_400000_NS6detail17trampoline_kernelINS0_14default_configENS1_25partition_config_selectorILNS1_17partition_subalgoE9ExjbEEZZNS1_14partition_implILS5_9ELb0ES3_jN6thrust23THRUST_200600_302600_NS6detail15normal_iteratorINS9_10device_ptrIxEEEENSB_INSC_IjEEEEPNS0_10empty_typeENS0_5tupleIJSE_SH_EEENSJ_IJNS9_16discard_iteratorINS9_11use_defaultEEESI_EEENS0_18inequality_wrapperINS9_8equal_toIxEEEEPmJSH_EEE10hipError_tPvRmT3_T4_T5_T6_T7_T9_mT8_P12ihipStream_tbDpT10_ENKUlT_T0_E_clISt17integral_constantIbLb0EES1C_IbLb1EEEEDaS18_S19_EUlS18_E_NS1_11comp_targetILNS1_3genE8ELNS1_11target_archE1030ELNS1_3gpuE2ELNS1_3repE0EEENS1_30default_config_static_selectorELNS0_4arch9wavefront6targetE0EEEvT1_,@function
_ZN7rocprim17ROCPRIM_400000_NS6detail17trampoline_kernelINS0_14default_configENS1_25partition_config_selectorILNS1_17partition_subalgoE9ExjbEEZZNS1_14partition_implILS5_9ELb0ES3_jN6thrust23THRUST_200600_302600_NS6detail15normal_iteratorINS9_10device_ptrIxEEEENSB_INSC_IjEEEEPNS0_10empty_typeENS0_5tupleIJSE_SH_EEENSJ_IJNS9_16discard_iteratorINS9_11use_defaultEEESI_EEENS0_18inequality_wrapperINS9_8equal_toIxEEEEPmJSH_EEE10hipError_tPvRmT3_T4_T5_T6_T7_T9_mT8_P12ihipStream_tbDpT10_ENKUlT_T0_E_clISt17integral_constantIbLb0EES1C_IbLb1EEEEDaS18_S19_EUlS18_E_NS1_11comp_targetILNS1_3genE8ELNS1_11target_archE1030ELNS1_3gpuE2ELNS1_3repE0EEENS1_30default_config_static_selectorELNS0_4arch9wavefront6targetE0EEEvT1_: ; @_ZN7rocprim17ROCPRIM_400000_NS6detail17trampoline_kernelINS0_14default_configENS1_25partition_config_selectorILNS1_17partition_subalgoE9ExjbEEZZNS1_14partition_implILS5_9ELb0ES3_jN6thrust23THRUST_200600_302600_NS6detail15normal_iteratorINS9_10device_ptrIxEEEENSB_INSC_IjEEEEPNS0_10empty_typeENS0_5tupleIJSE_SH_EEENSJ_IJNS9_16discard_iteratorINS9_11use_defaultEEESI_EEENS0_18inequality_wrapperINS9_8equal_toIxEEEEPmJSH_EEE10hipError_tPvRmT3_T4_T5_T6_T7_T9_mT8_P12ihipStream_tbDpT10_ENKUlT_T0_E_clISt17integral_constantIbLb0EES1C_IbLb1EEEEDaS18_S19_EUlS18_E_NS1_11comp_targetILNS1_3genE8ELNS1_11target_archE1030ELNS1_3gpuE2ELNS1_3repE0EEENS1_30default_config_static_selectorELNS0_4arch9wavefront6targetE0EEEvT1_
; %bb.0:
	.section	.rodata,"a",@progbits
	.p2align	6, 0x0
	.amdhsa_kernel _ZN7rocprim17ROCPRIM_400000_NS6detail17trampoline_kernelINS0_14default_configENS1_25partition_config_selectorILNS1_17partition_subalgoE9ExjbEEZZNS1_14partition_implILS5_9ELb0ES3_jN6thrust23THRUST_200600_302600_NS6detail15normal_iteratorINS9_10device_ptrIxEEEENSB_INSC_IjEEEEPNS0_10empty_typeENS0_5tupleIJSE_SH_EEENSJ_IJNS9_16discard_iteratorINS9_11use_defaultEEESI_EEENS0_18inequality_wrapperINS9_8equal_toIxEEEEPmJSH_EEE10hipError_tPvRmT3_T4_T5_T6_T7_T9_mT8_P12ihipStream_tbDpT10_ENKUlT_T0_E_clISt17integral_constantIbLb0EES1C_IbLb1EEEEDaS18_S19_EUlS18_E_NS1_11comp_targetILNS1_3genE8ELNS1_11target_archE1030ELNS1_3gpuE2ELNS1_3repE0EEENS1_30default_config_static_selectorELNS0_4arch9wavefront6targetE0EEEvT1_
		.amdhsa_group_segment_fixed_size 0
		.amdhsa_private_segment_fixed_size 0
		.amdhsa_kernarg_size 136
		.amdhsa_user_sgpr_count 15
		.amdhsa_user_sgpr_dispatch_ptr 0
		.amdhsa_user_sgpr_queue_ptr 0
		.amdhsa_user_sgpr_kernarg_segment_ptr 1
		.amdhsa_user_sgpr_dispatch_id 0
		.amdhsa_user_sgpr_private_segment_size 0
		.amdhsa_wavefront_size32 1
		.amdhsa_uses_dynamic_stack 0
		.amdhsa_enable_private_segment 0
		.amdhsa_system_sgpr_workgroup_id_x 1
		.amdhsa_system_sgpr_workgroup_id_y 0
		.amdhsa_system_sgpr_workgroup_id_z 0
		.amdhsa_system_sgpr_workgroup_info 0
		.amdhsa_system_vgpr_workitem_id 0
		.amdhsa_next_free_vgpr 1
		.amdhsa_next_free_sgpr 1
		.amdhsa_reserve_vcc 0
		.amdhsa_float_round_mode_32 0
		.amdhsa_float_round_mode_16_64 0
		.amdhsa_float_denorm_mode_32 3
		.amdhsa_float_denorm_mode_16_64 3
		.amdhsa_dx10_clamp 1
		.amdhsa_ieee_mode 1
		.amdhsa_fp16_overflow 0
		.amdhsa_workgroup_processor_mode 1
		.amdhsa_memory_ordered 1
		.amdhsa_forward_progress 0
		.amdhsa_shared_vgpr_count 0
		.amdhsa_exception_fp_ieee_invalid_op 0
		.amdhsa_exception_fp_denorm_src 0
		.amdhsa_exception_fp_ieee_div_zero 0
		.amdhsa_exception_fp_ieee_overflow 0
		.amdhsa_exception_fp_ieee_underflow 0
		.amdhsa_exception_fp_ieee_inexact 0
		.amdhsa_exception_int_div_zero 0
	.end_amdhsa_kernel
	.section	.text._ZN7rocprim17ROCPRIM_400000_NS6detail17trampoline_kernelINS0_14default_configENS1_25partition_config_selectorILNS1_17partition_subalgoE9ExjbEEZZNS1_14partition_implILS5_9ELb0ES3_jN6thrust23THRUST_200600_302600_NS6detail15normal_iteratorINS9_10device_ptrIxEEEENSB_INSC_IjEEEEPNS0_10empty_typeENS0_5tupleIJSE_SH_EEENSJ_IJNS9_16discard_iteratorINS9_11use_defaultEEESI_EEENS0_18inequality_wrapperINS9_8equal_toIxEEEEPmJSH_EEE10hipError_tPvRmT3_T4_T5_T6_T7_T9_mT8_P12ihipStream_tbDpT10_ENKUlT_T0_E_clISt17integral_constantIbLb0EES1C_IbLb1EEEEDaS18_S19_EUlS18_E_NS1_11comp_targetILNS1_3genE8ELNS1_11target_archE1030ELNS1_3gpuE2ELNS1_3repE0EEENS1_30default_config_static_selectorELNS0_4arch9wavefront6targetE0EEEvT1_,"axG",@progbits,_ZN7rocprim17ROCPRIM_400000_NS6detail17trampoline_kernelINS0_14default_configENS1_25partition_config_selectorILNS1_17partition_subalgoE9ExjbEEZZNS1_14partition_implILS5_9ELb0ES3_jN6thrust23THRUST_200600_302600_NS6detail15normal_iteratorINS9_10device_ptrIxEEEENSB_INSC_IjEEEEPNS0_10empty_typeENS0_5tupleIJSE_SH_EEENSJ_IJNS9_16discard_iteratorINS9_11use_defaultEEESI_EEENS0_18inequality_wrapperINS9_8equal_toIxEEEEPmJSH_EEE10hipError_tPvRmT3_T4_T5_T6_T7_T9_mT8_P12ihipStream_tbDpT10_ENKUlT_T0_E_clISt17integral_constantIbLb0EES1C_IbLb1EEEEDaS18_S19_EUlS18_E_NS1_11comp_targetILNS1_3genE8ELNS1_11target_archE1030ELNS1_3gpuE2ELNS1_3repE0EEENS1_30default_config_static_selectorELNS0_4arch9wavefront6targetE0EEEvT1_,comdat
.Lfunc_end1044:
	.size	_ZN7rocprim17ROCPRIM_400000_NS6detail17trampoline_kernelINS0_14default_configENS1_25partition_config_selectorILNS1_17partition_subalgoE9ExjbEEZZNS1_14partition_implILS5_9ELb0ES3_jN6thrust23THRUST_200600_302600_NS6detail15normal_iteratorINS9_10device_ptrIxEEEENSB_INSC_IjEEEEPNS0_10empty_typeENS0_5tupleIJSE_SH_EEENSJ_IJNS9_16discard_iteratorINS9_11use_defaultEEESI_EEENS0_18inequality_wrapperINS9_8equal_toIxEEEEPmJSH_EEE10hipError_tPvRmT3_T4_T5_T6_T7_T9_mT8_P12ihipStream_tbDpT10_ENKUlT_T0_E_clISt17integral_constantIbLb0EES1C_IbLb1EEEEDaS18_S19_EUlS18_E_NS1_11comp_targetILNS1_3genE8ELNS1_11target_archE1030ELNS1_3gpuE2ELNS1_3repE0EEENS1_30default_config_static_selectorELNS0_4arch9wavefront6targetE0EEEvT1_, .Lfunc_end1044-_ZN7rocprim17ROCPRIM_400000_NS6detail17trampoline_kernelINS0_14default_configENS1_25partition_config_selectorILNS1_17partition_subalgoE9ExjbEEZZNS1_14partition_implILS5_9ELb0ES3_jN6thrust23THRUST_200600_302600_NS6detail15normal_iteratorINS9_10device_ptrIxEEEENSB_INSC_IjEEEEPNS0_10empty_typeENS0_5tupleIJSE_SH_EEENSJ_IJNS9_16discard_iteratorINS9_11use_defaultEEESI_EEENS0_18inequality_wrapperINS9_8equal_toIxEEEEPmJSH_EEE10hipError_tPvRmT3_T4_T5_T6_T7_T9_mT8_P12ihipStream_tbDpT10_ENKUlT_T0_E_clISt17integral_constantIbLb0EES1C_IbLb1EEEEDaS18_S19_EUlS18_E_NS1_11comp_targetILNS1_3genE8ELNS1_11target_archE1030ELNS1_3gpuE2ELNS1_3repE0EEENS1_30default_config_static_selectorELNS0_4arch9wavefront6targetE0EEEvT1_
                                        ; -- End function
	.section	.AMDGPU.csdata,"",@progbits
; Kernel info:
; codeLenInByte = 0
; NumSgprs: 0
; NumVgprs: 0
; ScratchSize: 0
; MemoryBound: 0
; FloatMode: 240
; IeeeMode: 1
; LDSByteSize: 0 bytes/workgroup (compile time only)
; SGPRBlocks: 0
; VGPRBlocks: 0
; NumSGPRsForWavesPerEU: 1
; NumVGPRsForWavesPerEU: 1
; Occupancy: 16
; WaveLimiterHint : 0
; COMPUTE_PGM_RSRC2:SCRATCH_EN: 0
; COMPUTE_PGM_RSRC2:USER_SGPR: 15
; COMPUTE_PGM_RSRC2:TRAP_HANDLER: 0
; COMPUTE_PGM_RSRC2:TGID_X_EN: 1
; COMPUTE_PGM_RSRC2:TGID_Y_EN: 0
; COMPUTE_PGM_RSRC2:TGID_Z_EN: 0
; COMPUTE_PGM_RSRC2:TIDIG_COMP_CNT: 0
	.section	.text._ZN7rocprim17ROCPRIM_400000_NS6detail17trampoline_kernelINS0_14default_configENS1_25partition_config_selectorILNS1_17partition_subalgoE9ExjbEEZZNS1_14partition_implILS5_9ELb0ES3_jN6thrust23THRUST_200600_302600_NS6detail15normal_iteratorINS9_10device_ptrIxEEEENSB_INSC_IjEEEEPNS0_10empty_typeENS0_5tupleIJNS9_16discard_iteratorINS9_11use_defaultEEESH_EEENSJ_IJSG_SI_EEENS0_18inequality_wrapperINS9_8equal_toIxEEEEPmJSH_EEE10hipError_tPvRmT3_T4_T5_T6_T7_T9_mT8_P12ihipStream_tbDpT10_ENKUlT_T0_E_clISt17integral_constantIbLb0EES1D_EEDaS18_S19_EUlS18_E_NS1_11comp_targetILNS1_3genE0ELNS1_11target_archE4294967295ELNS1_3gpuE0ELNS1_3repE0EEENS1_30default_config_static_selectorELNS0_4arch9wavefront6targetE0EEEvT1_,"axG",@progbits,_ZN7rocprim17ROCPRIM_400000_NS6detail17trampoline_kernelINS0_14default_configENS1_25partition_config_selectorILNS1_17partition_subalgoE9ExjbEEZZNS1_14partition_implILS5_9ELb0ES3_jN6thrust23THRUST_200600_302600_NS6detail15normal_iteratorINS9_10device_ptrIxEEEENSB_INSC_IjEEEEPNS0_10empty_typeENS0_5tupleIJNS9_16discard_iteratorINS9_11use_defaultEEESH_EEENSJ_IJSG_SI_EEENS0_18inequality_wrapperINS9_8equal_toIxEEEEPmJSH_EEE10hipError_tPvRmT3_T4_T5_T6_T7_T9_mT8_P12ihipStream_tbDpT10_ENKUlT_T0_E_clISt17integral_constantIbLb0EES1D_EEDaS18_S19_EUlS18_E_NS1_11comp_targetILNS1_3genE0ELNS1_11target_archE4294967295ELNS1_3gpuE0ELNS1_3repE0EEENS1_30default_config_static_selectorELNS0_4arch9wavefront6targetE0EEEvT1_,comdat
	.protected	_ZN7rocprim17ROCPRIM_400000_NS6detail17trampoline_kernelINS0_14default_configENS1_25partition_config_selectorILNS1_17partition_subalgoE9ExjbEEZZNS1_14partition_implILS5_9ELb0ES3_jN6thrust23THRUST_200600_302600_NS6detail15normal_iteratorINS9_10device_ptrIxEEEENSB_INSC_IjEEEEPNS0_10empty_typeENS0_5tupleIJNS9_16discard_iteratorINS9_11use_defaultEEESH_EEENSJ_IJSG_SI_EEENS0_18inequality_wrapperINS9_8equal_toIxEEEEPmJSH_EEE10hipError_tPvRmT3_T4_T5_T6_T7_T9_mT8_P12ihipStream_tbDpT10_ENKUlT_T0_E_clISt17integral_constantIbLb0EES1D_EEDaS18_S19_EUlS18_E_NS1_11comp_targetILNS1_3genE0ELNS1_11target_archE4294967295ELNS1_3gpuE0ELNS1_3repE0EEENS1_30default_config_static_selectorELNS0_4arch9wavefront6targetE0EEEvT1_ ; -- Begin function _ZN7rocprim17ROCPRIM_400000_NS6detail17trampoline_kernelINS0_14default_configENS1_25partition_config_selectorILNS1_17partition_subalgoE9ExjbEEZZNS1_14partition_implILS5_9ELb0ES3_jN6thrust23THRUST_200600_302600_NS6detail15normal_iteratorINS9_10device_ptrIxEEEENSB_INSC_IjEEEEPNS0_10empty_typeENS0_5tupleIJNS9_16discard_iteratorINS9_11use_defaultEEESH_EEENSJ_IJSG_SI_EEENS0_18inequality_wrapperINS9_8equal_toIxEEEEPmJSH_EEE10hipError_tPvRmT3_T4_T5_T6_T7_T9_mT8_P12ihipStream_tbDpT10_ENKUlT_T0_E_clISt17integral_constantIbLb0EES1D_EEDaS18_S19_EUlS18_E_NS1_11comp_targetILNS1_3genE0ELNS1_11target_archE4294967295ELNS1_3gpuE0ELNS1_3repE0EEENS1_30default_config_static_selectorELNS0_4arch9wavefront6targetE0EEEvT1_
	.globl	_ZN7rocprim17ROCPRIM_400000_NS6detail17trampoline_kernelINS0_14default_configENS1_25partition_config_selectorILNS1_17partition_subalgoE9ExjbEEZZNS1_14partition_implILS5_9ELb0ES3_jN6thrust23THRUST_200600_302600_NS6detail15normal_iteratorINS9_10device_ptrIxEEEENSB_INSC_IjEEEEPNS0_10empty_typeENS0_5tupleIJNS9_16discard_iteratorINS9_11use_defaultEEESH_EEENSJ_IJSG_SI_EEENS0_18inequality_wrapperINS9_8equal_toIxEEEEPmJSH_EEE10hipError_tPvRmT3_T4_T5_T6_T7_T9_mT8_P12ihipStream_tbDpT10_ENKUlT_T0_E_clISt17integral_constantIbLb0EES1D_EEDaS18_S19_EUlS18_E_NS1_11comp_targetILNS1_3genE0ELNS1_11target_archE4294967295ELNS1_3gpuE0ELNS1_3repE0EEENS1_30default_config_static_selectorELNS0_4arch9wavefront6targetE0EEEvT1_
	.p2align	8
	.type	_ZN7rocprim17ROCPRIM_400000_NS6detail17trampoline_kernelINS0_14default_configENS1_25partition_config_selectorILNS1_17partition_subalgoE9ExjbEEZZNS1_14partition_implILS5_9ELb0ES3_jN6thrust23THRUST_200600_302600_NS6detail15normal_iteratorINS9_10device_ptrIxEEEENSB_INSC_IjEEEEPNS0_10empty_typeENS0_5tupleIJNS9_16discard_iteratorINS9_11use_defaultEEESH_EEENSJ_IJSG_SI_EEENS0_18inequality_wrapperINS9_8equal_toIxEEEEPmJSH_EEE10hipError_tPvRmT3_T4_T5_T6_T7_T9_mT8_P12ihipStream_tbDpT10_ENKUlT_T0_E_clISt17integral_constantIbLb0EES1D_EEDaS18_S19_EUlS18_E_NS1_11comp_targetILNS1_3genE0ELNS1_11target_archE4294967295ELNS1_3gpuE0ELNS1_3repE0EEENS1_30default_config_static_selectorELNS0_4arch9wavefront6targetE0EEEvT1_,@function
_ZN7rocprim17ROCPRIM_400000_NS6detail17trampoline_kernelINS0_14default_configENS1_25partition_config_selectorILNS1_17partition_subalgoE9ExjbEEZZNS1_14partition_implILS5_9ELb0ES3_jN6thrust23THRUST_200600_302600_NS6detail15normal_iteratorINS9_10device_ptrIxEEEENSB_INSC_IjEEEEPNS0_10empty_typeENS0_5tupleIJNS9_16discard_iteratorINS9_11use_defaultEEESH_EEENSJ_IJSG_SI_EEENS0_18inequality_wrapperINS9_8equal_toIxEEEEPmJSH_EEE10hipError_tPvRmT3_T4_T5_T6_T7_T9_mT8_P12ihipStream_tbDpT10_ENKUlT_T0_E_clISt17integral_constantIbLb0EES1D_EEDaS18_S19_EUlS18_E_NS1_11comp_targetILNS1_3genE0ELNS1_11target_archE4294967295ELNS1_3gpuE0ELNS1_3repE0EEENS1_30default_config_static_selectorELNS0_4arch9wavefront6targetE0EEEvT1_: ; @_ZN7rocprim17ROCPRIM_400000_NS6detail17trampoline_kernelINS0_14default_configENS1_25partition_config_selectorILNS1_17partition_subalgoE9ExjbEEZZNS1_14partition_implILS5_9ELb0ES3_jN6thrust23THRUST_200600_302600_NS6detail15normal_iteratorINS9_10device_ptrIxEEEENSB_INSC_IjEEEEPNS0_10empty_typeENS0_5tupleIJNS9_16discard_iteratorINS9_11use_defaultEEESH_EEENSJ_IJSG_SI_EEENS0_18inequality_wrapperINS9_8equal_toIxEEEEPmJSH_EEE10hipError_tPvRmT3_T4_T5_T6_T7_T9_mT8_P12ihipStream_tbDpT10_ENKUlT_T0_E_clISt17integral_constantIbLb0EES1D_EEDaS18_S19_EUlS18_E_NS1_11comp_targetILNS1_3genE0ELNS1_11target_archE4294967295ELNS1_3gpuE0ELNS1_3repE0EEENS1_30default_config_static_selectorELNS0_4arch9wavefront6targetE0EEEvT1_
; %bb.0:
	.section	.rodata,"a",@progbits
	.p2align	6, 0x0
	.amdhsa_kernel _ZN7rocprim17ROCPRIM_400000_NS6detail17trampoline_kernelINS0_14default_configENS1_25partition_config_selectorILNS1_17partition_subalgoE9ExjbEEZZNS1_14partition_implILS5_9ELb0ES3_jN6thrust23THRUST_200600_302600_NS6detail15normal_iteratorINS9_10device_ptrIxEEEENSB_INSC_IjEEEEPNS0_10empty_typeENS0_5tupleIJNS9_16discard_iteratorINS9_11use_defaultEEESH_EEENSJ_IJSG_SI_EEENS0_18inequality_wrapperINS9_8equal_toIxEEEEPmJSH_EEE10hipError_tPvRmT3_T4_T5_T6_T7_T9_mT8_P12ihipStream_tbDpT10_ENKUlT_T0_E_clISt17integral_constantIbLb0EES1D_EEDaS18_S19_EUlS18_E_NS1_11comp_targetILNS1_3genE0ELNS1_11target_archE4294967295ELNS1_3gpuE0ELNS1_3repE0EEENS1_30default_config_static_selectorELNS0_4arch9wavefront6targetE0EEEvT1_
		.amdhsa_group_segment_fixed_size 0
		.amdhsa_private_segment_fixed_size 0
		.amdhsa_kernarg_size 120
		.amdhsa_user_sgpr_count 15
		.amdhsa_user_sgpr_dispatch_ptr 0
		.amdhsa_user_sgpr_queue_ptr 0
		.amdhsa_user_sgpr_kernarg_segment_ptr 1
		.amdhsa_user_sgpr_dispatch_id 0
		.amdhsa_user_sgpr_private_segment_size 0
		.amdhsa_wavefront_size32 1
		.amdhsa_uses_dynamic_stack 0
		.amdhsa_enable_private_segment 0
		.amdhsa_system_sgpr_workgroup_id_x 1
		.amdhsa_system_sgpr_workgroup_id_y 0
		.amdhsa_system_sgpr_workgroup_id_z 0
		.amdhsa_system_sgpr_workgroup_info 0
		.amdhsa_system_vgpr_workitem_id 0
		.amdhsa_next_free_vgpr 1
		.amdhsa_next_free_sgpr 1
		.amdhsa_reserve_vcc 0
		.amdhsa_float_round_mode_32 0
		.amdhsa_float_round_mode_16_64 0
		.amdhsa_float_denorm_mode_32 3
		.amdhsa_float_denorm_mode_16_64 3
		.amdhsa_dx10_clamp 1
		.amdhsa_ieee_mode 1
		.amdhsa_fp16_overflow 0
		.amdhsa_workgroup_processor_mode 1
		.amdhsa_memory_ordered 1
		.amdhsa_forward_progress 0
		.amdhsa_shared_vgpr_count 0
		.amdhsa_exception_fp_ieee_invalid_op 0
		.amdhsa_exception_fp_denorm_src 0
		.amdhsa_exception_fp_ieee_div_zero 0
		.amdhsa_exception_fp_ieee_overflow 0
		.amdhsa_exception_fp_ieee_underflow 0
		.amdhsa_exception_fp_ieee_inexact 0
		.amdhsa_exception_int_div_zero 0
	.end_amdhsa_kernel
	.section	.text._ZN7rocprim17ROCPRIM_400000_NS6detail17trampoline_kernelINS0_14default_configENS1_25partition_config_selectorILNS1_17partition_subalgoE9ExjbEEZZNS1_14partition_implILS5_9ELb0ES3_jN6thrust23THRUST_200600_302600_NS6detail15normal_iteratorINS9_10device_ptrIxEEEENSB_INSC_IjEEEEPNS0_10empty_typeENS0_5tupleIJNS9_16discard_iteratorINS9_11use_defaultEEESH_EEENSJ_IJSG_SI_EEENS0_18inequality_wrapperINS9_8equal_toIxEEEEPmJSH_EEE10hipError_tPvRmT3_T4_T5_T6_T7_T9_mT8_P12ihipStream_tbDpT10_ENKUlT_T0_E_clISt17integral_constantIbLb0EES1D_EEDaS18_S19_EUlS18_E_NS1_11comp_targetILNS1_3genE0ELNS1_11target_archE4294967295ELNS1_3gpuE0ELNS1_3repE0EEENS1_30default_config_static_selectorELNS0_4arch9wavefront6targetE0EEEvT1_,"axG",@progbits,_ZN7rocprim17ROCPRIM_400000_NS6detail17trampoline_kernelINS0_14default_configENS1_25partition_config_selectorILNS1_17partition_subalgoE9ExjbEEZZNS1_14partition_implILS5_9ELb0ES3_jN6thrust23THRUST_200600_302600_NS6detail15normal_iteratorINS9_10device_ptrIxEEEENSB_INSC_IjEEEEPNS0_10empty_typeENS0_5tupleIJNS9_16discard_iteratorINS9_11use_defaultEEESH_EEENSJ_IJSG_SI_EEENS0_18inequality_wrapperINS9_8equal_toIxEEEEPmJSH_EEE10hipError_tPvRmT3_T4_T5_T6_T7_T9_mT8_P12ihipStream_tbDpT10_ENKUlT_T0_E_clISt17integral_constantIbLb0EES1D_EEDaS18_S19_EUlS18_E_NS1_11comp_targetILNS1_3genE0ELNS1_11target_archE4294967295ELNS1_3gpuE0ELNS1_3repE0EEENS1_30default_config_static_selectorELNS0_4arch9wavefront6targetE0EEEvT1_,comdat
.Lfunc_end1045:
	.size	_ZN7rocprim17ROCPRIM_400000_NS6detail17trampoline_kernelINS0_14default_configENS1_25partition_config_selectorILNS1_17partition_subalgoE9ExjbEEZZNS1_14partition_implILS5_9ELb0ES3_jN6thrust23THRUST_200600_302600_NS6detail15normal_iteratorINS9_10device_ptrIxEEEENSB_INSC_IjEEEEPNS0_10empty_typeENS0_5tupleIJNS9_16discard_iteratorINS9_11use_defaultEEESH_EEENSJ_IJSG_SI_EEENS0_18inequality_wrapperINS9_8equal_toIxEEEEPmJSH_EEE10hipError_tPvRmT3_T4_T5_T6_T7_T9_mT8_P12ihipStream_tbDpT10_ENKUlT_T0_E_clISt17integral_constantIbLb0EES1D_EEDaS18_S19_EUlS18_E_NS1_11comp_targetILNS1_3genE0ELNS1_11target_archE4294967295ELNS1_3gpuE0ELNS1_3repE0EEENS1_30default_config_static_selectorELNS0_4arch9wavefront6targetE0EEEvT1_, .Lfunc_end1045-_ZN7rocprim17ROCPRIM_400000_NS6detail17trampoline_kernelINS0_14default_configENS1_25partition_config_selectorILNS1_17partition_subalgoE9ExjbEEZZNS1_14partition_implILS5_9ELb0ES3_jN6thrust23THRUST_200600_302600_NS6detail15normal_iteratorINS9_10device_ptrIxEEEENSB_INSC_IjEEEEPNS0_10empty_typeENS0_5tupleIJNS9_16discard_iteratorINS9_11use_defaultEEESH_EEENSJ_IJSG_SI_EEENS0_18inequality_wrapperINS9_8equal_toIxEEEEPmJSH_EEE10hipError_tPvRmT3_T4_T5_T6_T7_T9_mT8_P12ihipStream_tbDpT10_ENKUlT_T0_E_clISt17integral_constantIbLb0EES1D_EEDaS18_S19_EUlS18_E_NS1_11comp_targetILNS1_3genE0ELNS1_11target_archE4294967295ELNS1_3gpuE0ELNS1_3repE0EEENS1_30default_config_static_selectorELNS0_4arch9wavefront6targetE0EEEvT1_
                                        ; -- End function
	.section	.AMDGPU.csdata,"",@progbits
; Kernel info:
; codeLenInByte = 0
; NumSgprs: 0
; NumVgprs: 0
; ScratchSize: 0
; MemoryBound: 0
; FloatMode: 240
; IeeeMode: 1
; LDSByteSize: 0 bytes/workgroup (compile time only)
; SGPRBlocks: 0
; VGPRBlocks: 0
; NumSGPRsForWavesPerEU: 1
; NumVGPRsForWavesPerEU: 1
; Occupancy: 16
; WaveLimiterHint : 0
; COMPUTE_PGM_RSRC2:SCRATCH_EN: 0
; COMPUTE_PGM_RSRC2:USER_SGPR: 15
; COMPUTE_PGM_RSRC2:TRAP_HANDLER: 0
; COMPUTE_PGM_RSRC2:TGID_X_EN: 1
; COMPUTE_PGM_RSRC2:TGID_Y_EN: 0
; COMPUTE_PGM_RSRC2:TGID_Z_EN: 0
; COMPUTE_PGM_RSRC2:TIDIG_COMP_CNT: 0
	.section	.text._ZN7rocprim17ROCPRIM_400000_NS6detail17trampoline_kernelINS0_14default_configENS1_25partition_config_selectorILNS1_17partition_subalgoE9ExjbEEZZNS1_14partition_implILS5_9ELb0ES3_jN6thrust23THRUST_200600_302600_NS6detail15normal_iteratorINS9_10device_ptrIxEEEENSB_INSC_IjEEEEPNS0_10empty_typeENS0_5tupleIJNS9_16discard_iteratorINS9_11use_defaultEEESH_EEENSJ_IJSG_SI_EEENS0_18inequality_wrapperINS9_8equal_toIxEEEEPmJSH_EEE10hipError_tPvRmT3_T4_T5_T6_T7_T9_mT8_P12ihipStream_tbDpT10_ENKUlT_T0_E_clISt17integral_constantIbLb0EES1D_EEDaS18_S19_EUlS18_E_NS1_11comp_targetILNS1_3genE5ELNS1_11target_archE942ELNS1_3gpuE9ELNS1_3repE0EEENS1_30default_config_static_selectorELNS0_4arch9wavefront6targetE0EEEvT1_,"axG",@progbits,_ZN7rocprim17ROCPRIM_400000_NS6detail17trampoline_kernelINS0_14default_configENS1_25partition_config_selectorILNS1_17partition_subalgoE9ExjbEEZZNS1_14partition_implILS5_9ELb0ES3_jN6thrust23THRUST_200600_302600_NS6detail15normal_iteratorINS9_10device_ptrIxEEEENSB_INSC_IjEEEEPNS0_10empty_typeENS0_5tupleIJNS9_16discard_iteratorINS9_11use_defaultEEESH_EEENSJ_IJSG_SI_EEENS0_18inequality_wrapperINS9_8equal_toIxEEEEPmJSH_EEE10hipError_tPvRmT3_T4_T5_T6_T7_T9_mT8_P12ihipStream_tbDpT10_ENKUlT_T0_E_clISt17integral_constantIbLb0EES1D_EEDaS18_S19_EUlS18_E_NS1_11comp_targetILNS1_3genE5ELNS1_11target_archE942ELNS1_3gpuE9ELNS1_3repE0EEENS1_30default_config_static_selectorELNS0_4arch9wavefront6targetE0EEEvT1_,comdat
	.protected	_ZN7rocprim17ROCPRIM_400000_NS6detail17trampoline_kernelINS0_14default_configENS1_25partition_config_selectorILNS1_17partition_subalgoE9ExjbEEZZNS1_14partition_implILS5_9ELb0ES3_jN6thrust23THRUST_200600_302600_NS6detail15normal_iteratorINS9_10device_ptrIxEEEENSB_INSC_IjEEEEPNS0_10empty_typeENS0_5tupleIJNS9_16discard_iteratorINS9_11use_defaultEEESH_EEENSJ_IJSG_SI_EEENS0_18inequality_wrapperINS9_8equal_toIxEEEEPmJSH_EEE10hipError_tPvRmT3_T4_T5_T6_T7_T9_mT8_P12ihipStream_tbDpT10_ENKUlT_T0_E_clISt17integral_constantIbLb0EES1D_EEDaS18_S19_EUlS18_E_NS1_11comp_targetILNS1_3genE5ELNS1_11target_archE942ELNS1_3gpuE9ELNS1_3repE0EEENS1_30default_config_static_selectorELNS0_4arch9wavefront6targetE0EEEvT1_ ; -- Begin function _ZN7rocprim17ROCPRIM_400000_NS6detail17trampoline_kernelINS0_14default_configENS1_25partition_config_selectorILNS1_17partition_subalgoE9ExjbEEZZNS1_14partition_implILS5_9ELb0ES3_jN6thrust23THRUST_200600_302600_NS6detail15normal_iteratorINS9_10device_ptrIxEEEENSB_INSC_IjEEEEPNS0_10empty_typeENS0_5tupleIJNS9_16discard_iteratorINS9_11use_defaultEEESH_EEENSJ_IJSG_SI_EEENS0_18inequality_wrapperINS9_8equal_toIxEEEEPmJSH_EEE10hipError_tPvRmT3_T4_T5_T6_T7_T9_mT8_P12ihipStream_tbDpT10_ENKUlT_T0_E_clISt17integral_constantIbLb0EES1D_EEDaS18_S19_EUlS18_E_NS1_11comp_targetILNS1_3genE5ELNS1_11target_archE942ELNS1_3gpuE9ELNS1_3repE0EEENS1_30default_config_static_selectorELNS0_4arch9wavefront6targetE0EEEvT1_
	.globl	_ZN7rocprim17ROCPRIM_400000_NS6detail17trampoline_kernelINS0_14default_configENS1_25partition_config_selectorILNS1_17partition_subalgoE9ExjbEEZZNS1_14partition_implILS5_9ELb0ES3_jN6thrust23THRUST_200600_302600_NS6detail15normal_iteratorINS9_10device_ptrIxEEEENSB_INSC_IjEEEEPNS0_10empty_typeENS0_5tupleIJNS9_16discard_iteratorINS9_11use_defaultEEESH_EEENSJ_IJSG_SI_EEENS0_18inequality_wrapperINS9_8equal_toIxEEEEPmJSH_EEE10hipError_tPvRmT3_T4_T5_T6_T7_T9_mT8_P12ihipStream_tbDpT10_ENKUlT_T0_E_clISt17integral_constantIbLb0EES1D_EEDaS18_S19_EUlS18_E_NS1_11comp_targetILNS1_3genE5ELNS1_11target_archE942ELNS1_3gpuE9ELNS1_3repE0EEENS1_30default_config_static_selectorELNS0_4arch9wavefront6targetE0EEEvT1_
	.p2align	8
	.type	_ZN7rocprim17ROCPRIM_400000_NS6detail17trampoline_kernelINS0_14default_configENS1_25partition_config_selectorILNS1_17partition_subalgoE9ExjbEEZZNS1_14partition_implILS5_9ELb0ES3_jN6thrust23THRUST_200600_302600_NS6detail15normal_iteratorINS9_10device_ptrIxEEEENSB_INSC_IjEEEEPNS0_10empty_typeENS0_5tupleIJNS9_16discard_iteratorINS9_11use_defaultEEESH_EEENSJ_IJSG_SI_EEENS0_18inequality_wrapperINS9_8equal_toIxEEEEPmJSH_EEE10hipError_tPvRmT3_T4_T5_T6_T7_T9_mT8_P12ihipStream_tbDpT10_ENKUlT_T0_E_clISt17integral_constantIbLb0EES1D_EEDaS18_S19_EUlS18_E_NS1_11comp_targetILNS1_3genE5ELNS1_11target_archE942ELNS1_3gpuE9ELNS1_3repE0EEENS1_30default_config_static_selectorELNS0_4arch9wavefront6targetE0EEEvT1_,@function
_ZN7rocprim17ROCPRIM_400000_NS6detail17trampoline_kernelINS0_14default_configENS1_25partition_config_selectorILNS1_17partition_subalgoE9ExjbEEZZNS1_14partition_implILS5_9ELb0ES3_jN6thrust23THRUST_200600_302600_NS6detail15normal_iteratorINS9_10device_ptrIxEEEENSB_INSC_IjEEEEPNS0_10empty_typeENS0_5tupleIJNS9_16discard_iteratorINS9_11use_defaultEEESH_EEENSJ_IJSG_SI_EEENS0_18inequality_wrapperINS9_8equal_toIxEEEEPmJSH_EEE10hipError_tPvRmT3_T4_T5_T6_T7_T9_mT8_P12ihipStream_tbDpT10_ENKUlT_T0_E_clISt17integral_constantIbLb0EES1D_EEDaS18_S19_EUlS18_E_NS1_11comp_targetILNS1_3genE5ELNS1_11target_archE942ELNS1_3gpuE9ELNS1_3repE0EEENS1_30default_config_static_selectorELNS0_4arch9wavefront6targetE0EEEvT1_: ; @_ZN7rocprim17ROCPRIM_400000_NS6detail17trampoline_kernelINS0_14default_configENS1_25partition_config_selectorILNS1_17partition_subalgoE9ExjbEEZZNS1_14partition_implILS5_9ELb0ES3_jN6thrust23THRUST_200600_302600_NS6detail15normal_iteratorINS9_10device_ptrIxEEEENSB_INSC_IjEEEEPNS0_10empty_typeENS0_5tupleIJNS9_16discard_iteratorINS9_11use_defaultEEESH_EEENSJ_IJSG_SI_EEENS0_18inequality_wrapperINS9_8equal_toIxEEEEPmJSH_EEE10hipError_tPvRmT3_T4_T5_T6_T7_T9_mT8_P12ihipStream_tbDpT10_ENKUlT_T0_E_clISt17integral_constantIbLb0EES1D_EEDaS18_S19_EUlS18_E_NS1_11comp_targetILNS1_3genE5ELNS1_11target_archE942ELNS1_3gpuE9ELNS1_3repE0EEENS1_30default_config_static_selectorELNS0_4arch9wavefront6targetE0EEEvT1_
; %bb.0:
	.section	.rodata,"a",@progbits
	.p2align	6, 0x0
	.amdhsa_kernel _ZN7rocprim17ROCPRIM_400000_NS6detail17trampoline_kernelINS0_14default_configENS1_25partition_config_selectorILNS1_17partition_subalgoE9ExjbEEZZNS1_14partition_implILS5_9ELb0ES3_jN6thrust23THRUST_200600_302600_NS6detail15normal_iteratorINS9_10device_ptrIxEEEENSB_INSC_IjEEEEPNS0_10empty_typeENS0_5tupleIJNS9_16discard_iteratorINS9_11use_defaultEEESH_EEENSJ_IJSG_SI_EEENS0_18inequality_wrapperINS9_8equal_toIxEEEEPmJSH_EEE10hipError_tPvRmT3_T4_T5_T6_T7_T9_mT8_P12ihipStream_tbDpT10_ENKUlT_T0_E_clISt17integral_constantIbLb0EES1D_EEDaS18_S19_EUlS18_E_NS1_11comp_targetILNS1_3genE5ELNS1_11target_archE942ELNS1_3gpuE9ELNS1_3repE0EEENS1_30default_config_static_selectorELNS0_4arch9wavefront6targetE0EEEvT1_
		.amdhsa_group_segment_fixed_size 0
		.amdhsa_private_segment_fixed_size 0
		.amdhsa_kernarg_size 120
		.amdhsa_user_sgpr_count 15
		.amdhsa_user_sgpr_dispatch_ptr 0
		.amdhsa_user_sgpr_queue_ptr 0
		.amdhsa_user_sgpr_kernarg_segment_ptr 1
		.amdhsa_user_sgpr_dispatch_id 0
		.amdhsa_user_sgpr_private_segment_size 0
		.amdhsa_wavefront_size32 1
		.amdhsa_uses_dynamic_stack 0
		.amdhsa_enable_private_segment 0
		.amdhsa_system_sgpr_workgroup_id_x 1
		.amdhsa_system_sgpr_workgroup_id_y 0
		.amdhsa_system_sgpr_workgroup_id_z 0
		.amdhsa_system_sgpr_workgroup_info 0
		.amdhsa_system_vgpr_workitem_id 0
		.amdhsa_next_free_vgpr 1
		.amdhsa_next_free_sgpr 1
		.amdhsa_reserve_vcc 0
		.amdhsa_float_round_mode_32 0
		.amdhsa_float_round_mode_16_64 0
		.amdhsa_float_denorm_mode_32 3
		.amdhsa_float_denorm_mode_16_64 3
		.amdhsa_dx10_clamp 1
		.amdhsa_ieee_mode 1
		.amdhsa_fp16_overflow 0
		.amdhsa_workgroup_processor_mode 1
		.amdhsa_memory_ordered 1
		.amdhsa_forward_progress 0
		.amdhsa_shared_vgpr_count 0
		.amdhsa_exception_fp_ieee_invalid_op 0
		.amdhsa_exception_fp_denorm_src 0
		.amdhsa_exception_fp_ieee_div_zero 0
		.amdhsa_exception_fp_ieee_overflow 0
		.amdhsa_exception_fp_ieee_underflow 0
		.amdhsa_exception_fp_ieee_inexact 0
		.amdhsa_exception_int_div_zero 0
	.end_amdhsa_kernel
	.section	.text._ZN7rocprim17ROCPRIM_400000_NS6detail17trampoline_kernelINS0_14default_configENS1_25partition_config_selectorILNS1_17partition_subalgoE9ExjbEEZZNS1_14partition_implILS5_9ELb0ES3_jN6thrust23THRUST_200600_302600_NS6detail15normal_iteratorINS9_10device_ptrIxEEEENSB_INSC_IjEEEEPNS0_10empty_typeENS0_5tupleIJNS9_16discard_iteratorINS9_11use_defaultEEESH_EEENSJ_IJSG_SI_EEENS0_18inequality_wrapperINS9_8equal_toIxEEEEPmJSH_EEE10hipError_tPvRmT3_T4_T5_T6_T7_T9_mT8_P12ihipStream_tbDpT10_ENKUlT_T0_E_clISt17integral_constantIbLb0EES1D_EEDaS18_S19_EUlS18_E_NS1_11comp_targetILNS1_3genE5ELNS1_11target_archE942ELNS1_3gpuE9ELNS1_3repE0EEENS1_30default_config_static_selectorELNS0_4arch9wavefront6targetE0EEEvT1_,"axG",@progbits,_ZN7rocprim17ROCPRIM_400000_NS6detail17trampoline_kernelINS0_14default_configENS1_25partition_config_selectorILNS1_17partition_subalgoE9ExjbEEZZNS1_14partition_implILS5_9ELb0ES3_jN6thrust23THRUST_200600_302600_NS6detail15normal_iteratorINS9_10device_ptrIxEEEENSB_INSC_IjEEEEPNS0_10empty_typeENS0_5tupleIJNS9_16discard_iteratorINS9_11use_defaultEEESH_EEENSJ_IJSG_SI_EEENS0_18inequality_wrapperINS9_8equal_toIxEEEEPmJSH_EEE10hipError_tPvRmT3_T4_T5_T6_T7_T9_mT8_P12ihipStream_tbDpT10_ENKUlT_T0_E_clISt17integral_constantIbLb0EES1D_EEDaS18_S19_EUlS18_E_NS1_11comp_targetILNS1_3genE5ELNS1_11target_archE942ELNS1_3gpuE9ELNS1_3repE0EEENS1_30default_config_static_selectorELNS0_4arch9wavefront6targetE0EEEvT1_,comdat
.Lfunc_end1046:
	.size	_ZN7rocprim17ROCPRIM_400000_NS6detail17trampoline_kernelINS0_14default_configENS1_25partition_config_selectorILNS1_17partition_subalgoE9ExjbEEZZNS1_14partition_implILS5_9ELb0ES3_jN6thrust23THRUST_200600_302600_NS6detail15normal_iteratorINS9_10device_ptrIxEEEENSB_INSC_IjEEEEPNS0_10empty_typeENS0_5tupleIJNS9_16discard_iteratorINS9_11use_defaultEEESH_EEENSJ_IJSG_SI_EEENS0_18inequality_wrapperINS9_8equal_toIxEEEEPmJSH_EEE10hipError_tPvRmT3_T4_T5_T6_T7_T9_mT8_P12ihipStream_tbDpT10_ENKUlT_T0_E_clISt17integral_constantIbLb0EES1D_EEDaS18_S19_EUlS18_E_NS1_11comp_targetILNS1_3genE5ELNS1_11target_archE942ELNS1_3gpuE9ELNS1_3repE0EEENS1_30default_config_static_selectorELNS0_4arch9wavefront6targetE0EEEvT1_, .Lfunc_end1046-_ZN7rocprim17ROCPRIM_400000_NS6detail17trampoline_kernelINS0_14default_configENS1_25partition_config_selectorILNS1_17partition_subalgoE9ExjbEEZZNS1_14partition_implILS5_9ELb0ES3_jN6thrust23THRUST_200600_302600_NS6detail15normal_iteratorINS9_10device_ptrIxEEEENSB_INSC_IjEEEEPNS0_10empty_typeENS0_5tupleIJNS9_16discard_iteratorINS9_11use_defaultEEESH_EEENSJ_IJSG_SI_EEENS0_18inequality_wrapperINS9_8equal_toIxEEEEPmJSH_EEE10hipError_tPvRmT3_T4_T5_T6_T7_T9_mT8_P12ihipStream_tbDpT10_ENKUlT_T0_E_clISt17integral_constantIbLb0EES1D_EEDaS18_S19_EUlS18_E_NS1_11comp_targetILNS1_3genE5ELNS1_11target_archE942ELNS1_3gpuE9ELNS1_3repE0EEENS1_30default_config_static_selectorELNS0_4arch9wavefront6targetE0EEEvT1_
                                        ; -- End function
	.section	.AMDGPU.csdata,"",@progbits
; Kernel info:
; codeLenInByte = 0
; NumSgprs: 0
; NumVgprs: 0
; ScratchSize: 0
; MemoryBound: 0
; FloatMode: 240
; IeeeMode: 1
; LDSByteSize: 0 bytes/workgroup (compile time only)
; SGPRBlocks: 0
; VGPRBlocks: 0
; NumSGPRsForWavesPerEU: 1
; NumVGPRsForWavesPerEU: 1
; Occupancy: 16
; WaveLimiterHint : 0
; COMPUTE_PGM_RSRC2:SCRATCH_EN: 0
; COMPUTE_PGM_RSRC2:USER_SGPR: 15
; COMPUTE_PGM_RSRC2:TRAP_HANDLER: 0
; COMPUTE_PGM_RSRC2:TGID_X_EN: 1
; COMPUTE_PGM_RSRC2:TGID_Y_EN: 0
; COMPUTE_PGM_RSRC2:TGID_Z_EN: 0
; COMPUTE_PGM_RSRC2:TIDIG_COMP_CNT: 0
	.section	.text._ZN7rocprim17ROCPRIM_400000_NS6detail17trampoline_kernelINS0_14default_configENS1_25partition_config_selectorILNS1_17partition_subalgoE9ExjbEEZZNS1_14partition_implILS5_9ELb0ES3_jN6thrust23THRUST_200600_302600_NS6detail15normal_iteratorINS9_10device_ptrIxEEEENSB_INSC_IjEEEEPNS0_10empty_typeENS0_5tupleIJNS9_16discard_iteratorINS9_11use_defaultEEESH_EEENSJ_IJSG_SI_EEENS0_18inequality_wrapperINS9_8equal_toIxEEEEPmJSH_EEE10hipError_tPvRmT3_T4_T5_T6_T7_T9_mT8_P12ihipStream_tbDpT10_ENKUlT_T0_E_clISt17integral_constantIbLb0EES1D_EEDaS18_S19_EUlS18_E_NS1_11comp_targetILNS1_3genE4ELNS1_11target_archE910ELNS1_3gpuE8ELNS1_3repE0EEENS1_30default_config_static_selectorELNS0_4arch9wavefront6targetE0EEEvT1_,"axG",@progbits,_ZN7rocprim17ROCPRIM_400000_NS6detail17trampoline_kernelINS0_14default_configENS1_25partition_config_selectorILNS1_17partition_subalgoE9ExjbEEZZNS1_14partition_implILS5_9ELb0ES3_jN6thrust23THRUST_200600_302600_NS6detail15normal_iteratorINS9_10device_ptrIxEEEENSB_INSC_IjEEEEPNS0_10empty_typeENS0_5tupleIJNS9_16discard_iteratorINS9_11use_defaultEEESH_EEENSJ_IJSG_SI_EEENS0_18inequality_wrapperINS9_8equal_toIxEEEEPmJSH_EEE10hipError_tPvRmT3_T4_T5_T6_T7_T9_mT8_P12ihipStream_tbDpT10_ENKUlT_T0_E_clISt17integral_constantIbLb0EES1D_EEDaS18_S19_EUlS18_E_NS1_11comp_targetILNS1_3genE4ELNS1_11target_archE910ELNS1_3gpuE8ELNS1_3repE0EEENS1_30default_config_static_selectorELNS0_4arch9wavefront6targetE0EEEvT1_,comdat
	.protected	_ZN7rocprim17ROCPRIM_400000_NS6detail17trampoline_kernelINS0_14default_configENS1_25partition_config_selectorILNS1_17partition_subalgoE9ExjbEEZZNS1_14partition_implILS5_9ELb0ES3_jN6thrust23THRUST_200600_302600_NS6detail15normal_iteratorINS9_10device_ptrIxEEEENSB_INSC_IjEEEEPNS0_10empty_typeENS0_5tupleIJNS9_16discard_iteratorINS9_11use_defaultEEESH_EEENSJ_IJSG_SI_EEENS0_18inequality_wrapperINS9_8equal_toIxEEEEPmJSH_EEE10hipError_tPvRmT3_T4_T5_T6_T7_T9_mT8_P12ihipStream_tbDpT10_ENKUlT_T0_E_clISt17integral_constantIbLb0EES1D_EEDaS18_S19_EUlS18_E_NS1_11comp_targetILNS1_3genE4ELNS1_11target_archE910ELNS1_3gpuE8ELNS1_3repE0EEENS1_30default_config_static_selectorELNS0_4arch9wavefront6targetE0EEEvT1_ ; -- Begin function _ZN7rocprim17ROCPRIM_400000_NS6detail17trampoline_kernelINS0_14default_configENS1_25partition_config_selectorILNS1_17partition_subalgoE9ExjbEEZZNS1_14partition_implILS5_9ELb0ES3_jN6thrust23THRUST_200600_302600_NS6detail15normal_iteratorINS9_10device_ptrIxEEEENSB_INSC_IjEEEEPNS0_10empty_typeENS0_5tupleIJNS9_16discard_iteratorINS9_11use_defaultEEESH_EEENSJ_IJSG_SI_EEENS0_18inequality_wrapperINS9_8equal_toIxEEEEPmJSH_EEE10hipError_tPvRmT3_T4_T5_T6_T7_T9_mT8_P12ihipStream_tbDpT10_ENKUlT_T0_E_clISt17integral_constantIbLb0EES1D_EEDaS18_S19_EUlS18_E_NS1_11comp_targetILNS1_3genE4ELNS1_11target_archE910ELNS1_3gpuE8ELNS1_3repE0EEENS1_30default_config_static_selectorELNS0_4arch9wavefront6targetE0EEEvT1_
	.globl	_ZN7rocprim17ROCPRIM_400000_NS6detail17trampoline_kernelINS0_14default_configENS1_25partition_config_selectorILNS1_17partition_subalgoE9ExjbEEZZNS1_14partition_implILS5_9ELb0ES3_jN6thrust23THRUST_200600_302600_NS6detail15normal_iteratorINS9_10device_ptrIxEEEENSB_INSC_IjEEEEPNS0_10empty_typeENS0_5tupleIJNS9_16discard_iteratorINS9_11use_defaultEEESH_EEENSJ_IJSG_SI_EEENS0_18inequality_wrapperINS9_8equal_toIxEEEEPmJSH_EEE10hipError_tPvRmT3_T4_T5_T6_T7_T9_mT8_P12ihipStream_tbDpT10_ENKUlT_T0_E_clISt17integral_constantIbLb0EES1D_EEDaS18_S19_EUlS18_E_NS1_11comp_targetILNS1_3genE4ELNS1_11target_archE910ELNS1_3gpuE8ELNS1_3repE0EEENS1_30default_config_static_selectorELNS0_4arch9wavefront6targetE0EEEvT1_
	.p2align	8
	.type	_ZN7rocprim17ROCPRIM_400000_NS6detail17trampoline_kernelINS0_14default_configENS1_25partition_config_selectorILNS1_17partition_subalgoE9ExjbEEZZNS1_14partition_implILS5_9ELb0ES3_jN6thrust23THRUST_200600_302600_NS6detail15normal_iteratorINS9_10device_ptrIxEEEENSB_INSC_IjEEEEPNS0_10empty_typeENS0_5tupleIJNS9_16discard_iteratorINS9_11use_defaultEEESH_EEENSJ_IJSG_SI_EEENS0_18inequality_wrapperINS9_8equal_toIxEEEEPmJSH_EEE10hipError_tPvRmT3_T4_T5_T6_T7_T9_mT8_P12ihipStream_tbDpT10_ENKUlT_T0_E_clISt17integral_constantIbLb0EES1D_EEDaS18_S19_EUlS18_E_NS1_11comp_targetILNS1_3genE4ELNS1_11target_archE910ELNS1_3gpuE8ELNS1_3repE0EEENS1_30default_config_static_selectorELNS0_4arch9wavefront6targetE0EEEvT1_,@function
_ZN7rocprim17ROCPRIM_400000_NS6detail17trampoline_kernelINS0_14default_configENS1_25partition_config_selectorILNS1_17partition_subalgoE9ExjbEEZZNS1_14partition_implILS5_9ELb0ES3_jN6thrust23THRUST_200600_302600_NS6detail15normal_iteratorINS9_10device_ptrIxEEEENSB_INSC_IjEEEEPNS0_10empty_typeENS0_5tupleIJNS9_16discard_iteratorINS9_11use_defaultEEESH_EEENSJ_IJSG_SI_EEENS0_18inequality_wrapperINS9_8equal_toIxEEEEPmJSH_EEE10hipError_tPvRmT3_T4_T5_T6_T7_T9_mT8_P12ihipStream_tbDpT10_ENKUlT_T0_E_clISt17integral_constantIbLb0EES1D_EEDaS18_S19_EUlS18_E_NS1_11comp_targetILNS1_3genE4ELNS1_11target_archE910ELNS1_3gpuE8ELNS1_3repE0EEENS1_30default_config_static_selectorELNS0_4arch9wavefront6targetE0EEEvT1_: ; @_ZN7rocprim17ROCPRIM_400000_NS6detail17trampoline_kernelINS0_14default_configENS1_25partition_config_selectorILNS1_17partition_subalgoE9ExjbEEZZNS1_14partition_implILS5_9ELb0ES3_jN6thrust23THRUST_200600_302600_NS6detail15normal_iteratorINS9_10device_ptrIxEEEENSB_INSC_IjEEEEPNS0_10empty_typeENS0_5tupleIJNS9_16discard_iteratorINS9_11use_defaultEEESH_EEENSJ_IJSG_SI_EEENS0_18inequality_wrapperINS9_8equal_toIxEEEEPmJSH_EEE10hipError_tPvRmT3_T4_T5_T6_T7_T9_mT8_P12ihipStream_tbDpT10_ENKUlT_T0_E_clISt17integral_constantIbLb0EES1D_EEDaS18_S19_EUlS18_E_NS1_11comp_targetILNS1_3genE4ELNS1_11target_archE910ELNS1_3gpuE8ELNS1_3repE0EEENS1_30default_config_static_selectorELNS0_4arch9wavefront6targetE0EEEvT1_
; %bb.0:
	.section	.rodata,"a",@progbits
	.p2align	6, 0x0
	.amdhsa_kernel _ZN7rocprim17ROCPRIM_400000_NS6detail17trampoline_kernelINS0_14default_configENS1_25partition_config_selectorILNS1_17partition_subalgoE9ExjbEEZZNS1_14partition_implILS5_9ELb0ES3_jN6thrust23THRUST_200600_302600_NS6detail15normal_iteratorINS9_10device_ptrIxEEEENSB_INSC_IjEEEEPNS0_10empty_typeENS0_5tupleIJNS9_16discard_iteratorINS9_11use_defaultEEESH_EEENSJ_IJSG_SI_EEENS0_18inequality_wrapperINS9_8equal_toIxEEEEPmJSH_EEE10hipError_tPvRmT3_T4_T5_T6_T7_T9_mT8_P12ihipStream_tbDpT10_ENKUlT_T0_E_clISt17integral_constantIbLb0EES1D_EEDaS18_S19_EUlS18_E_NS1_11comp_targetILNS1_3genE4ELNS1_11target_archE910ELNS1_3gpuE8ELNS1_3repE0EEENS1_30default_config_static_selectorELNS0_4arch9wavefront6targetE0EEEvT1_
		.amdhsa_group_segment_fixed_size 0
		.amdhsa_private_segment_fixed_size 0
		.amdhsa_kernarg_size 120
		.amdhsa_user_sgpr_count 15
		.amdhsa_user_sgpr_dispatch_ptr 0
		.amdhsa_user_sgpr_queue_ptr 0
		.amdhsa_user_sgpr_kernarg_segment_ptr 1
		.amdhsa_user_sgpr_dispatch_id 0
		.amdhsa_user_sgpr_private_segment_size 0
		.amdhsa_wavefront_size32 1
		.amdhsa_uses_dynamic_stack 0
		.amdhsa_enable_private_segment 0
		.amdhsa_system_sgpr_workgroup_id_x 1
		.amdhsa_system_sgpr_workgroup_id_y 0
		.amdhsa_system_sgpr_workgroup_id_z 0
		.amdhsa_system_sgpr_workgroup_info 0
		.amdhsa_system_vgpr_workitem_id 0
		.amdhsa_next_free_vgpr 1
		.amdhsa_next_free_sgpr 1
		.amdhsa_reserve_vcc 0
		.amdhsa_float_round_mode_32 0
		.amdhsa_float_round_mode_16_64 0
		.amdhsa_float_denorm_mode_32 3
		.amdhsa_float_denorm_mode_16_64 3
		.amdhsa_dx10_clamp 1
		.amdhsa_ieee_mode 1
		.amdhsa_fp16_overflow 0
		.amdhsa_workgroup_processor_mode 1
		.amdhsa_memory_ordered 1
		.amdhsa_forward_progress 0
		.amdhsa_shared_vgpr_count 0
		.amdhsa_exception_fp_ieee_invalid_op 0
		.amdhsa_exception_fp_denorm_src 0
		.amdhsa_exception_fp_ieee_div_zero 0
		.amdhsa_exception_fp_ieee_overflow 0
		.amdhsa_exception_fp_ieee_underflow 0
		.amdhsa_exception_fp_ieee_inexact 0
		.amdhsa_exception_int_div_zero 0
	.end_amdhsa_kernel
	.section	.text._ZN7rocprim17ROCPRIM_400000_NS6detail17trampoline_kernelINS0_14default_configENS1_25partition_config_selectorILNS1_17partition_subalgoE9ExjbEEZZNS1_14partition_implILS5_9ELb0ES3_jN6thrust23THRUST_200600_302600_NS6detail15normal_iteratorINS9_10device_ptrIxEEEENSB_INSC_IjEEEEPNS0_10empty_typeENS0_5tupleIJNS9_16discard_iteratorINS9_11use_defaultEEESH_EEENSJ_IJSG_SI_EEENS0_18inequality_wrapperINS9_8equal_toIxEEEEPmJSH_EEE10hipError_tPvRmT3_T4_T5_T6_T7_T9_mT8_P12ihipStream_tbDpT10_ENKUlT_T0_E_clISt17integral_constantIbLb0EES1D_EEDaS18_S19_EUlS18_E_NS1_11comp_targetILNS1_3genE4ELNS1_11target_archE910ELNS1_3gpuE8ELNS1_3repE0EEENS1_30default_config_static_selectorELNS0_4arch9wavefront6targetE0EEEvT1_,"axG",@progbits,_ZN7rocprim17ROCPRIM_400000_NS6detail17trampoline_kernelINS0_14default_configENS1_25partition_config_selectorILNS1_17partition_subalgoE9ExjbEEZZNS1_14partition_implILS5_9ELb0ES3_jN6thrust23THRUST_200600_302600_NS6detail15normal_iteratorINS9_10device_ptrIxEEEENSB_INSC_IjEEEEPNS0_10empty_typeENS0_5tupleIJNS9_16discard_iteratorINS9_11use_defaultEEESH_EEENSJ_IJSG_SI_EEENS0_18inequality_wrapperINS9_8equal_toIxEEEEPmJSH_EEE10hipError_tPvRmT3_T4_T5_T6_T7_T9_mT8_P12ihipStream_tbDpT10_ENKUlT_T0_E_clISt17integral_constantIbLb0EES1D_EEDaS18_S19_EUlS18_E_NS1_11comp_targetILNS1_3genE4ELNS1_11target_archE910ELNS1_3gpuE8ELNS1_3repE0EEENS1_30default_config_static_selectorELNS0_4arch9wavefront6targetE0EEEvT1_,comdat
.Lfunc_end1047:
	.size	_ZN7rocprim17ROCPRIM_400000_NS6detail17trampoline_kernelINS0_14default_configENS1_25partition_config_selectorILNS1_17partition_subalgoE9ExjbEEZZNS1_14partition_implILS5_9ELb0ES3_jN6thrust23THRUST_200600_302600_NS6detail15normal_iteratorINS9_10device_ptrIxEEEENSB_INSC_IjEEEEPNS0_10empty_typeENS0_5tupleIJNS9_16discard_iteratorINS9_11use_defaultEEESH_EEENSJ_IJSG_SI_EEENS0_18inequality_wrapperINS9_8equal_toIxEEEEPmJSH_EEE10hipError_tPvRmT3_T4_T5_T6_T7_T9_mT8_P12ihipStream_tbDpT10_ENKUlT_T0_E_clISt17integral_constantIbLb0EES1D_EEDaS18_S19_EUlS18_E_NS1_11comp_targetILNS1_3genE4ELNS1_11target_archE910ELNS1_3gpuE8ELNS1_3repE0EEENS1_30default_config_static_selectorELNS0_4arch9wavefront6targetE0EEEvT1_, .Lfunc_end1047-_ZN7rocprim17ROCPRIM_400000_NS6detail17trampoline_kernelINS0_14default_configENS1_25partition_config_selectorILNS1_17partition_subalgoE9ExjbEEZZNS1_14partition_implILS5_9ELb0ES3_jN6thrust23THRUST_200600_302600_NS6detail15normal_iteratorINS9_10device_ptrIxEEEENSB_INSC_IjEEEEPNS0_10empty_typeENS0_5tupleIJNS9_16discard_iteratorINS9_11use_defaultEEESH_EEENSJ_IJSG_SI_EEENS0_18inequality_wrapperINS9_8equal_toIxEEEEPmJSH_EEE10hipError_tPvRmT3_T4_T5_T6_T7_T9_mT8_P12ihipStream_tbDpT10_ENKUlT_T0_E_clISt17integral_constantIbLb0EES1D_EEDaS18_S19_EUlS18_E_NS1_11comp_targetILNS1_3genE4ELNS1_11target_archE910ELNS1_3gpuE8ELNS1_3repE0EEENS1_30default_config_static_selectorELNS0_4arch9wavefront6targetE0EEEvT1_
                                        ; -- End function
	.section	.AMDGPU.csdata,"",@progbits
; Kernel info:
; codeLenInByte = 0
; NumSgprs: 0
; NumVgprs: 0
; ScratchSize: 0
; MemoryBound: 0
; FloatMode: 240
; IeeeMode: 1
; LDSByteSize: 0 bytes/workgroup (compile time only)
; SGPRBlocks: 0
; VGPRBlocks: 0
; NumSGPRsForWavesPerEU: 1
; NumVGPRsForWavesPerEU: 1
; Occupancy: 15
; WaveLimiterHint : 0
; COMPUTE_PGM_RSRC2:SCRATCH_EN: 0
; COMPUTE_PGM_RSRC2:USER_SGPR: 15
; COMPUTE_PGM_RSRC2:TRAP_HANDLER: 0
; COMPUTE_PGM_RSRC2:TGID_X_EN: 1
; COMPUTE_PGM_RSRC2:TGID_Y_EN: 0
; COMPUTE_PGM_RSRC2:TGID_Z_EN: 0
; COMPUTE_PGM_RSRC2:TIDIG_COMP_CNT: 0
	.section	.text._ZN7rocprim17ROCPRIM_400000_NS6detail17trampoline_kernelINS0_14default_configENS1_25partition_config_selectorILNS1_17partition_subalgoE9ExjbEEZZNS1_14partition_implILS5_9ELb0ES3_jN6thrust23THRUST_200600_302600_NS6detail15normal_iteratorINS9_10device_ptrIxEEEENSB_INSC_IjEEEEPNS0_10empty_typeENS0_5tupleIJNS9_16discard_iteratorINS9_11use_defaultEEESH_EEENSJ_IJSG_SI_EEENS0_18inequality_wrapperINS9_8equal_toIxEEEEPmJSH_EEE10hipError_tPvRmT3_T4_T5_T6_T7_T9_mT8_P12ihipStream_tbDpT10_ENKUlT_T0_E_clISt17integral_constantIbLb0EES1D_EEDaS18_S19_EUlS18_E_NS1_11comp_targetILNS1_3genE3ELNS1_11target_archE908ELNS1_3gpuE7ELNS1_3repE0EEENS1_30default_config_static_selectorELNS0_4arch9wavefront6targetE0EEEvT1_,"axG",@progbits,_ZN7rocprim17ROCPRIM_400000_NS6detail17trampoline_kernelINS0_14default_configENS1_25partition_config_selectorILNS1_17partition_subalgoE9ExjbEEZZNS1_14partition_implILS5_9ELb0ES3_jN6thrust23THRUST_200600_302600_NS6detail15normal_iteratorINS9_10device_ptrIxEEEENSB_INSC_IjEEEEPNS0_10empty_typeENS0_5tupleIJNS9_16discard_iteratorINS9_11use_defaultEEESH_EEENSJ_IJSG_SI_EEENS0_18inequality_wrapperINS9_8equal_toIxEEEEPmJSH_EEE10hipError_tPvRmT3_T4_T5_T6_T7_T9_mT8_P12ihipStream_tbDpT10_ENKUlT_T0_E_clISt17integral_constantIbLb0EES1D_EEDaS18_S19_EUlS18_E_NS1_11comp_targetILNS1_3genE3ELNS1_11target_archE908ELNS1_3gpuE7ELNS1_3repE0EEENS1_30default_config_static_selectorELNS0_4arch9wavefront6targetE0EEEvT1_,comdat
	.protected	_ZN7rocprim17ROCPRIM_400000_NS6detail17trampoline_kernelINS0_14default_configENS1_25partition_config_selectorILNS1_17partition_subalgoE9ExjbEEZZNS1_14partition_implILS5_9ELb0ES3_jN6thrust23THRUST_200600_302600_NS6detail15normal_iteratorINS9_10device_ptrIxEEEENSB_INSC_IjEEEEPNS0_10empty_typeENS0_5tupleIJNS9_16discard_iteratorINS9_11use_defaultEEESH_EEENSJ_IJSG_SI_EEENS0_18inequality_wrapperINS9_8equal_toIxEEEEPmJSH_EEE10hipError_tPvRmT3_T4_T5_T6_T7_T9_mT8_P12ihipStream_tbDpT10_ENKUlT_T0_E_clISt17integral_constantIbLb0EES1D_EEDaS18_S19_EUlS18_E_NS1_11comp_targetILNS1_3genE3ELNS1_11target_archE908ELNS1_3gpuE7ELNS1_3repE0EEENS1_30default_config_static_selectorELNS0_4arch9wavefront6targetE0EEEvT1_ ; -- Begin function _ZN7rocprim17ROCPRIM_400000_NS6detail17trampoline_kernelINS0_14default_configENS1_25partition_config_selectorILNS1_17partition_subalgoE9ExjbEEZZNS1_14partition_implILS5_9ELb0ES3_jN6thrust23THRUST_200600_302600_NS6detail15normal_iteratorINS9_10device_ptrIxEEEENSB_INSC_IjEEEEPNS0_10empty_typeENS0_5tupleIJNS9_16discard_iteratorINS9_11use_defaultEEESH_EEENSJ_IJSG_SI_EEENS0_18inequality_wrapperINS9_8equal_toIxEEEEPmJSH_EEE10hipError_tPvRmT3_T4_T5_T6_T7_T9_mT8_P12ihipStream_tbDpT10_ENKUlT_T0_E_clISt17integral_constantIbLb0EES1D_EEDaS18_S19_EUlS18_E_NS1_11comp_targetILNS1_3genE3ELNS1_11target_archE908ELNS1_3gpuE7ELNS1_3repE0EEENS1_30default_config_static_selectorELNS0_4arch9wavefront6targetE0EEEvT1_
	.globl	_ZN7rocprim17ROCPRIM_400000_NS6detail17trampoline_kernelINS0_14default_configENS1_25partition_config_selectorILNS1_17partition_subalgoE9ExjbEEZZNS1_14partition_implILS5_9ELb0ES3_jN6thrust23THRUST_200600_302600_NS6detail15normal_iteratorINS9_10device_ptrIxEEEENSB_INSC_IjEEEEPNS0_10empty_typeENS0_5tupleIJNS9_16discard_iteratorINS9_11use_defaultEEESH_EEENSJ_IJSG_SI_EEENS0_18inequality_wrapperINS9_8equal_toIxEEEEPmJSH_EEE10hipError_tPvRmT3_T4_T5_T6_T7_T9_mT8_P12ihipStream_tbDpT10_ENKUlT_T0_E_clISt17integral_constantIbLb0EES1D_EEDaS18_S19_EUlS18_E_NS1_11comp_targetILNS1_3genE3ELNS1_11target_archE908ELNS1_3gpuE7ELNS1_3repE0EEENS1_30default_config_static_selectorELNS0_4arch9wavefront6targetE0EEEvT1_
	.p2align	8
	.type	_ZN7rocprim17ROCPRIM_400000_NS6detail17trampoline_kernelINS0_14default_configENS1_25partition_config_selectorILNS1_17partition_subalgoE9ExjbEEZZNS1_14partition_implILS5_9ELb0ES3_jN6thrust23THRUST_200600_302600_NS6detail15normal_iteratorINS9_10device_ptrIxEEEENSB_INSC_IjEEEEPNS0_10empty_typeENS0_5tupleIJNS9_16discard_iteratorINS9_11use_defaultEEESH_EEENSJ_IJSG_SI_EEENS0_18inequality_wrapperINS9_8equal_toIxEEEEPmJSH_EEE10hipError_tPvRmT3_T4_T5_T6_T7_T9_mT8_P12ihipStream_tbDpT10_ENKUlT_T0_E_clISt17integral_constantIbLb0EES1D_EEDaS18_S19_EUlS18_E_NS1_11comp_targetILNS1_3genE3ELNS1_11target_archE908ELNS1_3gpuE7ELNS1_3repE0EEENS1_30default_config_static_selectorELNS0_4arch9wavefront6targetE0EEEvT1_,@function
_ZN7rocprim17ROCPRIM_400000_NS6detail17trampoline_kernelINS0_14default_configENS1_25partition_config_selectorILNS1_17partition_subalgoE9ExjbEEZZNS1_14partition_implILS5_9ELb0ES3_jN6thrust23THRUST_200600_302600_NS6detail15normal_iteratorINS9_10device_ptrIxEEEENSB_INSC_IjEEEEPNS0_10empty_typeENS0_5tupleIJNS9_16discard_iteratorINS9_11use_defaultEEESH_EEENSJ_IJSG_SI_EEENS0_18inequality_wrapperINS9_8equal_toIxEEEEPmJSH_EEE10hipError_tPvRmT3_T4_T5_T6_T7_T9_mT8_P12ihipStream_tbDpT10_ENKUlT_T0_E_clISt17integral_constantIbLb0EES1D_EEDaS18_S19_EUlS18_E_NS1_11comp_targetILNS1_3genE3ELNS1_11target_archE908ELNS1_3gpuE7ELNS1_3repE0EEENS1_30default_config_static_selectorELNS0_4arch9wavefront6targetE0EEEvT1_: ; @_ZN7rocprim17ROCPRIM_400000_NS6detail17trampoline_kernelINS0_14default_configENS1_25partition_config_selectorILNS1_17partition_subalgoE9ExjbEEZZNS1_14partition_implILS5_9ELb0ES3_jN6thrust23THRUST_200600_302600_NS6detail15normal_iteratorINS9_10device_ptrIxEEEENSB_INSC_IjEEEEPNS0_10empty_typeENS0_5tupleIJNS9_16discard_iteratorINS9_11use_defaultEEESH_EEENSJ_IJSG_SI_EEENS0_18inequality_wrapperINS9_8equal_toIxEEEEPmJSH_EEE10hipError_tPvRmT3_T4_T5_T6_T7_T9_mT8_P12ihipStream_tbDpT10_ENKUlT_T0_E_clISt17integral_constantIbLb0EES1D_EEDaS18_S19_EUlS18_E_NS1_11comp_targetILNS1_3genE3ELNS1_11target_archE908ELNS1_3gpuE7ELNS1_3repE0EEENS1_30default_config_static_selectorELNS0_4arch9wavefront6targetE0EEEvT1_
; %bb.0:
	.section	.rodata,"a",@progbits
	.p2align	6, 0x0
	.amdhsa_kernel _ZN7rocprim17ROCPRIM_400000_NS6detail17trampoline_kernelINS0_14default_configENS1_25partition_config_selectorILNS1_17partition_subalgoE9ExjbEEZZNS1_14partition_implILS5_9ELb0ES3_jN6thrust23THRUST_200600_302600_NS6detail15normal_iteratorINS9_10device_ptrIxEEEENSB_INSC_IjEEEEPNS0_10empty_typeENS0_5tupleIJNS9_16discard_iteratorINS9_11use_defaultEEESH_EEENSJ_IJSG_SI_EEENS0_18inequality_wrapperINS9_8equal_toIxEEEEPmJSH_EEE10hipError_tPvRmT3_T4_T5_T6_T7_T9_mT8_P12ihipStream_tbDpT10_ENKUlT_T0_E_clISt17integral_constantIbLb0EES1D_EEDaS18_S19_EUlS18_E_NS1_11comp_targetILNS1_3genE3ELNS1_11target_archE908ELNS1_3gpuE7ELNS1_3repE0EEENS1_30default_config_static_selectorELNS0_4arch9wavefront6targetE0EEEvT1_
		.amdhsa_group_segment_fixed_size 0
		.amdhsa_private_segment_fixed_size 0
		.amdhsa_kernarg_size 120
		.amdhsa_user_sgpr_count 15
		.amdhsa_user_sgpr_dispatch_ptr 0
		.amdhsa_user_sgpr_queue_ptr 0
		.amdhsa_user_sgpr_kernarg_segment_ptr 1
		.amdhsa_user_sgpr_dispatch_id 0
		.amdhsa_user_sgpr_private_segment_size 0
		.amdhsa_wavefront_size32 1
		.amdhsa_uses_dynamic_stack 0
		.amdhsa_enable_private_segment 0
		.amdhsa_system_sgpr_workgroup_id_x 1
		.amdhsa_system_sgpr_workgroup_id_y 0
		.amdhsa_system_sgpr_workgroup_id_z 0
		.amdhsa_system_sgpr_workgroup_info 0
		.amdhsa_system_vgpr_workitem_id 0
		.amdhsa_next_free_vgpr 1
		.amdhsa_next_free_sgpr 1
		.amdhsa_reserve_vcc 0
		.amdhsa_float_round_mode_32 0
		.amdhsa_float_round_mode_16_64 0
		.amdhsa_float_denorm_mode_32 3
		.amdhsa_float_denorm_mode_16_64 3
		.amdhsa_dx10_clamp 1
		.amdhsa_ieee_mode 1
		.amdhsa_fp16_overflow 0
		.amdhsa_workgroup_processor_mode 1
		.amdhsa_memory_ordered 1
		.amdhsa_forward_progress 0
		.amdhsa_shared_vgpr_count 0
		.amdhsa_exception_fp_ieee_invalid_op 0
		.amdhsa_exception_fp_denorm_src 0
		.amdhsa_exception_fp_ieee_div_zero 0
		.amdhsa_exception_fp_ieee_overflow 0
		.amdhsa_exception_fp_ieee_underflow 0
		.amdhsa_exception_fp_ieee_inexact 0
		.amdhsa_exception_int_div_zero 0
	.end_amdhsa_kernel
	.section	.text._ZN7rocprim17ROCPRIM_400000_NS6detail17trampoline_kernelINS0_14default_configENS1_25partition_config_selectorILNS1_17partition_subalgoE9ExjbEEZZNS1_14partition_implILS5_9ELb0ES3_jN6thrust23THRUST_200600_302600_NS6detail15normal_iteratorINS9_10device_ptrIxEEEENSB_INSC_IjEEEEPNS0_10empty_typeENS0_5tupleIJNS9_16discard_iteratorINS9_11use_defaultEEESH_EEENSJ_IJSG_SI_EEENS0_18inequality_wrapperINS9_8equal_toIxEEEEPmJSH_EEE10hipError_tPvRmT3_T4_T5_T6_T7_T9_mT8_P12ihipStream_tbDpT10_ENKUlT_T0_E_clISt17integral_constantIbLb0EES1D_EEDaS18_S19_EUlS18_E_NS1_11comp_targetILNS1_3genE3ELNS1_11target_archE908ELNS1_3gpuE7ELNS1_3repE0EEENS1_30default_config_static_selectorELNS0_4arch9wavefront6targetE0EEEvT1_,"axG",@progbits,_ZN7rocprim17ROCPRIM_400000_NS6detail17trampoline_kernelINS0_14default_configENS1_25partition_config_selectorILNS1_17partition_subalgoE9ExjbEEZZNS1_14partition_implILS5_9ELb0ES3_jN6thrust23THRUST_200600_302600_NS6detail15normal_iteratorINS9_10device_ptrIxEEEENSB_INSC_IjEEEEPNS0_10empty_typeENS0_5tupleIJNS9_16discard_iteratorINS9_11use_defaultEEESH_EEENSJ_IJSG_SI_EEENS0_18inequality_wrapperINS9_8equal_toIxEEEEPmJSH_EEE10hipError_tPvRmT3_T4_T5_T6_T7_T9_mT8_P12ihipStream_tbDpT10_ENKUlT_T0_E_clISt17integral_constantIbLb0EES1D_EEDaS18_S19_EUlS18_E_NS1_11comp_targetILNS1_3genE3ELNS1_11target_archE908ELNS1_3gpuE7ELNS1_3repE0EEENS1_30default_config_static_selectorELNS0_4arch9wavefront6targetE0EEEvT1_,comdat
.Lfunc_end1048:
	.size	_ZN7rocprim17ROCPRIM_400000_NS6detail17trampoline_kernelINS0_14default_configENS1_25partition_config_selectorILNS1_17partition_subalgoE9ExjbEEZZNS1_14partition_implILS5_9ELb0ES3_jN6thrust23THRUST_200600_302600_NS6detail15normal_iteratorINS9_10device_ptrIxEEEENSB_INSC_IjEEEEPNS0_10empty_typeENS0_5tupleIJNS9_16discard_iteratorINS9_11use_defaultEEESH_EEENSJ_IJSG_SI_EEENS0_18inequality_wrapperINS9_8equal_toIxEEEEPmJSH_EEE10hipError_tPvRmT3_T4_T5_T6_T7_T9_mT8_P12ihipStream_tbDpT10_ENKUlT_T0_E_clISt17integral_constantIbLb0EES1D_EEDaS18_S19_EUlS18_E_NS1_11comp_targetILNS1_3genE3ELNS1_11target_archE908ELNS1_3gpuE7ELNS1_3repE0EEENS1_30default_config_static_selectorELNS0_4arch9wavefront6targetE0EEEvT1_, .Lfunc_end1048-_ZN7rocprim17ROCPRIM_400000_NS6detail17trampoline_kernelINS0_14default_configENS1_25partition_config_selectorILNS1_17partition_subalgoE9ExjbEEZZNS1_14partition_implILS5_9ELb0ES3_jN6thrust23THRUST_200600_302600_NS6detail15normal_iteratorINS9_10device_ptrIxEEEENSB_INSC_IjEEEEPNS0_10empty_typeENS0_5tupleIJNS9_16discard_iteratorINS9_11use_defaultEEESH_EEENSJ_IJSG_SI_EEENS0_18inequality_wrapperINS9_8equal_toIxEEEEPmJSH_EEE10hipError_tPvRmT3_T4_T5_T6_T7_T9_mT8_P12ihipStream_tbDpT10_ENKUlT_T0_E_clISt17integral_constantIbLb0EES1D_EEDaS18_S19_EUlS18_E_NS1_11comp_targetILNS1_3genE3ELNS1_11target_archE908ELNS1_3gpuE7ELNS1_3repE0EEENS1_30default_config_static_selectorELNS0_4arch9wavefront6targetE0EEEvT1_
                                        ; -- End function
	.section	.AMDGPU.csdata,"",@progbits
; Kernel info:
; codeLenInByte = 0
; NumSgprs: 0
; NumVgprs: 0
; ScratchSize: 0
; MemoryBound: 0
; FloatMode: 240
; IeeeMode: 1
; LDSByteSize: 0 bytes/workgroup (compile time only)
; SGPRBlocks: 0
; VGPRBlocks: 0
; NumSGPRsForWavesPerEU: 1
; NumVGPRsForWavesPerEU: 1
; Occupancy: 16
; WaveLimiterHint : 0
; COMPUTE_PGM_RSRC2:SCRATCH_EN: 0
; COMPUTE_PGM_RSRC2:USER_SGPR: 15
; COMPUTE_PGM_RSRC2:TRAP_HANDLER: 0
; COMPUTE_PGM_RSRC2:TGID_X_EN: 1
; COMPUTE_PGM_RSRC2:TGID_Y_EN: 0
; COMPUTE_PGM_RSRC2:TGID_Z_EN: 0
; COMPUTE_PGM_RSRC2:TIDIG_COMP_CNT: 0
	.section	.text._ZN7rocprim17ROCPRIM_400000_NS6detail17trampoline_kernelINS0_14default_configENS1_25partition_config_selectorILNS1_17partition_subalgoE9ExjbEEZZNS1_14partition_implILS5_9ELb0ES3_jN6thrust23THRUST_200600_302600_NS6detail15normal_iteratorINS9_10device_ptrIxEEEENSB_INSC_IjEEEEPNS0_10empty_typeENS0_5tupleIJNS9_16discard_iteratorINS9_11use_defaultEEESH_EEENSJ_IJSG_SI_EEENS0_18inequality_wrapperINS9_8equal_toIxEEEEPmJSH_EEE10hipError_tPvRmT3_T4_T5_T6_T7_T9_mT8_P12ihipStream_tbDpT10_ENKUlT_T0_E_clISt17integral_constantIbLb0EES1D_EEDaS18_S19_EUlS18_E_NS1_11comp_targetILNS1_3genE2ELNS1_11target_archE906ELNS1_3gpuE6ELNS1_3repE0EEENS1_30default_config_static_selectorELNS0_4arch9wavefront6targetE0EEEvT1_,"axG",@progbits,_ZN7rocprim17ROCPRIM_400000_NS6detail17trampoline_kernelINS0_14default_configENS1_25partition_config_selectorILNS1_17partition_subalgoE9ExjbEEZZNS1_14partition_implILS5_9ELb0ES3_jN6thrust23THRUST_200600_302600_NS6detail15normal_iteratorINS9_10device_ptrIxEEEENSB_INSC_IjEEEEPNS0_10empty_typeENS0_5tupleIJNS9_16discard_iteratorINS9_11use_defaultEEESH_EEENSJ_IJSG_SI_EEENS0_18inequality_wrapperINS9_8equal_toIxEEEEPmJSH_EEE10hipError_tPvRmT3_T4_T5_T6_T7_T9_mT8_P12ihipStream_tbDpT10_ENKUlT_T0_E_clISt17integral_constantIbLb0EES1D_EEDaS18_S19_EUlS18_E_NS1_11comp_targetILNS1_3genE2ELNS1_11target_archE906ELNS1_3gpuE6ELNS1_3repE0EEENS1_30default_config_static_selectorELNS0_4arch9wavefront6targetE0EEEvT1_,comdat
	.protected	_ZN7rocprim17ROCPRIM_400000_NS6detail17trampoline_kernelINS0_14default_configENS1_25partition_config_selectorILNS1_17partition_subalgoE9ExjbEEZZNS1_14partition_implILS5_9ELb0ES3_jN6thrust23THRUST_200600_302600_NS6detail15normal_iteratorINS9_10device_ptrIxEEEENSB_INSC_IjEEEEPNS0_10empty_typeENS0_5tupleIJNS9_16discard_iteratorINS9_11use_defaultEEESH_EEENSJ_IJSG_SI_EEENS0_18inequality_wrapperINS9_8equal_toIxEEEEPmJSH_EEE10hipError_tPvRmT3_T4_T5_T6_T7_T9_mT8_P12ihipStream_tbDpT10_ENKUlT_T0_E_clISt17integral_constantIbLb0EES1D_EEDaS18_S19_EUlS18_E_NS1_11comp_targetILNS1_3genE2ELNS1_11target_archE906ELNS1_3gpuE6ELNS1_3repE0EEENS1_30default_config_static_selectorELNS0_4arch9wavefront6targetE0EEEvT1_ ; -- Begin function _ZN7rocprim17ROCPRIM_400000_NS6detail17trampoline_kernelINS0_14default_configENS1_25partition_config_selectorILNS1_17partition_subalgoE9ExjbEEZZNS1_14partition_implILS5_9ELb0ES3_jN6thrust23THRUST_200600_302600_NS6detail15normal_iteratorINS9_10device_ptrIxEEEENSB_INSC_IjEEEEPNS0_10empty_typeENS0_5tupleIJNS9_16discard_iteratorINS9_11use_defaultEEESH_EEENSJ_IJSG_SI_EEENS0_18inequality_wrapperINS9_8equal_toIxEEEEPmJSH_EEE10hipError_tPvRmT3_T4_T5_T6_T7_T9_mT8_P12ihipStream_tbDpT10_ENKUlT_T0_E_clISt17integral_constantIbLb0EES1D_EEDaS18_S19_EUlS18_E_NS1_11comp_targetILNS1_3genE2ELNS1_11target_archE906ELNS1_3gpuE6ELNS1_3repE0EEENS1_30default_config_static_selectorELNS0_4arch9wavefront6targetE0EEEvT1_
	.globl	_ZN7rocprim17ROCPRIM_400000_NS6detail17trampoline_kernelINS0_14default_configENS1_25partition_config_selectorILNS1_17partition_subalgoE9ExjbEEZZNS1_14partition_implILS5_9ELb0ES3_jN6thrust23THRUST_200600_302600_NS6detail15normal_iteratorINS9_10device_ptrIxEEEENSB_INSC_IjEEEEPNS0_10empty_typeENS0_5tupleIJNS9_16discard_iteratorINS9_11use_defaultEEESH_EEENSJ_IJSG_SI_EEENS0_18inequality_wrapperINS9_8equal_toIxEEEEPmJSH_EEE10hipError_tPvRmT3_T4_T5_T6_T7_T9_mT8_P12ihipStream_tbDpT10_ENKUlT_T0_E_clISt17integral_constantIbLb0EES1D_EEDaS18_S19_EUlS18_E_NS1_11comp_targetILNS1_3genE2ELNS1_11target_archE906ELNS1_3gpuE6ELNS1_3repE0EEENS1_30default_config_static_selectorELNS0_4arch9wavefront6targetE0EEEvT1_
	.p2align	8
	.type	_ZN7rocprim17ROCPRIM_400000_NS6detail17trampoline_kernelINS0_14default_configENS1_25partition_config_selectorILNS1_17partition_subalgoE9ExjbEEZZNS1_14partition_implILS5_9ELb0ES3_jN6thrust23THRUST_200600_302600_NS6detail15normal_iteratorINS9_10device_ptrIxEEEENSB_INSC_IjEEEEPNS0_10empty_typeENS0_5tupleIJNS9_16discard_iteratorINS9_11use_defaultEEESH_EEENSJ_IJSG_SI_EEENS0_18inequality_wrapperINS9_8equal_toIxEEEEPmJSH_EEE10hipError_tPvRmT3_T4_T5_T6_T7_T9_mT8_P12ihipStream_tbDpT10_ENKUlT_T0_E_clISt17integral_constantIbLb0EES1D_EEDaS18_S19_EUlS18_E_NS1_11comp_targetILNS1_3genE2ELNS1_11target_archE906ELNS1_3gpuE6ELNS1_3repE0EEENS1_30default_config_static_selectorELNS0_4arch9wavefront6targetE0EEEvT1_,@function
_ZN7rocprim17ROCPRIM_400000_NS6detail17trampoline_kernelINS0_14default_configENS1_25partition_config_selectorILNS1_17partition_subalgoE9ExjbEEZZNS1_14partition_implILS5_9ELb0ES3_jN6thrust23THRUST_200600_302600_NS6detail15normal_iteratorINS9_10device_ptrIxEEEENSB_INSC_IjEEEEPNS0_10empty_typeENS0_5tupleIJNS9_16discard_iteratorINS9_11use_defaultEEESH_EEENSJ_IJSG_SI_EEENS0_18inequality_wrapperINS9_8equal_toIxEEEEPmJSH_EEE10hipError_tPvRmT3_T4_T5_T6_T7_T9_mT8_P12ihipStream_tbDpT10_ENKUlT_T0_E_clISt17integral_constantIbLb0EES1D_EEDaS18_S19_EUlS18_E_NS1_11comp_targetILNS1_3genE2ELNS1_11target_archE906ELNS1_3gpuE6ELNS1_3repE0EEENS1_30default_config_static_selectorELNS0_4arch9wavefront6targetE0EEEvT1_: ; @_ZN7rocprim17ROCPRIM_400000_NS6detail17trampoline_kernelINS0_14default_configENS1_25partition_config_selectorILNS1_17partition_subalgoE9ExjbEEZZNS1_14partition_implILS5_9ELb0ES3_jN6thrust23THRUST_200600_302600_NS6detail15normal_iteratorINS9_10device_ptrIxEEEENSB_INSC_IjEEEEPNS0_10empty_typeENS0_5tupleIJNS9_16discard_iteratorINS9_11use_defaultEEESH_EEENSJ_IJSG_SI_EEENS0_18inequality_wrapperINS9_8equal_toIxEEEEPmJSH_EEE10hipError_tPvRmT3_T4_T5_T6_T7_T9_mT8_P12ihipStream_tbDpT10_ENKUlT_T0_E_clISt17integral_constantIbLb0EES1D_EEDaS18_S19_EUlS18_E_NS1_11comp_targetILNS1_3genE2ELNS1_11target_archE906ELNS1_3gpuE6ELNS1_3repE0EEENS1_30default_config_static_selectorELNS0_4arch9wavefront6targetE0EEEvT1_
; %bb.0:
	.section	.rodata,"a",@progbits
	.p2align	6, 0x0
	.amdhsa_kernel _ZN7rocprim17ROCPRIM_400000_NS6detail17trampoline_kernelINS0_14default_configENS1_25partition_config_selectorILNS1_17partition_subalgoE9ExjbEEZZNS1_14partition_implILS5_9ELb0ES3_jN6thrust23THRUST_200600_302600_NS6detail15normal_iteratorINS9_10device_ptrIxEEEENSB_INSC_IjEEEEPNS0_10empty_typeENS0_5tupleIJNS9_16discard_iteratorINS9_11use_defaultEEESH_EEENSJ_IJSG_SI_EEENS0_18inequality_wrapperINS9_8equal_toIxEEEEPmJSH_EEE10hipError_tPvRmT3_T4_T5_T6_T7_T9_mT8_P12ihipStream_tbDpT10_ENKUlT_T0_E_clISt17integral_constantIbLb0EES1D_EEDaS18_S19_EUlS18_E_NS1_11comp_targetILNS1_3genE2ELNS1_11target_archE906ELNS1_3gpuE6ELNS1_3repE0EEENS1_30default_config_static_selectorELNS0_4arch9wavefront6targetE0EEEvT1_
		.amdhsa_group_segment_fixed_size 0
		.amdhsa_private_segment_fixed_size 0
		.amdhsa_kernarg_size 120
		.amdhsa_user_sgpr_count 15
		.amdhsa_user_sgpr_dispatch_ptr 0
		.amdhsa_user_sgpr_queue_ptr 0
		.amdhsa_user_sgpr_kernarg_segment_ptr 1
		.amdhsa_user_sgpr_dispatch_id 0
		.amdhsa_user_sgpr_private_segment_size 0
		.amdhsa_wavefront_size32 1
		.amdhsa_uses_dynamic_stack 0
		.amdhsa_enable_private_segment 0
		.amdhsa_system_sgpr_workgroup_id_x 1
		.amdhsa_system_sgpr_workgroup_id_y 0
		.amdhsa_system_sgpr_workgroup_id_z 0
		.amdhsa_system_sgpr_workgroup_info 0
		.amdhsa_system_vgpr_workitem_id 0
		.amdhsa_next_free_vgpr 1
		.amdhsa_next_free_sgpr 1
		.amdhsa_reserve_vcc 0
		.amdhsa_float_round_mode_32 0
		.amdhsa_float_round_mode_16_64 0
		.amdhsa_float_denorm_mode_32 3
		.amdhsa_float_denorm_mode_16_64 3
		.amdhsa_dx10_clamp 1
		.amdhsa_ieee_mode 1
		.amdhsa_fp16_overflow 0
		.amdhsa_workgroup_processor_mode 1
		.amdhsa_memory_ordered 1
		.amdhsa_forward_progress 0
		.amdhsa_shared_vgpr_count 0
		.amdhsa_exception_fp_ieee_invalid_op 0
		.amdhsa_exception_fp_denorm_src 0
		.amdhsa_exception_fp_ieee_div_zero 0
		.amdhsa_exception_fp_ieee_overflow 0
		.amdhsa_exception_fp_ieee_underflow 0
		.amdhsa_exception_fp_ieee_inexact 0
		.amdhsa_exception_int_div_zero 0
	.end_amdhsa_kernel
	.section	.text._ZN7rocprim17ROCPRIM_400000_NS6detail17trampoline_kernelINS0_14default_configENS1_25partition_config_selectorILNS1_17partition_subalgoE9ExjbEEZZNS1_14partition_implILS5_9ELb0ES3_jN6thrust23THRUST_200600_302600_NS6detail15normal_iteratorINS9_10device_ptrIxEEEENSB_INSC_IjEEEEPNS0_10empty_typeENS0_5tupleIJNS9_16discard_iteratorINS9_11use_defaultEEESH_EEENSJ_IJSG_SI_EEENS0_18inequality_wrapperINS9_8equal_toIxEEEEPmJSH_EEE10hipError_tPvRmT3_T4_T5_T6_T7_T9_mT8_P12ihipStream_tbDpT10_ENKUlT_T0_E_clISt17integral_constantIbLb0EES1D_EEDaS18_S19_EUlS18_E_NS1_11comp_targetILNS1_3genE2ELNS1_11target_archE906ELNS1_3gpuE6ELNS1_3repE0EEENS1_30default_config_static_selectorELNS0_4arch9wavefront6targetE0EEEvT1_,"axG",@progbits,_ZN7rocprim17ROCPRIM_400000_NS6detail17trampoline_kernelINS0_14default_configENS1_25partition_config_selectorILNS1_17partition_subalgoE9ExjbEEZZNS1_14partition_implILS5_9ELb0ES3_jN6thrust23THRUST_200600_302600_NS6detail15normal_iteratorINS9_10device_ptrIxEEEENSB_INSC_IjEEEEPNS0_10empty_typeENS0_5tupleIJNS9_16discard_iteratorINS9_11use_defaultEEESH_EEENSJ_IJSG_SI_EEENS0_18inequality_wrapperINS9_8equal_toIxEEEEPmJSH_EEE10hipError_tPvRmT3_T4_T5_T6_T7_T9_mT8_P12ihipStream_tbDpT10_ENKUlT_T0_E_clISt17integral_constantIbLb0EES1D_EEDaS18_S19_EUlS18_E_NS1_11comp_targetILNS1_3genE2ELNS1_11target_archE906ELNS1_3gpuE6ELNS1_3repE0EEENS1_30default_config_static_selectorELNS0_4arch9wavefront6targetE0EEEvT1_,comdat
.Lfunc_end1049:
	.size	_ZN7rocprim17ROCPRIM_400000_NS6detail17trampoline_kernelINS0_14default_configENS1_25partition_config_selectorILNS1_17partition_subalgoE9ExjbEEZZNS1_14partition_implILS5_9ELb0ES3_jN6thrust23THRUST_200600_302600_NS6detail15normal_iteratorINS9_10device_ptrIxEEEENSB_INSC_IjEEEEPNS0_10empty_typeENS0_5tupleIJNS9_16discard_iteratorINS9_11use_defaultEEESH_EEENSJ_IJSG_SI_EEENS0_18inequality_wrapperINS9_8equal_toIxEEEEPmJSH_EEE10hipError_tPvRmT3_T4_T5_T6_T7_T9_mT8_P12ihipStream_tbDpT10_ENKUlT_T0_E_clISt17integral_constantIbLb0EES1D_EEDaS18_S19_EUlS18_E_NS1_11comp_targetILNS1_3genE2ELNS1_11target_archE906ELNS1_3gpuE6ELNS1_3repE0EEENS1_30default_config_static_selectorELNS0_4arch9wavefront6targetE0EEEvT1_, .Lfunc_end1049-_ZN7rocprim17ROCPRIM_400000_NS6detail17trampoline_kernelINS0_14default_configENS1_25partition_config_selectorILNS1_17partition_subalgoE9ExjbEEZZNS1_14partition_implILS5_9ELb0ES3_jN6thrust23THRUST_200600_302600_NS6detail15normal_iteratorINS9_10device_ptrIxEEEENSB_INSC_IjEEEEPNS0_10empty_typeENS0_5tupleIJNS9_16discard_iteratorINS9_11use_defaultEEESH_EEENSJ_IJSG_SI_EEENS0_18inequality_wrapperINS9_8equal_toIxEEEEPmJSH_EEE10hipError_tPvRmT3_T4_T5_T6_T7_T9_mT8_P12ihipStream_tbDpT10_ENKUlT_T0_E_clISt17integral_constantIbLb0EES1D_EEDaS18_S19_EUlS18_E_NS1_11comp_targetILNS1_3genE2ELNS1_11target_archE906ELNS1_3gpuE6ELNS1_3repE0EEENS1_30default_config_static_selectorELNS0_4arch9wavefront6targetE0EEEvT1_
                                        ; -- End function
	.section	.AMDGPU.csdata,"",@progbits
; Kernel info:
; codeLenInByte = 0
; NumSgprs: 0
; NumVgprs: 0
; ScratchSize: 0
; MemoryBound: 0
; FloatMode: 240
; IeeeMode: 1
; LDSByteSize: 0 bytes/workgroup (compile time only)
; SGPRBlocks: 0
; VGPRBlocks: 0
; NumSGPRsForWavesPerEU: 1
; NumVGPRsForWavesPerEU: 1
; Occupancy: 16
; WaveLimiterHint : 0
; COMPUTE_PGM_RSRC2:SCRATCH_EN: 0
; COMPUTE_PGM_RSRC2:USER_SGPR: 15
; COMPUTE_PGM_RSRC2:TRAP_HANDLER: 0
; COMPUTE_PGM_RSRC2:TGID_X_EN: 1
; COMPUTE_PGM_RSRC2:TGID_Y_EN: 0
; COMPUTE_PGM_RSRC2:TGID_Z_EN: 0
; COMPUTE_PGM_RSRC2:TIDIG_COMP_CNT: 0
	.section	.text._ZN7rocprim17ROCPRIM_400000_NS6detail17trampoline_kernelINS0_14default_configENS1_25partition_config_selectorILNS1_17partition_subalgoE9ExjbEEZZNS1_14partition_implILS5_9ELb0ES3_jN6thrust23THRUST_200600_302600_NS6detail15normal_iteratorINS9_10device_ptrIxEEEENSB_INSC_IjEEEEPNS0_10empty_typeENS0_5tupleIJNS9_16discard_iteratorINS9_11use_defaultEEESH_EEENSJ_IJSG_SI_EEENS0_18inequality_wrapperINS9_8equal_toIxEEEEPmJSH_EEE10hipError_tPvRmT3_T4_T5_T6_T7_T9_mT8_P12ihipStream_tbDpT10_ENKUlT_T0_E_clISt17integral_constantIbLb0EES1D_EEDaS18_S19_EUlS18_E_NS1_11comp_targetILNS1_3genE10ELNS1_11target_archE1200ELNS1_3gpuE4ELNS1_3repE0EEENS1_30default_config_static_selectorELNS0_4arch9wavefront6targetE0EEEvT1_,"axG",@progbits,_ZN7rocprim17ROCPRIM_400000_NS6detail17trampoline_kernelINS0_14default_configENS1_25partition_config_selectorILNS1_17partition_subalgoE9ExjbEEZZNS1_14partition_implILS5_9ELb0ES3_jN6thrust23THRUST_200600_302600_NS6detail15normal_iteratorINS9_10device_ptrIxEEEENSB_INSC_IjEEEEPNS0_10empty_typeENS0_5tupleIJNS9_16discard_iteratorINS9_11use_defaultEEESH_EEENSJ_IJSG_SI_EEENS0_18inequality_wrapperINS9_8equal_toIxEEEEPmJSH_EEE10hipError_tPvRmT3_T4_T5_T6_T7_T9_mT8_P12ihipStream_tbDpT10_ENKUlT_T0_E_clISt17integral_constantIbLb0EES1D_EEDaS18_S19_EUlS18_E_NS1_11comp_targetILNS1_3genE10ELNS1_11target_archE1200ELNS1_3gpuE4ELNS1_3repE0EEENS1_30default_config_static_selectorELNS0_4arch9wavefront6targetE0EEEvT1_,comdat
	.protected	_ZN7rocprim17ROCPRIM_400000_NS6detail17trampoline_kernelINS0_14default_configENS1_25partition_config_selectorILNS1_17partition_subalgoE9ExjbEEZZNS1_14partition_implILS5_9ELb0ES3_jN6thrust23THRUST_200600_302600_NS6detail15normal_iteratorINS9_10device_ptrIxEEEENSB_INSC_IjEEEEPNS0_10empty_typeENS0_5tupleIJNS9_16discard_iteratorINS9_11use_defaultEEESH_EEENSJ_IJSG_SI_EEENS0_18inequality_wrapperINS9_8equal_toIxEEEEPmJSH_EEE10hipError_tPvRmT3_T4_T5_T6_T7_T9_mT8_P12ihipStream_tbDpT10_ENKUlT_T0_E_clISt17integral_constantIbLb0EES1D_EEDaS18_S19_EUlS18_E_NS1_11comp_targetILNS1_3genE10ELNS1_11target_archE1200ELNS1_3gpuE4ELNS1_3repE0EEENS1_30default_config_static_selectorELNS0_4arch9wavefront6targetE0EEEvT1_ ; -- Begin function _ZN7rocprim17ROCPRIM_400000_NS6detail17trampoline_kernelINS0_14default_configENS1_25partition_config_selectorILNS1_17partition_subalgoE9ExjbEEZZNS1_14partition_implILS5_9ELb0ES3_jN6thrust23THRUST_200600_302600_NS6detail15normal_iteratorINS9_10device_ptrIxEEEENSB_INSC_IjEEEEPNS0_10empty_typeENS0_5tupleIJNS9_16discard_iteratorINS9_11use_defaultEEESH_EEENSJ_IJSG_SI_EEENS0_18inequality_wrapperINS9_8equal_toIxEEEEPmJSH_EEE10hipError_tPvRmT3_T4_T5_T6_T7_T9_mT8_P12ihipStream_tbDpT10_ENKUlT_T0_E_clISt17integral_constantIbLb0EES1D_EEDaS18_S19_EUlS18_E_NS1_11comp_targetILNS1_3genE10ELNS1_11target_archE1200ELNS1_3gpuE4ELNS1_3repE0EEENS1_30default_config_static_selectorELNS0_4arch9wavefront6targetE0EEEvT1_
	.globl	_ZN7rocprim17ROCPRIM_400000_NS6detail17trampoline_kernelINS0_14default_configENS1_25partition_config_selectorILNS1_17partition_subalgoE9ExjbEEZZNS1_14partition_implILS5_9ELb0ES3_jN6thrust23THRUST_200600_302600_NS6detail15normal_iteratorINS9_10device_ptrIxEEEENSB_INSC_IjEEEEPNS0_10empty_typeENS0_5tupleIJNS9_16discard_iteratorINS9_11use_defaultEEESH_EEENSJ_IJSG_SI_EEENS0_18inequality_wrapperINS9_8equal_toIxEEEEPmJSH_EEE10hipError_tPvRmT3_T4_T5_T6_T7_T9_mT8_P12ihipStream_tbDpT10_ENKUlT_T0_E_clISt17integral_constantIbLb0EES1D_EEDaS18_S19_EUlS18_E_NS1_11comp_targetILNS1_3genE10ELNS1_11target_archE1200ELNS1_3gpuE4ELNS1_3repE0EEENS1_30default_config_static_selectorELNS0_4arch9wavefront6targetE0EEEvT1_
	.p2align	8
	.type	_ZN7rocprim17ROCPRIM_400000_NS6detail17trampoline_kernelINS0_14default_configENS1_25partition_config_selectorILNS1_17partition_subalgoE9ExjbEEZZNS1_14partition_implILS5_9ELb0ES3_jN6thrust23THRUST_200600_302600_NS6detail15normal_iteratorINS9_10device_ptrIxEEEENSB_INSC_IjEEEEPNS0_10empty_typeENS0_5tupleIJNS9_16discard_iteratorINS9_11use_defaultEEESH_EEENSJ_IJSG_SI_EEENS0_18inequality_wrapperINS9_8equal_toIxEEEEPmJSH_EEE10hipError_tPvRmT3_T4_T5_T6_T7_T9_mT8_P12ihipStream_tbDpT10_ENKUlT_T0_E_clISt17integral_constantIbLb0EES1D_EEDaS18_S19_EUlS18_E_NS1_11comp_targetILNS1_3genE10ELNS1_11target_archE1200ELNS1_3gpuE4ELNS1_3repE0EEENS1_30default_config_static_selectorELNS0_4arch9wavefront6targetE0EEEvT1_,@function
_ZN7rocprim17ROCPRIM_400000_NS6detail17trampoline_kernelINS0_14default_configENS1_25partition_config_selectorILNS1_17partition_subalgoE9ExjbEEZZNS1_14partition_implILS5_9ELb0ES3_jN6thrust23THRUST_200600_302600_NS6detail15normal_iteratorINS9_10device_ptrIxEEEENSB_INSC_IjEEEEPNS0_10empty_typeENS0_5tupleIJNS9_16discard_iteratorINS9_11use_defaultEEESH_EEENSJ_IJSG_SI_EEENS0_18inequality_wrapperINS9_8equal_toIxEEEEPmJSH_EEE10hipError_tPvRmT3_T4_T5_T6_T7_T9_mT8_P12ihipStream_tbDpT10_ENKUlT_T0_E_clISt17integral_constantIbLb0EES1D_EEDaS18_S19_EUlS18_E_NS1_11comp_targetILNS1_3genE10ELNS1_11target_archE1200ELNS1_3gpuE4ELNS1_3repE0EEENS1_30default_config_static_selectorELNS0_4arch9wavefront6targetE0EEEvT1_: ; @_ZN7rocprim17ROCPRIM_400000_NS6detail17trampoline_kernelINS0_14default_configENS1_25partition_config_selectorILNS1_17partition_subalgoE9ExjbEEZZNS1_14partition_implILS5_9ELb0ES3_jN6thrust23THRUST_200600_302600_NS6detail15normal_iteratorINS9_10device_ptrIxEEEENSB_INSC_IjEEEEPNS0_10empty_typeENS0_5tupleIJNS9_16discard_iteratorINS9_11use_defaultEEESH_EEENSJ_IJSG_SI_EEENS0_18inequality_wrapperINS9_8equal_toIxEEEEPmJSH_EEE10hipError_tPvRmT3_T4_T5_T6_T7_T9_mT8_P12ihipStream_tbDpT10_ENKUlT_T0_E_clISt17integral_constantIbLb0EES1D_EEDaS18_S19_EUlS18_E_NS1_11comp_targetILNS1_3genE10ELNS1_11target_archE1200ELNS1_3gpuE4ELNS1_3repE0EEENS1_30default_config_static_selectorELNS0_4arch9wavefront6targetE0EEEvT1_
; %bb.0:
	.section	.rodata,"a",@progbits
	.p2align	6, 0x0
	.amdhsa_kernel _ZN7rocprim17ROCPRIM_400000_NS6detail17trampoline_kernelINS0_14default_configENS1_25partition_config_selectorILNS1_17partition_subalgoE9ExjbEEZZNS1_14partition_implILS5_9ELb0ES3_jN6thrust23THRUST_200600_302600_NS6detail15normal_iteratorINS9_10device_ptrIxEEEENSB_INSC_IjEEEEPNS0_10empty_typeENS0_5tupleIJNS9_16discard_iteratorINS9_11use_defaultEEESH_EEENSJ_IJSG_SI_EEENS0_18inequality_wrapperINS9_8equal_toIxEEEEPmJSH_EEE10hipError_tPvRmT3_T4_T5_T6_T7_T9_mT8_P12ihipStream_tbDpT10_ENKUlT_T0_E_clISt17integral_constantIbLb0EES1D_EEDaS18_S19_EUlS18_E_NS1_11comp_targetILNS1_3genE10ELNS1_11target_archE1200ELNS1_3gpuE4ELNS1_3repE0EEENS1_30default_config_static_selectorELNS0_4arch9wavefront6targetE0EEEvT1_
		.amdhsa_group_segment_fixed_size 0
		.amdhsa_private_segment_fixed_size 0
		.amdhsa_kernarg_size 120
		.amdhsa_user_sgpr_count 15
		.amdhsa_user_sgpr_dispatch_ptr 0
		.amdhsa_user_sgpr_queue_ptr 0
		.amdhsa_user_sgpr_kernarg_segment_ptr 1
		.amdhsa_user_sgpr_dispatch_id 0
		.amdhsa_user_sgpr_private_segment_size 0
		.amdhsa_wavefront_size32 1
		.amdhsa_uses_dynamic_stack 0
		.amdhsa_enable_private_segment 0
		.amdhsa_system_sgpr_workgroup_id_x 1
		.amdhsa_system_sgpr_workgroup_id_y 0
		.amdhsa_system_sgpr_workgroup_id_z 0
		.amdhsa_system_sgpr_workgroup_info 0
		.amdhsa_system_vgpr_workitem_id 0
		.amdhsa_next_free_vgpr 1
		.amdhsa_next_free_sgpr 1
		.amdhsa_reserve_vcc 0
		.amdhsa_float_round_mode_32 0
		.amdhsa_float_round_mode_16_64 0
		.amdhsa_float_denorm_mode_32 3
		.amdhsa_float_denorm_mode_16_64 3
		.amdhsa_dx10_clamp 1
		.amdhsa_ieee_mode 1
		.amdhsa_fp16_overflow 0
		.amdhsa_workgroup_processor_mode 1
		.amdhsa_memory_ordered 1
		.amdhsa_forward_progress 0
		.amdhsa_shared_vgpr_count 0
		.amdhsa_exception_fp_ieee_invalid_op 0
		.amdhsa_exception_fp_denorm_src 0
		.amdhsa_exception_fp_ieee_div_zero 0
		.amdhsa_exception_fp_ieee_overflow 0
		.amdhsa_exception_fp_ieee_underflow 0
		.amdhsa_exception_fp_ieee_inexact 0
		.amdhsa_exception_int_div_zero 0
	.end_amdhsa_kernel
	.section	.text._ZN7rocprim17ROCPRIM_400000_NS6detail17trampoline_kernelINS0_14default_configENS1_25partition_config_selectorILNS1_17partition_subalgoE9ExjbEEZZNS1_14partition_implILS5_9ELb0ES3_jN6thrust23THRUST_200600_302600_NS6detail15normal_iteratorINS9_10device_ptrIxEEEENSB_INSC_IjEEEEPNS0_10empty_typeENS0_5tupleIJNS9_16discard_iteratorINS9_11use_defaultEEESH_EEENSJ_IJSG_SI_EEENS0_18inequality_wrapperINS9_8equal_toIxEEEEPmJSH_EEE10hipError_tPvRmT3_T4_T5_T6_T7_T9_mT8_P12ihipStream_tbDpT10_ENKUlT_T0_E_clISt17integral_constantIbLb0EES1D_EEDaS18_S19_EUlS18_E_NS1_11comp_targetILNS1_3genE10ELNS1_11target_archE1200ELNS1_3gpuE4ELNS1_3repE0EEENS1_30default_config_static_selectorELNS0_4arch9wavefront6targetE0EEEvT1_,"axG",@progbits,_ZN7rocprim17ROCPRIM_400000_NS6detail17trampoline_kernelINS0_14default_configENS1_25partition_config_selectorILNS1_17partition_subalgoE9ExjbEEZZNS1_14partition_implILS5_9ELb0ES3_jN6thrust23THRUST_200600_302600_NS6detail15normal_iteratorINS9_10device_ptrIxEEEENSB_INSC_IjEEEEPNS0_10empty_typeENS0_5tupleIJNS9_16discard_iteratorINS9_11use_defaultEEESH_EEENSJ_IJSG_SI_EEENS0_18inequality_wrapperINS9_8equal_toIxEEEEPmJSH_EEE10hipError_tPvRmT3_T4_T5_T6_T7_T9_mT8_P12ihipStream_tbDpT10_ENKUlT_T0_E_clISt17integral_constantIbLb0EES1D_EEDaS18_S19_EUlS18_E_NS1_11comp_targetILNS1_3genE10ELNS1_11target_archE1200ELNS1_3gpuE4ELNS1_3repE0EEENS1_30default_config_static_selectorELNS0_4arch9wavefront6targetE0EEEvT1_,comdat
.Lfunc_end1050:
	.size	_ZN7rocprim17ROCPRIM_400000_NS6detail17trampoline_kernelINS0_14default_configENS1_25partition_config_selectorILNS1_17partition_subalgoE9ExjbEEZZNS1_14partition_implILS5_9ELb0ES3_jN6thrust23THRUST_200600_302600_NS6detail15normal_iteratorINS9_10device_ptrIxEEEENSB_INSC_IjEEEEPNS0_10empty_typeENS0_5tupleIJNS9_16discard_iteratorINS9_11use_defaultEEESH_EEENSJ_IJSG_SI_EEENS0_18inequality_wrapperINS9_8equal_toIxEEEEPmJSH_EEE10hipError_tPvRmT3_T4_T5_T6_T7_T9_mT8_P12ihipStream_tbDpT10_ENKUlT_T0_E_clISt17integral_constantIbLb0EES1D_EEDaS18_S19_EUlS18_E_NS1_11comp_targetILNS1_3genE10ELNS1_11target_archE1200ELNS1_3gpuE4ELNS1_3repE0EEENS1_30default_config_static_selectorELNS0_4arch9wavefront6targetE0EEEvT1_, .Lfunc_end1050-_ZN7rocprim17ROCPRIM_400000_NS6detail17trampoline_kernelINS0_14default_configENS1_25partition_config_selectorILNS1_17partition_subalgoE9ExjbEEZZNS1_14partition_implILS5_9ELb0ES3_jN6thrust23THRUST_200600_302600_NS6detail15normal_iteratorINS9_10device_ptrIxEEEENSB_INSC_IjEEEEPNS0_10empty_typeENS0_5tupleIJNS9_16discard_iteratorINS9_11use_defaultEEESH_EEENSJ_IJSG_SI_EEENS0_18inequality_wrapperINS9_8equal_toIxEEEEPmJSH_EEE10hipError_tPvRmT3_T4_T5_T6_T7_T9_mT8_P12ihipStream_tbDpT10_ENKUlT_T0_E_clISt17integral_constantIbLb0EES1D_EEDaS18_S19_EUlS18_E_NS1_11comp_targetILNS1_3genE10ELNS1_11target_archE1200ELNS1_3gpuE4ELNS1_3repE0EEENS1_30default_config_static_selectorELNS0_4arch9wavefront6targetE0EEEvT1_
                                        ; -- End function
	.section	.AMDGPU.csdata,"",@progbits
; Kernel info:
; codeLenInByte = 0
; NumSgprs: 0
; NumVgprs: 0
; ScratchSize: 0
; MemoryBound: 0
; FloatMode: 240
; IeeeMode: 1
; LDSByteSize: 0 bytes/workgroup (compile time only)
; SGPRBlocks: 0
; VGPRBlocks: 0
; NumSGPRsForWavesPerEU: 1
; NumVGPRsForWavesPerEU: 1
; Occupancy: 15
; WaveLimiterHint : 0
; COMPUTE_PGM_RSRC2:SCRATCH_EN: 0
; COMPUTE_PGM_RSRC2:USER_SGPR: 15
; COMPUTE_PGM_RSRC2:TRAP_HANDLER: 0
; COMPUTE_PGM_RSRC2:TGID_X_EN: 1
; COMPUTE_PGM_RSRC2:TGID_Y_EN: 0
; COMPUTE_PGM_RSRC2:TGID_Z_EN: 0
; COMPUTE_PGM_RSRC2:TIDIG_COMP_CNT: 0
	.section	.text._ZN7rocprim17ROCPRIM_400000_NS6detail17trampoline_kernelINS0_14default_configENS1_25partition_config_selectorILNS1_17partition_subalgoE9ExjbEEZZNS1_14partition_implILS5_9ELb0ES3_jN6thrust23THRUST_200600_302600_NS6detail15normal_iteratorINS9_10device_ptrIxEEEENSB_INSC_IjEEEEPNS0_10empty_typeENS0_5tupleIJNS9_16discard_iteratorINS9_11use_defaultEEESH_EEENSJ_IJSG_SI_EEENS0_18inequality_wrapperINS9_8equal_toIxEEEEPmJSH_EEE10hipError_tPvRmT3_T4_T5_T6_T7_T9_mT8_P12ihipStream_tbDpT10_ENKUlT_T0_E_clISt17integral_constantIbLb0EES1D_EEDaS18_S19_EUlS18_E_NS1_11comp_targetILNS1_3genE9ELNS1_11target_archE1100ELNS1_3gpuE3ELNS1_3repE0EEENS1_30default_config_static_selectorELNS0_4arch9wavefront6targetE0EEEvT1_,"axG",@progbits,_ZN7rocprim17ROCPRIM_400000_NS6detail17trampoline_kernelINS0_14default_configENS1_25partition_config_selectorILNS1_17partition_subalgoE9ExjbEEZZNS1_14partition_implILS5_9ELb0ES3_jN6thrust23THRUST_200600_302600_NS6detail15normal_iteratorINS9_10device_ptrIxEEEENSB_INSC_IjEEEEPNS0_10empty_typeENS0_5tupleIJNS9_16discard_iteratorINS9_11use_defaultEEESH_EEENSJ_IJSG_SI_EEENS0_18inequality_wrapperINS9_8equal_toIxEEEEPmJSH_EEE10hipError_tPvRmT3_T4_T5_T6_T7_T9_mT8_P12ihipStream_tbDpT10_ENKUlT_T0_E_clISt17integral_constantIbLb0EES1D_EEDaS18_S19_EUlS18_E_NS1_11comp_targetILNS1_3genE9ELNS1_11target_archE1100ELNS1_3gpuE3ELNS1_3repE0EEENS1_30default_config_static_selectorELNS0_4arch9wavefront6targetE0EEEvT1_,comdat
	.protected	_ZN7rocprim17ROCPRIM_400000_NS6detail17trampoline_kernelINS0_14default_configENS1_25partition_config_selectorILNS1_17partition_subalgoE9ExjbEEZZNS1_14partition_implILS5_9ELb0ES3_jN6thrust23THRUST_200600_302600_NS6detail15normal_iteratorINS9_10device_ptrIxEEEENSB_INSC_IjEEEEPNS0_10empty_typeENS0_5tupleIJNS9_16discard_iteratorINS9_11use_defaultEEESH_EEENSJ_IJSG_SI_EEENS0_18inequality_wrapperINS9_8equal_toIxEEEEPmJSH_EEE10hipError_tPvRmT3_T4_T5_T6_T7_T9_mT8_P12ihipStream_tbDpT10_ENKUlT_T0_E_clISt17integral_constantIbLb0EES1D_EEDaS18_S19_EUlS18_E_NS1_11comp_targetILNS1_3genE9ELNS1_11target_archE1100ELNS1_3gpuE3ELNS1_3repE0EEENS1_30default_config_static_selectorELNS0_4arch9wavefront6targetE0EEEvT1_ ; -- Begin function _ZN7rocprim17ROCPRIM_400000_NS6detail17trampoline_kernelINS0_14default_configENS1_25partition_config_selectorILNS1_17partition_subalgoE9ExjbEEZZNS1_14partition_implILS5_9ELb0ES3_jN6thrust23THRUST_200600_302600_NS6detail15normal_iteratorINS9_10device_ptrIxEEEENSB_INSC_IjEEEEPNS0_10empty_typeENS0_5tupleIJNS9_16discard_iteratorINS9_11use_defaultEEESH_EEENSJ_IJSG_SI_EEENS0_18inequality_wrapperINS9_8equal_toIxEEEEPmJSH_EEE10hipError_tPvRmT3_T4_T5_T6_T7_T9_mT8_P12ihipStream_tbDpT10_ENKUlT_T0_E_clISt17integral_constantIbLb0EES1D_EEDaS18_S19_EUlS18_E_NS1_11comp_targetILNS1_3genE9ELNS1_11target_archE1100ELNS1_3gpuE3ELNS1_3repE0EEENS1_30default_config_static_selectorELNS0_4arch9wavefront6targetE0EEEvT1_
	.globl	_ZN7rocprim17ROCPRIM_400000_NS6detail17trampoline_kernelINS0_14default_configENS1_25partition_config_selectorILNS1_17partition_subalgoE9ExjbEEZZNS1_14partition_implILS5_9ELb0ES3_jN6thrust23THRUST_200600_302600_NS6detail15normal_iteratorINS9_10device_ptrIxEEEENSB_INSC_IjEEEEPNS0_10empty_typeENS0_5tupleIJNS9_16discard_iteratorINS9_11use_defaultEEESH_EEENSJ_IJSG_SI_EEENS0_18inequality_wrapperINS9_8equal_toIxEEEEPmJSH_EEE10hipError_tPvRmT3_T4_T5_T6_T7_T9_mT8_P12ihipStream_tbDpT10_ENKUlT_T0_E_clISt17integral_constantIbLb0EES1D_EEDaS18_S19_EUlS18_E_NS1_11comp_targetILNS1_3genE9ELNS1_11target_archE1100ELNS1_3gpuE3ELNS1_3repE0EEENS1_30default_config_static_selectorELNS0_4arch9wavefront6targetE0EEEvT1_
	.p2align	8
	.type	_ZN7rocprim17ROCPRIM_400000_NS6detail17trampoline_kernelINS0_14default_configENS1_25partition_config_selectorILNS1_17partition_subalgoE9ExjbEEZZNS1_14partition_implILS5_9ELb0ES3_jN6thrust23THRUST_200600_302600_NS6detail15normal_iteratorINS9_10device_ptrIxEEEENSB_INSC_IjEEEEPNS0_10empty_typeENS0_5tupleIJNS9_16discard_iteratorINS9_11use_defaultEEESH_EEENSJ_IJSG_SI_EEENS0_18inequality_wrapperINS9_8equal_toIxEEEEPmJSH_EEE10hipError_tPvRmT3_T4_T5_T6_T7_T9_mT8_P12ihipStream_tbDpT10_ENKUlT_T0_E_clISt17integral_constantIbLb0EES1D_EEDaS18_S19_EUlS18_E_NS1_11comp_targetILNS1_3genE9ELNS1_11target_archE1100ELNS1_3gpuE3ELNS1_3repE0EEENS1_30default_config_static_selectorELNS0_4arch9wavefront6targetE0EEEvT1_,@function
_ZN7rocprim17ROCPRIM_400000_NS6detail17trampoline_kernelINS0_14default_configENS1_25partition_config_selectorILNS1_17partition_subalgoE9ExjbEEZZNS1_14partition_implILS5_9ELb0ES3_jN6thrust23THRUST_200600_302600_NS6detail15normal_iteratorINS9_10device_ptrIxEEEENSB_INSC_IjEEEEPNS0_10empty_typeENS0_5tupleIJNS9_16discard_iteratorINS9_11use_defaultEEESH_EEENSJ_IJSG_SI_EEENS0_18inequality_wrapperINS9_8equal_toIxEEEEPmJSH_EEE10hipError_tPvRmT3_T4_T5_T6_T7_T9_mT8_P12ihipStream_tbDpT10_ENKUlT_T0_E_clISt17integral_constantIbLb0EES1D_EEDaS18_S19_EUlS18_E_NS1_11comp_targetILNS1_3genE9ELNS1_11target_archE1100ELNS1_3gpuE3ELNS1_3repE0EEENS1_30default_config_static_selectorELNS0_4arch9wavefront6targetE0EEEvT1_: ; @_ZN7rocprim17ROCPRIM_400000_NS6detail17trampoline_kernelINS0_14default_configENS1_25partition_config_selectorILNS1_17partition_subalgoE9ExjbEEZZNS1_14partition_implILS5_9ELb0ES3_jN6thrust23THRUST_200600_302600_NS6detail15normal_iteratorINS9_10device_ptrIxEEEENSB_INSC_IjEEEEPNS0_10empty_typeENS0_5tupleIJNS9_16discard_iteratorINS9_11use_defaultEEESH_EEENSJ_IJSG_SI_EEENS0_18inequality_wrapperINS9_8equal_toIxEEEEPmJSH_EEE10hipError_tPvRmT3_T4_T5_T6_T7_T9_mT8_P12ihipStream_tbDpT10_ENKUlT_T0_E_clISt17integral_constantIbLb0EES1D_EEDaS18_S19_EUlS18_E_NS1_11comp_targetILNS1_3genE9ELNS1_11target_archE1100ELNS1_3gpuE3ELNS1_3repE0EEENS1_30default_config_static_selectorELNS0_4arch9wavefront6targetE0EEEvT1_
; %bb.0:
	s_clause 0x4
	s_load_b128 s[4:7], s[0:1], 0x8
	s_load_b32 s14, s[0:1], 0x70
	s_load_b128 s[16:19], s[0:1], 0x48
	s_load_b64 s[2:3], s[0:1], 0x58
	s_load_b64 s[12:13], s[0:1], 0x18
	s_mov_b32 s9, 0
	v_lshlrev_b32_e32 v29, 3, v0
	v_lshrrev_b32_e32 v24, 2, v0
	v_or_b32_e32 v21, 0x200, v0
	v_or_b32_e32 v20, 0x400, v0
	;; [unrolled: 1-line block ×7, first 2 shown]
	s_waitcnt lgkmcnt(0)
	s_lshl_b64 s[10:11], s[6:7], 3
	s_delay_alu instid0(SALU_CYCLE_1)
	s_add_u32 s21, s4, s10
	s_addc_u32 s22, s5, s11
	s_add_i32 s20, s14, -1
	s_load_b64 s[10:11], s[18:19], 0x0
	s_lshl_b32 s4, s20, 12
	s_lshl_b32 s5, s14, 12
	s_add_i32 s4, s6, s4
	s_lshl_b32 s8, s15, 12
	s_sub_i32 s19, s2, s4
	s_add_u32 s4, s6, s5
	s_addc_u32 s5, s7, 0
	s_cmp_eq_u32 s15, s20
	v_cmp_ge_u64_e64 s2, s[4:5], s[2:3]
	s_cselect_b32 s14, -1, 0
	s_mov_b32 s5, -1
	s_delay_alu instid0(VALU_DEP_1)
	s_and_b32 s20, s14, s2
	s_lshl_b64 s[2:3], s[8:9], 3
	s_xor_b32 s18, s20, -1
	s_add_u32 s4, s21, s2
	s_addc_u32 s3, s22, s3
	s_and_b32 vcc_lo, exec_lo, s18
	s_cbranch_vccz .LBB1051_2
; %bb.1:
	v_add_co_u32 v1, s2, s4, v29
	s_delay_alu instid0(VALU_DEP_1) | instskip(SKIP_1) | instid1(VALU_DEP_3)
	v_add_co_ci_u32_e64 v2, null, s3, 0, s2
	v_lshrrev_b32_e32 v26, 2, v21
	v_add_co_u32 v3, vcc_lo, 0x1000, v1
	s_delay_alu instid0(VALU_DEP_3)
	v_add_co_ci_u32_e32 v4, vcc_lo, 0, v2, vcc_lo
	v_add_co_u32 v5, vcc_lo, 0x2000, v1
	v_add_co_ci_u32_e32 v6, vcc_lo, 0, v2, vcc_lo
	v_add_co_u32 v7, vcc_lo, 0x3000, v1
	;; [unrolled: 2-line block ×6, first 2 shown]
	v_add_co_ci_u32_e32 v16, vcc_lo, 0, v2, vcc_lo
	s_clause 0x7
	flat_load_b64 v[1:2], v[1:2]
	flat_load_b64 v[3:4], v[3:4]
	;; [unrolled: 1-line block ×8, first 2 shown]
	v_lshrrev_b32_e32 v27, 2, v20
	v_lshrrev_b32_e32 v28, 2, v23
	;; [unrolled: 1-line block ×3, first 2 shown]
	v_and_b32_e32 v25, 0x78, v24
	v_lshrrev_b32_e32 v31, 2, v18
	v_lshrrev_b32_e32 v32, 2, v17
	;; [unrolled: 1-line block ×3, first 2 shown]
	v_and_b32_e32 v26, 0xf8, v26
	v_and_b32_e32 v27, 0x178, v27
	;; [unrolled: 1-line block ×4, first 2 shown]
	v_add_nc_u32_e32 v25, v25, v29
	v_and_b32_e32 v31, 0x2f8, v31
	v_and_b32_e32 v32, 0x378, v32
	;; [unrolled: 1-line block ×3, first 2 shown]
	v_add_nc_u32_e32 v26, v26, v29
	v_add_nc_u32_e32 v27, v27, v29
	;; [unrolled: 1-line block ×4, first 2 shown]
	s_mov_b32 s5, s9
	v_add_nc_u32_e32 v31, v31, v29
	v_add_nc_u32_e32 v32, v32, v29
	;; [unrolled: 1-line block ×3, first 2 shown]
	s_waitcnt vmcnt(7) lgkmcnt(0)
	ds_store_b64 v25, v[1:2]
	s_waitcnt vmcnt(6)
	ds_store_b64 v26, v[3:4] offset:4096
	s_waitcnt vmcnt(5)
	ds_store_b64 v27, v[5:6] offset:8192
	;; [unrolled: 2-line block ×7, first 2 shown]
	s_waitcnt lgkmcnt(0)
	s_barrier
.LBB1051_2:
	v_cmp_gt_u32_e64 s2, s19, v0
	s_and_not1_b32 vcc_lo, exec_lo, s5
	s_cbranch_vccnz .LBB1051_20
; %bb.3:
                                        ; implicit-def: $vgpr1_vgpr2_vgpr3_vgpr4_vgpr5_vgpr6_vgpr7_vgpr8_vgpr9_vgpr10_vgpr11_vgpr12_vgpr13_vgpr14_vgpr15_vgpr16
	s_delay_alu instid0(VALU_DEP_1)
	s_and_saveexec_b32 s5, s2
	s_cbranch_execz .LBB1051_11
; %bb.4:
	v_add_co_u32 v1, s2, s4, v29
	s_delay_alu instid0(VALU_DEP_1) | instskip(SKIP_2) | instid1(SALU_CYCLE_1)
	v_add_co_ci_u32_e64 v2, null, s3, 0, s2
	flat_load_b64 v[1:2], v[1:2]
	s_or_b32 exec_lo, exec_lo, s5
	s_mov_b32 s2, exec_lo
	v_cmpx_gt_u32_e64 s19, v21
	s_cbranch_execnz .LBB1051_12
.LBB1051_5:
	s_or_b32 exec_lo, exec_lo, s2
	s_delay_alu instid0(SALU_CYCLE_1)
	s_mov_b32 s2, exec_lo
	v_cmpx_gt_u32_e64 s19, v20
	s_cbranch_execz .LBB1051_13
.LBB1051_6:
	v_lshlrev_b32_e32 v5, 3, v20
	s_delay_alu instid0(VALU_DEP_1) | instskip(NEXT) | instid1(VALU_DEP_1)
	v_add_co_u32 v5, s5, s4, v5
	v_add_co_ci_u32_e64 v6, null, s3, 0, s5
	flat_load_b64 v[5:6], v[5:6]
	s_or_b32 exec_lo, exec_lo, s2
	s_delay_alu instid0(SALU_CYCLE_1)
	s_mov_b32 s2, exec_lo
	v_cmpx_gt_u32_e64 s19, v23
	s_cbranch_execnz .LBB1051_14
.LBB1051_7:
	s_or_b32 exec_lo, exec_lo, s2
	s_delay_alu instid0(SALU_CYCLE_1)
	s_mov_b32 s2, exec_lo
	v_cmpx_gt_u32_e64 s19, v22
	s_cbranch_execz .LBB1051_15
.LBB1051_8:
	v_lshlrev_b32_e32 v9, 3, v22
	s_delay_alu instid0(VALU_DEP_1) | instskip(NEXT) | instid1(VALU_DEP_1)
	v_add_co_u32 v9, s5, s4, v9
	v_add_co_ci_u32_e64 v10, null, s3, 0, s5
	flat_load_b64 v[9:10], v[9:10]
	s_or_b32 exec_lo, exec_lo, s2
	s_delay_alu instid0(SALU_CYCLE_1)
	s_mov_b32 s2, exec_lo
	v_cmpx_gt_u32_e64 s19, v18
	s_cbranch_execnz .LBB1051_16
.LBB1051_9:
	s_or_b32 exec_lo, exec_lo, s2
	s_delay_alu instid0(SALU_CYCLE_1)
	s_mov_b32 s2, exec_lo
	v_cmpx_gt_u32_e64 s19, v17
	s_cbranch_execz .LBB1051_17
.LBB1051_10:
	v_lshlrev_b32_e32 v13, 3, v17
	s_delay_alu instid0(VALU_DEP_1) | instskip(NEXT) | instid1(VALU_DEP_1)
	v_add_co_u32 v13, s5, s4, v13
	v_add_co_ci_u32_e64 v14, null, s3, 0, s5
	flat_load_b64 v[13:14], v[13:14]
	s_or_b32 exec_lo, exec_lo, s2
	s_delay_alu instid0(SALU_CYCLE_1)
	s_mov_b32 s2, exec_lo
	v_cmpx_gt_u32_e64 s19, v19
	s_cbranch_execnz .LBB1051_18
	s_branch .LBB1051_19
.LBB1051_11:
	s_or_b32 exec_lo, exec_lo, s5
	s_delay_alu instid0(SALU_CYCLE_1)
	s_mov_b32 s2, exec_lo
	v_cmpx_gt_u32_e64 s19, v21
	s_cbranch_execz .LBB1051_5
.LBB1051_12:
	v_lshlrev_b32_e32 v3, 3, v21
	s_delay_alu instid0(VALU_DEP_1) | instskip(NEXT) | instid1(VALU_DEP_1)
	v_add_co_u32 v3, s5, s4, v3
	v_add_co_ci_u32_e64 v4, null, s3, 0, s5
	flat_load_b64 v[3:4], v[3:4]
	s_or_b32 exec_lo, exec_lo, s2
	s_delay_alu instid0(SALU_CYCLE_1)
	s_mov_b32 s2, exec_lo
	v_cmpx_gt_u32_e64 s19, v20
	s_cbranch_execnz .LBB1051_6
.LBB1051_13:
	s_or_b32 exec_lo, exec_lo, s2
	s_delay_alu instid0(SALU_CYCLE_1)
	s_mov_b32 s2, exec_lo
	v_cmpx_gt_u32_e64 s19, v23
	s_cbranch_execz .LBB1051_7
.LBB1051_14:
	v_lshlrev_b32_e32 v7, 3, v23
	s_delay_alu instid0(VALU_DEP_1) | instskip(NEXT) | instid1(VALU_DEP_1)
	v_add_co_u32 v7, s5, s4, v7
	v_add_co_ci_u32_e64 v8, null, s3, 0, s5
	flat_load_b64 v[7:8], v[7:8]
	s_or_b32 exec_lo, exec_lo, s2
	s_delay_alu instid0(SALU_CYCLE_1)
	s_mov_b32 s2, exec_lo
	v_cmpx_gt_u32_e64 s19, v22
	s_cbranch_execnz .LBB1051_8
.LBB1051_15:
	s_or_b32 exec_lo, exec_lo, s2
	s_delay_alu instid0(SALU_CYCLE_1)
	s_mov_b32 s2, exec_lo
	v_cmpx_gt_u32_e64 s19, v18
	s_cbranch_execz .LBB1051_9
.LBB1051_16:
	v_lshlrev_b32_e32 v11, 3, v18
	s_delay_alu instid0(VALU_DEP_1) | instskip(NEXT) | instid1(VALU_DEP_1)
	v_add_co_u32 v11, s5, s4, v11
	v_add_co_ci_u32_e64 v12, null, s3, 0, s5
	flat_load_b64 v[11:12], v[11:12]
	s_or_b32 exec_lo, exec_lo, s2
	s_delay_alu instid0(SALU_CYCLE_1)
	s_mov_b32 s2, exec_lo
	v_cmpx_gt_u32_e64 s19, v17
	s_cbranch_execnz .LBB1051_10
.LBB1051_17:
	s_or_b32 exec_lo, exec_lo, s2
	s_delay_alu instid0(SALU_CYCLE_1)
	s_mov_b32 s2, exec_lo
	v_cmpx_gt_u32_e64 s19, v19
	s_cbranch_execz .LBB1051_19
.LBB1051_18:
	v_lshlrev_b32_e32 v15, 3, v19
	s_delay_alu instid0(VALU_DEP_1) | instskip(NEXT) | instid1(VALU_DEP_1)
	v_add_co_u32 v15, s5, s4, v15
	v_add_co_ci_u32_e64 v16, null, s3, 0, s5
	flat_load_b64 v[15:16], v[15:16]
.LBB1051_19:
	s_or_b32 exec_lo, exec_lo, s2
	v_lshrrev_b32_e32 v25, 2, v21
	v_lshrrev_b32_e32 v26, 2, v20
	v_lshrrev_b32_e32 v28, 2, v23
	v_lshrrev_b32_e32 v30, 2, v22
	v_and_b32_e32 v27, 0x78, v24
	v_lshrrev_b32_e32 v31, 2, v18
	v_lshrrev_b32_e32 v32, 2, v17
	v_lshrrev_b32_e32 v33, 2, v19
	v_and_b32_e32 v25, 0xf8, v25
	v_and_b32_e32 v26, 0x1f8, v26
	;; [unrolled: 1-line block ×4, first 2 shown]
	v_add_nc_u32_e32 v27, v27, v29
	v_and_b32_e32 v31, 0x3f8, v31
	v_and_b32_e32 v32, 0x3f8, v32
	;; [unrolled: 1-line block ×3, first 2 shown]
	v_add_nc_u32_e32 v25, v25, v29
	v_add_nc_u32_e32 v26, v26, v29
	;; [unrolled: 1-line block ×7, first 2 shown]
	s_waitcnt vmcnt(0) lgkmcnt(0)
	ds_store_b64 v27, v[1:2]
	ds_store_b64 v25, v[3:4] offset:4096
	ds_store_b64 v26, v[5:6] offset:8192
	;; [unrolled: 1-line block ×7, first 2 shown]
	s_waitcnt lgkmcnt(0)
	s_barrier
.LBB1051_20:
	v_add_nc_u32_e32 v24, v24, v29
	s_waitcnt lgkmcnt(0)
	buffer_gl0_inv
	s_lshl_b64 s[22:23], s[6:7], 2
	v_lshrrev_b32_e32 v26, 3, v0
	s_add_u32 s2, s12, s22
	v_lshlrev_b32_e32 v25, 3, v24
	s_addc_u32 s5, s13, s23
	s_lshl_b64 s[8:9], s[8:9], 2
	ds_load_2addr_b64 v[13:16], v25 offset1:1
	ds_load_2addr_b64 v[9:12], v25 offset0:2 offset1:3
	ds_load_2addr_b64 v[5:8], v25 offset0:4 offset1:5
	;; [unrolled: 1-line block ×3, first 2 shown]
	s_add_u32 s2, s2, s8
	s_addc_u32 s5, s5, s9
	s_and_b32 vcc_lo, exec_lo, s18
	s_mov_b32 s8, -1
	s_waitcnt lgkmcnt(0)
	s_barrier
	buffer_gl0_inv
	s_cbranch_vccz .LBB1051_22
; %bb.21:
	v_lshlrev_b32_e32 v36, 2, v0
	v_lshrrev_b32_e32 v38, 3, v21
	v_lshrrev_b32_e32 v39, 3, v20
	v_lshrrev_b32_e32 v40, 3, v23
	v_lshrrev_b32_e32 v41, 3, v22
	v_add_co_u32 v27, s8, s2, v36
	s_delay_alu instid0(VALU_DEP_1) | instskip(SKIP_1) | instid1(VALU_DEP_3)
	v_add_co_ci_u32_e64 v28, null, s5, 0, s8
	v_lshrrev_b32_e32 v42, 3, v18
	v_add_co_u32 v30, vcc_lo, 0x1000, v27
	s_delay_alu instid0(VALU_DEP_3)
	v_add_co_ci_u32_e32 v31, vcc_lo, 0, v28, vcc_lo
	v_add_co_u32 v32, vcc_lo, 0x2000, v27
	v_add_co_ci_u32_e32 v33, vcc_lo, 0, v28, vcc_lo
	v_add_co_u32 v34, vcc_lo, 0x3000, v27
	v_add_co_ci_u32_e32 v35, vcc_lo, 0, v28, vcc_lo
	s_clause 0x7
	flat_load_b32 v37, v[27:28]
	flat_load_b32 v27, v[27:28] offset:2048
	flat_load_b32 v28, v[30:31]
	flat_load_b32 v30, v[30:31] offset:2048
	;; [unrolled: 2-line block ×4, first 2 shown]
	v_and_b32_e32 v35, 60, v26
	v_lshrrev_b32_e32 v43, 3, v17
	v_lshrrev_b32_e32 v44, 3, v19
	v_and_b32_e32 v38, 0x7c, v38
	v_and_b32_e32 v39, 0xbc, v39
	;; [unrolled: 1-line block ×4, first 2 shown]
	v_add_nc_u32_e32 v35, v35, v36
	v_and_b32_e32 v42, 0x17c, v42
	v_and_b32_e32 v43, 0x1bc, v43
	v_and_b32_e32 v44, 0x1fc, v44
	v_add_nc_u32_e32 v38, v38, v36
	v_add_nc_u32_e32 v39, v39, v36
	;; [unrolled: 1-line block ×4, first 2 shown]
	s_mov_b32 s8, 0
	v_add_nc_u32_e32 v42, v42, v36
	v_add_nc_u32_e32 v43, v43, v36
	;; [unrolled: 1-line block ×3, first 2 shown]
	s_waitcnt vmcnt(7) lgkmcnt(7)
	ds_store_b32 v35, v37
	s_waitcnt vmcnt(6) lgkmcnt(7)
	ds_store_b32 v38, v27 offset:2048
	s_waitcnt vmcnt(5) lgkmcnt(7)
	ds_store_b32 v39, v28 offset:4096
	;; [unrolled: 2-line block ×7, first 2 shown]
	s_waitcnt lgkmcnt(0)
	s_barrier
.LBB1051_22:
	s_and_not1_b32 vcc_lo, exec_lo, s8
	s_cbranch_vccnz .LBB1051_40
; %bb.23:
	s_mov_b32 s8, exec_lo
                                        ; implicit-def: $vgpr27
	v_cmpx_gt_u32_e64 s19, v0
	s_cbranch_execz .LBB1051_25
; %bb.24:
	v_lshlrev_b32_e32 v27, 2, v0
	s_delay_alu instid0(VALU_DEP_1) | instskip(NEXT) | instid1(VALU_DEP_1)
	v_add_co_u32 v27, s9, s2, v27
	v_add_co_ci_u32_e64 v28, null, s5, 0, s9
	flat_load_b32 v27, v[27:28]
.LBB1051_25:
	s_or_b32 exec_lo, exec_lo, s8
	s_delay_alu instid0(SALU_CYCLE_1)
	s_mov_b32 s8, exec_lo
                                        ; implicit-def: $vgpr28
	v_cmpx_gt_u32_e64 s19, v21
	s_cbranch_execz .LBB1051_27
; %bb.26:
	v_lshlrev_b32_e32 v28, 2, v0
	s_delay_alu instid0(VALU_DEP_1) | instskip(NEXT) | instid1(VALU_DEP_1)
	v_add_co_u32 v30, s9, s2, v28
	v_add_co_ci_u32_e64 v31, null, s5, 0, s9
	flat_load_b32 v28, v[30:31] offset:2048
.LBB1051_27:
	s_or_b32 exec_lo, exec_lo, s8
	s_delay_alu instid0(SALU_CYCLE_1)
	s_mov_b32 s8, exec_lo
                                        ; implicit-def: $vgpr30
	v_cmpx_gt_u32_e64 s19, v20
	s_cbranch_execz .LBB1051_29
; %bb.28:
	v_lshlrev_b32_e32 v30, 2, v20
	s_delay_alu instid0(VALU_DEP_1) | instskip(NEXT) | instid1(VALU_DEP_1)
	v_add_co_u32 v30, s9, s2, v30
	v_add_co_ci_u32_e64 v31, null, s5, 0, s9
	flat_load_b32 v30, v[30:31]
.LBB1051_29:
	s_or_b32 exec_lo, exec_lo, s8
	s_delay_alu instid0(SALU_CYCLE_1)
	s_mov_b32 s8, exec_lo
                                        ; implicit-def: $vgpr31
	v_cmpx_gt_u32_e64 s19, v23
	s_cbranch_execz .LBB1051_31
; %bb.30:
	v_lshlrev_b32_e32 v31, 2, v23
	s_delay_alu instid0(VALU_DEP_1) | instskip(NEXT) | instid1(VALU_DEP_1)
	v_add_co_u32 v31, s9, s2, v31
	v_add_co_ci_u32_e64 v32, null, s5, 0, s9
	flat_load_b32 v31, v[31:32]
.LBB1051_31:
	s_or_b32 exec_lo, exec_lo, s8
	s_delay_alu instid0(SALU_CYCLE_1)
	s_mov_b32 s8, exec_lo
                                        ; implicit-def: $vgpr32
	v_cmpx_gt_u32_e64 s19, v22
	s_cbranch_execz .LBB1051_33
; %bb.32:
	v_lshlrev_b32_e32 v32, 2, v22
	s_delay_alu instid0(VALU_DEP_1) | instskip(NEXT) | instid1(VALU_DEP_1)
	v_add_co_u32 v32, s9, s2, v32
	v_add_co_ci_u32_e64 v33, null, s5, 0, s9
	flat_load_b32 v32, v[32:33]
.LBB1051_33:
	s_or_b32 exec_lo, exec_lo, s8
	s_delay_alu instid0(SALU_CYCLE_1)
	s_mov_b32 s8, exec_lo
                                        ; implicit-def: $vgpr33
	v_cmpx_gt_u32_e64 s19, v18
	s_cbranch_execz .LBB1051_35
; %bb.34:
	v_lshlrev_b32_e32 v33, 2, v18
	s_delay_alu instid0(VALU_DEP_1) | instskip(NEXT) | instid1(VALU_DEP_1)
	v_add_co_u32 v33, s9, s2, v33
	v_add_co_ci_u32_e64 v34, null, s5, 0, s9
	flat_load_b32 v33, v[33:34]
.LBB1051_35:
	s_or_b32 exec_lo, exec_lo, s8
	s_delay_alu instid0(SALU_CYCLE_1)
	s_mov_b32 s8, exec_lo
                                        ; implicit-def: $vgpr34
	v_cmpx_gt_u32_e64 s19, v17
	s_cbranch_execz .LBB1051_37
; %bb.36:
	v_lshlrev_b32_e32 v34, 2, v17
	s_delay_alu instid0(VALU_DEP_1) | instskip(NEXT) | instid1(VALU_DEP_1)
	v_add_co_u32 v34, s9, s2, v34
	v_add_co_ci_u32_e64 v35, null, s5, 0, s9
	flat_load_b32 v34, v[34:35]
.LBB1051_37:
	s_or_b32 exec_lo, exec_lo, s8
	s_delay_alu instid0(SALU_CYCLE_1)
	s_mov_b32 s8, exec_lo
                                        ; implicit-def: $vgpr35
	v_cmpx_gt_u32_e64 s19, v19
	s_cbranch_execz .LBB1051_39
; %bb.38:
	v_lshlrev_b32_e32 v35, 2, v19
	s_delay_alu instid0(VALU_DEP_1) | instskip(NEXT) | instid1(VALU_DEP_1)
	v_add_co_u32 v35, s2, s2, v35
	v_add_co_ci_u32_e64 v36, null, s5, 0, s2
	flat_load_b32 v35, v[35:36]
.LBB1051_39:
	s_or_b32 exec_lo, exec_lo, s8
	v_lshrrev_b32_e32 v21, 3, v21
	v_lshrrev_b32_e32 v20, 3, v20
	;; [unrolled: 1-line block ×4, first 2 shown]
	v_and_b32_e32 v26, 60, v26
	v_lshlrev_b32_e32 v36, 2, v0
	v_lshrrev_b32_e32 v18, 3, v18
	v_lshrrev_b32_e32 v17, 3, v17
	;; [unrolled: 1-line block ×3, first 2 shown]
	v_and_b32_e32 v21, 0x7c, v21
	v_and_b32_e32 v20, 0xfc, v20
	;; [unrolled: 1-line block ×4, first 2 shown]
	v_add_nc_u32_e32 v26, v26, v36
	v_and_b32_e32 v18, 0x1fc, v18
	v_and_b32_e32 v17, 0x1fc, v17
	;; [unrolled: 1-line block ×3, first 2 shown]
	v_add_nc_u32_e32 v21, v21, v36
	v_add_nc_u32_e32 v20, v20, v36
	;; [unrolled: 1-line block ×7, first 2 shown]
	s_waitcnt vmcnt(0) lgkmcnt(0)
	ds_store_b32 v26, v27
	ds_store_b32 v21, v28 offset:2048
	ds_store_b32 v20, v30 offset:4096
	;; [unrolled: 1-line block ×7, first 2 shown]
	s_waitcnt lgkmcnt(0)
	s_barrier
.LBB1051_40:
	v_lshlrev_b32_e32 v17, 2, v24
	buffer_gl0_inv
	s_cmp_lg_u32 s15, 0
	s_mov_b32 s12, 0
	s_cselect_b32 s9, -1, 0
	v_sub_nc_u32_e32 v17, v25, v17
	s_cmp_lg_u64 s[6:7], 0
	ds_load_2addr_b32 v[23:24], v17 offset1:1
	ds_load_2addr_b32 v[21:22], v17 offset0:2 offset1:3
	ds_load_2addr_b32 v[19:20], v17 offset0:4 offset1:5
	;; [unrolled: 1-line block ×3, first 2 shown]
	s_cselect_b32 s2, -1, 0
	s_waitcnt lgkmcnt(0)
	s_or_b32 s2, s9, s2
	s_barrier
	s_and_b32 vcc_lo, exec_lo, s2
	buffer_gl0_inv
	s_cbranch_vccz .LBB1051_45
; %bb.41:
	v_add_co_u32 v25, s2, -8, s4
	s_delay_alu instid0(VALU_DEP_1)
	v_add_co_ci_u32_e64 v26, null, -1, s3, s2
	s_mov_b32 s3, -1
	s_and_b32 vcc_lo, exec_lo, s18
	flat_load_b64 v[27:28], v[25:26]
	ds_store_b64 v29, v[3:4]
	s_cbranch_vccz .LBB1051_46
; %bb.42:
	s_waitcnt vmcnt(0) lgkmcnt(1)
	v_dual_mov_b32 v25, v27 :: v_dual_mov_b32 v26, v28
	s_mov_b32 s3, 0
	s_mov_b32 s2, exec_lo
	s_waitcnt lgkmcnt(0)
	s_barrier
	buffer_gl0_inv
	v_cmpx_ne_u32_e32 0, v0
	s_cbranch_execz .LBB1051_44
; %bb.43:
	v_add_nc_u32_e32 v25, -8, v29
	ds_load_b64 v[25:26], v25
.LBB1051_44:
	s_or_b32 exec_lo, exec_lo, s2
	v_cmp_ne_u64_e32 vcc_lo, v[1:2], v[3:4]
	s_waitcnt lgkmcnt(0)
	v_cmp_ne_u64_e64 s2, v[25:26], v[13:14]
	v_cndmask_b32_e64 v30, 0, 1, vcc_lo
	v_cmp_ne_u64_e32 vcc_lo, v[7:8], v[1:2]
	s_delay_alu instid0(VALU_DEP_2) | instskip(SKIP_2) | instid1(VALU_DEP_2)
	v_lshlrev_b16 v30, 8, v30
	v_cndmask_b32_e64 v31, 0, 1, vcc_lo
	v_cmp_ne_u64_e32 vcc_lo, v[5:6], v[7:8]
	v_or_b32_e32 v30, v31, v30
	v_cndmask_b32_e64 v32, 0, 1, vcc_lo
	v_cmp_ne_u64_e32 vcc_lo, v[9:10], v[11:12]
	s_delay_alu instid0(VALU_DEP_3) | instskip(NEXT) | instid1(VALU_DEP_3)
	v_lshlrev_b32_e32 v30, 16, v30
	v_lshlrev_b16 v32, 8, v32
	v_cndmask_b32_e64 v33, 0, 1, vcc_lo
	v_cmp_ne_u64_e32 vcc_lo, v[11:12], v[5:6]
	s_delay_alu instid0(VALU_DEP_2) | instskip(SKIP_2) | instid1(VALU_DEP_2)
	v_lshlrev_b16 v33, 8, v33
	v_cndmask_b32_e64 v34, 0, 1, vcc_lo
	v_cmp_ne_u64_e32 vcc_lo, v[15:16], v[9:10]
	v_or_b32_e32 v32, v34, v32
	v_cndmask_b32_e64 v35, 0, 1, vcc_lo
	v_cmp_ne_u64_e32 vcc_lo, v[13:14], v[15:16]
	s_delay_alu instid0(VALU_DEP_3) | instskip(NEXT) | instid1(VALU_DEP_3)
	v_and_b32_e32 v32, 0xffff, v32
	v_or_b32_e32 v33, v35, v33
	v_cndmask_b32_e64 v36, 0, 1, vcc_lo
	s_delay_alu instid0(VALU_DEP_3) | instskip(NEXT) | instid1(VALU_DEP_3)
	v_or_b32_e32 v26, v32, v30
	v_lshlrev_b32_e32 v31, 16, v33
	s_delay_alu instid0(VALU_DEP_3) | instskip(NEXT) | instid1(VALU_DEP_1)
	v_lshlrev_b16 v35, 8, v36
	v_and_b32_e32 v33, 0xffff, v35
	s_delay_alu instid0(VALU_DEP_1)
	v_or_b32_e32 v25, v33, v31
	s_and_b32 vcc_lo, exec_lo, s3
	s_cbranch_vccnz .LBB1051_47
	s_branch .LBB1051_50
.LBB1051_45:
                                        ; implicit-def: $sgpr2
                                        ; implicit-def: $vgpr26
	s_branch .LBB1051_51
.LBB1051_46:
                                        ; implicit-def: $sgpr2
                                        ; implicit-def: $vgpr26
	s_and_b32 vcc_lo, exec_lo, s3
	s_cbranch_vccz .LBB1051_50
.LBB1051_47:
	s_mov_b32 s2, exec_lo
	s_waitcnt vmcnt(0) lgkmcnt(0)
	s_barrier
	buffer_gl0_inv
	v_cmpx_ne_u32_e32 0, v0
	s_cbranch_execz .LBB1051_49
; %bb.48:
	v_add_nc_u32_e32 v25, -8, v29
	ds_load_b64 v[27:28], v25
.LBB1051_49:
	s_or_b32 exec_lo, exec_lo, s2
	v_or_b32_e32 v25, 7, v29
	v_or_b32_e32 v26, 6, v29
	v_cmp_ne_u64_e32 vcc_lo, v[1:2], v[3:4]
	v_or_b32_e32 v30, 5, v29
	v_cmp_ne_u64_e64 s3, v[7:8], v[1:2]
	v_cmp_gt_u32_e64 s2, s19, v25
	v_cmp_gt_u32_e64 s4, s19, v26
	v_cmp_ne_u64_e64 s5, v[5:6], v[7:8]
	v_cmp_gt_u32_e64 s6, s19, v30
	v_or_b32_e32 v30, 3, v29
	s_and_b32 s2, s2, vcc_lo
	v_or_b32_e32 v31, 4, v29
	v_cndmask_b32_e64 v25, 0, 1, s2
	s_and_b32 s2, s4, s3
	v_cmp_ne_u64_e32 vcc_lo, v[9:10], v[11:12]
	v_cndmask_b32_e64 v26, 0, 1, s2
	s_and_b32 s2, s6, s5
	v_cmp_gt_u32_e64 s3, s19, v31
	v_cndmask_b32_e64 v32, 0, 1, s2
	v_cmp_gt_u32_e64 s2, s19, v30
	v_or_b32_e32 v30, 2, v29
	v_or_b32_e32 v31, 1, v29
	v_cmp_ne_u64_e64 s4, v[11:12], v[5:6]
	v_cmp_ne_u64_e64 s6, v[13:14], v[15:16]
	s_and_b32 s2, s2, vcc_lo
	v_cmp_ne_u64_e32 vcc_lo, v[15:16], v[9:10]
	v_cndmask_b32_e64 v33, 0, 1, s2
	v_cmp_gt_u32_e64 s2, s19, v30
	v_cmp_gt_u32_e64 s5, s19, v31
	s_and_b32 s3, s3, s4
	v_lshlrev_b16 v32, 8, v32
	v_cndmask_b32_e64 v30, 0, 1, s3
	s_and_b32 s2, s2, vcc_lo
	v_lshlrev_b16 v33, 8, v33
	v_cndmask_b32_e64 v31, 0, 1, s2
	s_and_b32 s2, s5, s6
	v_lshlrev_b16 v25, 8, v25
	v_cndmask_b32_e64 v34, 0, 1, s2
	v_or_b32_e32 v30, v30, v32
	v_or_b32_e32 v31, v31, v33
	s_waitcnt lgkmcnt(0)
	v_cmp_ne_u64_e32 vcc_lo, v[27:28], v[13:14]
	v_or_b32_e32 v25, v26, v25
	v_lshlrev_b16 v33, 8, v34
	v_and_b32_e32 v30, 0xffff, v30
	v_lshlrev_b32_e32 v26, 16, v31
	v_cmp_gt_u32_e64 s2, s19, v29
	v_lshlrev_b32_e32 v32, 16, v25
	v_and_b32_e32 v31, 0xffff, v33
	s_delay_alu instid0(VALU_DEP_3) | instskip(NEXT) | instid1(VALU_DEP_1)
	s_and_b32 s2, s2, vcc_lo
	v_or_b32_e32 v25, v31, v26
	s_delay_alu instid0(VALU_DEP_3)
	v_or_b32_e32 v26, v30, v32
.LBB1051_50:
	s_mov_b32 s12, -1
	s_cbranch_execnz .LBB1051_59
.LBB1051_51:
	v_cmp_ne_u64_e64 s3, v[1:2], v[3:4]
	v_cmp_ne_u64_e64 s4, v[7:8], v[1:2]
	;; [unrolled: 1-line block ×7, first 2 shown]
	s_and_b32 vcc_lo, exec_lo, s18
	ds_store_b64 v29, v[3:4]
	s_cbranch_vccz .LBB1051_55
; %bb.52:
	v_cndmask_b32_e64 v25, 0, 1, s3
	s_waitcnt vmcnt(0) lgkmcnt(2)
	v_cndmask_b32_e64 v27, 0, 1, s5
	v_cndmask_b32_e64 v30, 0, 1, s7
	;; [unrolled: 1-line block ×6, first 2 shown]
	v_lshlrev_b16 v27, 8, v27
	v_lshlrev_b16 v25, 8, v25
	;; [unrolled: 1-line block ×4, first 2 shown]
	s_mov_b32 s3, 0
	v_or_b32_e32 v27, v28, v27
	v_or_b32_e32 v25, v26, v25
	;; [unrolled: 1-line block ×4, first 2 shown]
	s_mov_b32 s4, exec_lo
	v_and_b32_e32 v27, 0xffff, v27
	v_lshlrev_b32_e32 v25, 16, v25
	v_lshlrev_b32_e32 v30, 16, v26
	v_and_b32_e32 v28, 0xffff, v28
	s_waitcnt lgkmcnt(0)
	s_barrier
	v_or_b32_e32 v26, v27, v25
	buffer_gl0_inv
	v_or_b32_e32 v25, v28, v30
                                        ; implicit-def: $sgpr2
	v_cmpx_ne_u32_e32 0, v0
	s_xor_b32 s4, exec_lo, s4
	s_cbranch_execz .LBB1051_54
; %bb.53:
	v_add_nc_u32_e32 v27, -8, v29
	s_or_b32 s12, s12, exec_lo
	ds_load_b64 v[27:28], v27
	s_waitcnt lgkmcnt(0)
	v_cmp_ne_u64_e32 vcc_lo, v[27:28], v[13:14]
	s_and_b32 s2, vcc_lo, exec_lo
.LBB1051_54:
	s_or_b32 exec_lo, exec_lo, s4
	s_delay_alu instid0(SALU_CYCLE_1)
	s_and_b32 vcc_lo, exec_lo, s3
	s_cbranch_vccnz .LBB1051_56
	s_branch .LBB1051_59
.LBB1051_55:
                                        ; implicit-def: $sgpr2
                                        ; implicit-def: $vgpr26
	s_cbranch_execz .LBB1051_59
.LBB1051_56:
	v_or_b32_e32 v25, 7, v29
	v_or_b32_e32 v26, 6, v29
	v_cmp_ne_u64_e32 vcc_lo, v[1:2], v[3:4]
	v_cmp_ne_u64_e64 s2, v[7:8], v[1:2]
	s_waitcnt vmcnt(0) lgkmcnt(2)
	v_or_b32_e32 v27, 4, v29
	v_cmp_gt_u32_e64 s3, s19, v25
	v_or_b32_e32 v25, 5, v29
	v_cmp_gt_u32_e64 s5, s19, v26
	v_cmp_ne_u64_e64 s4, v[5:6], v[7:8]
	v_cmp_ne_u64_e64 s6, v[11:12], v[5:6]
	s_and_b32 s3, s3, vcc_lo
	v_cmp_gt_u32_e32 vcc_lo, s19, v25
	v_cndmask_b32_e64 v26, 0, 1, s3
	v_cmp_gt_u32_e64 s3, s19, v27
	s_and_b32 s2, s5, s2
	v_or_b32_e32 v28, 3, v29
	v_cndmask_b32_e64 v25, 0, 1, s2
	s_and_b32 s2, vcc_lo, s4
	v_or_b32_e32 v31, 1, v29
	v_cndmask_b32_e64 v27, 0, 1, s2
	s_and_b32 s2, s3, s6
	v_cmp_ne_u64_e32 vcc_lo, v[9:10], v[11:12]
	v_cndmask_b32_e64 v30, 0, 1, s2
	v_cmp_gt_u32_e64 s2, s19, v28
	v_cmp_ne_u64_e64 s3, v[13:14], v[15:16]
	v_or_b32_e32 v32, 2, v29
	v_cmp_gt_u32_e64 s4, s19, v31
	v_cmp_ne_u64_e64 s5, v[15:16], v[9:10]
	s_and_b32 s2, s2, vcc_lo
	v_lshlrev_b16 v27, 8, v27
	v_cmp_gt_u32_e64 s6, s19, v32
	v_cndmask_b32_e64 v28, 0, 1, s2
	s_and_b32 s2, s4, s3
	v_lshlrev_b16 v26, 8, v26
	v_cndmask_b32_e64 v31, 0, 1, s2
	s_and_b32 s2, s6, s5
	v_lshlrev_b16 v28, 8, v28
	v_cndmask_b32_e64 v32, 0, 1, s2
	v_or_b32_e32 v27, v30, v27
	v_lshlrev_b16 v31, 8, v31
	v_or_b32_e32 v25, v25, v26
	s_mov_b32 s3, exec_lo
	v_or_b32_e32 v26, v32, v28
	v_and_b32_e32 v27, 0xffff, v27
	v_or_b32_e32 v28, 1, v31
	v_lshlrev_b32_e32 v25, 16, v25
	s_waitcnt lgkmcnt(0)
	v_lshlrev_b32_e32 v30, 16, v26
	s_barrier
	v_and_b32_e32 v28, 0xffff, v28
	v_or_b32_e32 v26, v27, v25
	buffer_gl0_inv
                                        ; implicit-def: $sgpr2
	v_or_b32_e32 v25, v28, v30
	v_cmpx_ne_u32_e32 0, v0
	s_cbranch_execz .LBB1051_58
; %bb.57:
	v_add_nc_u32_e32 v27, -8, v29
	v_cmp_gt_u32_e64 s2, s19, v29
	s_or_b32 s12, s12, exec_lo
	ds_load_b64 v[27:28], v27
	s_waitcnt lgkmcnt(0)
	v_cmp_ne_u64_e32 vcc_lo, v[27:28], v[13:14]
	s_and_b32 s2, s2, vcc_lo
	s_delay_alu instid0(SALU_CYCLE_1)
	s_and_b32 s2, s2, exec_lo
.LBB1051_58:
	s_or_b32 exec_lo, exec_lo, s3
.LBB1051_59:
	s_and_saveexec_b32 s3, s12
	s_cbranch_execz .LBB1051_61
; %bb.60:
	s_waitcnt vmcnt(0) lgkmcnt(1)
	v_and_b32_e32 v27, 0xffffff00, v25
	v_cndmask_b32_e64 v28, 0, 1, s2
	s_delay_alu instid0(VALU_DEP_1) | instskip(NEXT) | instid1(VALU_DEP_1)
	v_or_b32_e32 v27, v28, v27
	v_and_b32_e32 v27, 0xffff, v27
	s_delay_alu instid0(VALU_DEP_1)
	v_and_or_b32 v25, 0xffff0000, v25, v27
.LBB1051_61:
	s_or_b32 exec_lo, exec_lo, s3
	s_load_b64 s[12:13], s[0:1], 0x68
	s_and_not1_b32 vcc_lo, exec_lo, s20
	s_cbranch_vccnz .LBB1051_63
; %bb.62:
	v_cmp_gt_u32_e32 vcc_lo, s19, v29
	s_waitcnt vmcnt(0) lgkmcnt(0)
	v_or_b32_e32 v28, 1, v29
	v_or_b32_e32 v31, 2, v29
	v_dual_cndmask_b32 v27, 0, v25 :: v_dual_and_b32 v30, 0xffffff00, v26
	s_delay_alu instid0(VALU_DEP_3) | instskip(SKIP_1) | instid1(VALU_DEP_4)
	v_cmp_gt_u32_e32 vcc_lo, s19, v28
	v_or_b32_e32 v28, 4, v29
	v_cmp_gt_u32_e64 s2, s19, v31
	v_or_b32_e32 v31, 3, v29
	v_and_b32_e32 v27, 0xff, v27
	s_delay_alu instid0(VALU_DEP_2) | instskip(NEXT) | instid1(VALU_DEP_2)
	v_cmp_gt_u32_e64 s3, s19, v31
	v_cndmask_b32_e32 v27, v27, v25, vcc_lo
	v_cmp_gt_u32_e32 vcc_lo, s19, v28
	v_cndmask_b32_e32 v28, v30, v26, vcc_lo
	v_or_b32_e32 v30, 5, v29
	s_delay_alu instid0(VALU_DEP_2) | instskip(SKIP_1) | instid1(VALU_DEP_1)
	v_and_b32_e32 v28, 0xffff00ff, v28
	v_and_b32_e32 v27, 0xffff, v27
	v_cndmask_b32_e64 v27, v27, v25, s2
	s_delay_alu instid0(VALU_DEP_4) | instskip(SKIP_2) | instid1(VALU_DEP_4)
	v_cmp_gt_u32_e64 s2, s19, v30
	v_or_b32_e32 v30, 6, v29
	v_or_b32_e32 v29, 7, v29
	v_and_b32_e32 v27, 0xffffff, v27
	s_delay_alu instid0(VALU_DEP_4) | instskip(NEXT) | instid1(VALU_DEP_2)
	v_cndmask_b32_e64 v28, v28, v26, s2
	v_cndmask_b32_e64 v27, v27, v25, s3
	s_delay_alu instid0(VALU_DEP_1) | instskip(SKIP_1) | instid1(VALU_DEP_2)
	v_dual_cndmask_b32 v27, v27, v25 :: v_dual_and_b32 v28, 0xff00ffff, v28
	v_cmp_gt_u32_e32 vcc_lo, s19, v30
	v_cndmask_b32_e64 v27, v27, v25, s2
	s_delay_alu instid0(VALU_DEP_1) | instskip(NEXT) | instid1(VALU_DEP_1)
	v_dual_cndmask_b32 v28, v28, v26 :: v_dual_cndmask_b32 v27, v27, v25
	v_and_b32_e32 v28, 0xffffff, v28
	v_cmp_gt_u32_e32 vcc_lo, s19, v29
	s_delay_alu instid0(VALU_DEP_2)
	v_dual_cndmask_b32 v26, v28, v26 :: v_dual_cndmask_b32 v25, v27, v25
.LBB1051_63:
	s_delay_alu instid0(VALU_DEP_1) | instskip(SKIP_1) | instid1(VALU_DEP_2)
	v_and_b32_e32 v36, 0xff, v25
	s_waitcnt vmcnt(0) lgkmcnt(0)
	v_alignbit_b32 v27, v26, v25, 24
	v_bfe_u32 v38, v25, 8, 8
	v_bfe_u32 v40, v25, 16, 8
	v_and_b32_e32 v44, 0xff, v26
	v_bfe_u32 v46, v26, 8, 8
	v_and_b32_e32 v42, 0xff, v27
	v_add_nc_u32_e32 v27, v38, v36
	v_mbcnt_lo_u32_b32 v49, -1, 0
	v_bfe_u32 v48, v26, 16, 8
	v_lshrrev_b32_e32 v47, 24, v26
	v_lshrrev_b32_e32 v50, 5, v0
	v_add3_u32 v27, v27, v40, v42
	v_and_b32_e32 v28, 15, v49
	v_and_b32_e32 v29, 16, v49
	s_and_b32 vcc_lo, exec_lo, s9
	s_mov_b32 s19, -1
	v_add3_u32 v27, v27, v44, v46
	v_cmp_eq_u32_e64 s4, 0, v28
	v_cmp_lt_u32_e64 s2, 1, v28
	v_cmp_lt_u32_e64 s5, 3, v28
	;; [unrolled: 1-line block ×3, first 2 shown]
	v_add3_u32 v51, v27, v48, v47
	v_or_b32_e32 v27, 31, v0
	v_cmp_eq_u32_e64 s7, 0, v29
	s_barrier
	buffer_gl0_inv
	v_cmp_eq_u32_e64 s6, v27, v0
	s_cbranch_vccz .LBB1051_89
; %bb.64:
	v_mov_b32_dpp v27, v51 row_shr:1 row_mask:0xf bank_mask:0xf
	s_delay_alu instid0(VALU_DEP_1) | instskip(NEXT) | instid1(VALU_DEP_1)
	v_cndmask_b32_e64 v27, v27, 0, s4
	v_add_nc_u32_e32 v27, v27, v51
	s_delay_alu instid0(VALU_DEP_1) | instskip(NEXT) | instid1(VALU_DEP_1)
	v_mov_b32_dpp v28, v27 row_shr:2 row_mask:0xf bank_mask:0xf
	v_cndmask_b32_e64 v28, 0, v28, s2
	s_delay_alu instid0(VALU_DEP_1) | instskip(NEXT) | instid1(VALU_DEP_1)
	v_add_nc_u32_e32 v27, v27, v28
	v_mov_b32_dpp v28, v27 row_shr:4 row_mask:0xf bank_mask:0xf
	s_delay_alu instid0(VALU_DEP_1) | instskip(NEXT) | instid1(VALU_DEP_1)
	v_cndmask_b32_e64 v28, 0, v28, s5
	v_add_nc_u32_e32 v27, v27, v28
	s_delay_alu instid0(VALU_DEP_1) | instskip(NEXT) | instid1(VALU_DEP_1)
	v_mov_b32_dpp v28, v27 row_shr:8 row_mask:0xf bank_mask:0xf
	v_cndmask_b32_e64 v28, 0, v28, s3
	s_delay_alu instid0(VALU_DEP_1) | instskip(SKIP_3) | instid1(VALU_DEP_1)
	v_add_nc_u32_e32 v27, v27, v28
	ds_swizzle_b32 v28, v27 offset:swizzle(BROADCAST,32,15)
	s_waitcnt lgkmcnt(0)
	v_cndmask_b32_e64 v28, v28, 0, s7
	v_add_nc_u32_e32 v27, v27, v28
	s_and_saveexec_b32 s8, s6
	s_cbranch_execz .LBB1051_66
; %bb.65:
	v_lshlrev_b32_e32 v28, 2, v50
	ds_store_b32 v28, v27
.LBB1051_66:
	s_or_b32 exec_lo, exec_lo, s8
	s_delay_alu instid0(SALU_CYCLE_1)
	s_mov_b32 s8, exec_lo
	s_waitcnt lgkmcnt(0)
	s_barrier
	buffer_gl0_inv
	v_cmpx_gt_u32_e32 16, v0
	s_cbranch_execz .LBB1051_68
; %bb.67:
	v_lshlrev_b32_e32 v28, 2, v0
	ds_load_b32 v29, v28
	s_waitcnt lgkmcnt(0)
	v_mov_b32_dpp v30, v29 row_shr:1 row_mask:0xf bank_mask:0xf
	s_delay_alu instid0(VALU_DEP_1) | instskip(NEXT) | instid1(VALU_DEP_1)
	v_cndmask_b32_e64 v30, v30, 0, s4
	v_add_nc_u32_e32 v29, v30, v29
	s_delay_alu instid0(VALU_DEP_1) | instskip(NEXT) | instid1(VALU_DEP_1)
	v_mov_b32_dpp v30, v29 row_shr:2 row_mask:0xf bank_mask:0xf
	v_cndmask_b32_e64 v30, 0, v30, s2
	s_delay_alu instid0(VALU_DEP_1) | instskip(NEXT) | instid1(VALU_DEP_1)
	v_add_nc_u32_e32 v29, v29, v30
	v_mov_b32_dpp v30, v29 row_shr:4 row_mask:0xf bank_mask:0xf
	s_delay_alu instid0(VALU_DEP_1) | instskip(NEXT) | instid1(VALU_DEP_1)
	v_cndmask_b32_e64 v30, 0, v30, s5
	v_add_nc_u32_e32 v29, v29, v30
	s_delay_alu instid0(VALU_DEP_1) | instskip(NEXT) | instid1(VALU_DEP_1)
	v_mov_b32_dpp v30, v29 row_shr:8 row_mask:0xf bank_mask:0xf
	v_cndmask_b32_e64 v30, 0, v30, s3
	s_delay_alu instid0(VALU_DEP_1)
	v_add_nc_u32_e32 v29, v29, v30
	ds_store_b32 v28, v29
.LBB1051_68:
	s_or_b32 exec_lo, exec_lo, s8
	v_cmp_gt_u32_e32 vcc_lo, 32, v0
	s_mov_b32 s9, exec_lo
	s_waitcnt lgkmcnt(0)
	s_barrier
	buffer_gl0_inv
                                        ; implicit-def: $vgpr35
	v_cmpx_lt_u32_e32 31, v0
	s_cbranch_execz .LBB1051_70
; %bb.69:
	v_lshl_add_u32 v28, v50, 2, -4
	ds_load_b32 v35, v28
	s_waitcnt lgkmcnt(0)
	v_add_nc_u32_e32 v27, v35, v27
.LBB1051_70:
	s_or_b32 exec_lo, exec_lo, s9
	v_add_nc_u32_e32 v28, -1, v49
	s_delay_alu instid0(VALU_DEP_1) | instskip(NEXT) | instid1(VALU_DEP_1)
	v_cmp_gt_i32_e64 s8, 0, v28
	v_cndmask_b32_e64 v28, v28, v49, s8
	v_cmp_eq_u32_e64 s8, 0, v49
	s_delay_alu instid0(VALU_DEP_2)
	v_lshlrev_b32_e32 v28, 2, v28
	ds_bpermute_b32 v37, v28, v27
	s_and_saveexec_b32 s9, vcc_lo
	s_cbranch_execz .LBB1051_88
; %bb.71:
	v_mov_b32_e32 v31, 0
	ds_load_b32 v27, v31 offset:60
	s_and_saveexec_b32 s19, s8
	s_cbranch_execz .LBB1051_73
; %bb.72:
	s_add_i32 s20, s15, 32
	s_mov_b32 s21, 0
	v_mov_b32_e32 v28, 1
	s_lshl_b64 s[20:21], s[20:21], 3
	s_delay_alu instid0(SALU_CYCLE_1)
	s_add_u32 s20, s12, s20
	s_addc_u32 s21, s13, s21
	s_waitcnt lgkmcnt(0)
	global_store_b64 v31, v[27:28], s[20:21]
.LBB1051_73:
	s_or_b32 exec_lo, exec_lo, s19
	v_xad_u32 v29, v49, -1, s15
	s_mov_b32 s20, 0
	s_mov_b32 s19, exec_lo
	s_delay_alu instid0(VALU_DEP_1) | instskip(NEXT) | instid1(VALU_DEP_1)
	v_add_nc_u32_e32 v30, 32, v29
	v_lshlrev_b64 v[30:31], 3, v[30:31]
	s_delay_alu instid0(VALU_DEP_1) | instskip(NEXT) | instid1(VALU_DEP_2)
	v_add_co_u32 v33, vcc_lo, s12, v30
	v_add_co_ci_u32_e32 v34, vcc_lo, s13, v31, vcc_lo
	global_load_b64 v[31:32], v[33:34], off glc
	s_waitcnt vmcnt(0)
	v_and_b32_e32 v28, 0xff, v32
	s_delay_alu instid0(VALU_DEP_1)
	v_cmpx_eq_u16_e32 0, v28
	s_cbranch_execz .LBB1051_76
.LBB1051_74:                            ; =>This Inner Loop Header: Depth=1
	global_load_b64 v[31:32], v[33:34], off glc
	s_waitcnt vmcnt(0)
	v_and_b32_e32 v28, 0xff, v32
	s_delay_alu instid0(VALU_DEP_1) | instskip(SKIP_1) | instid1(SALU_CYCLE_1)
	v_cmp_ne_u16_e32 vcc_lo, 0, v28
	s_or_b32 s20, vcc_lo, s20
	s_and_not1_b32 exec_lo, exec_lo, s20
	s_cbranch_execnz .LBB1051_74
; %bb.75:
	s_or_b32 exec_lo, exec_lo, s20
.LBB1051_76:
	s_delay_alu instid0(SALU_CYCLE_1)
	s_or_b32 exec_lo, exec_lo, s19
	v_cmp_ne_u32_e32 vcc_lo, 31, v49
	v_lshlrev_b32_e64 v41, v49, -1
	v_add_nc_u32_e32 v45, 2, v49
	v_add_nc_u32_e32 v53, 4, v49
	v_add_nc_u32_e32 v55, 8, v49
	v_add_co_ci_u32_e32 v28, vcc_lo, 0, v49, vcc_lo
	v_add_nc_u32_e32 v57, 16, v49
	s_delay_alu instid0(VALU_DEP_2)
	v_lshlrev_b32_e32 v39, 2, v28
	v_and_b32_e32 v28, 0xff, v32
	ds_bpermute_b32 v30, v39, v31
	v_cmp_eq_u16_e32 vcc_lo, 2, v28
	v_and_or_b32 v28, vcc_lo, v41, 0x80000000
	v_cmp_gt_u32_e32 vcc_lo, 30, v49
	s_delay_alu instid0(VALU_DEP_2) | instskip(SKIP_1) | instid1(VALU_DEP_2)
	v_ctz_i32_b32_e32 v28, v28
	v_cndmask_b32_e64 v33, 0, 1, vcc_lo
	v_cmp_lt_u32_e32 vcc_lo, v49, v28
	s_waitcnt lgkmcnt(0)
	s_delay_alu instid0(VALU_DEP_2) | instskip(NEXT) | instid1(VALU_DEP_1)
	v_dual_cndmask_b32 v30, 0, v30 :: v_dual_lshlrev_b32 v33, 1, v33
	v_add_lshl_u32 v43, v33, v49, 2
	v_cmp_gt_u32_e32 vcc_lo, 28, v49
	s_delay_alu instid0(VALU_DEP_3) | instskip(SKIP_4) | instid1(VALU_DEP_1)
	v_add_nc_u32_e32 v30, v30, v31
	v_cndmask_b32_e64 v33, 0, 1, vcc_lo
	v_cmp_le_u32_e32 vcc_lo, v45, v28
	ds_bpermute_b32 v31, v43, v30
	v_lshlrev_b32_e32 v33, 2, v33
	v_add_lshl_u32 v52, v33, v49, 2
	s_waitcnt lgkmcnt(0)
	v_cndmask_b32_e32 v31, 0, v31, vcc_lo
	v_cmp_gt_u32_e32 vcc_lo, 24, v49
	s_delay_alu instid0(VALU_DEP_2) | instskip(SKIP_4) | instid1(VALU_DEP_1)
	v_add_nc_u32_e32 v30, v30, v31
	v_cndmask_b32_e64 v33, 0, 1, vcc_lo
	v_cmp_le_u32_e32 vcc_lo, v53, v28
	ds_bpermute_b32 v31, v52, v30
	v_lshlrev_b32_e32 v33, 3, v33
	v_add_lshl_u32 v54, v33, v49, 2
	s_waitcnt lgkmcnt(0)
	v_cndmask_b32_e32 v31, 0, v31, vcc_lo
	v_cmp_gt_u32_e32 vcc_lo, 16, v49
	s_delay_alu instid0(VALU_DEP_2) | instskip(SKIP_4) | instid1(VALU_DEP_1)
	v_add_nc_u32_e32 v30, v30, v31
	v_cndmask_b32_e64 v33, 0, 1, vcc_lo
	v_cmp_le_u32_e32 vcc_lo, v55, v28
	ds_bpermute_b32 v31, v54, v30
	v_lshlrev_b32_e32 v33, 4, v33
	v_add_lshl_u32 v56, v33, v49, 2
	s_waitcnt lgkmcnt(0)
	v_cndmask_b32_e32 v31, 0, v31, vcc_lo
	v_cmp_le_u32_e32 vcc_lo, v57, v28
	s_delay_alu instid0(VALU_DEP_2) | instskip(SKIP_3) | instid1(VALU_DEP_1)
	v_add_nc_u32_e32 v30, v30, v31
	ds_bpermute_b32 v31, v56, v30
	s_waitcnt lgkmcnt(0)
	v_cndmask_b32_e32 v28, 0, v31, vcc_lo
	v_dual_mov_b32 v30, 0 :: v_dual_add_nc_u32 v31, v30, v28
	s_branch .LBB1051_78
.LBB1051_77:                            ;   in Loop: Header=BB1051_78 Depth=1
	s_or_b32 exec_lo, exec_lo, s19
	ds_bpermute_b32 v34, v39, v31
	v_and_b32_e32 v33, 0xff, v32
	v_subrev_nc_u32_e32 v29, 32, v29
	s_delay_alu instid0(VALU_DEP_2) | instskip(SKIP_1) | instid1(VALU_DEP_1)
	v_cmp_eq_u16_e32 vcc_lo, 2, v33
	v_and_or_b32 v33, vcc_lo, v41, 0x80000000
	v_ctz_i32_b32_e32 v33, v33
	s_delay_alu instid0(VALU_DEP_1) | instskip(SKIP_3) | instid1(VALU_DEP_2)
	v_cmp_lt_u32_e32 vcc_lo, v49, v33
	s_waitcnt lgkmcnt(0)
	v_cndmask_b32_e32 v34, 0, v34, vcc_lo
	v_cmp_le_u32_e32 vcc_lo, v45, v33
	v_add_nc_u32_e32 v31, v34, v31
	ds_bpermute_b32 v34, v43, v31
	s_waitcnt lgkmcnt(0)
	v_cndmask_b32_e32 v34, 0, v34, vcc_lo
	v_cmp_le_u32_e32 vcc_lo, v53, v33
	s_delay_alu instid0(VALU_DEP_2) | instskip(SKIP_4) | instid1(VALU_DEP_2)
	v_add_nc_u32_e32 v31, v31, v34
	ds_bpermute_b32 v34, v52, v31
	s_waitcnt lgkmcnt(0)
	v_cndmask_b32_e32 v34, 0, v34, vcc_lo
	v_cmp_le_u32_e32 vcc_lo, v55, v33
	v_add_nc_u32_e32 v31, v31, v34
	ds_bpermute_b32 v34, v54, v31
	s_waitcnt lgkmcnt(0)
	v_cndmask_b32_e32 v34, 0, v34, vcc_lo
	v_cmp_le_u32_e32 vcc_lo, v57, v33
	s_delay_alu instid0(VALU_DEP_2) | instskip(SKIP_3) | instid1(VALU_DEP_1)
	v_add_nc_u32_e32 v31, v31, v34
	ds_bpermute_b32 v34, v56, v31
	s_waitcnt lgkmcnt(0)
	v_cndmask_b32_e32 v33, 0, v34, vcc_lo
	v_add3_u32 v31, v33, v28, v31
.LBB1051_78:                            ; =>This Loop Header: Depth=1
                                        ;     Child Loop BB1051_81 Depth 2
	v_and_b32_e32 v28, 0xff, v32
	s_delay_alu instid0(VALU_DEP_1) | instskip(SKIP_2) | instid1(VALU_DEP_1)
	v_cmp_ne_u16_e32 vcc_lo, 2, v28
	v_cndmask_b32_e64 v28, 0, 1, vcc_lo
	;;#ASMSTART
	;;#ASMEND
	v_cmp_ne_u32_e32 vcc_lo, 0, v28
	v_mov_b32_e32 v28, v31
	s_cmp_lg_u32 vcc_lo, exec_lo
	s_cbranch_scc1 .LBB1051_83
; %bb.79:                               ;   in Loop: Header=BB1051_78 Depth=1
	v_lshlrev_b64 v[31:32], 3, v[29:30]
	s_mov_b32 s19, exec_lo
	s_delay_alu instid0(VALU_DEP_1) | instskip(NEXT) | instid1(VALU_DEP_2)
	v_add_co_u32 v33, vcc_lo, s12, v31
	v_add_co_ci_u32_e32 v34, vcc_lo, s13, v32, vcc_lo
	global_load_b64 v[31:32], v[33:34], off glc
	s_waitcnt vmcnt(0)
	v_and_b32_e32 v58, 0xff, v32
	s_delay_alu instid0(VALU_DEP_1)
	v_cmpx_eq_u16_e32 0, v58
	s_cbranch_execz .LBB1051_77
; %bb.80:                               ;   in Loop: Header=BB1051_78 Depth=1
	s_mov_b32 s20, 0
.LBB1051_81:                            ;   Parent Loop BB1051_78 Depth=1
                                        ; =>  This Inner Loop Header: Depth=2
	global_load_b64 v[31:32], v[33:34], off glc
	s_waitcnt vmcnt(0)
	v_and_b32_e32 v58, 0xff, v32
	s_delay_alu instid0(VALU_DEP_1) | instskip(SKIP_1) | instid1(SALU_CYCLE_1)
	v_cmp_ne_u16_e32 vcc_lo, 0, v58
	s_or_b32 s20, vcc_lo, s20
	s_and_not1_b32 exec_lo, exec_lo, s20
	s_cbranch_execnz .LBB1051_81
; %bb.82:                               ;   in Loop: Header=BB1051_78 Depth=1
	s_or_b32 exec_lo, exec_lo, s20
	s_branch .LBB1051_77
.LBB1051_83:                            ;   in Loop: Header=BB1051_78 Depth=1
                                        ; implicit-def: $vgpr31
                                        ; implicit-def: $vgpr32
	s_cbranch_execz .LBB1051_78
; %bb.84:
	s_and_saveexec_b32 s19, s8
	s_cbranch_execz .LBB1051_86
; %bb.85:
	s_add_i32 s20, s15, 32
	s_mov_b32 s21, 0
	v_dual_mov_b32 v30, 2 :: v_dual_add_nc_u32 v29, v28, v27
	s_lshl_b64 s[20:21], s[20:21], 3
	v_mov_b32_e32 v31, 0
	s_add_u32 s20, s12, s20
	s_addc_u32 s21, s13, s21
	global_store_b64 v31, v[29:30], s[20:21]
	ds_store_b64 v31, v[27:28] offset:33792
.LBB1051_86:
	s_or_b32 exec_lo, exec_lo, s19
	v_cmp_eq_u32_e32 vcc_lo, 0, v0
	s_and_b32 exec_lo, exec_lo, vcc_lo
	s_cbranch_execz .LBB1051_88
; %bb.87:
	v_mov_b32_e32 v27, 0
	ds_store_b32 v27, v28 offset:60
.LBB1051_88:
	s_or_b32 exec_lo, exec_lo, s9
	v_mov_b32_e32 v27, 0
	s_waitcnt lgkmcnt(0)
	s_waitcnt_vscnt null, 0x0
	s_barrier
	buffer_gl0_inv
	v_cndmask_b32_e64 v29, v37, v35, s8
	ds_load_b32 v28, v27 offset:60
	v_cmp_ne_u32_e32 vcc_lo, 0, v0
	s_waitcnt lgkmcnt(0)
	s_barrier
	buffer_gl0_inv
	v_cndmask_b32_e32 v29, 0, v29, vcc_lo
	s_delay_alu instid0(VALU_DEP_1) | instskip(SKIP_2) | instid1(VALU_DEP_1)
	v_add_nc_u32_e32 v45, v28, v29
	ds_load_b64 v[27:28], v27 offset:33792
	v_add_nc_u32_e32 v43, v45, v36
	v_add_nc_u32_e32 v41, v43, v38
	s_delay_alu instid0(VALU_DEP_1) | instskip(NEXT) | instid1(VALU_DEP_1)
	v_add_nc_u32_e32 v39, v41, v40
	v_add_nc_u32_e32 v37, v39, v42
	s_delay_alu instid0(VALU_DEP_1) | instskip(NEXT) | instid1(VALU_DEP_1)
	v_add_nc_u32_e32 v35, v37, v44
	v_add_nc_u32_e32 v33, v35, v46
	s_delay_alu instid0(VALU_DEP_1)
	v_add_nc_u32_e32 v31, v33, v48
	s_load_b64 s[8:9], s[0:1], 0x38
	v_lshrrev_b64 v[29:30], 24, v[25:26]
	s_branch .LBB1051_99
.LBB1051_89:
                                        ; implicit-def: $vgpr31
                                        ; implicit-def: $vgpr33
                                        ; implicit-def: $vgpr35
                                        ; implicit-def: $vgpr37
                                        ; implicit-def: $vgpr39
                                        ; implicit-def: $vgpr41
                                        ; implicit-def: $vgpr43
                                        ; implicit-def: $vgpr45
                                        ; implicit-def: $vgpr28
	s_load_b64 s[8:9], s[0:1], 0x38
	v_lshrrev_b64 v[29:30], 24, v[25:26]
	s_and_b32 vcc_lo, exec_lo, s19
	s_cbranch_vccz .LBB1051_99
; %bb.90:
	s_waitcnt lgkmcnt(0)
	v_mov_b32_dpp v27, v51 row_shr:1 row_mask:0xf bank_mask:0xf
	s_delay_alu instid0(VALU_DEP_1) | instskip(NEXT) | instid1(VALU_DEP_1)
	v_cndmask_b32_e64 v27, v27, 0, s4
	v_add_nc_u32_e32 v27, v27, v51
	s_delay_alu instid0(VALU_DEP_1) | instskip(NEXT) | instid1(VALU_DEP_1)
	v_mov_b32_dpp v28, v27 row_shr:2 row_mask:0xf bank_mask:0xf
	v_cndmask_b32_e64 v28, 0, v28, s2
	s_delay_alu instid0(VALU_DEP_1) | instskip(NEXT) | instid1(VALU_DEP_1)
	v_add_nc_u32_e32 v27, v27, v28
	v_mov_b32_dpp v28, v27 row_shr:4 row_mask:0xf bank_mask:0xf
	s_delay_alu instid0(VALU_DEP_1) | instskip(NEXT) | instid1(VALU_DEP_1)
	v_cndmask_b32_e64 v28, 0, v28, s5
	v_add_nc_u32_e32 v27, v27, v28
	s_delay_alu instid0(VALU_DEP_1) | instskip(NEXT) | instid1(VALU_DEP_1)
	v_mov_b32_dpp v28, v27 row_shr:8 row_mask:0xf bank_mask:0xf
	v_cndmask_b32_e64 v28, 0, v28, s3
	s_delay_alu instid0(VALU_DEP_1) | instskip(SKIP_3) | instid1(VALU_DEP_1)
	v_add_nc_u32_e32 v27, v27, v28
	ds_swizzle_b32 v28, v27 offset:swizzle(BROADCAST,32,15)
	s_waitcnt lgkmcnt(0)
	v_cndmask_b32_e64 v28, v28, 0, s7
	v_add_nc_u32_e32 v27, v27, v28
	s_and_saveexec_b32 s0, s6
	s_cbranch_execz .LBB1051_92
; %bb.91:
	v_lshlrev_b32_e32 v28, 2, v50
	ds_store_b32 v28, v27
.LBB1051_92:
	s_or_b32 exec_lo, exec_lo, s0
	s_delay_alu instid0(SALU_CYCLE_1)
	s_mov_b32 s0, exec_lo
	s_waitcnt lgkmcnt(0)
	s_barrier
	buffer_gl0_inv
	v_cmpx_gt_u32_e32 16, v0
	s_cbranch_execz .LBB1051_94
; %bb.93:
	v_lshlrev_b32_e32 v28, 2, v0
	ds_load_b32 v30, v28
	s_waitcnt lgkmcnt(0)
	v_mov_b32_dpp v31, v30 row_shr:1 row_mask:0xf bank_mask:0xf
	s_delay_alu instid0(VALU_DEP_1) | instskip(NEXT) | instid1(VALU_DEP_1)
	v_cndmask_b32_e64 v31, v31, 0, s4
	v_add_nc_u32_e32 v30, v31, v30
	s_delay_alu instid0(VALU_DEP_1) | instskip(NEXT) | instid1(VALU_DEP_1)
	v_mov_b32_dpp v31, v30 row_shr:2 row_mask:0xf bank_mask:0xf
	v_cndmask_b32_e64 v31, 0, v31, s2
	s_delay_alu instid0(VALU_DEP_1) | instskip(NEXT) | instid1(VALU_DEP_1)
	v_add_nc_u32_e32 v30, v30, v31
	v_mov_b32_dpp v31, v30 row_shr:4 row_mask:0xf bank_mask:0xf
	s_delay_alu instid0(VALU_DEP_1) | instskip(NEXT) | instid1(VALU_DEP_1)
	v_cndmask_b32_e64 v31, 0, v31, s5
	v_add_nc_u32_e32 v30, v30, v31
	s_delay_alu instid0(VALU_DEP_1) | instskip(NEXT) | instid1(VALU_DEP_1)
	v_mov_b32_dpp v31, v30 row_shr:8 row_mask:0xf bank_mask:0xf
	v_cndmask_b32_e64 v31, 0, v31, s3
	s_delay_alu instid0(VALU_DEP_1)
	v_add_nc_u32_e32 v30, v30, v31
	ds_store_b32 v28, v30
.LBB1051_94:
	s_or_b32 exec_lo, exec_lo, s0
	v_mov_b32_e32 v28, 0
	v_mov_b32_e32 v30, 0
	s_mov_b32 s0, exec_lo
	s_waitcnt lgkmcnt(0)
	s_barrier
	buffer_gl0_inv
	v_cmpx_lt_u32_e32 31, v0
	s_cbranch_execz .LBB1051_96
; %bb.95:
	v_lshl_add_u32 v30, v50, 2, -4
	ds_load_b32 v30, v30
.LBB1051_96:
	s_or_b32 exec_lo, exec_lo, s0
	v_add_nc_u32_e32 v31, -1, v49
	s_waitcnt lgkmcnt(0)
	v_add_nc_u32_e32 v27, v30, v27
	s_delay_alu instid0(VALU_DEP_2) | instskip(SKIP_2) | instid1(VALU_DEP_2)
	v_cmp_gt_i32_e32 vcc_lo, 0, v31
	v_cndmask_b32_e32 v31, v31, v49, vcc_lo
	v_cmp_eq_u32_e32 vcc_lo, 0, v0
	v_lshlrev_b32_e32 v31, 2, v31
	ds_bpermute_b32 v31, v31, v27
	ds_load_b32 v27, v28 offset:60
	s_and_saveexec_b32 s0, vcc_lo
	s_cbranch_execz .LBB1051_98
; %bb.97:
	v_mov_b32_e32 v32, 0
	v_mov_b32_e32 v28, 2
	s_waitcnt lgkmcnt(0)
	global_store_b64 v32, v[27:28], s[12:13] offset:256
.LBB1051_98:
	s_or_b32 exec_lo, exec_lo, s0
	v_cmp_eq_u32_e64 s0, 0, v49
	s_waitcnt lgkmcnt(0)
	s_waitcnt_vscnt null, 0x0
	s_barrier
	buffer_gl0_inv
	v_cndmask_b32_e64 v28, v31, v30, s0
	s_delay_alu instid0(VALU_DEP_1) | instskip(NEXT) | instid1(VALU_DEP_1)
	v_cndmask_b32_e64 v45, v28, 0, vcc_lo
	v_dual_mov_b32 v28, 0 :: v_dual_add_nc_u32 v43, v45, v36
	s_delay_alu instid0(VALU_DEP_1) | instskip(NEXT) | instid1(VALU_DEP_1)
	v_add_nc_u32_e32 v41, v43, v38
	v_add_nc_u32_e32 v39, v41, v40
	s_delay_alu instid0(VALU_DEP_1) | instskip(NEXT) | instid1(VALU_DEP_1)
	v_add_nc_u32_e32 v37, v39, v42
	v_add_nc_u32_e32 v35, v37, v44
	;; [unrolled: 3-line block ×3, first 2 shown]
.LBB1051_99:
	v_lshrrev_b32_e32 v50, 8, v25
	v_lshrrev_b32_e32 v49, 16, v25
	v_and_b32_e32 v25, 1, v25
	s_waitcnt lgkmcnt(0)
	v_cmp_gt_u32_e64 s0, 0x201, v27
	v_lshrrev_b32_e32 v48, 8, v26
	v_lshrrev_b32_e32 v30, 16, v26
	v_cmp_eq_u32_e64 s1, 1, v25
	s_delay_alu instid0(VALU_DEP_4)
	s_and_b32 vcc_lo, exec_lo, s0
	s_cbranch_vccnz .LBB1051_117
; %bb.100:
	s_delay_alu instid0(VALU_DEP_1)
	s_and_saveexec_b32 s2, s1
	s_cbranch_execz .LBB1051_102
; %bb.101:
	v_sub_nc_u32_e32 v32, v45, v28
	s_delay_alu instid0(VALU_DEP_1)
	v_lshlrev_b32_e32 v32, 3, v32
	ds_store_b64 v32, v[13:14]
.LBB1051_102:
	s_or_b32 exec_lo, exec_lo, s2
	v_and_b32_e32 v13, 1, v50
	s_mov_b32 s1, exec_lo
	s_delay_alu instid0(VALU_DEP_1)
	v_cmpx_eq_u32_e32 1, v13
	s_cbranch_execz .LBB1051_104
; %bb.103:
	v_sub_nc_u32_e32 v13, v43, v28
	s_delay_alu instid0(VALU_DEP_1)
	v_lshlrev_b32_e32 v13, 3, v13
	ds_store_b64 v13, v[15:16]
.LBB1051_104:
	s_or_b32 exec_lo, exec_lo, s1
	v_and_b32_e32 v13, 1, v49
	s_mov_b32 s1, exec_lo
	s_delay_alu instid0(VALU_DEP_1)
	v_cmpx_eq_u32_e32 1, v13
	;; [unrolled: 12-line block ×7, first 2 shown]
	s_cbranch_execz .LBB1051_116
; %bb.115:
	v_sub_nc_u32_e32 v1, v31, v28
	s_delay_alu instid0(VALU_DEP_1)
	v_lshlrev_b32_e32 v1, 3, v1
	ds_store_b64 v1, v[3:4]
.LBB1051_116:
	s_or_b32 exec_lo, exec_lo, s1
	s_waitcnt lgkmcnt(0)
	s_barrier
	buffer_gl0_inv
.LBB1051_117:
	s_and_b32 vcc_lo, exec_lo, s0
	s_mov_b32 s0, -1
	s_barrier
	buffer_gl0_inv
	s_cbranch_vccz .LBB1051_145
; %bb.118:
	v_add_nc_u32_e32 v1, v28, v27
	s_lshl_b64 s[0:1], s[10:11], 2
	s_delay_alu instid0(SALU_CYCLE_1) | instskip(SKIP_1) | instid1(VALU_DEP_1)
	s_add_u32 s0, s8, s0
	s_addc_u32 s1, s9, s1
	v_cmp_lt_u32_e32 vcc_lo, v45, v1
	s_or_b32 s3, s18, vcc_lo
	s_delay_alu instid0(SALU_CYCLE_1)
	s_and_saveexec_b32 s2, s3
	s_cbranch_execz .LBB1051_121
; %bb.119:
	v_cmp_eq_u32_e32 vcc_lo, 1, v25
	s_and_b32 exec_lo, exec_lo, vcc_lo
	s_cbranch_execz .LBB1051_121
; %bb.120:
	v_mov_b32_e32 v46, 0
	s_delay_alu instid0(VALU_DEP_1) | instskip(NEXT) | instid1(VALU_DEP_1)
	v_lshlrev_b64 v[2:3], 2, v[45:46]
	v_add_co_u32 v2, vcc_lo, s0, v2
	s_delay_alu instid0(VALU_DEP_2)
	v_add_co_ci_u32_e32 v3, vcc_lo, s1, v3, vcc_lo
	global_store_b32 v[2:3], v23, off
.LBB1051_121:
	s_or_b32 exec_lo, exec_lo, s2
	v_cmp_lt_u32_e32 vcc_lo, v43, v1
	s_or_b32 s3, s18, vcc_lo
	s_delay_alu instid0(SALU_CYCLE_1)
	s_and_saveexec_b32 s2, s3
	s_cbranch_execz .LBB1051_124
; %bb.122:
	v_and_b32_e32 v2, 1, v50
	s_delay_alu instid0(VALU_DEP_1)
	v_cmp_eq_u32_e32 vcc_lo, 1, v2
	s_and_b32 exec_lo, exec_lo, vcc_lo
	s_cbranch_execz .LBB1051_124
; %bb.123:
	v_mov_b32_e32 v44, 0
	s_delay_alu instid0(VALU_DEP_1) | instskip(NEXT) | instid1(VALU_DEP_1)
	v_lshlrev_b64 v[2:3], 2, v[43:44]
	v_add_co_u32 v2, vcc_lo, s0, v2
	s_delay_alu instid0(VALU_DEP_2)
	v_add_co_ci_u32_e32 v3, vcc_lo, s1, v3, vcc_lo
	global_store_b32 v[2:3], v24, off
.LBB1051_124:
	s_or_b32 exec_lo, exec_lo, s2
	v_cmp_lt_u32_e32 vcc_lo, v41, v1
	s_or_b32 s3, s18, vcc_lo
	s_delay_alu instid0(SALU_CYCLE_1)
	s_and_saveexec_b32 s2, s3
	s_cbranch_execz .LBB1051_127
; %bb.125:
	v_and_b32_e32 v2, 1, v49
	s_delay_alu instid0(VALU_DEP_1)
	v_cmp_eq_u32_e32 vcc_lo, 1, v2
	s_and_b32 exec_lo, exec_lo, vcc_lo
	s_cbranch_execz .LBB1051_127
; %bb.126:
	v_mov_b32_e32 v42, 0
	s_delay_alu instid0(VALU_DEP_1) | instskip(NEXT) | instid1(VALU_DEP_1)
	v_lshlrev_b64 v[2:3], 2, v[41:42]
	v_add_co_u32 v2, vcc_lo, s0, v2
	s_delay_alu instid0(VALU_DEP_2)
	v_add_co_ci_u32_e32 v3, vcc_lo, s1, v3, vcc_lo
	global_store_b32 v[2:3], v21, off
.LBB1051_127:
	;; [unrolled: 21-line block ×7, first 2 shown]
	s_or_b32 exec_lo, exec_lo, s2
.LBB1051_143:
	v_cmp_eq_u32_e32 vcc_lo, 0, v0
	s_and_b32 s0, vcc_lo, s14
	s_delay_alu instid0(SALU_CYCLE_1)
	s_and_saveexec_b32 s1, s0
	s_cbranch_execz .LBB1051_166
.LBB1051_144:
	v_add_co_u32 v0, s0, s10, v27
	s_delay_alu instid0(VALU_DEP_1) | instskip(SKIP_1) | instid1(VALU_DEP_3)
	v_add_co_ci_u32_e64 v1, null, s11, 0, s0
	v_mov_b32_e32 v2, 0
	v_add_co_u32 v0, vcc_lo, v0, v28
	s_delay_alu instid0(VALU_DEP_3)
	v_add_co_ci_u32_e32 v1, vcc_lo, 0, v1, vcc_lo
	global_store_b64 v2, v[0:1], s[16:17]
	s_nop 0
	s_sendmsg sendmsg(MSG_DEALLOC_VGPRS)
	s_endpgm
.LBB1051_145:
	s_and_b32 vcc_lo, exec_lo, s0
	s_cbranch_vccz .LBB1051_143
; %bb.146:
	s_mov_b32 s0, exec_lo
	v_cmpx_eq_u32_e32 1, v25
	s_cbranch_execz .LBB1051_148
; %bb.147:
	v_sub_nc_u32_e32 v1, v45, v28
	s_delay_alu instid0(VALU_DEP_1)
	v_lshlrev_b32_e32 v1, 2, v1
	ds_store_b32 v1, v23
.LBB1051_148:
	s_or_b32 exec_lo, exec_lo, s0
	v_and_b32_e32 v1, 1, v50
	s_mov_b32 s0, exec_lo
	s_delay_alu instid0(VALU_DEP_1)
	v_cmpx_eq_u32_e32 1, v1
	s_cbranch_execz .LBB1051_150
; %bb.149:
	v_sub_nc_u32_e32 v1, v43, v28
	s_delay_alu instid0(VALU_DEP_1)
	v_lshlrev_b32_e32 v1, 2, v1
	ds_store_b32 v1, v24
.LBB1051_150:
	s_or_b32 exec_lo, exec_lo, s0
	v_and_b32_e32 v1, 1, v49
	s_mov_b32 s0, exec_lo
	s_delay_alu instid0(VALU_DEP_1)
	;; [unrolled: 12-line block ×7, first 2 shown]
	v_cmpx_eq_u32_e32 1, v1
	s_cbranch_execz .LBB1051_162
; %bb.161:
	v_sub_nc_u32_e32 v1, v31, v28
	s_delay_alu instid0(VALU_DEP_1)
	v_lshlrev_b32_e32 v1, 2, v1
	ds_store_b32 v1, v18
.LBB1051_162:
	s_or_b32 exec_lo, exec_lo, s0
	s_delay_alu instid0(SALU_CYCLE_1)
	s_mov_b32 s1, exec_lo
	s_waitcnt lgkmcnt(0)
	s_waitcnt_vscnt null, 0x0
	s_barrier
	buffer_gl0_inv
	v_cmpx_lt_u32_e64 v0, v27
	s_cbranch_execz .LBB1051_165
; %bb.163:
	v_dual_mov_b32 v2, 0 :: v_dual_mov_b32 v1, v28
	s_lshl_b64 s[2:3], s[10:11], 2
	v_dual_mov_b32 v4, v0 :: v_dual_lshlrev_b32 v3, 2, v0
	s_delay_alu instid0(VALU_DEP_2) | instskip(NEXT) | instid1(VALU_DEP_1)
	v_lshlrev_b64 v[1:2], 2, v[1:2]
	v_add_co_u32 v1, vcc_lo, s2, v1
	s_delay_alu instid0(VALU_DEP_2) | instskip(SKIP_1) | instid1(VALU_DEP_2)
	v_add_co_ci_u32_e32 v2, vcc_lo, s3, v2, vcc_lo
	s_mov_b32 s2, 0
	v_add_co_u32 v1, vcc_lo, s8, v1
	s_delay_alu instid0(VALU_DEP_2) | instskip(NEXT) | instid1(VALU_DEP_2)
	v_add_co_ci_u32_e32 v2, vcc_lo, s9, v2, vcc_lo
	v_add_co_u32 v1, vcc_lo, v1, v3
	s_delay_alu instid0(VALU_DEP_2)
	v_add_co_ci_u32_e32 v2, vcc_lo, 0, v2, vcc_lo
	.p2align	6
.LBB1051_164:                           ; =>This Inner Loop Header: Depth=1
	ds_load_b32 v5, v3
	v_add_nc_u32_e32 v4, 0x200, v4
	v_add_nc_u32_e32 v3, 0x800, v3
	s_delay_alu instid0(VALU_DEP_2) | instskip(SKIP_4) | instid1(VALU_DEP_1)
	v_cmp_ge_u32_e32 vcc_lo, v4, v27
	s_or_b32 s2, vcc_lo, s2
	s_waitcnt lgkmcnt(0)
	global_store_b32 v[1:2], v5, off
	v_add_co_u32 v1, s0, 0x800, v1
	v_add_co_ci_u32_e64 v2, s0, 0, v2, s0
	s_and_not1_b32 exec_lo, exec_lo, s2
	s_cbranch_execnz .LBB1051_164
.LBB1051_165:
	s_or_b32 exec_lo, exec_lo, s1
	v_cmp_eq_u32_e32 vcc_lo, 0, v0
	s_and_b32 s0, vcc_lo, s14
	s_delay_alu instid0(SALU_CYCLE_1)
	s_and_saveexec_b32 s1, s0
	s_cbranch_execnz .LBB1051_144
.LBB1051_166:
	s_nop 0
	s_sendmsg sendmsg(MSG_DEALLOC_VGPRS)
	s_endpgm
	.section	.rodata,"a",@progbits
	.p2align	6, 0x0
	.amdhsa_kernel _ZN7rocprim17ROCPRIM_400000_NS6detail17trampoline_kernelINS0_14default_configENS1_25partition_config_selectorILNS1_17partition_subalgoE9ExjbEEZZNS1_14partition_implILS5_9ELb0ES3_jN6thrust23THRUST_200600_302600_NS6detail15normal_iteratorINS9_10device_ptrIxEEEENSB_INSC_IjEEEEPNS0_10empty_typeENS0_5tupleIJNS9_16discard_iteratorINS9_11use_defaultEEESH_EEENSJ_IJSG_SI_EEENS0_18inequality_wrapperINS9_8equal_toIxEEEEPmJSH_EEE10hipError_tPvRmT3_T4_T5_T6_T7_T9_mT8_P12ihipStream_tbDpT10_ENKUlT_T0_E_clISt17integral_constantIbLb0EES1D_EEDaS18_S19_EUlS18_E_NS1_11comp_targetILNS1_3genE9ELNS1_11target_archE1100ELNS1_3gpuE3ELNS1_3repE0EEENS1_30default_config_static_selectorELNS0_4arch9wavefront6targetE0EEEvT1_
		.amdhsa_group_segment_fixed_size 33800
		.amdhsa_private_segment_fixed_size 0
		.amdhsa_kernarg_size 120
		.amdhsa_user_sgpr_count 15
		.amdhsa_user_sgpr_dispatch_ptr 0
		.amdhsa_user_sgpr_queue_ptr 0
		.amdhsa_user_sgpr_kernarg_segment_ptr 1
		.amdhsa_user_sgpr_dispatch_id 0
		.amdhsa_user_sgpr_private_segment_size 0
		.amdhsa_wavefront_size32 1
		.amdhsa_uses_dynamic_stack 0
		.amdhsa_enable_private_segment 0
		.amdhsa_system_sgpr_workgroup_id_x 1
		.amdhsa_system_sgpr_workgroup_id_y 0
		.amdhsa_system_sgpr_workgroup_id_z 0
		.amdhsa_system_sgpr_workgroup_info 0
		.amdhsa_system_vgpr_workitem_id 0
		.amdhsa_next_free_vgpr 59
		.amdhsa_next_free_sgpr 24
		.amdhsa_reserve_vcc 1
		.amdhsa_float_round_mode_32 0
		.amdhsa_float_round_mode_16_64 0
		.amdhsa_float_denorm_mode_32 3
		.amdhsa_float_denorm_mode_16_64 3
		.amdhsa_dx10_clamp 1
		.amdhsa_ieee_mode 1
		.amdhsa_fp16_overflow 0
		.amdhsa_workgroup_processor_mode 1
		.amdhsa_memory_ordered 1
		.amdhsa_forward_progress 0
		.amdhsa_shared_vgpr_count 0
		.amdhsa_exception_fp_ieee_invalid_op 0
		.amdhsa_exception_fp_denorm_src 0
		.amdhsa_exception_fp_ieee_div_zero 0
		.amdhsa_exception_fp_ieee_overflow 0
		.amdhsa_exception_fp_ieee_underflow 0
		.amdhsa_exception_fp_ieee_inexact 0
		.amdhsa_exception_int_div_zero 0
	.end_amdhsa_kernel
	.section	.text._ZN7rocprim17ROCPRIM_400000_NS6detail17trampoline_kernelINS0_14default_configENS1_25partition_config_selectorILNS1_17partition_subalgoE9ExjbEEZZNS1_14partition_implILS5_9ELb0ES3_jN6thrust23THRUST_200600_302600_NS6detail15normal_iteratorINS9_10device_ptrIxEEEENSB_INSC_IjEEEEPNS0_10empty_typeENS0_5tupleIJNS9_16discard_iteratorINS9_11use_defaultEEESH_EEENSJ_IJSG_SI_EEENS0_18inequality_wrapperINS9_8equal_toIxEEEEPmJSH_EEE10hipError_tPvRmT3_T4_T5_T6_T7_T9_mT8_P12ihipStream_tbDpT10_ENKUlT_T0_E_clISt17integral_constantIbLb0EES1D_EEDaS18_S19_EUlS18_E_NS1_11comp_targetILNS1_3genE9ELNS1_11target_archE1100ELNS1_3gpuE3ELNS1_3repE0EEENS1_30default_config_static_selectorELNS0_4arch9wavefront6targetE0EEEvT1_,"axG",@progbits,_ZN7rocprim17ROCPRIM_400000_NS6detail17trampoline_kernelINS0_14default_configENS1_25partition_config_selectorILNS1_17partition_subalgoE9ExjbEEZZNS1_14partition_implILS5_9ELb0ES3_jN6thrust23THRUST_200600_302600_NS6detail15normal_iteratorINS9_10device_ptrIxEEEENSB_INSC_IjEEEEPNS0_10empty_typeENS0_5tupleIJNS9_16discard_iteratorINS9_11use_defaultEEESH_EEENSJ_IJSG_SI_EEENS0_18inequality_wrapperINS9_8equal_toIxEEEEPmJSH_EEE10hipError_tPvRmT3_T4_T5_T6_T7_T9_mT8_P12ihipStream_tbDpT10_ENKUlT_T0_E_clISt17integral_constantIbLb0EES1D_EEDaS18_S19_EUlS18_E_NS1_11comp_targetILNS1_3genE9ELNS1_11target_archE1100ELNS1_3gpuE3ELNS1_3repE0EEENS1_30default_config_static_selectorELNS0_4arch9wavefront6targetE0EEEvT1_,comdat
.Lfunc_end1051:
	.size	_ZN7rocprim17ROCPRIM_400000_NS6detail17trampoline_kernelINS0_14default_configENS1_25partition_config_selectorILNS1_17partition_subalgoE9ExjbEEZZNS1_14partition_implILS5_9ELb0ES3_jN6thrust23THRUST_200600_302600_NS6detail15normal_iteratorINS9_10device_ptrIxEEEENSB_INSC_IjEEEEPNS0_10empty_typeENS0_5tupleIJNS9_16discard_iteratorINS9_11use_defaultEEESH_EEENSJ_IJSG_SI_EEENS0_18inequality_wrapperINS9_8equal_toIxEEEEPmJSH_EEE10hipError_tPvRmT3_T4_T5_T6_T7_T9_mT8_P12ihipStream_tbDpT10_ENKUlT_T0_E_clISt17integral_constantIbLb0EES1D_EEDaS18_S19_EUlS18_E_NS1_11comp_targetILNS1_3genE9ELNS1_11target_archE1100ELNS1_3gpuE3ELNS1_3repE0EEENS1_30default_config_static_selectorELNS0_4arch9wavefront6targetE0EEEvT1_, .Lfunc_end1051-_ZN7rocprim17ROCPRIM_400000_NS6detail17trampoline_kernelINS0_14default_configENS1_25partition_config_selectorILNS1_17partition_subalgoE9ExjbEEZZNS1_14partition_implILS5_9ELb0ES3_jN6thrust23THRUST_200600_302600_NS6detail15normal_iteratorINS9_10device_ptrIxEEEENSB_INSC_IjEEEEPNS0_10empty_typeENS0_5tupleIJNS9_16discard_iteratorINS9_11use_defaultEEESH_EEENSJ_IJSG_SI_EEENS0_18inequality_wrapperINS9_8equal_toIxEEEEPmJSH_EEE10hipError_tPvRmT3_T4_T5_T6_T7_T9_mT8_P12ihipStream_tbDpT10_ENKUlT_T0_E_clISt17integral_constantIbLb0EES1D_EEDaS18_S19_EUlS18_E_NS1_11comp_targetILNS1_3genE9ELNS1_11target_archE1100ELNS1_3gpuE3ELNS1_3repE0EEENS1_30default_config_static_selectorELNS0_4arch9wavefront6targetE0EEEvT1_
                                        ; -- End function
	.section	.AMDGPU.csdata,"",@progbits
; Kernel info:
; codeLenInByte = 8456
; NumSgprs: 26
; NumVgprs: 59
; ScratchSize: 0
; MemoryBound: 0
; FloatMode: 240
; IeeeMode: 1
; LDSByteSize: 33800 bytes/workgroup (compile time only)
; SGPRBlocks: 3
; VGPRBlocks: 7
; NumSGPRsForWavesPerEU: 26
; NumVGPRsForWavesPerEU: 59
; Occupancy: 12
; WaveLimiterHint : 1
; COMPUTE_PGM_RSRC2:SCRATCH_EN: 0
; COMPUTE_PGM_RSRC2:USER_SGPR: 15
; COMPUTE_PGM_RSRC2:TRAP_HANDLER: 0
; COMPUTE_PGM_RSRC2:TGID_X_EN: 1
; COMPUTE_PGM_RSRC2:TGID_Y_EN: 0
; COMPUTE_PGM_RSRC2:TGID_Z_EN: 0
; COMPUTE_PGM_RSRC2:TIDIG_COMP_CNT: 0
	.section	.text._ZN7rocprim17ROCPRIM_400000_NS6detail17trampoline_kernelINS0_14default_configENS1_25partition_config_selectorILNS1_17partition_subalgoE9ExjbEEZZNS1_14partition_implILS5_9ELb0ES3_jN6thrust23THRUST_200600_302600_NS6detail15normal_iteratorINS9_10device_ptrIxEEEENSB_INSC_IjEEEEPNS0_10empty_typeENS0_5tupleIJNS9_16discard_iteratorINS9_11use_defaultEEESH_EEENSJ_IJSG_SI_EEENS0_18inequality_wrapperINS9_8equal_toIxEEEEPmJSH_EEE10hipError_tPvRmT3_T4_T5_T6_T7_T9_mT8_P12ihipStream_tbDpT10_ENKUlT_T0_E_clISt17integral_constantIbLb0EES1D_EEDaS18_S19_EUlS18_E_NS1_11comp_targetILNS1_3genE8ELNS1_11target_archE1030ELNS1_3gpuE2ELNS1_3repE0EEENS1_30default_config_static_selectorELNS0_4arch9wavefront6targetE0EEEvT1_,"axG",@progbits,_ZN7rocprim17ROCPRIM_400000_NS6detail17trampoline_kernelINS0_14default_configENS1_25partition_config_selectorILNS1_17partition_subalgoE9ExjbEEZZNS1_14partition_implILS5_9ELb0ES3_jN6thrust23THRUST_200600_302600_NS6detail15normal_iteratorINS9_10device_ptrIxEEEENSB_INSC_IjEEEEPNS0_10empty_typeENS0_5tupleIJNS9_16discard_iteratorINS9_11use_defaultEEESH_EEENSJ_IJSG_SI_EEENS0_18inequality_wrapperINS9_8equal_toIxEEEEPmJSH_EEE10hipError_tPvRmT3_T4_T5_T6_T7_T9_mT8_P12ihipStream_tbDpT10_ENKUlT_T0_E_clISt17integral_constantIbLb0EES1D_EEDaS18_S19_EUlS18_E_NS1_11comp_targetILNS1_3genE8ELNS1_11target_archE1030ELNS1_3gpuE2ELNS1_3repE0EEENS1_30default_config_static_selectorELNS0_4arch9wavefront6targetE0EEEvT1_,comdat
	.protected	_ZN7rocprim17ROCPRIM_400000_NS6detail17trampoline_kernelINS0_14default_configENS1_25partition_config_selectorILNS1_17partition_subalgoE9ExjbEEZZNS1_14partition_implILS5_9ELb0ES3_jN6thrust23THRUST_200600_302600_NS6detail15normal_iteratorINS9_10device_ptrIxEEEENSB_INSC_IjEEEEPNS0_10empty_typeENS0_5tupleIJNS9_16discard_iteratorINS9_11use_defaultEEESH_EEENSJ_IJSG_SI_EEENS0_18inequality_wrapperINS9_8equal_toIxEEEEPmJSH_EEE10hipError_tPvRmT3_T4_T5_T6_T7_T9_mT8_P12ihipStream_tbDpT10_ENKUlT_T0_E_clISt17integral_constantIbLb0EES1D_EEDaS18_S19_EUlS18_E_NS1_11comp_targetILNS1_3genE8ELNS1_11target_archE1030ELNS1_3gpuE2ELNS1_3repE0EEENS1_30default_config_static_selectorELNS0_4arch9wavefront6targetE0EEEvT1_ ; -- Begin function _ZN7rocprim17ROCPRIM_400000_NS6detail17trampoline_kernelINS0_14default_configENS1_25partition_config_selectorILNS1_17partition_subalgoE9ExjbEEZZNS1_14partition_implILS5_9ELb0ES3_jN6thrust23THRUST_200600_302600_NS6detail15normal_iteratorINS9_10device_ptrIxEEEENSB_INSC_IjEEEEPNS0_10empty_typeENS0_5tupleIJNS9_16discard_iteratorINS9_11use_defaultEEESH_EEENSJ_IJSG_SI_EEENS0_18inequality_wrapperINS9_8equal_toIxEEEEPmJSH_EEE10hipError_tPvRmT3_T4_T5_T6_T7_T9_mT8_P12ihipStream_tbDpT10_ENKUlT_T0_E_clISt17integral_constantIbLb0EES1D_EEDaS18_S19_EUlS18_E_NS1_11comp_targetILNS1_3genE8ELNS1_11target_archE1030ELNS1_3gpuE2ELNS1_3repE0EEENS1_30default_config_static_selectorELNS0_4arch9wavefront6targetE0EEEvT1_
	.globl	_ZN7rocprim17ROCPRIM_400000_NS6detail17trampoline_kernelINS0_14default_configENS1_25partition_config_selectorILNS1_17partition_subalgoE9ExjbEEZZNS1_14partition_implILS5_9ELb0ES3_jN6thrust23THRUST_200600_302600_NS6detail15normal_iteratorINS9_10device_ptrIxEEEENSB_INSC_IjEEEEPNS0_10empty_typeENS0_5tupleIJNS9_16discard_iteratorINS9_11use_defaultEEESH_EEENSJ_IJSG_SI_EEENS0_18inequality_wrapperINS9_8equal_toIxEEEEPmJSH_EEE10hipError_tPvRmT3_T4_T5_T6_T7_T9_mT8_P12ihipStream_tbDpT10_ENKUlT_T0_E_clISt17integral_constantIbLb0EES1D_EEDaS18_S19_EUlS18_E_NS1_11comp_targetILNS1_3genE8ELNS1_11target_archE1030ELNS1_3gpuE2ELNS1_3repE0EEENS1_30default_config_static_selectorELNS0_4arch9wavefront6targetE0EEEvT1_
	.p2align	8
	.type	_ZN7rocprim17ROCPRIM_400000_NS6detail17trampoline_kernelINS0_14default_configENS1_25partition_config_selectorILNS1_17partition_subalgoE9ExjbEEZZNS1_14partition_implILS5_9ELb0ES3_jN6thrust23THRUST_200600_302600_NS6detail15normal_iteratorINS9_10device_ptrIxEEEENSB_INSC_IjEEEEPNS0_10empty_typeENS0_5tupleIJNS9_16discard_iteratorINS9_11use_defaultEEESH_EEENSJ_IJSG_SI_EEENS0_18inequality_wrapperINS9_8equal_toIxEEEEPmJSH_EEE10hipError_tPvRmT3_T4_T5_T6_T7_T9_mT8_P12ihipStream_tbDpT10_ENKUlT_T0_E_clISt17integral_constantIbLb0EES1D_EEDaS18_S19_EUlS18_E_NS1_11comp_targetILNS1_3genE8ELNS1_11target_archE1030ELNS1_3gpuE2ELNS1_3repE0EEENS1_30default_config_static_selectorELNS0_4arch9wavefront6targetE0EEEvT1_,@function
_ZN7rocprim17ROCPRIM_400000_NS6detail17trampoline_kernelINS0_14default_configENS1_25partition_config_selectorILNS1_17partition_subalgoE9ExjbEEZZNS1_14partition_implILS5_9ELb0ES3_jN6thrust23THRUST_200600_302600_NS6detail15normal_iteratorINS9_10device_ptrIxEEEENSB_INSC_IjEEEEPNS0_10empty_typeENS0_5tupleIJNS9_16discard_iteratorINS9_11use_defaultEEESH_EEENSJ_IJSG_SI_EEENS0_18inequality_wrapperINS9_8equal_toIxEEEEPmJSH_EEE10hipError_tPvRmT3_T4_T5_T6_T7_T9_mT8_P12ihipStream_tbDpT10_ENKUlT_T0_E_clISt17integral_constantIbLb0EES1D_EEDaS18_S19_EUlS18_E_NS1_11comp_targetILNS1_3genE8ELNS1_11target_archE1030ELNS1_3gpuE2ELNS1_3repE0EEENS1_30default_config_static_selectorELNS0_4arch9wavefront6targetE0EEEvT1_: ; @_ZN7rocprim17ROCPRIM_400000_NS6detail17trampoline_kernelINS0_14default_configENS1_25partition_config_selectorILNS1_17partition_subalgoE9ExjbEEZZNS1_14partition_implILS5_9ELb0ES3_jN6thrust23THRUST_200600_302600_NS6detail15normal_iteratorINS9_10device_ptrIxEEEENSB_INSC_IjEEEEPNS0_10empty_typeENS0_5tupleIJNS9_16discard_iteratorINS9_11use_defaultEEESH_EEENSJ_IJSG_SI_EEENS0_18inequality_wrapperINS9_8equal_toIxEEEEPmJSH_EEE10hipError_tPvRmT3_T4_T5_T6_T7_T9_mT8_P12ihipStream_tbDpT10_ENKUlT_T0_E_clISt17integral_constantIbLb0EES1D_EEDaS18_S19_EUlS18_E_NS1_11comp_targetILNS1_3genE8ELNS1_11target_archE1030ELNS1_3gpuE2ELNS1_3repE0EEENS1_30default_config_static_selectorELNS0_4arch9wavefront6targetE0EEEvT1_
; %bb.0:
	.section	.rodata,"a",@progbits
	.p2align	6, 0x0
	.amdhsa_kernel _ZN7rocprim17ROCPRIM_400000_NS6detail17trampoline_kernelINS0_14default_configENS1_25partition_config_selectorILNS1_17partition_subalgoE9ExjbEEZZNS1_14partition_implILS5_9ELb0ES3_jN6thrust23THRUST_200600_302600_NS6detail15normal_iteratorINS9_10device_ptrIxEEEENSB_INSC_IjEEEEPNS0_10empty_typeENS0_5tupleIJNS9_16discard_iteratorINS9_11use_defaultEEESH_EEENSJ_IJSG_SI_EEENS0_18inequality_wrapperINS9_8equal_toIxEEEEPmJSH_EEE10hipError_tPvRmT3_T4_T5_T6_T7_T9_mT8_P12ihipStream_tbDpT10_ENKUlT_T0_E_clISt17integral_constantIbLb0EES1D_EEDaS18_S19_EUlS18_E_NS1_11comp_targetILNS1_3genE8ELNS1_11target_archE1030ELNS1_3gpuE2ELNS1_3repE0EEENS1_30default_config_static_selectorELNS0_4arch9wavefront6targetE0EEEvT1_
		.amdhsa_group_segment_fixed_size 0
		.amdhsa_private_segment_fixed_size 0
		.amdhsa_kernarg_size 120
		.amdhsa_user_sgpr_count 15
		.amdhsa_user_sgpr_dispatch_ptr 0
		.amdhsa_user_sgpr_queue_ptr 0
		.amdhsa_user_sgpr_kernarg_segment_ptr 1
		.amdhsa_user_sgpr_dispatch_id 0
		.amdhsa_user_sgpr_private_segment_size 0
		.amdhsa_wavefront_size32 1
		.amdhsa_uses_dynamic_stack 0
		.amdhsa_enable_private_segment 0
		.amdhsa_system_sgpr_workgroup_id_x 1
		.amdhsa_system_sgpr_workgroup_id_y 0
		.amdhsa_system_sgpr_workgroup_id_z 0
		.amdhsa_system_sgpr_workgroup_info 0
		.amdhsa_system_vgpr_workitem_id 0
		.amdhsa_next_free_vgpr 1
		.amdhsa_next_free_sgpr 1
		.amdhsa_reserve_vcc 0
		.amdhsa_float_round_mode_32 0
		.amdhsa_float_round_mode_16_64 0
		.amdhsa_float_denorm_mode_32 3
		.amdhsa_float_denorm_mode_16_64 3
		.amdhsa_dx10_clamp 1
		.amdhsa_ieee_mode 1
		.amdhsa_fp16_overflow 0
		.amdhsa_workgroup_processor_mode 1
		.amdhsa_memory_ordered 1
		.amdhsa_forward_progress 0
		.amdhsa_shared_vgpr_count 0
		.amdhsa_exception_fp_ieee_invalid_op 0
		.amdhsa_exception_fp_denorm_src 0
		.amdhsa_exception_fp_ieee_div_zero 0
		.amdhsa_exception_fp_ieee_overflow 0
		.amdhsa_exception_fp_ieee_underflow 0
		.amdhsa_exception_fp_ieee_inexact 0
		.amdhsa_exception_int_div_zero 0
	.end_amdhsa_kernel
	.section	.text._ZN7rocprim17ROCPRIM_400000_NS6detail17trampoline_kernelINS0_14default_configENS1_25partition_config_selectorILNS1_17partition_subalgoE9ExjbEEZZNS1_14partition_implILS5_9ELb0ES3_jN6thrust23THRUST_200600_302600_NS6detail15normal_iteratorINS9_10device_ptrIxEEEENSB_INSC_IjEEEEPNS0_10empty_typeENS0_5tupleIJNS9_16discard_iteratorINS9_11use_defaultEEESH_EEENSJ_IJSG_SI_EEENS0_18inequality_wrapperINS9_8equal_toIxEEEEPmJSH_EEE10hipError_tPvRmT3_T4_T5_T6_T7_T9_mT8_P12ihipStream_tbDpT10_ENKUlT_T0_E_clISt17integral_constantIbLb0EES1D_EEDaS18_S19_EUlS18_E_NS1_11comp_targetILNS1_3genE8ELNS1_11target_archE1030ELNS1_3gpuE2ELNS1_3repE0EEENS1_30default_config_static_selectorELNS0_4arch9wavefront6targetE0EEEvT1_,"axG",@progbits,_ZN7rocprim17ROCPRIM_400000_NS6detail17trampoline_kernelINS0_14default_configENS1_25partition_config_selectorILNS1_17partition_subalgoE9ExjbEEZZNS1_14partition_implILS5_9ELb0ES3_jN6thrust23THRUST_200600_302600_NS6detail15normal_iteratorINS9_10device_ptrIxEEEENSB_INSC_IjEEEEPNS0_10empty_typeENS0_5tupleIJNS9_16discard_iteratorINS9_11use_defaultEEESH_EEENSJ_IJSG_SI_EEENS0_18inequality_wrapperINS9_8equal_toIxEEEEPmJSH_EEE10hipError_tPvRmT3_T4_T5_T6_T7_T9_mT8_P12ihipStream_tbDpT10_ENKUlT_T0_E_clISt17integral_constantIbLb0EES1D_EEDaS18_S19_EUlS18_E_NS1_11comp_targetILNS1_3genE8ELNS1_11target_archE1030ELNS1_3gpuE2ELNS1_3repE0EEENS1_30default_config_static_selectorELNS0_4arch9wavefront6targetE0EEEvT1_,comdat
.Lfunc_end1052:
	.size	_ZN7rocprim17ROCPRIM_400000_NS6detail17trampoline_kernelINS0_14default_configENS1_25partition_config_selectorILNS1_17partition_subalgoE9ExjbEEZZNS1_14partition_implILS5_9ELb0ES3_jN6thrust23THRUST_200600_302600_NS6detail15normal_iteratorINS9_10device_ptrIxEEEENSB_INSC_IjEEEEPNS0_10empty_typeENS0_5tupleIJNS9_16discard_iteratorINS9_11use_defaultEEESH_EEENSJ_IJSG_SI_EEENS0_18inequality_wrapperINS9_8equal_toIxEEEEPmJSH_EEE10hipError_tPvRmT3_T4_T5_T6_T7_T9_mT8_P12ihipStream_tbDpT10_ENKUlT_T0_E_clISt17integral_constantIbLb0EES1D_EEDaS18_S19_EUlS18_E_NS1_11comp_targetILNS1_3genE8ELNS1_11target_archE1030ELNS1_3gpuE2ELNS1_3repE0EEENS1_30default_config_static_selectorELNS0_4arch9wavefront6targetE0EEEvT1_, .Lfunc_end1052-_ZN7rocprim17ROCPRIM_400000_NS6detail17trampoline_kernelINS0_14default_configENS1_25partition_config_selectorILNS1_17partition_subalgoE9ExjbEEZZNS1_14partition_implILS5_9ELb0ES3_jN6thrust23THRUST_200600_302600_NS6detail15normal_iteratorINS9_10device_ptrIxEEEENSB_INSC_IjEEEEPNS0_10empty_typeENS0_5tupleIJNS9_16discard_iteratorINS9_11use_defaultEEESH_EEENSJ_IJSG_SI_EEENS0_18inequality_wrapperINS9_8equal_toIxEEEEPmJSH_EEE10hipError_tPvRmT3_T4_T5_T6_T7_T9_mT8_P12ihipStream_tbDpT10_ENKUlT_T0_E_clISt17integral_constantIbLb0EES1D_EEDaS18_S19_EUlS18_E_NS1_11comp_targetILNS1_3genE8ELNS1_11target_archE1030ELNS1_3gpuE2ELNS1_3repE0EEENS1_30default_config_static_selectorELNS0_4arch9wavefront6targetE0EEEvT1_
                                        ; -- End function
	.section	.AMDGPU.csdata,"",@progbits
; Kernel info:
; codeLenInByte = 0
; NumSgprs: 0
; NumVgprs: 0
; ScratchSize: 0
; MemoryBound: 0
; FloatMode: 240
; IeeeMode: 1
; LDSByteSize: 0 bytes/workgroup (compile time only)
; SGPRBlocks: 0
; VGPRBlocks: 0
; NumSGPRsForWavesPerEU: 1
; NumVGPRsForWavesPerEU: 1
; Occupancy: 16
; WaveLimiterHint : 0
; COMPUTE_PGM_RSRC2:SCRATCH_EN: 0
; COMPUTE_PGM_RSRC2:USER_SGPR: 15
; COMPUTE_PGM_RSRC2:TRAP_HANDLER: 0
; COMPUTE_PGM_RSRC2:TGID_X_EN: 1
; COMPUTE_PGM_RSRC2:TGID_Y_EN: 0
; COMPUTE_PGM_RSRC2:TGID_Z_EN: 0
; COMPUTE_PGM_RSRC2:TIDIG_COMP_CNT: 0
	.section	.text._ZN7rocprim17ROCPRIM_400000_NS6detail17trampoline_kernelINS0_14default_configENS1_25partition_config_selectorILNS1_17partition_subalgoE9ExjbEEZZNS1_14partition_implILS5_9ELb0ES3_jN6thrust23THRUST_200600_302600_NS6detail15normal_iteratorINS9_10device_ptrIxEEEENSB_INSC_IjEEEEPNS0_10empty_typeENS0_5tupleIJNS9_16discard_iteratorINS9_11use_defaultEEESH_EEENSJ_IJSG_SI_EEENS0_18inequality_wrapperINS9_8equal_toIxEEEEPmJSH_EEE10hipError_tPvRmT3_T4_T5_T6_T7_T9_mT8_P12ihipStream_tbDpT10_ENKUlT_T0_E_clISt17integral_constantIbLb1EES1D_EEDaS18_S19_EUlS18_E_NS1_11comp_targetILNS1_3genE0ELNS1_11target_archE4294967295ELNS1_3gpuE0ELNS1_3repE0EEENS1_30default_config_static_selectorELNS0_4arch9wavefront6targetE0EEEvT1_,"axG",@progbits,_ZN7rocprim17ROCPRIM_400000_NS6detail17trampoline_kernelINS0_14default_configENS1_25partition_config_selectorILNS1_17partition_subalgoE9ExjbEEZZNS1_14partition_implILS5_9ELb0ES3_jN6thrust23THRUST_200600_302600_NS6detail15normal_iteratorINS9_10device_ptrIxEEEENSB_INSC_IjEEEEPNS0_10empty_typeENS0_5tupleIJNS9_16discard_iteratorINS9_11use_defaultEEESH_EEENSJ_IJSG_SI_EEENS0_18inequality_wrapperINS9_8equal_toIxEEEEPmJSH_EEE10hipError_tPvRmT3_T4_T5_T6_T7_T9_mT8_P12ihipStream_tbDpT10_ENKUlT_T0_E_clISt17integral_constantIbLb1EES1D_EEDaS18_S19_EUlS18_E_NS1_11comp_targetILNS1_3genE0ELNS1_11target_archE4294967295ELNS1_3gpuE0ELNS1_3repE0EEENS1_30default_config_static_selectorELNS0_4arch9wavefront6targetE0EEEvT1_,comdat
	.protected	_ZN7rocprim17ROCPRIM_400000_NS6detail17trampoline_kernelINS0_14default_configENS1_25partition_config_selectorILNS1_17partition_subalgoE9ExjbEEZZNS1_14partition_implILS5_9ELb0ES3_jN6thrust23THRUST_200600_302600_NS6detail15normal_iteratorINS9_10device_ptrIxEEEENSB_INSC_IjEEEEPNS0_10empty_typeENS0_5tupleIJNS9_16discard_iteratorINS9_11use_defaultEEESH_EEENSJ_IJSG_SI_EEENS0_18inequality_wrapperINS9_8equal_toIxEEEEPmJSH_EEE10hipError_tPvRmT3_T4_T5_T6_T7_T9_mT8_P12ihipStream_tbDpT10_ENKUlT_T0_E_clISt17integral_constantIbLb1EES1D_EEDaS18_S19_EUlS18_E_NS1_11comp_targetILNS1_3genE0ELNS1_11target_archE4294967295ELNS1_3gpuE0ELNS1_3repE0EEENS1_30default_config_static_selectorELNS0_4arch9wavefront6targetE0EEEvT1_ ; -- Begin function _ZN7rocprim17ROCPRIM_400000_NS6detail17trampoline_kernelINS0_14default_configENS1_25partition_config_selectorILNS1_17partition_subalgoE9ExjbEEZZNS1_14partition_implILS5_9ELb0ES3_jN6thrust23THRUST_200600_302600_NS6detail15normal_iteratorINS9_10device_ptrIxEEEENSB_INSC_IjEEEEPNS0_10empty_typeENS0_5tupleIJNS9_16discard_iteratorINS9_11use_defaultEEESH_EEENSJ_IJSG_SI_EEENS0_18inequality_wrapperINS9_8equal_toIxEEEEPmJSH_EEE10hipError_tPvRmT3_T4_T5_T6_T7_T9_mT8_P12ihipStream_tbDpT10_ENKUlT_T0_E_clISt17integral_constantIbLb1EES1D_EEDaS18_S19_EUlS18_E_NS1_11comp_targetILNS1_3genE0ELNS1_11target_archE4294967295ELNS1_3gpuE0ELNS1_3repE0EEENS1_30default_config_static_selectorELNS0_4arch9wavefront6targetE0EEEvT1_
	.globl	_ZN7rocprim17ROCPRIM_400000_NS6detail17trampoline_kernelINS0_14default_configENS1_25partition_config_selectorILNS1_17partition_subalgoE9ExjbEEZZNS1_14partition_implILS5_9ELb0ES3_jN6thrust23THRUST_200600_302600_NS6detail15normal_iteratorINS9_10device_ptrIxEEEENSB_INSC_IjEEEEPNS0_10empty_typeENS0_5tupleIJNS9_16discard_iteratorINS9_11use_defaultEEESH_EEENSJ_IJSG_SI_EEENS0_18inequality_wrapperINS9_8equal_toIxEEEEPmJSH_EEE10hipError_tPvRmT3_T4_T5_T6_T7_T9_mT8_P12ihipStream_tbDpT10_ENKUlT_T0_E_clISt17integral_constantIbLb1EES1D_EEDaS18_S19_EUlS18_E_NS1_11comp_targetILNS1_3genE0ELNS1_11target_archE4294967295ELNS1_3gpuE0ELNS1_3repE0EEENS1_30default_config_static_selectorELNS0_4arch9wavefront6targetE0EEEvT1_
	.p2align	8
	.type	_ZN7rocprim17ROCPRIM_400000_NS6detail17trampoline_kernelINS0_14default_configENS1_25partition_config_selectorILNS1_17partition_subalgoE9ExjbEEZZNS1_14partition_implILS5_9ELb0ES3_jN6thrust23THRUST_200600_302600_NS6detail15normal_iteratorINS9_10device_ptrIxEEEENSB_INSC_IjEEEEPNS0_10empty_typeENS0_5tupleIJNS9_16discard_iteratorINS9_11use_defaultEEESH_EEENSJ_IJSG_SI_EEENS0_18inequality_wrapperINS9_8equal_toIxEEEEPmJSH_EEE10hipError_tPvRmT3_T4_T5_T6_T7_T9_mT8_P12ihipStream_tbDpT10_ENKUlT_T0_E_clISt17integral_constantIbLb1EES1D_EEDaS18_S19_EUlS18_E_NS1_11comp_targetILNS1_3genE0ELNS1_11target_archE4294967295ELNS1_3gpuE0ELNS1_3repE0EEENS1_30default_config_static_selectorELNS0_4arch9wavefront6targetE0EEEvT1_,@function
_ZN7rocprim17ROCPRIM_400000_NS6detail17trampoline_kernelINS0_14default_configENS1_25partition_config_selectorILNS1_17partition_subalgoE9ExjbEEZZNS1_14partition_implILS5_9ELb0ES3_jN6thrust23THRUST_200600_302600_NS6detail15normal_iteratorINS9_10device_ptrIxEEEENSB_INSC_IjEEEEPNS0_10empty_typeENS0_5tupleIJNS9_16discard_iteratorINS9_11use_defaultEEESH_EEENSJ_IJSG_SI_EEENS0_18inequality_wrapperINS9_8equal_toIxEEEEPmJSH_EEE10hipError_tPvRmT3_T4_T5_T6_T7_T9_mT8_P12ihipStream_tbDpT10_ENKUlT_T0_E_clISt17integral_constantIbLb1EES1D_EEDaS18_S19_EUlS18_E_NS1_11comp_targetILNS1_3genE0ELNS1_11target_archE4294967295ELNS1_3gpuE0ELNS1_3repE0EEENS1_30default_config_static_selectorELNS0_4arch9wavefront6targetE0EEEvT1_: ; @_ZN7rocprim17ROCPRIM_400000_NS6detail17trampoline_kernelINS0_14default_configENS1_25partition_config_selectorILNS1_17partition_subalgoE9ExjbEEZZNS1_14partition_implILS5_9ELb0ES3_jN6thrust23THRUST_200600_302600_NS6detail15normal_iteratorINS9_10device_ptrIxEEEENSB_INSC_IjEEEEPNS0_10empty_typeENS0_5tupleIJNS9_16discard_iteratorINS9_11use_defaultEEESH_EEENSJ_IJSG_SI_EEENS0_18inequality_wrapperINS9_8equal_toIxEEEEPmJSH_EEE10hipError_tPvRmT3_T4_T5_T6_T7_T9_mT8_P12ihipStream_tbDpT10_ENKUlT_T0_E_clISt17integral_constantIbLb1EES1D_EEDaS18_S19_EUlS18_E_NS1_11comp_targetILNS1_3genE0ELNS1_11target_archE4294967295ELNS1_3gpuE0ELNS1_3repE0EEENS1_30default_config_static_selectorELNS0_4arch9wavefront6targetE0EEEvT1_
; %bb.0:
	.section	.rodata,"a",@progbits
	.p2align	6, 0x0
	.amdhsa_kernel _ZN7rocprim17ROCPRIM_400000_NS6detail17trampoline_kernelINS0_14default_configENS1_25partition_config_selectorILNS1_17partition_subalgoE9ExjbEEZZNS1_14partition_implILS5_9ELb0ES3_jN6thrust23THRUST_200600_302600_NS6detail15normal_iteratorINS9_10device_ptrIxEEEENSB_INSC_IjEEEEPNS0_10empty_typeENS0_5tupleIJNS9_16discard_iteratorINS9_11use_defaultEEESH_EEENSJ_IJSG_SI_EEENS0_18inequality_wrapperINS9_8equal_toIxEEEEPmJSH_EEE10hipError_tPvRmT3_T4_T5_T6_T7_T9_mT8_P12ihipStream_tbDpT10_ENKUlT_T0_E_clISt17integral_constantIbLb1EES1D_EEDaS18_S19_EUlS18_E_NS1_11comp_targetILNS1_3genE0ELNS1_11target_archE4294967295ELNS1_3gpuE0ELNS1_3repE0EEENS1_30default_config_static_selectorELNS0_4arch9wavefront6targetE0EEEvT1_
		.amdhsa_group_segment_fixed_size 0
		.amdhsa_private_segment_fixed_size 0
		.amdhsa_kernarg_size 136
		.amdhsa_user_sgpr_count 15
		.amdhsa_user_sgpr_dispatch_ptr 0
		.amdhsa_user_sgpr_queue_ptr 0
		.amdhsa_user_sgpr_kernarg_segment_ptr 1
		.amdhsa_user_sgpr_dispatch_id 0
		.amdhsa_user_sgpr_private_segment_size 0
		.amdhsa_wavefront_size32 1
		.amdhsa_uses_dynamic_stack 0
		.amdhsa_enable_private_segment 0
		.amdhsa_system_sgpr_workgroup_id_x 1
		.amdhsa_system_sgpr_workgroup_id_y 0
		.amdhsa_system_sgpr_workgroup_id_z 0
		.amdhsa_system_sgpr_workgroup_info 0
		.amdhsa_system_vgpr_workitem_id 0
		.amdhsa_next_free_vgpr 1
		.amdhsa_next_free_sgpr 1
		.amdhsa_reserve_vcc 0
		.amdhsa_float_round_mode_32 0
		.amdhsa_float_round_mode_16_64 0
		.amdhsa_float_denorm_mode_32 3
		.amdhsa_float_denorm_mode_16_64 3
		.amdhsa_dx10_clamp 1
		.amdhsa_ieee_mode 1
		.amdhsa_fp16_overflow 0
		.amdhsa_workgroup_processor_mode 1
		.amdhsa_memory_ordered 1
		.amdhsa_forward_progress 0
		.amdhsa_shared_vgpr_count 0
		.amdhsa_exception_fp_ieee_invalid_op 0
		.amdhsa_exception_fp_denorm_src 0
		.amdhsa_exception_fp_ieee_div_zero 0
		.amdhsa_exception_fp_ieee_overflow 0
		.amdhsa_exception_fp_ieee_underflow 0
		.amdhsa_exception_fp_ieee_inexact 0
		.amdhsa_exception_int_div_zero 0
	.end_amdhsa_kernel
	.section	.text._ZN7rocprim17ROCPRIM_400000_NS6detail17trampoline_kernelINS0_14default_configENS1_25partition_config_selectorILNS1_17partition_subalgoE9ExjbEEZZNS1_14partition_implILS5_9ELb0ES3_jN6thrust23THRUST_200600_302600_NS6detail15normal_iteratorINS9_10device_ptrIxEEEENSB_INSC_IjEEEEPNS0_10empty_typeENS0_5tupleIJNS9_16discard_iteratorINS9_11use_defaultEEESH_EEENSJ_IJSG_SI_EEENS0_18inequality_wrapperINS9_8equal_toIxEEEEPmJSH_EEE10hipError_tPvRmT3_T4_T5_T6_T7_T9_mT8_P12ihipStream_tbDpT10_ENKUlT_T0_E_clISt17integral_constantIbLb1EES1D_EEDaS18_S19_EUlS18_E_NS1_11comp_targetILNS1_3genE0ELNS1_11target_archE4294967295ELNS1_3gpuE0ELNS1_3repE0EEENS1_30default_config_static_selectorELNS0_4arch9wavefront6targetE0EEEvT1_,"axG",@progbits,_ZN7rocprim17ROCPRIM_400000_NS6detail17trampoline_kernelINS0_14default_configENS1_25partition_config_selectorILNS1_17partition_subalgoE9ExjbEEZZNS1_14partition_implILS5_9ELb0ES3_jN6thrust23THRUST_200600_302600_NS6detail15normal_iteratorINS9_10device_ptrIxEEEENSB_INSC_IjEEEEPNS0_10empty_typeENS0_5tupleIJNS9_16discard_iteratorINS9_11use_defaultEEESH_EEENSJ_IJSG_SI_EEENS0_18inequality_wrapperINS9_8equal_toIxEEEEPmJSH_EEE10hipError_tPvRmT3_T4_T5_T6_T7_T9_mT8_P12ihipStream_tbDpT10_ENKUlT_T0_E_clISt17integral_constantIbLb1EES1D_EEDaS18_S19_EUlS18_E_NS1_11comp_targetILNS1_3genE0ELNS1_11target_archE4294967295ELNS1_3gpuE0ELNS1_3repE0EEENS1_30default_config_static_selectorELNS0_4arch9wavefront6targetE0EEEvT1_,comdat
.Lfunc_end1053:
	.size	_ZN7rocprim17ROCPRIM_400000_NS6detail17trampoline_kernelINS0_14default_configENS1_25partition_config_selectorILNS1_17partition_subalgoE9ExjbEEZZNS1_14partition_implILS5_9ELb0ES3_jN6thrust23THRUST_200600_302600_NS6detail15normal_iteratorINS9_10device_ptrIxEEEENSB_INSC_IjEEEEPNS0_10empty_typeENS0_5tupleIJNS9_16discard_iteratorINS9_11use_defaultEEESH_EEENSJ_IJSG_SI_EEENS0_18inequality_wrapperINS9_8equal_toIxEEEEPmJSH_EEE10hipError_tPvRmT3_T4_T5_T6_T7_T9_mT8_P12ihipStream_tbDpT10_ENKUlT_T0_E_clISt17integral_constantIbLb1EES1D_EEDaS18_S19_EUlS18_E_NS1_11comp_targetILNS1_3genE0ELNS1_11target_archE4294967295ELNS1_3gpuE0ELNS1_3repE0EEENS1_30default_config_static_selectorELNS0_4arch9wavefront6targetE0EEEvT1_, .Lfunc_end1053-_ZN7rocprim17ROCPRIM_400000_NS6detail17trampoline_kernelINS0_14default_configENS1_25partition_config_selectorILNS1_17partition_subalgoE9ExjbEEZZNS1_14partition_implILS5_9ELb0ES3_jN6thrust23THRUST_200600_302600_NS6detail15normal_iteratorINS9_10device_ptrIxEEEENSB_INSC_IjEEEEPNS0_10empty_typeENS0_5tupleIJNS9_16discard_iteratorINS9_11use_defaultEEESH_EEENSJ_IJSG_SI_EEENS0_18inequality_wrapperINS9_8equal_toIxEEEEPmJSH_EEE10hipError_tPvRmT3_T4_T5_T6_T7_T9_mT8_P12ihipStream_tbDpT10_ENKUlT_T0_E_clISt17integral_constantIbLb1EES1D_EEDaS18_S19_EUlS18_E_NS1_11comp_targetILNS1_3genE0ELNS1_11target_archE4294967295ELNS1_3gpuE0ELNS1_3repE0EEENS1_30default_config_static_selectorELNS0_4arch9wavefront6targetE0EEEvT1_
                                        ; -- End function
	.section	.AMDGPU.csdata,"",@progbits
; Kernel info:
; codeLenInByte = 0
; NumSgprs: 0
; NumVgprs: 0
; ScratchSize: 0
; MemoryBound: 0
; FloatMode: 240
; IeeeMode: 1
; LDSByteSize: 0 bytes/workgroup (compile time only)
; SGPRBlocks: 0
; VGPRBlocks: 0
; NumSGPRsForWavesPerEU: 1
; NumVGPRsForWavesPerEU: 1
; Occupancy: 16
; WaveLimiterHint : 0
; COMPUTE_PGM_RSRC2:SCRATCH_EN: 0
; COMPUTE_PGM_RSRC2:USER_SGPR: 15
; COMPUTE_PGM_RSRC2:TRAP_HANDLER: 0
; COMPUTE_PGM_RSRC2:TGID_X_EN: 1
; COMPUTE_PGM_RSRC2:TGID_Y_EN: 0
; COMPUTE_PGM_RSRC2:TGID_Z_EN: 0
; COMPUTE_PGM_RSRC2:TIDIG_COMP_CNT: 0
	.section	.text._ZN7rocprim17ROCPRIM_400000_NS6detail17trampoline_kernelINS0_14default_configENS1_25partition_config_selectorILNS1_17partition_subalgoE9ExjbEEZZNS1_14partition_implILS5_9ELb0ES3_jN6thrust23THRUST_200600_302600_NS6detail15normal_iteratorINS9_10device_ptrIxEEEENSB_INSC_IjEEEEPNS0_10empty_typeENS0_5tupleIJNS9_16discard_iteratorINS9_11use_defaultEEESH_EEENSJ_IJSG_SI_EEENS0_18inequality_wrapperINS9_8equal_toIxEEEEPmJSH_EEE10hipError_tPvRmT3_T4_T5_T6_T7_T9_mT8_P12ihipStream_tbDpT10_ENKUlT_T0_E_clISt17integral_constantIbLb1EES1D_EEDaS18_S19_EUlS18_E_NS1_11comp_targetILNS1_3genE5ELNS1_11target_archE942ELNS1_3gpuE9ELNS1_3repE0EEENS1_30default_config_static_selectorELNS0_4arch9wavefront6targetE0EEEvT1_,"axG",@progbits,_ZN7rocprim17ROCPRIM_400000_NS6detail17trampoline_kernelINS0_14default_configENS1_25partition_config_selectorILNS1_17partition_subalgoE9ExjbEEZZNS1_14partition_implILS5_9ELb0ES3_jN6thrust23THRUST_200600_302600_NS6detail15normal_iteratorINS9_10device_ptrIxEEEENSB_INSC_IjEEEEPNS0_10empty_typeENS0_5tupleIJNS9_16discard_iteratorINS9_11use_defaultEEESH_EEENSJ_IJSG_SI_EEENS0_18inequality_wrapperINS9_8equal_toIxEEEEPmJSH_EEE10hipError_tPvRmT3_T4_T5_T6_T7_T9_mT8_P12ihipStream_tbDpT10_ENKUlT_T0_E_clISt17integral_constantIbLb1EES1D_EEDaS18_S19_EUlS18_E_NS1_11comp_targetILNS1_3genE5ELNS1_11target_archE942ELNS1_3gpuE9ELNS1_3repE0EEENS1_30default_config_static_selectorELNS0_4arch9wavefront6targetE0EEEvT1_,comdat
	.protected	_ZN7rocprim17ROCPRIM_400000_NS6detail17trampoline_kernelINS0_14default_configENS1_25partition_config_selectorILNS1_17partition_subalgoE9ExjbEEZZNS1_14partition_implILS5_9ELb0ES3_jN6thrust23THRUST_200600_302600_NS6detail15normal_iteratorINS9_10device_ptrIxEEEENSB_INSC_IjEEEEPNS0_10empty_typeENS0_5tupleIJNS9_16discard_iteratorINS9_11use_defaultEEESH_EEENSJ_IJSG_SI_EEENS0_18inequality_wrapperINS9_8equal_toIxEEEEPmJSH_EEE10hipError_tPvRmT3_T4_T5_T6_T7_T9_mT8_P12ihipStream_tbDpT10_ENKUlT_T0_E_clISt17integral_constantIbLb1EES1D_EEDaS18_S19_EUlS18_E_NS1_11comp_targetILNS1_3genE5ELNS1_11target_archE942ELNS1_3gpuE9ELNS1_3repE0EEENS1_30default_config_static_selectorELNS0_4arch9wavefront6targetE0EEEvT1_ ; -- Begin function _ZN7rocprim17ROCPRIM_400000_NS6detail17trampoline_kernelINS0_14default_configENS1_25partition_config_selectorILNS1_17partition_subalgoE9ExjbEEZZNS1_14partition_implILS5_9ELb0ES3_jN6thrust23THRUST_200600_302600_NS6detail15normal_iteratorINS9_10device_ptrIxEEEENSB_INSC_IjEEEEPNS0_10empty_typeENS0_5tupleIJNS9_16discard_iteratorINS9_11use_defaultEEESH_EEENSJ_IJSG_SI_EEENS0_18inequality_wrapperINS9_8equal_toIxEEEEPmJSH_EEE10hipError_tPvRmT3_T4_T5_T6_T7_T9_mT8_P12ihipStream_tbDpT10_ENKUlT_T0_E_clISt17integral_constantIbLb1EES1D_EEDaS18_S19_EUlS18_E_NS1_11comp_targetILNS1_3genE5ELNS1_11target_archE942ELNS1_3gpuE9ELNS1_3repE0EEENS1_30default_config_static_selectorELNS0_4arch9wavefront6targetE0EEEvT1_
	.globl	_ZN7rocprim17ROCPRIM_400000_NS6detail17trampoline_kernelINS0_14default_configENS1_25partition_config_selectorILNS1_17partition_subalgoE9ExjbEEZZNS1_14partition_implILS5_9ELb0ES3_jN6thrust23THRUST_200600_302600_NS6detail15normal_iteratorINS9_10device_ptrIxEEEENSB_INSC_IjEEEEPNS0_10empty_typeENS0_5tupleIJNS9_16discard_iteratorINS9_11use_defaultEEESH_EEENSJ_IJSG_SI_EEENS0_18inequality_wrapperINS9_8equal_toIxEEEEPmJSH_EEE10hipError_tPvRmT3_T4_T5_T6_T7_T9_mT8_P12ihipStream_tbDpT10_ENKUlT_T0_E_clISt17integral_constantIbLb1EES1D_EEDaS18_S19_EUlS18_E_NS1_11comp_targetILNS1_3genE5ELNS1_11target_archE942ELNS1_3gpuE9ELNS1_3repE0EEENS1_30default_config_static_selectorELNS0_4arch9wavefront6targetE0EEEvT1_
	.p2align	8
	.type	_ZN7rocprim17ROCPRIM_400000_NS6detail17trampoline_kernelINS0_14default_configENS1_25partition_config_selectorILNS1_17partition_subalgoE9ExjbEEZZNS1_14partition_implILS5_9ELb0ES3_jN6thrust23THRUST_200600_302600_NS6detail15normal_iteratorINS9_10device_ptrIxEEEENSB_INSC_IjEEEEPNS0_10empty_typeENS0_5tupleIJNS9_16discard_iteratorINS9_11use_defaultEEESH_EEENSJ_IJSG_SI_EEENS0_18inequality_wrapperINS9_8equal_toIxEEEEPmJSH_EEE10hipError_tPvRmT3_T4_T5_T6_T7_T9_mT8_P12ihipStream_tbDpT10_ENKUlT_T0_E_clISt17integral_constantIbLb1EES1D_EEDaS18_S19_EUlS18_E_NS1_11comp_targetILNS1_3genE5ELNS1_11target_archE942ELNS1_3gpuE9ELNS1_3repE0EEENS1_30default_config_static_selectorELNS0_4arch9wavefront6targetE0EEEvT1_,@function
_ZN7rocprim17ROCPRIM_400000_NS6detail17trampoline_kernelINS0_14default_configENS1_25partition_config_selectorILNS1_17partition_subalgoE9ExjbEEZZNS1_14partition_implILS5_9ELb0ES3_jN6thrust23THRUST_200600_302600_NS6detail15normal_iteratorINS9_10device_ptrIxEEEENSB_INSC_IjEEEEPNS0_10empty_typeENS0_5tupleIJNS9_16discard_iteratorINS9_11use_defaultEEESH_EEENSJ_IJSG_SI_EEENS0_18inequality_wrapperINS9_8equal_toIxEEEEPmJSH_EEE10hipError_tPvRmT3_T4_T5_T6_T7_T9_mT8_P12ihipStream_tbDpT10_ENKUlT_T0_E_clISt17integral_constantIbLb1EES1D_EEDaS18_S19_EUlS18_E_NS1_11comp_targetILNS1_3genE5ELNS1_11target_archE942ELNS1_3gpuE9ELNS1_3repE0EEENS1_30default_config_static_selectorELNS0_4arch9wavefront6targetE0EEEvT1_: ; @_ZN7rocprim17ROCPRIM_400000_NS6detail17trampoline_kernelINS0_14default_configENS1_25partition_config_selectorILNS1_17partition_subalgoE9ExjbEEZZNS1_14partition_implILS5_9ELb0ES3_jN6thrust23THRUST_200600_302600_NS6detail15normal_iteratorINS9_10device_ptrIxEEEENSB_INSC_IjEEEEPNS0_10empty_typeENS0_5tupleIJNS9_16discard_iteratorINS9_11use_defaultEEESH_EEENSJ_IJSG_SI_EEENS0_18inequality_wrapperINS9_8equal_toIxEEEEPmJSH_EEE10hipError_tPvRmT3_T4_T5_T6_T7_T9_mT8_P12ihipStream_tbDpT10_ENKUlT_T0_E_clISt17integral_constantIbLb1EES1D_EEDaS18_S19_EUlS18_E_NS1_11comp_targetILNS1_3genE5ELNS1_11target_archE942ELNS1_3gpuE9ELNS1_3repE0EEENS1_30default_config_static_selectorELNS0_4arch9wavefront6targetE0EEEvT1_
; %bb.0:
	.section	.rodata,"a",@progbits
	.p2align	6, 0x0
	.amdhsa_kernel _ZN7rocprim17ROCPRIM_400000_NS6detail17trampoline_kernelINS0_14default_configENS1_25partition_config_selectorILNS1_17partition_subalgoE9ExjbEEZZNS1_14partition_implILS5_9ELb0ES3_jN6thrust23THRUST_200600_302600_NS6detail15normal_iteratorINS9_10device_ptrIxEEEENSB_INSC_IjEEEEPNS0_10empty_typeENS0_5tupleIJNS9_16discard_iteratorINS9_11use_defaultEEESH_EEENSJ_IJSG_SI_EEENS0_18inequality_wrapperINS9_8equal_toIxEEEEPmJSH_EEE10hipError_tPvRmT3_T4_T5_T6_T7_T9_mT8_P12ihipStream_tbDpT10_ENKUlT_T0_E_clISt17integral_constantIbLb1EES1D_EEDaS18_S19_EUlS18_E_NS1_11comp_targetILNS1_3genE5ELNS1_11target_archE942ELNS1_3gpuE9ELNS1_3repE0EEENS1_30default_config_static_selectorELNS0_4arch9wavefront6targetE0EEEvT1_
		.amdhsa_group_segment_fixed_size 0
		.amdhsa_private_segment_fixed_size 0
		.amdhsa_kernarg_size 136
		.amdhsa_user_sgpr_count 15
		.amdhsa_user_sgpr_dispatch_ptr 0
		.amdhsa_user_sgpr_queue_ptr 0
		.amdhsa_user_sgpr_kernarg_segment_ptr 1
		.amdhsa_user_sgpr_dispatch_id 0
		.amdhsa_user_sgpr_private_segment_size 0
		.amdhsa_wavefront_size32 1
		.amdhsa_uses_dynamic_stack 0
		.amdhsa_enable_private_segment 0
		.amdhsa_system_sgpr_workgroup_id_x 1
		.amdhsa_system_sgpr_workgroup_id_y 0
		.amdhsa_system_sgpr_workgroup_id_z 0
		.amdhsa_system_sgpr_workgroup_info 0
		.amdhsa_system_vgpr_workitem_id 0
		.amdhsa_next_free_vgpr 1
		.amdhsa_next_free_sgpr 1
		.amdhsa_reserve_vcc 0
		.amdhsa_float_round_mode_32 0
		.amdhsa_float_round_mode_16_64 0
		.amdhsa_float_denorm_mode_32 3
		.amdhsa_float_denorm_mode_16_64 3
		.amdhsa_dx10_clamp 1
		.amdhsa_ieee_mode 1
		.amdhsa_fp16_overflow 0
		.amdhsa_workgroup_processor_mode 1
		.amdhsa_memory_ordered 1
		.amdhsa_forward_progress 0
		.amdhsa_shared_vgpr_count 0
		.amdhsa_exception_fp_ieee_invalid_op 0
		.amdhsa_exception_fp_denorm_src 0
		.amdhsa_exception_fp_ieee_div_zero 0
		.amdhsa_exception_fp_ieee_overflow 0
		.amdhsa_exception_fp_ieee_underflow 0
		.amdhsa_exception_fp_ieee_inexact 0
		.amdhsa_exception_int_div_zero 0
	.end_amdhsa_kernel
	.section	.text._ZN7rocprim17ROCPRIM_400000_NS6detail17trampoline_kernelINS0_14default_configENS1_25partition_config_selectorILNS1_17partition_subalgoE9ExjbEEZZNS1_14partition_implILS5_9ELb0ES3_jN6thrust23THRUST_200600_302600_NS6detail15normal_iteratorINS9_10device_ptrIxEEEENSB_INSC_IjEEEEPNS0_10empty_typeENS0_5tupleIJNS9_16discard_iteratorINS9_11use_defaultEEESH_EEENSJ_IJSG_SI_EEENS0_18inequality_wrapperINS9_8equal_toIxEEEEPmJSH_EEE10hipError_tPvRmT3_T4_T5_T6_T7_T9_mT8_P12ihipStream_tbDpT10_ENKUlT_T0_E_clISt17integral_constantIbLb1EES1D_EEDaS18_S19_EUlS18_E_NS1_11comp_targetILNS1_3genE5ELNS1_11target_archE942ELNS1_3gpuE9ELNS1_3repE0EEENS1_30default_config_static_selectorELNS0_4arch9wavefront6targetE0EEEvT1_,"axG",@progbits,_ZN7rocprim17ROCPRIM_400000_NS6detail17trampoline_kernelINS0_14default_configENS1_25partition_config_selectorILNS1_17partition_subalgoE9ExjbEEZZNS1_14partition_implILS5_9ELb0ES3_jN6thrust23THRUST_200600_302600_NS6detail15normal_iteratorINS9_10device_ptrIxEEEENSB_INSC_IjEEEEPNS0_10empty_typeENS0_5tupleIJNS9_16discard_iteratorINS9_11use_defaultEEESH_EEENSJ_IJSG_SI_EEENS0_18inequality_wrapperINS9_8equal_toIxEEEEPmJSH_EEE10hipError_tPvRmT3_T4_T5_T6_T7_T9_mT8_P12ihipStream_tbDpT10_ENKUlT_T0_E_clISt17integral_constantIbLb1EES1D_EEDaS18_S19_EUlS18_E_NS1_11comp_targetILNS1_3genE5ELNS1_11target_archE942ELNS1_3gpuE9ELNS1_3repE0EEENS1_30default_config_static_selectorELNS0_4arch9wavefront6targetE0EEEvT1_,comdat
.Lfunc_end1054:
	.size	_ZN7rocprim17ROCPRIM_400000_NS6detail17trampoline_kernelINS0_14default_configENS1_25partition_config_selectorILNS1_17partition_subalgoE9ExjbEEZZNS1_14partition_implILS5_9ELb0ES3_jN6thrust23THRUST_200600_302600_NS6detail15normal_iteratorINS9_10device_ptrIxEEEENSB_INSC_IjEEEEPNS0_10empty_typeENS0_5tupleIJNS9_16discard_iteratorINS9_11use_defaultEEESH_EEENSJ_IJSG_SI_EEENS0_18inequality_wrapperINS9_8equal_toIxEEEEPmJSH_EEE10hipError_tPvRmT3_T4_T5_T6_T7_T9_mT8_P12ihipStream_tbDpT10_ENKUlT_T0_E_clISt17integral_constantIbLb1EES1D_EEDaS18_S19_EUlS18_E_NS1_11comp_targetILNS1_3genE5ELNS1_11target_archE942ELNS1_3gpuE9ELNS1_3repE0EEENS1_30default_config_static_selectorELNS0_4arch9wavefront6targetE0EEEvT1_, .Lfunc_end1054-_ZN7rocprim17ROCPRIM_400000_NS6detail17trampoline_kernelINS0_14default_configENS1_25partition_config_selectorILNS1_17partition_subalgoE9ExjbEEZZNS1_14partition_implILS5_9ELb0ES3_jN6thrust23THRUST_200600_302600_NS6detail15normal_iteratorINS9_10device_ptrIxEEEENSB_INSC_IjEEEEPNS0_10empty_typeENS0_5tupleIJNS9_16discard_iteratorINS9_11use_defaultEEESH_EEENSJ_IJSG_SI_EEENS0_18inequality_wrapperINS9_8equal_toIxEEEEPmJSH_EEE10hipError_tPvRmT3_T4_T5_T6_T7_T9_mT8_P12ihipStream_tbDpT10_ENKUlT_T0_E_clISt17integral_constantIbLb1EES1D_EEDaS18_S19_EUlS18_E_NS1_11comp_targetILNS1_3genE5ELNS1_11target_archE942ELNS1_3gpuE9ELNS1_3repE0EEENS1_30default_config_static_selectorELNS0_4arch9wavefront6targetE0EEEvT1_
                                        ; -- End function
	.section	.AMDGPU.csdata,"",@progbits
; Kernel info:
; codeLenInByte = 0
; NumSgprs: 0
; NumVgprs: 0
; ScratchSize: 0
; MemoryBound: 0
; FloatMode: 240
; IeeeMode: 1
; LDSByteSize: 0 bytes/workgroup (compile time only)
; SGPRBlocks: 0
; VGPRBlocks: 0
; NumSGPRsForWavesPerEU: 1
; NumVGPRsForWavesPerEU: 1
; Occupancy: 16
; WaveLimiterHint : 0
; COMPUTE_PGM_RSRC2:SCRATCH_EN: 0
; COMPUTE_PGM_RSRC2:USER_SGPR: 15
; COMPUTE_PGM_RSRC2:TRAP_HANDLER: 0
; COMPUTE_PGM_RSRC2:TGID_X_EN: 1
; COMPUTE_PGM_RSRC2:TGID_Y_EN: 0
; COMPUTE_PGM_RSRC2:TGID_Z_EN: 0
; COMPUTE_PGM_RSRC2:TIDIG_COMP_CNT: 0
	.section	.text._ZN7rocprim17ROCPRIM_400000_NS6detail17trampoline_kernelINS0_14default_configENS1_25partition_config_selectorILNS1_17partition_subalgoE9ExjbEEZZNS1_14partition_implILS5_9ELb0ES3_jN6thrust23THRUST_200600_302600_NS6detail15normal_iteratorINS9_10device_ptrIxEEEENSB_INSC_IjEEEEPNS0_10empty_typeENS0_5tupleIJNS9_16discard_iteratorINS9_11use_defaultEEESH_EEENSJ_IJSG_SI_EEENS0_18inequality_wrapperINS9_8equal_toIxEEEEPmJSH_EEE10hipError_tPvRmT3_T4_T5_T6_T7_T9_mT8_P12ihipStream_tbDpT10_ENKUlT_T0_E_clISt17integral_constantIbLb1EES1D_EEDaS18_S19_EUlS18_E_NS1_11comp_targetILNS1_3genE4ELNS1_11target_archE910ELNS1_3gpuE8ELNS1_3repE0EEENS1_30default_config_static_selectorELNS0_4arch9wavefront6targetE0EEEvT1_,"axG",@progbits,_ZN7rocprim17ROCPRIM_400000_NS6detail17trampoline_kernelINS0_14default_configENS1_25partition_config_selectorILNS1_17partition_subalgoE9ExjbEEZZNS1_14partition_implILS5_9ELb0ES3_jN6thrust23THRUST_200600_302600_NS6detail15normal_iteratorINS9_10device_ptrIxEEEENSB_INSC_IjEEEEPNS0_10empty_typeENS0_5tupleIJNS9_16discard_iteratorINS9_11use_defaultEEESH_EEENSJ_IJSG_SI_EEENS0_18inequality_wrapperINS9_8equal_toIxEEEEPmJSH_EEE10hipError_tPvRmT3_T4_T5_T6_T7_T9_mT8_P12ihipStream_tbDpT10_ENKUlT_T0_E_clISt17integral_constantIbLb1EES1D_EEDaS18_S19_EUlS18_E_NS1_11comp_targetILNS1_3genE4ELNS1_11target_archE910ELNS1_3gpuE8ELNS1_3repE0EEENS1_30default_config_static_selectorELNS0_4arch9wavefront6targetE0EEEvT1_,comdat
	.protected	_ZN7rocprim17ROCPRIM_400000_NS6detail17trampoline_kernelINS0_14default_configENS1_25partition_config_selectorILNS1_17partition_subalgoE9ExjbEEZZNS1_14partition_implILS5_9ELb0ES3_jN6thrust23THRUST_200600_302600_NS6detail15normal_iteratorINS9_10device_ptrIxEEEENSB_INSC_IjEEEEPNS0_10empty_typeENS0_5tupleIJNS9_16discard_iteratorINS9_11use_defaultEEESH_EEENSJ_IJSG_SI_EEENS0_18inequality_wrapperINS9_8equal_toIxEEEEPmJSH_EEE10hipError_tPvRmT3_T4_T5_T6_T7_T9_mT8_P12ihipStream_tbDpT10_ENKUlT_T0_E_clISt17integral_constantIbLb1EES1D_EEDaS18_S19_EUlS18_E_NS1_11comp_targetILNS1_3genE4ELNS1_11target_archE910ELNS1_3gpuE8ELNS1_3repE0EEENS1_30default_config_static_selectorELNS0_4arch9wavefront6targetE0EEEvT1_ ; -- Begin function _ZN7rocprim17ROCPRIM_400000_NS6detail17trampoline_kernelINS0_14default_configENS1_25partition_config_selectorILNS1_17partition_subalgoE9ExjbEEZZNS1_14partition_implILS5_9ELb0ES3_jN6thrust23THRUST_200600_302600_NS6detail15normal_iteratorINS9_10device_ptrIxEEEENSB_INSC_IjEEEEPNS0_10empty_typeENS0_5tupleIJNS9_16discard_iteratorINS9_11use_defaultEEESH_EEENSJ_IJSG_SI_EEENS0_18inequality_wrapperINS9_8equal_toIxEEEEPmJSH_EEE10hipError_tPvRmT3_T4_T5_T6_T7_T9_mT8_P12ihipStream_tbDpT10_ENKUlT_T0_E_clISt17integral_constantIbLb1EES1D_EEDaS18_S19_EUlS18_E_NS1_11comp_targetILNS1_3genE4ELNS1_11target_archE910ELNS1_3gpuE8ELNS1_3repE0EEENS1_30default_config_static_selectorELNS0_4arch9wavefront6targetE0EEEvT1_
	.globl	_ZN7rocprim17ROCPRIM_400000_NS6detail17trampoline_kernelINS0_14default_configENS1_25partition_config_selectorILNS1_17partition_subalgoE9ExjbEEZZNS1_14partition_implILS5_9ELb0ES3_jN6thrust23THRUST_200600_302600_NS6detail15normal_iteratorINS9_10device_ptrIxEEEENSB_INSC_IjEEEEPNS0_10empty_typeENS0_5tupleIJNS9_16discard_iteratorINS9_11use_defaultEEESH_EEENSJ_IJSG_SI_EEENS0_18inequality_wrapperINS9_8equal_toIxEEEEPmJSH_EEE10hipError_tPvRmT3_T4_T5_T6_T7_T9_mT8_P12ihipStream_tbDpT10_ENKUlT_T0_E_clISt17integral_constantIbLb1EES1D_EEDaS18_S19_EUlS18_E_NS1_11comp_targetILNS1_3genE4ELNS1_11target_archE910ELNS1_3gpuE8ELNS1_3repE0EEENS1_30default_config_static_selectorELNS0_4arch9wavefront6targetE0EEEvT1_
	.p2align	8
	.type	_ZN7rocprim17ROCPRIM_400000_NS6detail17trampoline_kernelINS0_14default_configENS1_25partition_config_selectorILNS1_17partition_subalgoE9ExjbEEZZNS1_14partition_implILS5_9ELb0ES3_jN6thrust23THRUST_200600_302600_NS6detail15normal_iteratorINS9_10device_ptrIxEEEENSB_INSC_IjEEEEPNS0_10empty_typeENS0_5tupleIJNS9_16discard_iteratorINS9_11use_defaultEEESH_EEENSJ_IJSG_SI_EEENS0_18inequality_wrapperINS9_8equal_toIxEEEEPmJSH_EEE10hipError_tPvRmT3_T4_T5_T6_T7_T9_mT8_P12ihipStream_tbDpT10_ENKUlT_T0_E_clISt17integral_constantIbLb1EES1D_EEDaS18_S19_EUlS18_E_NS1_11comp_targetILNS1_3genE4ELNS1_11target_archE910ELNS1_3gpuE8ELNS1_3repE0EEENS1_30default_config_static_selectorELNS0_4arch9wavefront6targetE0EEEvT1_,@function
_ZN7rocprim17ROCPRIM_400000_NS6detail17trampoline_kernelINS0_14default_configENS1_25partition_config_selectorILNS1_17partition_subalgoE9ExjbEEZZNS1_14partition_implILS5_9ELb0ES3_jN6thrust23THRUST_200600_302600_NS6detail15normal_iteratorINS9_10device_ptrIxEEEENSB_INSC_IjEEEEPNS0_10empty_typeENS0_5tupleIJNS9_16discard_iteratorINS9_11use_defaultEEESH_EEENSJ_IJSG_SI_EEENS0_18inequality_wrapperINS9_8equal_toIxEEEEPmJSH_EEE10hipError_tPvRmT3_T4_T5_T6_T7_T9_mT8_P12ihipStream_tbDpT10_ENKUlT_T0_E_clISt17integral_constantIbLb1EES1D_EEDaS18_S19_EUlS18_E_NS1_11comp_targetILNS1_3genE4ELNS1_11target_archE910ELNS1_3gpuE8ELNS1_3repE0EEENS1_30default_config_static_selectorELNS0_4arch9wavefront6targetE0EEEvT1_: ; @_ZN7rocprim17ROCPRIM_400000_NS6detail17trampoline_kernelINS0_14default_configENS1_25partition_config_selectorILNS1_17partition_subalgoE9ExjbEEZZNS1_14partition_implILS5_9ELb0ES3_jN6thrust23THRUST_200600_302600_NS6detail15normal_iteratorINS9_10device_ptrIxEEEENSB_INSC_IjEEEEPNS0_10empty_typeENS0_5tupleIJNS9_16discard_iteratorINS9_11use_defaultEEESH_EEENSJ_IJSG_SI_EEENS0_18inequality_wrapperINS9_8equal_toIxEEEEPmJSH_EEE10hipError_tPvRmT3_T4_T5_T6_T7_T9_mT8_P12ihipStream_tbDpT10_ENKUlT_T0_E_clISt17integral_constantIbLb1EES1D_EEDaS18_S19_EUlS18_E_NS1_11comp_targetILNS1_3genE4ELNS1_11target_archE910ELNS1_3gpuE8ELNS1_3repE0EEENS1_30default_config_static_selectorELNS0_4arch9wavefront6targetE0EEEvT1_
; %bb.0:
	.section	.rodata,"a",@progbits
	.p2align	6, 0x0
	.amdhsa_kernel _ZN7rocprim17ROCPRIM_400000_NS6detail17trampoline_kernelINS0_14default_configENS1_25partition_config_selectorILNS1_17partition_subalgoE9ExjbEEZZNS1_14partition_implILS5_9ELb0ES3_jN6thrust23THRUST_200600_302600_NS6detail15normal_iteratorINS9_10device_ptrIxEEEENSB_INSC_IjEEEEPNS0_10empty_typeENS0_5tupleIJNS9_16discard_iteratorINS9_11use_defaultEEESH_EEENSJ_IJSG_SI_EEENS0_18inequality_wrapperINS9_8equal_toIxEEEEPmJSH_EEE10hipError_tPvRmT3_T4_T5_T6_T7_T9_mT8_P12ihipStream_tbDpT10_ENKUlT_T0_E_clISt17integral_constantIbLb1EES1D_EEDaS18_S19_EUlS18_E_NS1_11comp_targetILNS1_3genE4ELNS1_11target_archE910ELNS1_3gpuE8ELNS1_3repE0EEENS1_30default_config_static_selectorELNS0_4arch9wavefront6targetE0EEEvT1_
		.amdhsa_group_segment_fixed_size 0
		.amdhsa_private_segment_fixed_size 0
		.amdhsa_kernarg_size 136
		.amdhsa_user_sgpr_count 15
		.amdhsa_user_sgpr_dispatch_ptr 0
		.amdhsa_user_sgpr_queue_ptr 0
		.amdhsa_user_sgpr_kernarg_segment_ptr 1
		.amdhsa_user_sgpr_dispatch_id 0
		.amdhsa_user_sgpr_private_segment_size 0
		.amdhsa_wavefront_size32 1
		.amdhsa_uses_dynamic_stack 0
		.amdhsa_enable_private_segment 0
		.amdhsa_system_sgpr_workgroup_id_x 1
		.amdhsa_system_sgpr_workgroup_id_y 0
		.amdhsa_system_sgpr_workgroup_id_z 0
		.amdhsa_system_sgpr_workgroup_info 0
		.amdhsa_system_vgpr_workitem_id 0
		.amdhsa_next_free_vgpr 1
		.amdhsa_next_free_sgpr 1
		.amdhsa_reserve_vcc 0
		.amdhsa_float_round_mode_32 0
		.amdhsa_float_round_mode_16_64 0
		.amdhsa_float_denorm_mode_32 3
		.amdhsa_float_denorm_mode_16_64 3
		.amdhsa_dx10_clamp 1
		.amdhsa_ieee_mode 1
		.amdhsa_fp16_overflow 0
		.amdhsa_workgroup_processor_mode 1
		.amdhsa_memory_ordered 1
		.amdhsa_forward_progress 0
		.amdhsa_shared_vgpr_count 0
		.amdhsa_exception_fp_ieee_invalid_op 0
		.amdhsa_exception_fp_denorm_src 0
		.amdhsa_exception_fp_ieee_div_zero 0
		.amdhsa_exception_fp_ieee_overflow 0
		.amdhsa_exception_fp_ieee_underflow 0
		.amdhsa_exception_fp_ieee_inexact 0
		.amdhsa_exception_int_div_zero 0
	.end_amdhsa_kernel
	.section	.text._ZN7rocprim17ROCPRIM_400000_NS6detail17trampoline_kernelINS0_14default_configENS1_25partition_config_selectorILNS1_17partition_subalgoE9ExjbEEZZNS1_14partition_implILS5_9ELb0ES3_jN6thrust23THRUST_200600_302600_NS6detail15normal_iteratorINS9_10device_ptrIxEEEENSB_INSC_IjEEEEPNS0_10empty_typeENS0_5tupleIJNS9_16discard_iteratorINS9_11use_defaultEEESH_EEENSJ_IJSG_SI_EEENS0_18inequality_wrapperINS9_8equal_toIxEEEEPmJSH_EEE10hipError_tPvRmT3_T4_T5_T6_T7_T9_mT8_P12ihipStream_tbDpT10_ENKUlT_T0_E_clISt17integral_constantIbLb1EES1D_EEDaS18_S19_EUlS18_E_NS1_11comp_targetILNS1_3genE4ELNS1_11target_archE910ELNS1_3gpuE8ELNS1_3repE0EEENS1_30default_config_static_selectorELNS0_4arch9wavefront6targetE0EEEvT1_,"axG",@progbits,_ZN7rocprim17ROCPRIM_400000_NS6detail17trampoline_kernelINS0_14default_configENS1_25partition_config_selectorILNS1_17partition_subalgoE9ExjbEEZZNS1_14partition_implILS5_9ELb0ES3_jN6thrust23THRUST_200600_302600_NS6detail15normal_iteratorINS9_10device_ptrIxEEEENSB_INSC_IjEEEEPNS0_10empty_typeENS0_5tupleIJNS9_16discard_iteratorINS9_11use_defaultEEESH_EEENSJ_IJSG_SI_EEENS0_18inequality_wrapperINS9_8equal_toIxEEEEPmJSH_EEE10hipError_tPvRmT3_T4_T5_T6_T7_T9_mT8_P12ihipStream_tbDpT10_ENKUlT_T0_E_clISt17integral_constantIbLb1EES1D_EEDaS18_S19_EUlS18_E_NS1_11comp_targetILNS1_3genE4ELNS1_11target_archE910ELNS1_3gpuE8ELNS1_3repE0EEENS1_30default_config_static_selectorELNS0_4arch9wavefront6targetE0EEEvT1_,comdat
.Lfunc_end1055:
	.size	_ZN7rocprim17ROCPRIM_400000_NS6detail17trampoline_kernelINS0_14default_configENS1_25partition_config_selectorILNS1_17partition_subalgoE9ExjbEEZZNS1_14partition_implILS5_9ELb0ES3_jN6thrust23THRUST_200600_302600_NS6detail15normal_iteratorINS9_10device_ptrIxEEEENSB_INSC_IjEEEEPNS0_10empty_typeENS0_5tupleIJNS9_16discard_iteratorINS9_11use_defaultEEESH_EEENSJ_IJSG_SI_EEENS0_18inequality_wrapperINS9_8equal_toIxEEEEPmJSH_EEE10hipError_tPvRmT3_T4_T5_T6_T7_T9_mT8_P12ihipStream_tbDpT10_ENKUlT_T0_E_clISt17integral_constantIbLb1EES1D_EEDaS18_S19_EUlS18_E_NS1_11comp_targetILNS1_3genE4ELNS1_11target_archE910ELNS1_3gpuE8ELNS1_3repE0EEENS1_30default_config_static_selectorELNS0_4arch9wavefront6targetE0EEEvT1_, .Lfunc_end1055-_ZN7rocprim17ROCPRIM_400000_NS6detail17trampoline_kernelINS0_14default_configENS1_25partition_config_selectorILNS1_17partition_subalgoE9ExjbEEZZNS1_14partition_implILS5_9ELb0ES3_jN6thrust23THRUST_200600_302600_NS6detail15normal_iteratorINS9_10device_ptrIxEEEENSB_INSC_IjEEEEPNS0_10empty_typeENS0_5tupleIJNS9_16discard_iteratorINS9_11use_defaultEEESH_EEENSJ_IJSG_SI_EEENS0_18inequality_wrapperINS9_8equal_toIxEEEEPmJSH_EEE10hipError_tPvRmT3_T4_T5_T6_T7_T9_mT8_P12ihipStream_tbDpT10_ENKUlT_T0_E_clISt17integral_constantIbLb1EES1D_EEDaS18_S19_EUlS18_E_NS1_11comp_targetILNS1_3genE4ELNS1_11target_archE910ELNS1_3gpuE8ELNS1_3repE0EEENS1_30default_config_static_selectorELNS0_4arch9wavefront6targetE0EEEvT1_
                                        ; -- End function
	.section	.AMDGPU.csdata,"",@progbits
; Kernel info:
; codeLenInByte = 0
; NumSgprs: 0
; NumVgprs: 0
; ScratchSize: 0
; MemoryBound: 0
; FloatMode: 240
; IeeeMode: 1
; LDSByteSize: 0 bytes/workgroup (compile time only)
; SGPRBlocks: 0
; VGPRBlocks: 0
; NumSGPRsForWavesPerEU: 1
; NumVGPRsForWavesPerEU: 1
; Occupancy: 15
; WaveLimiterHint : 0
; COMPUTE_PGM_RSRC2:SCRATCH_EN: 0
; COMPUTE_PGM_RSRC2:USER_SGPR: 15
; COMPUTE_PGM_RSRC2:TRAP_HANDLER: 0
; COMPUTE_PGM_RSRC2:TGID_X_EN: 1
; COMPUTE_PGM_RSRC2:TGID_Y_EN: 0
; COMPUTE_PGM_RSRC2:TGID_Z_EN: 0
; COMPUTE_PGM_RSRC2:TIDIG_COMP_CNT: 0
	.section	.text._ZN7rocprim17ROCPRIM_400000_NS6detail17trampoline_kernelINS0_14default_configENS1_25partition_config_selectorILNS1_17partition_subalgoE9ExjbEEZZNS1_14partition_implILS5_9ELb0ES3_jN6thrust23THRUST_200600_302600_NS6detail15normal_iteratorINS9_10device_ptrIxEEEENSB_INSC_IjEEEEPNS0_10empty_typeENS0_5tupleIJNS9_16discard_iteratorINS9_11use_defaultEEESH_EEENSJ_IJSG_SI_EEENS0_18inequality_wrapperINS9_8equal_toIxEEEEPmJSH_EEE10hipError_tPvRmT3_T4_T5_T6_T7_T9_mT8_P12ihipStream_tbDpT10_ENKUlT_T0_E_clISt17integral_constantIbLb1EES1D_EEDaS18_S19_EUlS18_E_NS1_11comp_targetILNS1_3genE3ELNS1_11target_archE908ELNS1_3gpuE7ELNS1_3repE0EEENS1_30default_config_static_selectorELNS0_4arch9wavefront6targetE0EEEvT1_,"axG",@progbits,_ZN7rocprim17ROCPRIM_400000_NS6detail17trampoline_kernelINS0_14default_configENS1_25partition_config_selectorILNS1_17partition_subalgoE9ExjbEEZZNS1_14partition_implILS5_9ELb0ES3_jN6thrust23THRUST_200600_302600_NS6detail15normal_iteratorINS9_10device_ptrIxEEEENSB_INSC_IjEEEEPNS0_10empty_typeENS0_5tupleIJNS9_16discard_iteratorINS9_11use_defaultEEESH_EEENSJ_IJSG_SI_EEENS0_18inequality_wrapperINS9_8equal_toIxEEEEPmJSH_EEE10hipError_tPvRmT3_T4_T5_T6_T7_T9_mT8_P12ihipStream_tbDpT10_ENKUlT_T0_E_clISt17integral_constantIbLb1EES1D_EEDaS18_S19_EUlS18_E_NS1_11comp_targetILNS1_3genE3ELNS1_11target_archE908ELNS1_3gpuE7ELNS1_3repE0EEENS1_30default_config_static_selectorELNS0_4arch9wavefront6targetE0EEEvT1_,comdat
	.protected	_ZN7rocprim17ROCPRIM_400000_NS6detail17trampoline_kernelINS0_14default_configENS1_25partition_config_selectorILNS1_17partition_subalgoE9ExjbEEZZNS1_14partition_implILS5_9ELb0ES3_jN6thrust23THRUST_200600_302600_NS6detail15normal_iteratorINS9_10device_ptrIxEEEENSB_INSC_IjEEEEPNS0_10empty_typeENS0_5tupleIJNS9_16discard_iteratorINS9_11use_defaultEEESH_EEENSJ_IJSG_SI_EEENS0_18inequality_wrapperINS9_8equal_toIxEEEEPmJSH_EEE10hipError_tPvRmT3_T4_T5_T6_T7_T9_mT8_P12ihipStream_tbDpT10_ENKUlT_T0_E_clISt17integral_constantIbLb1EES1D_EEDaS18_S19_EUlS18_E_NS1_11comp_targetILNS1_3genE3ELNS1_11target_archE908ELNS1_3gpuE7ELNS1_3repE0EEENS1_30default_config_static_selectorELNS0_4arch9wavefront6targetE0EEEvT1_ ; -- Begin function _ZN7rocprim17ROCPRIM_400000_NS6detail17trampoline_kernelINS0_14default_configENS1_25partition_config_selectorILNS1_17partition_subalgoE9ExjbEEZZNS1_14partition_implILS5_9ELb0ES3_jN6thrust23THRUST_200600_302600_NS6detail15normal_iteratorINS9_10device_ptrIxEEEENSB_INSC_IjEEEEPNS0_10empty_typeENS0_5tupleIJNS9_16discard_iteratorINS9_11use_defaultEEESH_EEENSJ_IJSG_SI_EEENS0_18inequality_wrapperINS9_8equal_toIxEEEEPmJSH_EEE10hipError_tPvRmT3_T4_T5_T6_T7_T9_mT8_P12ihipStream_tbDpT10_ENKUlT_T0_E_clISt17integral_constantIbLb1EES1D_EEDaS18_S19_EUlS18_E_NS1_11comp_targetILNS1_3genE3ELNS1_11target_archE908ELNS1_3gpuE7ELNS1_3repE0EEENS1_30default_config_static_selectorELNS0_4arch9wavefront6targetE0EEEvT1_
	.globl	_ZN7rocprim17ROCPRIM_400000_NS6detail17trampoline_kernelINS0_14default_configENS1_25partition_config_selectorILNS1_17partition_subalgoE9ExjbEEZZNS1_14partition_implILS5_9ELb0ES3_jN6thrust23THRUST_200600_302600_NS6detail15normal_iteratorINS9_10device_ptrIxEEEENSB_INSC_IjEEEEPNS0_10empty_typeENS0_5tupleIJNS9_16discard_iteratorINS9_11use_defaultEEESH_EEENSJ_IJSG_SI_EEENS0_18inequality_wrapperINS9_8equal_toIxEEEEPmJSH_EEE10hipError_tPvRmT3_T4_T5_T6_T7_T9_mT8_P12ihipStream_tbDpT10_ENKUlT_T0_E_clISt17integral_constantIbLb1EES1D_EEDaS18_S19_EUlS18_E_NS1_11comp_targetILNS1_3genE3ELNS1_11target_archE908ELNS1_3gpuE7ELNS1_3repE0EEENS1_30default_config_static_selectorELNS0_4arch9wavefront6targetE0EEEvT1_
	.p2align	8
	.type	_ZN7rocprim17ROCPRIM_400000_NS6detail17trampoline_kernelINS0_14default_configENS1_25partition_config_selectorILNS1_17partition_subalgoE9ExjbEEZZNS1_14partition_implILS5_9ELb0ES3_jN6thrust23THRUST_200600_302600_NS6detail15normal_iteratorINS9_10device_ptrIxEEEENSB_INSC_IjEEEEPNS0_10empty_typeENS0_5tupleIJNS9_16discard_iteratorINS9_11use_defaultEEESH_EEENSJ_IJSG_SI_EEENS0_18inequality_wrapperINS9_8equal_toIxEEEEPmJSH_EEE10hipError_tPvRmT3_T4_T5_T6_T7_T9_mT8_P12ihipStream_tbDpT10_ENKUlT_T0_E_clISt17integral_constantIbLb1EES1D_EEDaS18_S19_EUlS18_E_NS1_11comp_targetILNS1_3genE3ELNS1_11target_archE908ELNS1_3gpuE7ELNS1_3repE0EEENS1_30default_config_static_selectorELNS0_4arch9wavefront6targetE0EEEvT1_,@function
_ZN7rocprim17ROCPRIM_400000_NS6detail17trampoline_kernelINS0_14default_configENS1_25partition_config_selectorILNS1_17partition_subalgoE9ExjbEEZZNS1_14partition_implILS5_9ELb0ES3_jN6thrust23THRUST_200600_302600_NS6detail15normal_iteratorINS9_10device_ptrIxEEEENSB_INSC_IjEEEEPNS0_10empty_typeENS0_5tupleIJNS9_16discard_iteratorINS9_11use_defaultEEESH_EEENSJ_IJSG_SI_EEENS0_18inequality_wrapperINS9_8equal_toIxEEEEPmJSH_EEE10hipError_tPvRmT3_T4_T5_T6_T7_T9_mT8_P12ihipStream_tbDpT10_ENKUlT_T0_E_clISt17integral_constantIbLb1EES1D_EEDaS18_S19_EUlS18_E_NS1_11comp_targetILNS1_3genE3ELNS1_11target_archE908ELNS1_3gpuE7ELNS1_3repE0EEENS1_30default_config_static_selectorELNS0_4arch9wavefront6targetE0EEEvT1_: ; @_ZN7rocprim17ROCPRIM_400000_NS6detail17trampoline_kernelINS0_14default_configENS1_25partition_config_selectorILNS1_17partition_subalgoE9ExjbEEZZNS1_14partition_implILS5_9ELb0ES3_jN6thrust23THRUST_200600_302600_NS6detail15normal_iteratorINS9_10device_ptrIxEEEENSB_INSC_IjEEEEPNS0_10empty_typeENS0_5tupleIJNS9_16discard_iteratorINS9_11use_defaultEEESH_EEENSJ_IJSG_SI_EEENS0_18inequality_wrapperINS9_8equal_toIxEEEEPmJSH_EEE10hipError_tPvRmT3_T4_T5_T6_T7_T9_mT8_P12ihipStream_tbDpT10_ENKUlT_T0_E_clISt17integral_constantIbLb1EES1D_EEDaS18_S19_EUlS18_E_NS1_11comp_targetILNS1_3genE3ELNS1_11target_archE908ELNS1_3gpuE7ELNS1_3repE0EEENS1_30default_config_static_selectorELNS0_4arch9wavefront6targetE0EEEvT1_
; %bb.0:
	.section	.rodata,"a",@progbits
	.p2align	6, 0x0
	.amdhsa_kernel _ZN7rocprim17ROCPRIM_400000_NS6detail17trampoline_kernelINS0_14default_configENS1_25partition_config_selectorILNS1_17partition_subalgoE9ExjbEEZZNS1_14partition_implILS5_9ELb0ES3_jN6thrust23THRUST_200600_302600_NS6detail15normal_iteratorINS9_10device_ptrIxEEEENSB_INSC_IjEEEEPNS0_10empty_typeENS0_5tupleIJNS9_16discard_iteratorINS9_11use_defaultEEESH_EEENSJ_IJSG_SI_EEENS0_18inequality_wrapperINS9_8equal_toIxEEEEPmJSH_EEE10hipError_tPvRmT3_T4_T5_T6_T7_T9_mT8_P12ihipStream_tbDpT10_ENKUlT_T0_E_clISt17integral_constantIbLb1EES1D_EEDaS18_S19_EUlS18_E_NS1_11comp_targetILNS1_3genE3ELNS1_11target_archE908ELNS1_3gpuE7ELNS1_3repE0EEENS1_30default_config_static_selectorELNS0_4arch9wavefront6targetE0EEEvT1_
		.amdhsa_group_segment_fixed_size 0
		.amdhsa_private_segment_fixed_size 0
		.amdhsa_kernarg_size 136
		.amdhsa_user_sgpr_count 15
		.amdhsa_user_sgpr_dispatch_ptr 0
		.amdhsa_user_sgpr_queue_ptr 0
		.amdhsa_user_sgpr_kernarg_segment_ptr 1
		.amdhsa_user_sgpr_dispatch_id 0
		.amdhsa_user_sgpr_private_segment_size 0
		.amdhsa_wavefront_size32 1
		.amdhsa_uses_dynamic_stack 0
		.amdhsa_enable_private_segment 0
		.amdhsa_system_sgpr_workgroup_id_x 1
		.amdhsa_system_sgpr_workgroup_id_y 0
		.amdhsa_system_sgpr_workgroup_id_z 0
		.amdhsa_system_sgpr_workgroup_info 0
		.amdhsa_system_vgpr_workitem_id 0
		.amdhsa_next_free_vgpr 1
		.amdhsa_next_free_sgpr 1
		.amdhsa_reserve_vcc 0
		.amdhsa_float_round_mode_32 0
		.amdhsa_float_round_mode_16_64 0
		.amdhsa_float_denorm_mode_32 3
		.amdhsa_float_denorm_mode_16_64 3
		.amdhsa_dx10_clamp 1
		.amdhsa_ieee_mode 1
		.amdhsa_fp16_overflow 0
		.amdhsa_workgroup_processor_mode 1
		.amdhsa_memory_ordered 1
		.amdhsa_forward_progress 0
		.amdhsa_shared_vgpr_count 0
		.amdhsa_exception_fp_ieee_invalid_op 0
		.amdhsa_exception_fp_denorm_src 0
		.amdhsa_exception_fp_ieee_div_zero 0
		.amdhsa_exception_fp_ieee_overflow 0
		.amdhsa_exception_fp_ieee_underflow 0
		.amdhsa_exception_fp_ieee_inexact 0
		.amdhsa_exception_int_div_zero 0
	.end_amdhsa_kernel
	.section	.text._ZN7rocprim17ROCPRIM_400000_NS6detail17trampoline_kernelINS0_14default_configENS1_25partition_config_selectorILNS1_17partition_subalgoE9ExjbEEZZNS1_14partition_implILS5_9ELb0ES3_jN6thrust23THRUST_200600_302600_NS6detail15normal_iteratorINS9_10device_ptrIxEEEENSB_INSC_IjEEEEPNS0_10empty_typeENS0_5tupleIJNS9_16discard_iteratorINS9_11use_defaultEEESH_EEENSJ_IJSG_SI_EEENS0_18inequality_wrapperINS9_8equal_toIxEEEEPmJSH_EEE10hipError_tPvRmT3_T4_T5_T6_T7_T9_mT8_P12ihipStream_tbDpT10_ENKUlT_T0_E_clISt17integral_constantIbLb1EES1D_EEDaS18_S19_EUlS18_E_NS1_11comp_targetILNS1_3genE3ELNS1_11target_archE908ELNS1_3gpuE7ELNS1_3repE0EEENS1_30default_config_static_selectorELNS0_4arch9wavefront6targetE0EEEvT1_,"axG",@progbits,_ZN7rocprim17ROCPRIM_400000_NS6detail17trampoline_kernelINS0_14default_configENS1_25partition_config_selectorILNS1_17partition_subalgoE9ExjbEEZZNS1_14partition_implILS5_9ELb0ES3_jN6thrust23THRUST_200600_302600_NS6detail15normal_iteratorINS9_10device_ptrIxEEEENSB_INSC_IjEEEEPNS0_10empty_typeENS0_5tupleIJNS9_16discard_iteratorINS9_11use_defaultEEESH_EEENSJ_IJSG_SI_EEENS0_18inequality_wrapperINS9_8equal_toIxEEEEPmJSH_EEE10hipError_tPvRmT3_T4_T5_T6_T7_T9_mT8_P12ihipStream_tbDpT10_ENKUlT_T0_E_clISt17integral_constantIbLb1EES1D_EEDaS18_S19_EUlS18_E_NS1_11comp_targetILNS1_3genE3ELNS1_11target_archE908ELNS1_3gpuE7ELNS1_3repE0EEENS1_30default_config_static_selectorELNS0_4arch9wavefront6targetE0EEEvT1_,comdat
.Lfunc_end1056:
	.size	_ZN7rocprim17ROCPRIM_400000_NS6detail17trampoline_kernelINS0_14default_configENS1_25partition_config_selectorILNS1_17partition_subalgoE9ExjbEEZZNS1_14partition_implILS5_9ELb0ES3_jN6thrust23THRUST_200600_302600_NS6detail15normal_iteratorINS9_10device_ptrIxEEEENSB_INSC_IjEEEEPNS0_10empty_typeENS0_5tupleIJNS9_16discard_iteratorINS9_11use_defaultEEESH_EEENSJ_IJSG_SI_EEENS0_18inequality_wrapperINS9_8equal_toIxEEEEPmJSH_EEE10hipError_tPvRmT3_T4_T5_T6_T7_T9_mT8_P12ihipStream_tbDpT10_ENKUlT_T0_E_clISt17integral_constantIbLb1EES1D_EEDaS18_S19_EUlS18_E_NS1_11comp_targetILNS1_3genE3ELNS1_11target_archE908ELNS1_3gpuE7ELNS1_3repE0EEENS1_30default_config_static_selectorELNS0_4arch9wavefront6targetE0EEEvT1_, .Lfunc_end1056-_ZN7rocprim17ROCPRIM_400000_NS6detail17trampoline_kernelINS0_14default_configENS1_25partition_config_selectorILNS1_17partition_subalgoE9ExjbEEZZNS1_14partition_implILS5_9ELb0ES3_jN6thrust23THRUST_200600_302600_NS6detail15normal_iteratorINS9_10device_ptrIxEEEENSB_INSC_IjEEEEPNS0_10empty_typeENS0_5tupleIJNS9_16discard_iteratorINS9_11use_defaultEEESH_EEENSJ_IJSG_SI_EEENS0_18inequality_wrapperINS9_8equal_toIxEEEEPmJSH_EEE10hipError_tPvRmT3_T4_T5_T6_T7_T9_mT8_P12ihipStream_tbDpT10_ENKUlT_T0_E_clISt17integral_constantIbLb1EES1D_EEDaS18_S19_EUlS18_E_NS1_11comp_targetILNS1_3genE3ELNS1_11target_archE908ELNS1_3gpuE7ELNS1_3repE0EEENS1_30default_config_static_selectorELNS0_4arch9wavefront6targetE0EEEvT1_
                                        ; -- End function
	.section	.AMDGPU.csdata,"",@progbits
; Kernel info:
; codeLenInByte = 0
; NumSgprs: 0
; NumVgprs: 0
; ScratchSize: 0
; MemoryBound: 0
; FloatMode: 240
; IeeeMode: 1
; LDSByteSize: 0 bytes/workgroup (compile time only)
; SGPRBlocks: 0
; VGPRBlocks: 0
; NumSGPRsForWavesPerEU: 1
; NumVGPRsForWavesPerEU: 1
; Occupancy: 16
; WaveLimiterHint : 0
; COMPUTE_PGM_RSRC2:SCRATCH_EN: 0
; COMPUTE_PGM_RSRC2:USER_SGPR: 15
; COMPUTE_PGM_RSRC2:TRAP_HANDLER: 0
; COMPUTE_PGM_RSRC2:TGID_X_EN: 1
; COMPUTE_PGM_RSRC2:TGID_Y_EN: 0
; COMPUTE_PGM_RSRC2:TGID_Z_EN: 0
; COMPUTE_PGM_RSRC2:TIDIG_COMP_CNT: 0
	.section	.text._ZN7rocprim17ROCPRIM_400000_NS6detail17trampoline_kernelINS0_14default_configENS1_25partition_config_selectorILNS1_17partition_subalgoE9ExjbEEZZNS1_14partition_implILS5_9ELb0ES3_jN6thrust23THRUST_200600_302600_NS6detail15normal_iteratorINS9_10device_ptrIxEEEENSB_INSC_IjEEEEPNS0_10empty_typeENS0_5tupleIJNS9_16discard_iteratorINS9_11use_defaultEEESH_EEENSJ_IJSG_SI_EEENS0_18inequality_wrapperINS9_8equal_toIxEEEEPmJSH_EEE10hipError_tPvRmT3_T4_T5_T6_T7_T9_mT8_P12ihipStream_tbDpT10_ENKUlT_T0_E_clISt17integral_constantIbLb1EES1D_EEDaS18_S19_EUlS18_E_NS1_11comp_targetILNS1_3genE2ELNS1_11target_archE906ELNS1_3gpuE6ELNS1_3repE0EEENS1_30default_config_static_selectorELNS0_4arch9wavefront6targetE0EEEvT1_,"axG",@progbits,_ZN7rocprim17ROCPRIM_400000_NS6detail17trampoline_kernelINS0_14default_configENS1_25partition_config_selectorILNS1_17partition_subalgoE9ExjbEEZZNS1_14partition_implILS5_9ELb0ES3_jN6thrust23THRUST_200600_302600_NS6detail15normal_iteratorINS9_10device_ptrIxEEEENSB_INSC_IjEEEEPNS0_10empty_typeENS0_5tupleIJNS9_16discard_iteratorINS9_11use_defaultEEESH_EEENSJ_IJSG_SI_EEENS0_18inequality_wrapperINS9_8equal_toIxEEEEPmJSH_EEE10hipError_tPvRmT3_T4_T5_T6_T7_T9_mT8_P12ihipStream_tbDpT10_ENKUlT_T0_E_clISt17integral_constantIbLb1EES1D_EEDaS18_S19_EUlS18_E_NS1_11comp_targetILNS1_3genE2ELNS1_11target_archE906ELNS1_3gpuE6ELNS1_3repE0EEENS1_30default_config_static_selectorELNS0_4arch9wavefront6targetE0EEEvT1_,comdat
	.protected	_ZN7rocprim17ROCPRIM_400000_NS6detail17trampoline_kernelINS0_14default_configENS1_25partition_config_selectorILNS1_17partition_subalgoE9ExjbEEZZNS1_14partition_implILS5_9ELb0ES3_jN6thrust23THRUST_200600_302600_NS6detail15normal_iteratorINS9_10device_ptrIxEEEENSB_INSC_IjEEEEPNS0_10empty_typeENS0_5tupleIJNS9_16discard_iteratorINS9_11use_defaultEEESH_EEENSJ_IJSG_SI_EEENS0_18inequality_wrapperINS9_8equal_toIxEEEEPmJSH_EEE10hipError_tPvRmT3_T4_T5_T6_T7_T9_mT8_P12ihipStream_tbDpT10_ENKUlT_T0_E_clISt17integral_constantIbLb1EES1D_EEDaS18_S19_EUlS18_E_NS1_11comp_targetILNS1_3genE2ELNS1_11target_archE906ELNS1_3gpuE6ELNS1_3repE0EEENS1_30default_config_static_selectorELNS0_4arch9wavefront6targetE0EEEvT1_ ; -- Begin function _ZN7rocprim17ROCPRIM_400000_NS6detail17trampoline_kernelINS0_14default_configENS1_25partition_config_selectorILNS1_17partition_subalgoE9ExjbEEZZNS1_14partition_implILS5_9ELb0ES3_jN6thrust23THRUST_200600_302600_NS6detail15normal_iteratorINS9_10device_ptrIxEEEENSB_INSC_IjEEEEPNS0_10empty_typeENS0_5tupleIJNS9_16discard_iteratorINS9_11use_defaultEEESH_EEENSJ_IJSG_SI_EEENS0_18inequality_wrapperINS9_8equal_toIxEEEEPmJSH_EEE10hipError_tPvRmT3_T4_T5_T6_T7_T9_mT8_P12ihipStream_tbDpT10_ENKUlT_T0_E_clISt17integral_constantIbLb1EES1D_EEDaS18_S19_EUlS18_E_NS1_11comp_targetILNS1_3genE2ELNS1_11target_archE906ELNS1_3gpuE6ELNS1_3repE0EEENS1_30default_config_static_selectorELNS0_4arch9wavefront6targetE0EEEvT1_
	.globl	_ZN7rocprim17ROCPRIM_400000_NS6detail17trampoline_kernelINS0_14default_configENS1_25partition_config_selectorILNS1_17partition_subalgoE9ExjbEEZZNS1_14partition_implILS5_9ELb0ES3_jN6thrust23THRUST_200600_302600_NS6detail15normal_iteratorINS9_10device_ptrIxEEEENSB_INSC_IjEEEEPNS0_10empty_typeENS0_5tupleIJNS9_16discard_iteratorINS9_11use_defaultEEESH_EEENSJ_IJSG_SI_EEENS0_18inequality_wrapperINS9_8equal_toIxEEEEPmJSH_EEE10hipError_tPvRmT3_T4_T5_T6_T7_T9_mT8_P12ihipStream_tbDpT10_ENKUlT_T0_E_clISt17integral_constantIbLb1EES1D_EEDaS18_S19_EUlS18_E_NS1_11comp_targetILNS1_3genE2ELNS1_11target_archE906ELNS1_3gpuE6ELNS1_3repE0EEENS1_30default_config_static_selectorELNS0_4arch9wavefront6targetE0EEEvT1_
	.p2align	8
	.type	_ZN7rocprim17ROCPRIM_400000_NS6detail17trampoline_kernelINS0_14default_configENS1_25partition_config_selectorILNS1_17partition_subalgoE9ExjbEEZZNS1_14partition_implILS5_9ELb0ES3_jN6thrust23THRUST_200600_302600_NS6detail15normal_iteratorINS9_10device_ptrIxEEEENSB_INSC_IjEEEEPNS0_10empty_typeENS0_5tupleIJNS9_16discard_iteratorINS9_11use_defaultEEESH_EEENSJ_IJSG_SI_EEENS0_18inequality_wrapperINS9_8equal_toIxEEEEPmJSH_EEE10hipError_tPvRmT3_T4_T5_T6_T7_T9_mT8_P12ihipStream_tbDpT10_ENKUlT_T0_E_clISt17integral_constantIbLb1EES1D_EEDaS18_S19_EUlS18_E_NS1_11comp_targetILNS1_3genE2ELNS1_11target_archE906ELNS1_3gpuE6ELNS1_3repE0EEENS1_30default_config_static_selectorELNS0_4arch9wavefront6targetE0EEEvT1_,@function
_ZN7rocprim17ROCPRIM_400000_NS6detail17trampoline_kernelINS0_14default_configENS1_25partition_config_selectorILNS1_17partition_subalgoE9ExjbEEZZNS1_14partition_implILS5_9ELb0ES3_jN6thrust23THRUST_200600_302600_NS6detail15normal_iteratorINS9_10device_ptrIxEEEENSB_INSC_IjEEEEPNS0_10empty_typeENS0_5tupleIJNS9_16discard_iteratorINS9_11use_defaultEEESH_EEENSJ_IJSG_SI_EEENS0_18inequality_wrapperINS9_8equal_toIxEEEEPmJSH_EEE10hipError_tPvRmT3_T4_T5_T6_T7_T9_mT8_P12ihipStream_tbDpT10_ENKUlT_T0_E_clISt17integral_constantIbLb1EES1D_EEDaS18_S19_EUlS18_E_NS1_11comp_targetILNS1_3genE2ELNS1_11target_archE906ELNS1_3gpuE6ELNS1_3repE0EEENS1_30default_config_static_selectorELNS0_4arch9wavefront6targetE0EEEvT1_: ; @_ZN7rocprim17ROCPRIM_400000_NS6detail17trampoline_kernelINS0_14default_configENS1_25partition_config_selectorILNS1_17partition_subalgoE9ExjbEEZZNS1_14partition_implILS5_9ELb0ES3_jN6thrust23THRUST_200600_302600_NS6detail15normal_iteratorINS9_10device_ptrIxEEEENSB_INSC_IjEEEEPNS0_10empty_typeENS0_5tupleIJNS9_16discard_iteratorINS9_11use_defaultEEESH_EEENSJ_IJSG_SI_EEENS0_18inequality_wrapperINS9_8equal_toIxEEEEPmJSH_EEE10hipError_tPvRmT3_T4_T5_T6_T7_T9_mT8_P12ihipStream_tbDpT10_ENKUlT_T0_E_clISt17integral_constantIbLb1EES1D_EEDaS18_S19_EUlS18_E_NS1_11comp_targetILNS1_3genE2ELNS1_11target_archE906ELNS1_3gpuE6ELNS1_3repE0EEENS1_30default_config_static_selectorELNS0_4arch9wavefront6targetE0EEEvT1_
; %bb.0:
	.section	.rodata,"a",@progbits
	.p2align	6, 0x0
	.amdhsa_kernel _ZN7rocprim17ROCPRIM_400000_NS6detail17trampoline_kernelINS0_14default_configENS1_25partition_config_selectorILNS1_17partition_subalgoE9ExjbEEZZNS1_14partition_implILS5_9ELb0ES3_jN6thrust23THRUST_200600_302600_NS6detail15normal_iteratorINS9_10device_ptrIxEEEENSB_INSC_IjEEEEPNS0_10empty_typeENS0_5tupleIJNS9_16discard_iteratorINS9_11use_defaultEEESH_EEENSJ_IJSG_SI_EEENS0_18inequality_wrapperINS9_8equal_toIxEEEEPmJSH_EEE10hipError_tPvRmT3_T4_T5_T6_T7_T9_mT8_P12ihipStream_tbDpT10_ENKUlT_T0_E_clISt17integral_constantIbLb1EES1D_EEDaS18_S19_EUlS18_E_NS1_11comp_targetILNS1_3genE2ELNS1_11target_archE906ELNS1_3gpuE6ELNS1_3repE0EEENS1_30default_config_static_selectorELNS0_4arch9wavefront6targetE0EEEvT1_
		.amdhsa_group_segment_fixed_size 0
		.amdhsa_private_segment_fixed_size 0
		.amdhsa_kernarg_size 136
		.amdhsa_user_sgpr_count 15
		.amdhsa_user_sgpr_dispatch_ptr 0
		.amdhsa_user_sgpr_queue_ptr 0
		.amdhsa_user_sgpr_kernarg_segment_ptr 1
		.amdhsa_user_sgpr_dispatch_id 0
		.amdhsa_user_sgpr_private_segment_size 0
		.amdhsa_wavefront_size32 1
		.amdhsa_uses_dynamic_stack 0
		.amdhsa_enable_private_segment 0
		.amdhsa_system_sgpr_workgroup_id_x 1
		.amdhsa_system_sgpr_workgroup_id_y 0
		.amdhsa_system_sgpr_workgroup_id_z 0
		.amdhsa_system_sgpr_workgroup_info 0
		.amdhsa_system_vgpr_workitem_id 0
		.amdhsa_next_free_vgpr 1
		.amdhsa_next_free_sgpr 1
		.amdhsa_reserve_vcc 0
		.amdhsa_float_round_mode_32 0
		.amdhsa_float_round_mode_16_64 0
		.amdhsa_float_denorm_mode_32 3
		.amdhsa_float_denorm_mode_16_64 3
		.amdhsa_dx10_clamp 1
		.amdhsa_ieee_mode 1
		.amdhsa_fp16_overflow 0
		.amdhsa_workgroup_processor_mode 1
		.amdhsa_memory_ordered 1
		.amdhsa_forward_progress 0
		.amdhsa_shared_vgpr_count 0
		.amdhsa_exception_fp_ieee_invalid_op 0
		.amdhsa_exception_fp_denorm_src 0
		.amdhsa_exception_fp_ieee_div_zero 0
		.amdhsa_exception_fp_ieee_overflow 0
		.amdhsa_exception_fp_ieee_underflow 0
		.amdhsa_exception_fp_ieee_inexact 0
		.amdhsa_exception_int_div_zero 0
	.end_amdhsa_kernel
	.section	.text._ZN7rocprim17ROCPRIM_400000_NS6detail17trampoline_kernelINS0_14default_configENS1_25partition_config_selectorILNS1_17partition_subalgoE9ExjbEEZZNS1_14partition_implILS5_9ELb0ES3_jN6thrust23THRUST_200600_302600_NS6detail15normal_iteratorINS9_10device_ptrIxEEEENSB_INSC_IjEEEEPNS0_10empty_typeENS0_5tupleIJNS9_16discard_iteratorINS9_11use_defaultEEESH_EEENSJ_IJSG_SI_EEENS0_18inequality_wrapperINS9_8equal_toIxEEEEPmJSH_EEE10hipError_tPvRmT3_T4_T5_T6_T7_T9_mT8_P12ihipStream_tbDpT10_ENKUlT_T0_E_clISt17integral_constantIbLb1EES1D_EEDaS18_S19_EUlS18_E_NS1_11comp_targetILNS1_3genE2ELNS1_11target_archE906ELNS1_3gpuE6ELNS1_3repE0EEENS1_30default_config_static_selectorELNS0_4arch9wavefront6targetE0EEEvT1_,"axG",@progbits,_ZN7rocprim17ROCPRIM_400000_NS6detail17trampoline_kernelINS0_14default_configENS1_25partition_config_selectorILNS1_17partition_subalgoE9ExjbEEZZNS1_14partition_implILS5_9ELb0ES3_jN6thrust23THRUST_200600_302600_NS6detail15normal_iteratorINS9_10device_ptrIxEEEENSB_INSC_IjEEEEPNS0_10empty_typeENS0_5tupleIJNS9_16discard_iteratorINS9_11use_defaultEEESH_EEENSJ_IJSG_SI_EEENS0_18inequality_wrapperINS9_8equal_toIxEEEEPmJSH_EEE10hipError_tPvRmT3_T4_T5_T6_T7_T9_mT8_P12ihipStream_tbDpT10_ENKUlT_T0_E_clISt17integral_constantIbLb1EES1D_EEDaS18_S19_EUlS18_E_NS1_11comp_targetILNS1_3genE2ELNS1_11target_archE906ELNS1_3gpuE6ELNS1_3repE0EEENS1_30default_config_static_selectorELNS0_4arch9wavefront6targetE0EEEvT1_,comdat
.Lfunc_end1057:
	.size	_ZN7rocprim17ROCPRIM_400000_NS6detail17trampoline_kernelINS0_14default_configENS1_25partition_config_selectorILNS1_17partition_subalgoE9ExjbEEZZNS1_14partition_implILS5_9ELb0ES3_jN6thrust23THRUST_200600_302600_NS6detail15normal_iteratorINS9_10device_ptrIxEEEENSB_INSC_IjEEEEPNS0_10empty_typeENS0_5tupleIJNS9_16discard_iteratorINS9_11use_defaultEEESH_EEENSJ_IJSG_SI_EEENS0_18inequality_wrapperINS9_8equal_toIxEEEEPmJSH_EEE10hipError_tPvRmT3_T4_T5_T6_T7_T9_mT8_P12ihipStream_tbDpT10_ENKUlT_T0_E_clISt17integral_constantIbLb1EES1D_EEDaS18_S19_EUlS18_E_NS1_11comp_targetILNS1_3genE2ELNS1_11target_archE906ELNS1_3gpuE6ELNS1_3repE0EEENS1_30default_config_static_selectorELNS0_4arch9wavefront6targetE0EEEvT1_, .Lfunc_end1057-_ZN7rocprim17ROCPRIM_400000_NS6detail17trampoline_kernelINS0_14default_configENS1_25partition_config_selectorILNS1_17partition_subalgoE9ExjbEEZZNS1_14partition_implILS5_9ELb0ES3_jN6thrust23THRUST_200600_302600_NS6detail15normal_iteratorINS9_10device_ptrIxEEEENSB_INSC_IjEEEEPNS0_10empty_typeENS0_5tupleIJNS9_16discard_iteratorINS9_11use_defaultEEESH_EEENSJ_IJSG_SI_EEENS0_18inequality_wrapperINS9_8equal_toIxEEEEPmJSH_EEE10hipError_tPvRmT3_T4_T5_T6_T7_T9_mT8_P12ihipStream_tbDpT10_ENKUlT_T0_E_clISt17integral_constantIbLb1EES1D_EEDaS18_S19_EUlS18_E_NS1_11comp_targetILNS1_3genE2ELNS1_11target_archE906ELNS1_3gpuE6ELNS1_3repE0EEENS1_30default_config_static_selectorELNS0_4arch9wavefront6targetE0EEEvT1_
                                        ; -- End function
	.section	.AMDGPU.csdata,"",@progbits
; Kernel info:
; codeLenInByte = 0
; NumSgprs: 0
; NumVgprs: 0
; ScratchSize: 0
; MemoryBound: 0
; FloatMode: 240
; IeeeMode: 1
; LDSByteSize: 0 bytes/workgroup (compile time only)
; SGPRBlocks: 0
; VGPRBlocks: 0
; NumSGPRsForWavesPerEU: 1
; NumVGPRsForWavesPerEU: 1
; Occupancy: 16
; WaveLimiterHint : 0
; COMPUTE_PGM_RSRC2:SCRATCH_EN: 0
; COMPUTE_PGM_RSRC2:USER_SGPR: 15
; COMPUTE_PGM_RSRC2:TRAP_HANDLER: 0
; COMPUTE_PGM_RSRC2:TGID_X_EN: 1
; COMPUTE_PGM_RSRC2:TGID_Y_EN: 0
; COMPUTE_PGM_RSRC2:TGID_Z_EN: 0
; COMPUTE_PGM_RSRC2:TIDIG_COMP_CNT: 0
	.section	.text._ZN7rocprim17ROCPRIM_400000_NS6detail17trampoline_kernelINS0_14default_configENS1_25partition_config_selectorILNS1_17partition_subalgoE9ExjbEEZZNS1_14partition_implILS5_9ELb0ES3_jN6thrust23THRUST_200600_302600_NS6detail15normal_iteratorINS9_10device_ptrIxEEEENSB_INSC_IjEEEEPNS0_10empty_typeENS0_5tupleIJNS9_16discard_iteratorINS9_11use_defaultEEESH_EEENSJ_IJSG_SI_EEENS0_18inequality_wrapperINS9_8equal_toIxEEEEPmJSH_EEE10hipError_tPvRmT3_T4_T5_T6_T7_T9_mT8_P12ihipStream_tbDpT10_ENKUlT_T0_E_clISt17integral_constantIbLb1EES1D_EEDaS18_S19_EUlS18_E_NS1_11comp_targetILNS1_3genE10ELNS1_11target_archE1200ELNS1_3gpuE4ELNS1_3repE0EEENS1_30default_config_static_selectorELNS0_4arch9wavefront6targetE0EEEvT1_,"axG",@progbits,_ZN7rocprim17ROCPRIM_400000_NS6detail17trampoline_kernelINS0_14default_configENS1_25partition_config_selectorILNS1_17partition_subalgoE9ExjbEEZZNS1_14partition_implILS5_9ELb0ES3_jN6thrust23THRUST_200600_302600_NS6detail15normal_iteratorINS9_10device_ptrIxEEEENSB_INSC_IjEEEEPNS0_10empty_typeENS0_5tupleIJNS9_16discard_iteratorINS9_11use_defaultEEESH_EEENSJ_IJSG_SI_EEENS0_18inequality_wrapperINS9_8equal_toIxEEEEPmJSH_EEE10hipError_tPvRmT3_T4_T5_T6_T7_T9_mT8_P12ihipStream_tbDpT10_ENKUlT_T0_E_clISt17integral_constantIbLb1EES1D_EEDaS18_S19_EUlS18_E_NS1_11comp_targetILNS1_3genE10ELNS1_11target_archE1200ELNS1_3gpuE4ELNS1_3repE0EEENS1_30default_config_static_selectorELNS0_4arch9wavefront6targetE0EEEvT1_,comdat
	.protected	_ZN7rocprim17ROCPRIM_400000_NS6detail17trampoline_kernelINS0_14default_configENS1_25partition_config_selectorILNS1_17partition_subalgoE9ExjbEEZZNS1_14partition_implILS5_9ELb0ES3_jN6thrust23THRUST_200600_302600_NS6detail15normal_iteratorINS9_10device_ptrIxEEEENSB_INSC_IjEEEEPNS0_10empty_typeENS0_5tupleIJNS9_16discard_iteratorINS9_11use_defaultEEESH_EEENSJ_IJSG_SI_EEENS0_18inequality_wrapperINS9_8equal_toIxEEEEPmJSH_EEE10hipError_tPvRmT3_T4_T5_T6_T7_T9_mT8_P12ihipStream_tbDpT10_ENKUlT_T0_E_clISt17integral_constantIbLb1EES1D_EEDaS18_S19_EUlS18_E_NS1_11comp_targetILNS1_3genE10ELNS1_11target_archE1200ELNS1_3gpuE4ELNS1_3repE0EEENS1_30default_config_static_selectorELNS0_4arch9wavefront6targetE0EEEvT1_ ; -- Begin function _ZN7rocprim17ROCPRIM_400000_NS6detail17trampoline_kernelINS0_14default_configENS1_25partition_config_selectorILNS1_17partition_subalgoE9ExjbEEZZNS1_14partition_implILS5_9ELb0ES3_jN6thrust23THRUST_200600_302600_NS6detail15normal_iteratorINS9_10device_ptrIxEEEENSB_INSC_IjEEEEPNS0_10empty_typeENS0_5tupleIJNS9_16discard_iteratorINS9_11use_defaultEEESH_EEENSJ_IJSG_SI_EEENS0_18inequality_wrapperINS9_8equal_toIxEEEEPmJSH_EEE10hipError_tPvRmT3_T4_T5_T6_T7_T9_mT8_P12ihipStream_tbDpT10_ENKUlT_T0_E_clISt17integral_constantIbLb1EES1D_EEDaS18_S19_EUlS18_E_NS1_11comp_targetILNS1_3genE10ELNS1_11target_archE1200ELNS1_3gpuE4ELNS1_3repE0EEENS1_30default_config_static_selectorELNS0_4arch9wavefront6targetE0EEEvT1_
	.globl	_ZN7rocprim17ROCPRIM_400000_NS6detail17trampoline_kernelINS0_14default_configENS1_25partition_config_selectorILNS1_17partition_subalgoE9ExjbEEZZNS1_14partition_implILS5_9ELb0ES3_jN6thrust23THRUST_200600_302600_NS6detail15normal_iteratorINS9_10device_ptrIxEEEENSB_INSC_IjEEEEPNS0_10empty_typeENS0_5tupleIJNS9_16discard_iteratorINS9_11use_defaultEEESH_EEENSJ_IJSG_SI_EEENS0_18inequality_wrapperINS9_8equal_toIxEEEEPmJSH_EEE10hipError_tPvRmT3_T4_T5_T6_T7_T9_mT8_P12ihipStream_tbDpT10_ENKUlT_T0_E_clISt17integral_constantIbLb1EES1D_EEDaS18_S19_EUlS18_E_NS1_11comp_targetILNS1_3genE10ELNS1_11target_archE1200ELNS1_3gpuE4ELNS1_3repE0EEENS1_30default_config_static_selectorELNS0_4arch9wavefront6targetE0EEEvT1_
	.p2align	8
	.type	_ZN7rocprim17ROCPRIM_400000_NS6detail17trampoline_kernelINS0_14default_configENS1_25partition_config_selectorILNS1_17partition_subalgoE9ExjbEEZZNS1_14partition_implILS5_9ELb0ES3_jN6thrust23THRUST_200600_302600_NS6detail15normal_iteratorINS9_10device_ptrIxEEEENSB_INSC_IjEEEEPNS0_10empty_typeENS0_5tupleIJNS9_16discard_iteratorINS9_11use_defaultEEESH_EEENSJ_IJSG_SI_EEENS0_18inequality_wrapperINS9_8equal_toIxEEEEPmJSH_EEE10hipError_tPvRmT3_T4_T5_T6_T7_T9_mT8_P12ihipStream_tbDpT10_ENKUlT_T0_E_clISt17integral_constantIbLb1EES1D_EEDaS18_S19_EUlS18_E_NS1_11comp_targetILNS1_3genE10ELNS1_11target_archE1200ELNS1_3gpuE4ELNS1_3repE0EEENS1_30default_config_static_selectorELNS0_4arch9wavefront6targetE0EEEvT1_,@function
_ZN7rocprim17ROCPRIM_400000_NS6detail17trampoline_kernelINS0_14default_configENS1_25partition_config_selectorILNS1_17partition_subalgoE9ExjbEEZZNS1_14partition_implILS5_9ELb0ES3_jN6thrust23THRUST_200600_302600_NS6detail15normal_iteratorINS9_10device_ptrIxEEEENSB_INSC_IjEEEEPNS0_10empty_typeENS0_5tupleIJNS9_16discard_iteratorINS9_11use_defaultEEESH_EEENSJ_IJSG_SI_EEENS0_18inequality_wrapperINS9_8equal_toIxEEEEPmJSH_EEE10hipError_tPvRmT3_T4_T5_T6_T7_T9_mT8_P12ihipStream_tbDpT10_ENKUlT_T0_E_clISt17integral_constantIbLb1EES1D_EEDaS18_S19_EUlS18_E_NS1_11comp_targetILNS1_3genE10ELNS1_11target_archE1200ELNS1_3gpuE4ELNS1_3repE0EEENS1_30default_config_static_selectorELNS0_4arch9wavefront6targetE0EEEvT1_: ; @_ZN7rocprim17ROCPRIM_400000_NS6detail17trampoline_kernelINS0_14default_configENS1_25partition_config_selectorILNS1_17partition_subalgoE9ExjbEEZZNS1_14partition_implILS5_9ELb0ES3_jN6thrust23THRUST_200600_302600_NS6detail15normal_iteratorINS9_10device_ptrIxEEEENSB_INSC_IjEEEEPNS0_10empty_typeENS0_5tupleIJNS9_16discard_iteratorINS9_11use_defaultEEESH_EEENSJ_IJSG_SI_EEENS0_18inequality_wrapperINS9_8equal_toIxEEEEPmJSH_EEE10hipError_tPvRmT3_T4_T5_T6_T7_T9_mT8_P12ihipStream_tbDpT10_ENKUlT_T0_E_clISt17integral_constantIbLb1EES1D_EEDaS18_S19_EUlS18_E_NS1_11comp_targetILNS1_3genE10ELNS1_11target_archE1200ELNS1_3gpuE4ELNS1_3repE0EEENS1_30default_config_static_selectorELNS0_4arch9wavefront6targetE0EEEvT1_
; %bb.0:
	.section	.rodata,"a",@progbits
	.p2align	6, 0x0
	.amdhsa_kernel _ZN7rocprim17ROCPRIM_400000_NS6detail17trampoline_kernelINS0_14default_configENS1_25partition_config_selectorILNS1_17partition_subalgoE9ExjbEEZZNS1_14partition_implILS5_9ELb0ES3_jN6thrust23THRUST_200600_302600_NS6detail15normal_iteratorINS9_10device_ptrIxEEEENSB_INSC_IjEEEEPNS0_10empty_typeENS0_5tupleIJNS9_16discard_iteratorINS9_11use_defaultEEESH_EEENSJ_IJSG_SI_EEENS0_18inequality_wrapperINS9_8equal_toIxEEEEPmJSH_EEE10hipError_tPvRmT3_T4_T5_T6_T7_T9_mT8_P12ihipStream_tbDpT10_ENKUlT_T0_E_clISt17integral_constantIbLb1EES1D_EEDaS18_S19_EUlS18_E_NS1_11comp_targetILNS1_3genE10ELNS1_11target_archE1200ELNS1_3gpuE4ELNS1_3repE0EEENS1_30default_config_static_selectorELNS0_4arch9wavefront6targetE0EEEvT1_
		.amdhsa_group_segment_fixed_size 0
		.amdhsa_private_segment_fixed_size 0
		.amdhsa_kernarg_size 136
		.amdhsa_user_sgpr_count 15
		.amdhsa_user_sgpr_dispatch_ptr 0
		.amdhsa_user_sgpr_queue_ptr 0
		.amdhsa_user_sgpr_kernarg_segment_ptr 1
		.amdhsa_user_sgpr_dispatch_id 0
		.amdhsa_user_sgpr_private_segment_size 0
		.amdhsa_wavefront_size32 1
		.amdhsa_uses_dynamic_stack 0
		.amdhsa_enable_private_segment 0
		.amdhsa_system_sgpr_workgroup_id_x 1
		.amdhsa_system_sgpr_workgroup_id_y 0
		.amdhsa_system_sgpr_workgroup_id_z 0
		.amdhsa_system_sgpr_workgroup_info 0
		.amdhsa_system_vgpr_workitem_id 0
		.amdhsa_next_free_vgpr 1
		.amdhsa_next_free_sgpr 1
		.amdhsa_reserve_vcc 0
		.amdhsa_float_round_mode_32 0
		.amdhsa_float_round_mode_16_64 0
		.amdhsa_float_denorm_mode_32 3
		.amdhsa_float_denorm_mode_16_64 3
		.amdhsa_dx10_clamp 1
		.amdhsa_ieee_mode 1
		.amdhsa_fp16_overflow 0
		.amdhsa_workgroup_processor_mode 1
		.amdhsa_memory_ordered 1
		.amdhsa_forward_progress 0
		.amdhsa_shared_vgpr_count 0
		.amdhsa_exception_fp_ieee_invalid_op 0
		.amdhsa_exception_fp_denorm_src 0
		.amdhsa_exception_fp_ieee_div_zero 0
		.amdhsa_exception_fp_ieee_overflow 0
		.amdhsa_exception_fp_ieee_underflow 0
		.amdhsa_exception_fp_ieee_inexact 0
		.amdhsa_exception_int_div_zero 0
	.end_amdhsa_kernel
	.section	.text._ZN7rocprim17ROCPRIM_400000_NS6detail17trampoline_kernelINS0_14default_configENS1_25partition_config_selectorILNS1_17partition_subalgoE9ExjbEEZZNS1_14partition_implILS5_9ELb0ES3_jN6thrust23THRUST_200600_302600_NS6detail15normal_iteratorINS9_10device_ptrIxEEEENSB_INSC_IjEEEEPNS0_10empty_typeENS0_5tupleIJNS9_16discard_iteratorINS9_11use_defaultEEESH_EEENSJ_IJSG_SI_EEENS0_18inequality_wrapperINS9_8equal_toIxEEEEPmJSH_EEE10hipError_tPvRmT3_T4_T5_T6_T7_T9_mT8_P12ihipStream_tbDpT10_ENKUlT_T0_E_clISt17integral_constantIbLb1EES1D_EEDaS18_S19_EUlS18_E_NS1_11comp_targetILNS1_3genE10ELNS1_11target_archE1200ELNS1_3gpuE4ELNS1_3repE0EEENS1_30default_config_static_selectorELNS0_4arch9wavefront6targetE0EEEvT1_,"axG",@progbits,_ZN7rocprim17ROCPRIM_400000_NS6detail17trampoline_kernelINS0_14default_configENS1_25partition_config_selectorILNS1_17partition_subalgoE9ExjbEEZZNS1_14partition_implILS5_9ELb0ES3_jN6thrust23THRUST_200600_302600_NS6detail15normal_iteratorINS9_10device_ptrIxEEEENSB_INSC_IjEEEEPNS0_10empty_typeENS0_5tupleIJNS9_16discard_iteratorINS9_11use_defaultEEESH_EEENSJ_IJSG_SI_EEENS0_18inequality_wrapperINS9_8equal_toIxEEEEPmJSH_EEE10hipError_tPvRmT3_T4_T5_T6_T7_T9_mT8_P12ihipStream_tbDpT10_ENKUlT_T0_E_clISt17integral_constantIbLb1EES1D_EEDaS18_S19_EUlS18_E_NS1_11comp_targetILNS1_3genE10ELNS1_11target_archE1200ELNS1_3gpuE4ELNS1_3repE0EEENS1_30default_config_static_selectorELNS0_4arch9wavefront6targetE0EEEvT1_,comdat
.Lfunc_end1058:
	.size	_ZN7rocprim17ROCPRIM_400000_NS6detail17trampoline_kernelINS0_14default_configENS1_25partition_config_selectorILNS1_17partition_subalgoE9ExjbEEZZNS1_14partition_implILS5_9ELb0ES3_jN6thrust23THRUST_200600_302600_NS6detail15normal_iteratorINS9_10device_ptrIxEEEENSB_INSC_IjEEEEPNS0_10empty_typeENS0_5tupleIJNS9_16discard_iteratorINS9_11use_defaultEEESH_EEENSJ_IJSG_SI_EEENS0_18inequality_wrapperINS9_8equal_toIxEEEEPmJSH_EEE10hipError_tPvRmT3_T4_T5_T6_T7_T9_mT8_P12ihipStream_tbDpT10_ENKUlT_T0_E_clISt17integral_constantIbLb1EES1D_EEDaS18_S19_EUlS18_E_NS1_11comp_targetILNS1_3genE10ELNS1_11target_archE1200ELNS1_3gpuE4ELNS1_3repE0EEENS1_30default_config_static_selectorELNS0_4arch9wavefront6targetE0EEEvT1_, .Lfunc_end1058-_ZN7rocprim17ROCPRIM_400000_NS6detail17trampoline_kernelINS0_14default_configENS1_25partition_config_selectorILNS1_17partition_subalgoE9ExjbEEZZNS1_14partition_implILS5_9ELb0ES3_jN6thrust23THRUST_200600_302600_NS6detail15normal_iteratorINS9_10device_ptrIxEEEENSB_INSC_IjEEEEPNS0_10empty_typeENS0_5tupleIJNS9_16discard_iteratorINS9_11use_defaultEEESH_EEENSJ_IJSG_SI_EEENS0_18inequality_wrapperINS9_8equal_toIxEEEEPmJSH_EEE10hipError_tPvRmT3_T4_T5_T6_T7_T9_mT8_P12ihipStream_tbDpT10_ENKUlT_T0_E_clISt17integral_constantIbLb1EES1D_EEDaS18_S19_EUlS18_E_NS1_11comp_targetILNS1_3genE10ELNS1_11target_archE1200ELNS1_3gpuE4ELNS1_3repE0EEENS1_30default_config_static_selectorELNS0_4arch9wavefront6targetE0EEEvT1_
                                        ; -- End function
	.section	.AMDGPU.csdata,"",@progbits
; Kernel info:
; codeLenInByte = 0
; NumSgprs: 0
; NumVgprs: 0
; ScratchSize: 0
; MemoryBound: 0
; FloatMode: 240
; IeeeMode: 1
; LDSByteSize: 0 bytes/workgroup (compile time only)
; SGPRBlocks: 0
; VGPRBlocks: 0
; NumSGPRsForWavesPerEU: 1
; NumVGPRsForWavesPerEU: 1
; Occupancy: 15
; WaveLimiterHint : 0
; COMPUTE_PGM_RSRC2:SCRATCH_EN: 0
; COMPUTE_PGM_RSRC2:USER_SGPR: 15
; COMPUTE_PGM_RSRC2:TRAP_HANDLER: 0
; COMPUTE_PGM_RSRC2:TGID_X_EN: 1
; COMPUTE_PGM_RSRC2:TGID_Y_EN: 0
; COMPUTE_PGM_RSRC2:TGID_Z_EN: 0
; COMPUTE_PGM_RSRC2:TIDIG_COMP_CNT: 0
	.section	.text._ZN7rocprim17ROCPRIM_400000_NS6detail17trampoline_kernelINS0_14default_configENS1_25partition_config_selectorILNS1_17partition_subalgoE9ExjbEEZZNS1_14partition_implILS5_9ELb0ES3_jN6thrust23THRUST_200600_302600_NS6detail15normal_iteratorINS9_10device_ptrIxEEEENSB_INSC_IjEEEEPNS0_10empty_typeENS0_5tupleIJNS9_16discard_iteratorINS9_11use_defaultEEESH_EEENSJ_IJSG_SI_EEENS0_18inequality_wrapperINS9_8equal_toIxEEEEPmJSH_EEE10hipError_tPvRmT3_T4_T5_T6_T7_T9_mT8_P12ihipStream_tbDpT10_ENKUlT_T0_E_clISt17integral_constantIbLb1EES1D_EEDaS18_S19_EUlS18_E_NS1_11comp_targetILNS1_3genE9ELNS1_11target_archE1100ELNS1_3gpuE3ELNS1_3repE0EEENS1_30default_config_static_selectorELNS0_4arch9wavefront6targetE0EEEvT1_,"axG",@progbits,_ZN7rocprim17ROCPRIM_400000_NS6detail17trampoline_kernelINS0_14default_configENS1_25partition_config_selectorILNS1_17partition_subalgoE9ExjbEEZZNS1_14partition_implILS5_9ELb0ES3_jN6thrust23THRUST_200600_302600_NS6detail15normal_iteratorINS9_10device_ptrIxEEEENSB_INSC_IjEEEEPNS0_10empty_typeENS0_5tupleIJNS9_16discard_iteratorINS9_11use_defaultEEESH_EEENSJ_IJSG_SI_EEENS0_18inequality_wrapperINS9_8equal_toIxEEEEPmJSH_EEE10hipError_tPvRmT3_T4_T5_T6_T7_T9_mT8_P12ihipStream_tbDpT10_ENKUlT_T0_E_clISt17integral_constantIbLb1EES1D_EEDaS18_S19_EUlS18_E_NS1_11comp_targetILNS1_3genE9ELNS1_11target_archE1100ELNS1_3gpuE3ELNS1_3repE0EEENS1_30default_config_static_selectorELNS0_4arch9wavefront6targetE0EEEvT1_,comdat
	.protected	_ZN7rocprim17ROCPRIM_400000_NS6detail17trampoline_kernelINS0_14default_configENS1_25partition_config_selectorILNS1_17partition_subalgoE9ExjbEEZZNS1_14partition_implILS5_9ELb0ES3_jN6thrust23THRUST_200600_302600_NS6detail15normal_iteratorINS9_10device_ptrIxEEEENSB_INSC_IjEEEEPNS0_10empty_typeENS0_5tupleIJNS9_16discard_iteratorINS9_11use_defaultEEESH_EEENSJ_IJSG_SI_EEENS0_18inequality_wrapperINS9_8equal_toIxEEEEPmJSH_EEE10hipError_tPvRmT3_T4_T5_T6_T7_T9_mT8_P12ihipStream_tbDpT10_ENKUlT_T0_E_clISt17integral_constantIbLb1EES1D_EEDaS18_S19_EUlS18_E_NS1_11comp_targetILNS1_3genE9ELNS1_11target_archE1100ELNS1_3gpuE3ELNS1_3repE0EEENS1_30default_config_static_selectorELNS0_4arch9wavefront6targetE0EEEvT1_ ; -- Begin function _ZN7rocprim17ROCPRIM_400000_NS6detail17trampoline_kernelINS0_14default_configENS1_25partition_config_selectorILNS1_17partition_subalgoE9ExjbEEZZNS1_14partition_implILS5_9ELb0ES3_jN6thrust23THRUST_200600_302600_NS6detail15normal_iteratorINS9_10device_ptrIxEEEENSB_INSC_IjEEEEPNS0_10empty_typeENS0_5tupleIJNS9_16discard_iteratorINS9_11use_defaultEEESH_EEENSJ_IJSG_SI_EEENS0_18inequality_wrapperINS9_8equal_toIxEEEEPmJSH_EEE10hipError_tPvRmT3_T4_T5_T6_T7_T9_mT8_P12ihipStream_tbDpT10_ENKUlT_T0_E_clISt17integral_constantIbLb1EES1D_EEDaS18_S19_EUlS18_E_NS1_11comp_targetILNS1_3genE9ELNS1_11target_archE1100ELNS1_3gpuE3ELNS1_3repE0EEENS1_30default_config_static_selectorELNS0_4arch9wavefront6targetE0EEEvT1_
	.globl	_ZN7rocprim17ROCPRIM_400000_NS6detail17trampoline_kernelINS0_14default_configENS1_25partition_config_selectorILNS1_17partition_subalgoE9ExjbEEZZNS1_14partition_implILS5_9ELb0ES3_jN6thrust23THRUST_200600_302600_NS6detail15normal_iteratorINS9_10device_ptrIxEEEENSB_INSC_IjEEEEPNS0_10empty_typeENS0_5tupleIJNS9_16discard_iteratorINS9_11use_defaultEEESH_EEENSJ_IJSG_SI_EEENS0_18inequality_wrapperINS9_8equal_toIxEEEEPmJSH_EEE10hipError_tPvRmT3_T4_T5_T6_T7_T9_mT8_P12ihipStream_tbDpT10_ENKUlT_T0_E_clISt17integral_constantIbLb1EES1D_EEDaS18_S19_EUlS18_E_NS1_11comp_targetILNS1_3genE9ELNS1_11target_archE1100ELNS1_3gpuE3ELNS1_3repE0EEENS1_30default_config_static_selectorELNS0_4arch9wavefront6targetE0EEEvT1_
	.p2align	8
	.type	_ZN7rocprim17ROCPRIM_400000_NS6detail17trampoline_kernelINS0_14default_configENS1_25partition_config_selectorILNS1_17partition_subalgoE9ExjbEEZZNS1_14partition_implILS5_9ELb0ES3_jN6thrust23THRUST_200600_302600_NS6detail15normal_iteratorINS9_10device_ptrIxEEEENSB_INSC_IjEEEEPNS0_10empty_typeENS0_5tupleIJNS9_16discard_iteratorINS9_11use_defaultEEESH_EEENSJ_IJSG_SI_EEENS0_18inequality_wrapperINS9_8equal_toIxEEEEPmJSH_EEE10hipError_tPvRmT3_T4_T5_T6_T7_T9_mT8_P12ihipStream_tbDpT10_ENKUlT_T0_E_clISt17integral_constantIbLb1EES1D_EEDaS18_S19_EUlS18_E_NS1_11comp_targetILNS1_3genE9ELNS1_11target_archE1100ELNS1_3gpuE3ELNS1_3repE0EEENS1_30default_config_static_selectorELNS0_4arch9wavefront6targetE0EEEvT1_,@function
_ZN7rocprim17ROCPRIM_400000_NS6detail17trampoline_kernelINS0_14default_configENS1_25partition_config_selectorILNS1_17partition_subalgoE9ExjbEEZZNS1_14partition_implILS5_9ELb0ES3_jN6thrust23THRUST_200600_302600_NS6detail15normal_iteratorINS9_10device_ptrIxEEEENSB_INSC_IjEEEEPNS0_10empty_typeENS0_5tupleIJNS9_16discard_iteratorINS9_11use_defaultEEESH_EEENSJ_IJSG_SI_EEENS0_18inequality_wrapperINS9_8equal_toIxEEEEPmJSH_EEE10hipError_tPvRmT3_T4_T5_T6_T7_T9_mT8_P12ihipStream_tbDpT10_ENKUlT_T0_E_clISt17integral_constantIbLb1EES1D_EEDaS18_S19_EUlS18_E_NS1_11comp_targetILNS1_3genE9ELNS1_11target_archE1100ELNS1_3gpuE3ELNS1_3repE0EEENS1_30default_config_static_selectorELNS0_4arch9wavefront6targetE0EEEvT1_: ; @_ZN7rocprim17ROCPRIM_400000_NS6detail17trampoline_kernelINS0_14default_configENS1_25partition_config_selectorILNS1_17partition_subalgoE9ExjbEEZZNS1_14partition_implILS5_9ELb0ES3_jN6thrust23THRUST_200600_302600_NS6detail15normal_iteratorINS9_10device_ptrIxEEEENSB_INSC_IjEEEEPNS0_10empty_typeENS0_5tupleIJNS9_16discard_iteratorINS9_11use_defaultEEESH_EEENSJ_IJSG_SI_EEENS0_18inequality_wrapperINS9_8equal_toIxEEEEPmJSH_EEE10hipError_tPvRmT3_T4_T5_T6_T7_T9_mT8_P12ihipStream_tbDpT10_ENKUlT_T0_E_clISt17integral_constantIbLb1EES1D_EEDaS18_S19_EUlS18_E_NS1_11comp_targetILNS1_3genE9ELNS1_11target_archE1100ELNS1_3gpuE3ELNS1_3repE0EEENS1_30default_config_static_selectorELNS0_4arch9wavefront6targetE0EEEvT1_
; %bb.0:
	s_clause 0x5
	s_load_b128 s[4:7], s[0:1], 0x8
	s_load_b64 s[8:9], s[0:1], 0x18
	s_load_b64 s[10:11], s[0:1], 0x38
	s_load_b128 s[12:15], s[0:1], 0x48
	s_load_b64 s[18:19], s[0:1], 0x58
	s_load_b64 s[16:17], s[0:1], 0x68
	v_cmp_ne_u32_e64 s3, 0, v0
	v_cmp_eq_u32_e64 s2, 0, v0
	s_delay_alu instid0(VALU_DEP_1)
	s_and_saveexec_b32 s20, s2
	s_cbranch_execz .LBB1059_4
; %bb.1:
	s_mov_b32 s22, exec_lo
	s_mov_b32 s21, exec_lo
	v_mbcnt_lo_u32_b32 v1, s22, 0
                                        ; implicit-def: $vgpr2
	s_delay_alu instid0(VALU_DEP_1)
	v_cmpx_eq_u32_e32 0, v1
	s_cbranch_execz .LBB1059_3
; %bb.2:
	s_load_b64 s[24:25], s[0:1], 0x78
	s_bcnt1_i32_b32 s22, s22
	s_delay_alu instid0(SALU_CYCLE_1)
	v_dual_mov_b32 v2, 0 :: v_dual_mov_b32 v3, s22
	s_waitcnt lgkmcnt(0)
	global_atomic_add_u32 v2, v2, v3, s[24:25] glc
.LBB1059_3:
	s_or_b32 exec_lo, exec_lo, s21
	s_waitcnt vmcnt(0)
	v_readfirstlane_b32 s21, v2
	s_delay_alu instid0(VALU_DEP_1)
	v_dual_mov_b32 v2, 0 :: v_dual_add_nc_u32 v1, s21, v1
	ds_store_b32 v2, v1
.LBB1059_4:
	s_or_b32 exec_lo, exec_lo, s20
	v_mov_b32_e32 v1, 0
	s_waitcnt lgkmcnt(0)
	s_barrier
	buffer_gl0_inv
	s_load_b32 s0, s[0:1], 0x70
	ds_load_b32 v2, v1
	s_waitcnt lgkmcnt(0)
	s_barrier
	buffer_gl0_inv
	global_load_b64 v[17:18], v1, s[14:15]
	s_lshl_b64 s[14:15], s[6:7], 3
	v_lshlrev_b32_e32 v31, 3, v0
	s_add_u32 s22, s4, s14
	s_addc_u32 s23, s5, s15
	v_lshrrev_b32_e32 v26, 2, v0
	v_or_b32_e32 v25, 0x200, v0
	v_or_b32_e32 v24, 0x400, v0
	;; [unrolled: 1-line block ×7, first 2 shown]
	s_add_i32 s5, s0, -1
	v_readfirstlane_b32 s20, v2
	s_lshl_b32 s1, s5, 12
	s_lshl_b32 s0, s0, 12
	s_add_i32 s1, s6, s1
	s_delay_alu instid0(SALU_CYCLE_1)
	s_sub_i32 s21, s18, s1
	s_lshl_b32 s4, s20, 12
	s_add_u32 s0, s6, s0
	s_addc_u32 s1, s7, 0
	s_cmp_eq_u32 s20, s5
	v_cmp_ge_u64_e64 s0, s[0:1], s[18:19]
	s_cselect_b32 s14, -1, 0
	s_mov_b32 s5, 0
	s_delay_alu instid0(VALU_DEP_1)
	s_and_b32 s18, s0, s14
	s_lshl_b64 s[0:1], s[4:5], 3
	s_xor_b32 s15, s18, -1
	s_add_u32 s19, s22, s0
	s_addc_u32 s1, s23, s1
	s_and_b32 vcc_lo, exec_lo, s15
	s_mov_b32 s22, -1
	s_cbranch_vccz .LBB1059_6
; %bb.5:
	v_add_co_u32 v1, s0, s19, v31
	s_delay_alu instid0(VALU_DEP_1) | instskip(SKIP_1) | instid1(VALU_DEP_3)
	v_add_co_ci_u32_e64 v2, null, s1, 0, s0
	v_lshrrev_b32_e32 v28, 2, v25
	v_add_co_u32 v3, vcc_lo, 0x1000, v1
	s_delay_alu instid0(VALU_DEP_3)
	v_add_co_ci_u32_e32 v4, vcc_lo, 0, v2, vcc_lo
	v_add_co_u32 v5, vcc_lo, 0x2000, v1
	v_add_co_ci_u32_e32 v6, vcc_lo, 0, v2, vcc_lo
	v_add_co_u32 v7, vcc_lo, 0x3000, v1
	;; [unrolled: 2-line block ×6, first 2 shown]
	v_add_co_ci_u32_e32 v16, vcc_lo, 0, v2, vcc_lo
	s_clause 0x7
	flat_load_b64 v[1:2], v[1:2]
	flat_load_b64 v[3:4], v[3:4]
	;; [unrolled: 1-line block ×8, first 2 shown]
	v_lshrrev_b32_e32 v29, 2, v24
	v_lshrrev_b32_e32 v30, 2, v23
	;; [unrolled: 1-line block ×3, first 2 shown]
	v_and_b32_e32 v27, 0x78, v26
	v_lshrrev_b32_e32 v33, 2, v21
	v_lshrrev_b32_e32 v34, 2, v20
	;; [unrolled: 1-line block ×3, first 2 shown]
	v_and_b32_e32 v28, 0xf8, v28
	v_and_b32_e32 v29, 0x178, v29
	;; [unrolled: 1-line block ×4, first 2 shown]
	v_add_nc_u32_e32 v27, v27, v31
	v_and_b32_e32 v33, 0x2f8, v33
	v_and_b32_e32 v34, 0x378, v34
	;; [unrolled: 1-line block ×3, first 2 shown]
	v_add_nc_u32_e32 v28, v28, v31
	v_add_nc_u32_e32 v29, v29, v31
	;; [unrolled: 1-line block ×4, first 2 shown]
	s_mov_b32 s22, s5
	v_add_nc_u32_e32 v33, v33, v31
	v_add_nc_u32_e32 v34, v34, v31
	;; [unrolled: 1-line block ×3, first 2 shown]
	s_waitcnt vmcnt(7) lgkmcnt(7)
	ds_store_b64 v27, v[1:2]
	s_waitcnt vmcnt(6) lgkmcnt(7)
	ds_store_b64 v28, v[3:4] offset:4096
	s_waitcnt vmcnt(5) lgkmcnt(7)
	ds_store_b64 v29, v[5:6] offset:8192
	;; [unrolled: 2-line block ×7, first 2 shown]
	s_waitcnt lgkmcnt(0)
	s_barrier
.LBB1059_6:
	v_cmp_gt_u32_e64 s0, s21, v0
	s_and_not1_b32 vcc_lo, exec_lo, s22
	s_cbranch_vccnz .LBB1059_24
; %bb.7:
                                        ; implicit-def: $vgpr1_vgpr2_vgpr3_vgpr4_vgpr5_vgpr6_vgpr7_vgpr8_vgpr9_vgpr10_vgpr11_vgpr12_vgpr13_vgpr14_vgpr15_vgpr16
	s_delay_alu instid0(VALU_DEP_1)
	s_and_saveexec_b32 s22, s0
	s_cbranch_execz .LBB1059_15
; %bb.8:
	v_add_co_u32 v1, s0, s19, v31
	s_delay_alu instid0(VALU_DEP_1) | instskip(SKIP_2) | instid1(SALU_CYCLE_1)
	v_add_co_ci_u32_e64 v2, null, s1, 0, s0
	flat_load_b64 v[1:2], v[1:2]
	s_or_b32 exec_lo, exec_lo, s22
	s_mov_b32 s0, exec_lo
	v_cmpx_gt_u32_e64 s21, v25
	s_cbranch_execnz .LBB1059_16
.LBB1059_9:
	s_or_b32 exec_lo, exec_lo, s0
	s_delay_alu instid0(SALU_CYCLE_1)
	s_mov_b32 s0, exec_lo
	v_cmpx_gt_u32_e64 s21, v24
	s_cbranch_execz .LBB1059_17
.LBB1059_10:
	v_lshlrev_b32_e32 v5, 3, v24
	s_delay_alu instid0(VALU_DEP_1) | instskip(NEXT) | instid1(VALU_DEP_1)
	v_add_co_u32 v5, s22, s19, v5
	v_add_co_ci_u32_e64 v6, null, s1, 0, s22
	flat_load_b64 v[5:6], v[5:6]
	s_or_b32 exec_lo, exec_lo, s0
	s_delay_alu instid0(SALU_CYCLE_1)
	s_mov_b32 s0, exec_lo
	v_cmpx_gt_u32_e64 s21, v23
	s_cbranch_execnz .LBB1059_18
.LBB1059_11:
	s_or_b32 exec_lo, exec_lo, s0
	s_delay_alu instid0(SALU_CYCLE_1)
	s_mov_b32 s0, exec_lo
	v_cmpx_gt_u32_e64 s21, v22
	s_cbranch_execz .LBB1059_19
.LBB1059_12:
	v_lshlrev_b32_e32 v9, 3, v22
	s_delay_alu instid0(VALU_DEP_1) | instskip(NEXT) | instid1(VALU_DEP_1)
	v_add_co_u32 v9, s22, s19, v9
	v_add_co_ci_u32_e64 v10, null, s1, 0, s22
	flat_load_b64 v[9:10], v[9:10]
	s_or_b32 exec_lo, exec_lo, s0
	s_delay_alu instid0(SALU_CYCLE_1)
	s_mov_b32 s0, exec_lo
	v_cmpx_gt_u32_e64 s21, v21
	s_cbranch_execnz .LBB1059_20
.LBB1059_13:
	s_or_b32 exec_lo, exec_lo, s0
	s_delay_alu instid0(SALU_CYCLE_1)
	s_mov_b32 s0, exec_lo
	v_cmpx_gt_u32_e64 s21, v20
	s_cbranch_execz .LBB1059_21
.LBB1059_14:
	v_lshlrev_b32_e32 v13, 3, v20
	s_delay_alu instid0(VALU_DEP_1) | instskip(NEXT) | instid1(VALU_DEP_1)
	v_add_co_u32 v13, s22, s19, v13
	v_add_co_ci_u32_e64 v14, null, s1, 0, s22
	flat_load_b64 v[13:14], v[13:14]
	s_or_b32 exec_lo, exec_lo, s0
	s_delay_alu instid0(SALU_CYCLE_1)
	s_mov_b32 s0, exec_lo
	v_cmpx_gt_u32_e64 s21, v19
	s_cbranch_execnz .LBB1059_22
	s_branch .LBB1059_23
.LBB1059_15:
	s_or_b32 exec_lo, exec_lo, s22
	s_delay_alu instid0(SALU_CYCLE_1)
	s_mov_b32 s0, exec_lo
	v_cmpx_gt_u32_e64 s21, v25
	s_cbranch_execz .LBB1059_9
.LBB1059_16:
	v_lshlrev_b32_e32 v3, 3, v25
	s_delay_alu instid0(VALU_DEP_1) | instskip(NEXT) | instid1(VALU_DEP_1)
	v_add_co_u32 v3, s22, s19, v3
	v_add_co_ci_u32_e64 v4, null, s1, 0, s22
	flat_load_b64 v[3:4], v[3:4]
	s_or_b32 exec_lo, exec_lo, s0
	s_delay_alu instid0(SALU_CYCLE_1)
	s_mov_b32 s0, exec_lo
	v_cmpx_gt_u32_e64 s21, v24
	s_cbranch_execnz .LBB1059_10
.LBB1059_17:
	s_or_b32 exec_lo, exec_lo, s0
	s_delay_alu instid0(SALU_CYCLE_1)
	s_mov_b32 s0, exec_lo
	v_cmpx_gt_u32_e64 s21, v23
	s_cbranch_execz .LBB1059_11
.LBB1059_18:
	v_lshlrev_b32_e32 v7, 3, v23
	s_delay_alu instid0(VALU_DEP_1) | instskip(NEXT) | instid1(VALU_DEP_1)
	v_add_co_u32 v7, s22, s19, v7
	v_add_co_ci_u32_e64 v8, null, s1, 0, s22
	flat_load_b64 v[7:8], v[7:8]
	s_or_b32 exec_lo, exec_lo, s0
	s_delay_alu instid0(SALU_CYCLE_1)
	s_mov_b32 s0, exec_lo
	v_cmpx_gt_u32_e64 s21, v22
	s_cbranch_execnz .LBB1059_12
.LBB1059_19:
	s_or_b32 exec_lo, exec_lo, s0
	s_delay_alu instid0(SALU_CYCLE_1)
	s_mov_b32 s0, exec_lo
	v_cmpx_gt_u32_e64 s21, v21
	s_cbranch_execz .LBB1059_13
.LBB1059_20:
	v_lshlrev_b32_e32 v11, 3, v21
	s_delay_alu instid0(VALU_DEP_1) | instskip(NEXT) | instid1(VALU_DEP_1)
	v_add_co_u32 v11, s22, s19, v11
	v_add_co_ci_u32_e64 v12, null, s1, 0, s22
	flat_load_b64 v[11:12], v[11:12]
	s_or_b32 exec_lo, exec_lo, s0
	s_delay_alu instid0(SALU_CYCLE_1)
	s_mov_b32 s0, exec_lo
	v_cmpx_gt_u32_e64 s21, v20
	s_cbranch_execnz .LBB1059_14
.LBB1059_21:
	s_or_b32 exec_lo, exec_lo, s0
	s_delay_alu instid0(SALU_CYCLE_1)
	s_mov_b32 s0, exec_lo
	v_cmpx_gt_u32_e64 s21, v19
	s_cbranch_execz .LBB1059_23
.LBB1059_22:
	v_lshlrev_b32_e32 v15, 3, v19
	s_delay_alu instid0(VALU_DEP_1) | instskip(NEXT) | instid1(VALU_DEP_1)
	v_add_co_u32 v15, s22, s19, v15
	v_add_co_ci_u32_e64 v16, null, s1, 0, s22
	flat_load_b64 v[15:16], v[15:16]
.LBB1059_23:
	s_or_b32 exec_lo, exec_lo, s0
	v_lshrrev_b32_e32 v27, 2, v25
	v_lshrrev_b32_e32 v28, 2, v24
	;; [unrolled: 1-line block ×4, first 2 shown]
	v_and_b32_e32 v29, 0x78, v26
	v_lshrrev_b32_e32 v33, 2, v21
	v_lshrrev_b32_e32 v34, 2, v20
	v_lshrrev_b32_e32 v35, 2, v19
	v_and_b32_e32 v27, 0xf8, v27
	v_and_b32_e32 v28, 0x1f8, v28
	;; [unrolled: 1-line block ×4, first 2 shown]
	v_add_nc_u32_e32 v29, v29, v31
	v_and_b32_e32 v33, 0x3f8, v33
	v_and_b32_e32 v34, 0x3f8, v34
	;; [unrolled: 1-line block ×3, first 2 shown]
	v_add_nc_u32_e32 v27, v27, v31
	v_add_nc_u32_e32 v28, v28, v31
	;; [unrolled: 1-line block ×7, first 2 shown]
	s_waitcnt vmcnt(0) lgkmcnt(0)
	ds_store_b64 v29, v[1:2]
	ds_store_b64 v27, v[3:4] offset:4096
	ds_store_b64 v28, v[5:6] offset:8192
	;; [unrolled: 1-line block ×7, first 2 shown]
	s_waitcnt lgkmcnt(0)
	s_barrier
.LBB1059_24:
	v_add_nc_u32_e32 v26, v26, v31
	s_waitcnt vmcnt(0)
	buffer_gl0_inv
	s_lshl_b64 s[22:23], s[6:7], 2
	v_lshrrev_b32_e32 v28, 3, v0
	s_add_u32 s0, s8, s22
	v_lshlrev_b32_e32 v27, 3, v26
	s_addc_u32 s8, s9, s23
	s_lshl_b64 s[4:5], s[4:5], 2
	ds_load_2addr_b64 v[13:16], v27 offset1:1
	ds_load_2addr_b64 v[9:12], v27 offset0:2 offset1:3
	ds_load_2addr_b64 v[5:8], v27 offset0:4 offset1:5
	;; [unrolled: 1-line block ×3, first 2 shown]
	s_add_u32 s0, s0, s4
	s_addc_u32 s4, s8, s5
	s_and_b32 vcc_lo, exec_lo, s15
	s_mov_b32 s5, -1
	s_waitcnt lgkmcnt(0)
	s_barrier
	buffer_gl0_inv
	s_cbranch_vccz .LBB1059_26
; %bb.25:
	v_lshlrev_b32_e32 v38, 2, v0
	v_lshrrev_b32_e32 v40, 3, v25
	v_lshrrev_b32_e32 v41, 3, v24
	;; [unrolled: 1-line block ×4, first 2 shown]
	v_add_co_u32 v29, s5, s0, v38
	s_delay_alu instid0(VALU_DEP_1) | instskip(SKIP_1) | instid1(VALU_DEP_3)
	v_add_co_ci_u32_e64 v30, null, s4, 0, s5
	v_lshrrev_b32_e32 v44, 3, v21
	v_add_co_u32 v32, vcc_lo, 0x1000, v29
	s_delay_alu instid0(VALU_DEP_3)
	v_add_co_ci_u32_e32 v33, vcc_lo, 0, v30, vcc_lo
	v_add_co_u32 v34, vcc_lo, 0x2000, v29
	v_add_co_ci_u32_e32 v35, vcc_lo, 0, v30, vcc_lo
	v_add_co_u32 v36, vcc_lo, 0x3000, v29
	v_add_co_ci_u32_e32 v37, vcc_lo, 0, v30, vcc_lo
	s_clause 0x7
	flat_load_b32 v39, v[29:30]
	flat_load_b32 v29, v[29:30] offset:2048
	flat_load_b32 v30, v[32:33]
	flat_load_b32 v32, v[32:33] offset:2048
	;; [unrolled: 2-line block ×4, first 2 shown]
	v_and_b32_e32 v37, 60, v28
	v_lshrrev_b32_e32 v45, 3, v20
	v_lshrrev_b32_e32 v46, 3, v19
	v_and_b32_e32 v40, 0x7c, v40
	v_and_b32_e32 v41, 0xbc, v41
	;; [unrolled: 1-line block ×4, first 2 shown]
	v_add_nc_u32_e32 v37, v37, v38
	v_and_b32_e32 v44, 0x17c, v44
	v_and_b32_e32 v45, 0x1bc, v45
	;; [unrolled: 1-line block ×3, first 2 shown]
	v_add_nc_u32_e32 v40, v40, v38
	v_add_nc_u32_e32 v41, v41, v38
	;; [unrolled: 1-line block ×4, first 2 shown]
	s_mov_b32 s5, 0
	v_add_nc_u32_e32 v44, v44, v38
	v_add_nc_u32_e32 v45, v45, v38
	;; [unrolled: 1-line block ×3, first 2 shown]
	s_waitcnt vmcnt(7) lgkmcnt(7)
	ds_store_b32 v37, v39
	s_waitcnt vmcnt(6) lgkmcnt(7)
	ds_store_b32 v40, v29 offset:2048
	s_waitcnt vmcnt(5) lgkmcnt(7)
	ds_store_b32 v41, v30 offset:4096
	;; [unrolled: 2-line block ×7, first 2 shown]
	s_waitcnt lgkmcnt(0)
	s_barrier
.LBB1059_26:
	s_and_not1_b32 vcc_lo, exec_lo, s5
	s_cbranch_vccnz .LBB1059_44
; %bb.27:
	s_mov_b32 s5, exec_lo
                                        ; implicit-def: $vgpr29
	v_cmpx_gt_u32_e64 s21, v0
	s_cbranch_execz .LBB1059_29
; %bb.28:
	v_lshlrev_b32_e32 v29, 2, v0
	s_delay_alu instid0(VALU_DEP_1) | instskip(NEXT) | instid1(VALU_DEP_1)
	v_add_co_u32 v29, s8, s0, v29
	v_add_co_ci_u32_e64 v30, null, s4, 0, s8
	flat_load_b32 v29, v[29:30]
.LBB1059_29:
	s_or_b32 exec_lo, exec_lo, s5
	s_delay_alu instid0(SALU_CYCLE_1)
	s_mov_b32 s5, exec_lo
                                        ; implicit-def: $vgpr30
	v_cmpx_gt_u32_e64 s21, v25
	s_cbranch_execz .LBB1059_31
; %bb.30:
	v_lshlrev_b32_e32 v30, 2, v0
	s_delay_alu instid0(VALU_DEP_1) | instskip(NEXT) | instid1(VALU_DEP_1)
	v_add_co_u32 v32, s8, s0, v30
	v_add_co_ci_u32_e64 v33, null, s4, 0, s8
	flat_load_b32 v30, v[32:33] offset:2048
.LBB1059_31:
	s_or_b32 exec_lo, exec_lo, s5
	s_delay_alu instid0(SALU_CYCLE_1)
	s_mov_b32 s5, exec_lo
                                        ; implicit-def: $vgpr32
	v_cmpx_gt_u32_e64 s21, v24
	s_cbranch_execz .LBB1059_33
; %bb.32:
	v_lshlrev_b32_e32 v32, 2, v24
	s_delay_alu instid0(VALU_DEP_1) | instskip(NEXT) | instid1(VALU_DEP_1)
	v_add_co_u32 v32, s8, s0, v32
	v_add_co_ci_u32_e64 v33, null, s4, 0, s8
	flat_load_b32 v32, v[32:33]
.LBB1059_33:
	s_or_b32 exec_lo, exec_lo, s5
	s_delay_alu instid0(SALU_CYCLE_1)
	s_mov_b32 s5, exec_lo
                                        ; implicit-def: $vgpr33
	v_cmpx_gt_u32_e64 s21, v23
	s_cbranch_execz .LBB1059_35
; %bb.34:
	v_lshlrev_b32_e32 v33, 2, v23
	s_delay_alu instid0(VALU_DEP_1) | instskip(NEXT) | instid1(VALU_DEP_1)
	v_add_co_u32 v33, s8, s0, v33
	v_add_co_ci_u32_e64 v34, null, s4, 0, s8
	flat_load_b32 v33, v[33:34]
.LBB1059_35:
	s_or_b32 exec_lo, exec_lo, s5
	s_delay_alu instid0(SALU_CYCLE_1)
	s_mov_b32 s5, exec_lo
                                        ; implicit-def: $vgpr34
	v_cmpx_gt_u32_e64 s21, v22
	s_cbranch_execz .LBB1059_37
; %bb.36:
	v_lshlrev_b32_e32 v34, 2, v22
	s_delay_alu instid0(VALU_DEP_1) | instskip(NEXT) | instid1(VALU_DEP_1)
	v_add_co_u32 v34, s8, s0, v34
	v_add_co_ci_u32_e64 v35, null, s4, 0, s8
	flat_load_b32 v34, v[34:35]
.LBB1059_37:
	s_or_b32 exec_lo, exec_lo, s5
	s_delay_alu instid0(SALU_CYCLE_1)
	s_mov_b32 s5, exec_lo
                                        ; implicit-def: $vgpr35
	v_cmpx_gt_u32_e64 s21, v21
	s_cbranch_execz .LBB1059_39
; %bb.38:
	v_lshlrev_b32_e32 v35, 2, v21
	s_delay_alu instid0(VALU_DEP_1) | instskip(NEXT) | instid1(VALU_DEP_1)
	v_add_co_u32 v35, s8, s0, v35
	v_add_co_ci_u32_e64 v36, null, s4, 0, s8
	flat_load_b32 v35, v[35:36]
.LBB1059_39:
	s_or_b32 exec_lo, exec_lo, s5
	s_delay_alu instid0(SALU_CYCLE_1)
	s_mov_b32 s5, exec_lo
                                        ; implicit-def: $vgpr36
	v_cmpx_gt_u32_e64 s21, v20
	s_cbranch_execz .LBB1059_41
; %bb.40:
	v_lshlrev_b32_e32 v36, 2, v20
	s_delay_alu instid0(VALU_DEP_1) | instskip(NEXT) | instid1(VALU_DEP_1)
	v_add_co_u32 v36, s8, s0, v36
	v_add_co_ci_u32_e64 v37, null, s4, 0, s8
	flat_load_b32 v36, v[36:37]
.LBB1059_41:
	s_or_b32 exec_lo, exec_lo, s5
	s_delay_alu instid0(SALU_CYCLE_1)
	s_mov_b32 s5, exec_lo
                                        ; implicit-def: $vgpr37
	v_cmpx_gt_u32_e64 s21, v19
	s_cbranch_execz .LBB1059_43
; %bb.42:
	v_lshlrev_b32_e32 v37, 2, v19
	s_delay_alu instid0(VALU_DEP_1) | instskip(NEXT) | instid1(VALU_DEP_1)
	v_add_co_u32 v37, s0, s0, v37
	v_add_co_ci_u32_e64 v38, null, s4, 0, s0
	flat_load_b32 v37, v[37:38]
.LBB1059_43:
	s_or_b32 exec_lo, exec_lo, s5
	v_lshrrev_b32_e32 v25, 3, v25
	v_lshrrev_b32_e32 v24, 3, v24
	;; [unrolled: 1-line block ×4, first 2 shown]
	v_and_b32_e32 v28, 60, v28
	v_lshlrev_b32_e32 v38, 2, v0
	v_lshrrev_b32_e32 v21, 3, v21
	v_lshrrev_b32_e32 v20, 3, v20
	;; [unrolled: 1-line block ×3, first 2 shown]
	v_and_b32_e32 v25, 0x7c, v25
	v_and_b32_e32 v24, 0xfc, v24
	v_and_b32_e32 v23, 0xfc, v23
	v_and_b32_e32 v22, 0x1fc, v22
	v_add_nc_u32_e32 v28, v28, v38
	v_and_b32_e32 v21, 0x1fc, v21
	v_and_b32_e32 v20, 0x1fc, v20
	;; [unrolled: 1-line block ×3, first 2 shown]
	v_add_nc_u32_e32 v25, v25, v38
	v_add_nc_u32_e32 v24, v24, v38
	;; [unrolled: 1-line block ×7, first 2 shown]
	s_waitcnt vmcnt(0) lgkmcnt(0)
	ds_store_b32 v28, v29
	ds_store_b32 v25, v30 offset:2048
	ds_store_b32 v24, v32 offset:4096
	;; [unrolled: 1-line block ×7, first 2 shown]
	s_waitcnt lgkmcnt(0)
	s_barrier
.LBB1059_44:
	v_lshlrev_b32_e32 v19, 2, v26
	buffer_gl0_inv
	s_cmp_lg_u32 s20, 0
	s_mov_b32 s22, 0
	s_cselect_b32 s9, -1, 0
	v_sub_nc_u32_e32 v19, v27, v19
	s_cmp_lg_u64 s[6:7], 0
	ds_load_2addr_b32 v[25:26], v19 offset1:1
	ds_load_2addr_b32 v[23:24], v19 offset0:2 offset1:3
	ds_load_2addr_b32 v[21:22], v19 offset0:4 offset1:5
	;; [unrolled: 1-line block ×3, first 2 shown]
	s_cselect_b32 s0, -1, 0
	s_waitcnt lgkmcnt(0)
	s_or_b32 s0, s0, s9
	s_barrier
	s_and_b32 vcc_lo, exec_lo, s0
	buffer_gl0_inv
	s_cbranch_vccz .LBB1059_49
; %bb.45:
	v_add_co_u32 v27, s0, -8, s19
	s_delay_alu instid0(VALU_DEP_1)
	v_add_co_ci_u32_e64 v28, null, -1, s1, s0
	s_mov_b32 s1, -1
	s_and_b32 vcc_lo, exec_lo, s15
	flat_load_b64 v[29:30], v[27:28]
	ds_store_b64 v31, v[3:4]
	s_cbranch_vccz .LBB1059_50
; %bb.46:
	s_waitcnt vmcnt(0) lgkmcnt(1)
	v_dual_mov_b32 v27, v29 :: v_dual_mov_b32 v28, v30
	s_waitcnt lgkmcnt(0)
	s_barrier
	buffer_gl0_inv
	s_and_saveexec_b32 s0, s3
	s_cbranch_execz .LBB1059_48
; %bb.47:
	v_add_nc_u32_e32 v27, -8, v31
	ds_load_b64 v[27:28], v27
.LBB1059_48:
	s_or_b32 exec_lo, exec_lo, s0
	v_cmp_ne_u64_e32 vcc_lo, v[1:2], v[3:4]
	s_waitcnt lgkmcnt(0)
	v_cmp_ne_u64_e64 s0, v[27:28], v[13:14]
	v_cndmask_b32_e64 v32, 0, 1, vcc_lo
	v_cmp_ne_u64_e32 vcc_lo, v[7:8], v[1:2]
	s_delay_alu instid0(VALU_DEP_2) | instskip(SKIP_2) | instid1(VALU_DEP_2)
	v_lshlrev_b16 v32, 8, v32
	v_cndmask_b32_e64 v33, 0, 1, vcc_lo
	v_cmp_ne_u64_e32 vcc_lo, v[5:6], v[7:8]
	v_or_b32_e32 v32, v33, v32
	v_cndmask_b32_e64 v34, 0, 1, vcc_lo
	v_cmp_ne_u64_e32 vcc_lo, v[9:10], v[11:12]
	s_delay_alu instid0(VALU_DEP_3) | instskip(NEXT) | instid1(VALU_DEP_3)
	v_lshlrev_b32_e32 v32, 16, v32
	v_lshlrev_b16 v34, 8, v34
	v_cndmask_b32_e64 v35, 0, 1, vcc_lo
	v_cmp_ne_u64_e32 vcc_lo, v[11:12], v[5:6]
	s_delay_alu instid0(VALU_DEP_2) | instskip(SKIP_2) | instid1(VALU_DEP_2)
	v_lshlrev_b16 v35, 8, v35
	v_cndmask_b32_e64 v36, 0, 1, vcc_lo
	v_cmp_ne_u64_e32 vcc_lo, v[15:16], v[9:10]
	v_or_b32_e32 v34, v36, v34
	v_cndmask_b32_e64 v37, 0, 1, vcc_lo
	v_cmp_ne_u64_e32 vcc_lo, v[13:14], v[15:16]
	s_delay_alu instid0(VALU_DEP_3) | instskip(NEXT) | instid1(VALU_DEP_3)
	v_and_b32_e32 v34, 0xffff, v34
	v_or_b32_e32 v35, v37, v35
	v_cndmask_b32_e64 v38, 0, 1, vcc_lo
	s_delay_alu instid0(VALU_DEP_3) | instskip(NEXT) | instid1(VALU_DEP_3)
	v_or_b32_e32 v28, v34, v32
	v_lshlrev_b32_e32 v33, 16, v35
	s_delay_alu instid0(VALU_DEP_3) | instskip(NEXT) | instid1(VALU_DEP_1)
	v_lshlrev_b16 v37, 8, v38
	v_and_b32_e32 v35, 0xffff, v37
	s_delay_alu instid0(VALU_DEP_1)
	v_or_b32_e32 v27, v35, v33
	s_branch .LBB1059_54
.LBB1059_49:
                                        ; implicit-def: $sgpr0
                                        ; implicit-def: $vgpr28
	s_branch .LBB1059_55
.LBB1059_50:
                                        ; implicit-def: $sgpr0
                                        ; implicit-def: $vgpr28
	s_and_b32 vcc_lo, exec_lo, s1
	s_cbranch_vccz .LBB1059_54
; %bb.51:
	s_waitcnt vmcnt(0) lgkmcnt(0)
	s_barrier
	buffer_gl0_inv
	s_and_saveexec_b32 s0, s3
	s_cbranch_execz .LBB1059_53
; %bb.52:
	v_add_nc_u32_e32 v27, -8, v31
	ds_load_b64 v[29:30], v27
.LBB1059_53:
	s_or_b32 exec_lo, exec_lo, s0
	v_or_b32_e32 v27, 7, v31
	v_or_b32_e32 v28, 6, v31
	v_cmp_ne_u64_e32 vcc_lo, v[1:2], v[3:4]
	v_or_b32_e32 v32, 5, v31
	v_cmp_ne_u64_e64 s1, v[7:8], v[1:2]
	v_cmp_gt_u32_e64 s0, s21, v27
	v_cmp_gt_u32_e64 s4, s21, v28
	v_cmp_ne_u64_e64 s5, v[5:6], v[7:8]
	v_cmp_gt_u32_e64 s6, s21, v32
	v_or_b32_e32 v32, 3, v31
	s_and_b32 s0, s0, vcc_lo
	v_or_b32_e32 v33, 4, v31
	v_cndmask_b32_e64 v27, 0, 1, s0
	s_and_b32 s0, s4, s1
	v_cmp_ne_u64_e32 vcc_lo, v[9:10], v[11:12]
	v_cndmask_b32_e64 v28, 0, 1, s0
	s_and_b32 s0, s6, s5
	v_cmp_gt_u32_e64 s1, s21, v33
	v_cndmask_b32_e64 v34, 0, 1, s0
	v_cmp_gt_u32_e64 s0, s21, v32
	v_or_b32_e32 v32, 2, v31
	v_or_b32_e32 v33, 1, v31
	v_cmp_ne_u64_e64 s4, v[11:12], v[5:6]
	v_cmp_ne_u64_e64 s6, v[13:14], v[15:16]
	s_and_b32 s0, s0, vcc_lo
	v_cmp_ne_u64_e32 vcc_lo, v[15:16], v[9:10]
	v_cndmask_b32_e64 v35, 0, 1, s0
	v_cmp_gt_u32_e64 s0, s21, v32
	v_cmp_gt_u32_e64 s5, s21, v33
	s_and_b32 s1, s1, s4
	v_lshlrev_b16 v34, 8, v34
	v_cndmask_b32_e64 v32, 0, 1, s1
	s_and_b32 s0, s0, vcc_lo
	v_lshlrev_b16 v35, 8, v35
	v_cndmask_b32_e64 v33, 0, 1, s0
	s_and_b32 s0, s5, s6
	v_lshlrev_b16 v27, 8, v27
	v_cndmask_b32_e64 v36, 0, 1, s0
	v_or_b32_e32 v32, v32, v34
	v_or_b32_e32 v33, v33, v35
	s_waitcnt lgkmcnt(0)
	v_cmp_ne_u64_e32 vcc_lo, v[29:30], v[13:14]
	v_or_b32_e32 v27, v28, v27
	v_lshlrev_b16 v35, 8, v36
	v_and_b32_e32 v32, 0xffff, v32
	v_lshlrev_b32_e32 v28, 16, v33
	v_cmp_gt_u32_e64 s0, s21, v31
	v_lshlrev_b32_e32 v34, 16, v27
	v_and_b32_e32 v33, 0xffff, v35
	s_delay_alu instid0(VALU_DEP_3) | instskip(NEXT) | instid1(VALU_DEP_1)
	s_and_b32 s0, s0, vcc_lo
	v_or_b32_e32 v27, v33, v28
	s_delay_alu instid0(VALU_DEP_3)
	v_or_b32_e32 v28, v32, v34
.LBB1059_54:
	s_mov_b32 s22, -1
	s_cbranch_execnz .LBB1059_63
.LBB1059_55:
	v_cmp_ne_u64_e64 s1, v[1:2], v[3:4]
	v_cmp_ne_u64_e64 s4, v[7:8], v[1:2]
	v_cmp_ne_u64_e64 s5, v[5:6], v[7:8]
	v_cmp_ne_u64_e64 s6, v[11:12], v[5:6]
	v_cmp_ne_u64_e64 s7, v[9:10], v[11:12]
	v_cmp_ne_u64_e64 s0, v[15:16], v[9:10]
	v_cmp_ne_u64_e64 s8, v[13:14], v[15:16]
	s_and_b32 vcc_lo, exec_lo, s15
	ds_store_b64 v31, v[3:4]
	s_cbranch_vccz .LBB1059_59
; %bb.56:
	v_cndmask_b32_e64 v27, 0, 1, s1
	s_waitcnt vmcnt(0) lgkmcnt(2)
	v_cndmask_b32_e64 v29, 0, 1, s5
	v_cndmask_b32_e64 v32, 0, 1, s7
	;; [unrolled: 1-line block ×6, first 2 shown]
	v_lshlrev_b16 v29, 8, v29
	v_lshlrev_b16 v27, 8, v27
	;; [unrolled: 1-line block ×4, first 2 shown]
	s_waitcnt lgkmcnt(0)
	v_or_b32_e32 v29, v30, v29
	v_or_b32_e32 v27, v28, v27
	;; [unrolled: 1-line block ×4, first 2 shown]
	s_barrier
	v_and_b32_e32 v29, 0xffff, v29
	v_lshlrev_b32_e32 v27, 16, v27
	v_lshlrev_b32_e32 v32, 16, v28
	v_and_b32_e32 v30, 0xffff, v30
	buffer_gl0_inv
                                        ; implicit-def: $sgpr0
	v_or_b32_e32 v28, v29, v27
	v_or_b32_e32 v27, v30, v32
	s_and_saveexec_b32 s1, s3
	s_delay_alu instid0(SALU_CYCLE_1)
	s_xor_b32 s1, exec_lo, s1
	s_cbranch_execz .LBB1059_58
; %bb.57:
	v_add_nc_u32_e32 v29, -8, v31
	s_or_b32 s22, s22, exec_lo
	ds_load_b64 v[29:30], v29
	s_waitcnt lgkmcnt(0)
	v_cmp_ne_u64_e32 vcc_lo, v[29:30], v[13:14]
	s_and_b32 s0, vcc_lo, exec_lo
.LBB1059_58:
	s_or_b32 exec_lo, exec_lo, s1
	s_branch .LBB1059_63
.LBB1059_59:
                                        ; implicit-def: $sgpr0
                                        ; implicit-def: $vgpr28
	s_cbranch_execz .LBB1059_63
; %bb.60:
	v_or_b32_e32 v27, 7, v31
	v_or_b32_e32 v28, 6, v31
	v_cmp_ne_u64_e32 vcc_lo, v[1:2], v[3:4]
	v_cmp_ne_u64_e64 s0, v[7:8], v[1:2]
	s_waitcnt vmcnt(0) lgkmcnt(2)
	v_or_b32_e32 v29, 4, v31
	v_cmp_gt_u32_e64 s1, s21, v27
	v_or_b32_e32 v27, 5, v31
	v_cmp_gt_u32_e64 s5, s21, v28
	v_cmp_ne_u64_e64 s4, v[5:6], v[7:8]
	v_cmp_ne_u64_e64 s6, v[11:12], v[5:6]
	s_and_b32 s1, s1, vcc_lo
	v_cmp_gt_u32_e32 vcc_lo, s21, v27
	v_cndmask_b32_e64 v28, 0, 1, s1
	v_cmp_gt_u32_e64 s1, s21, v29
	s_and_b32 s0, s5, s0
	v_or_b32_e32 v30, 3, v31
	v_cndmask_b32_e64 v27, 0, 1, s0
	s_and_b32 s0, vcc_lo, s4
	v_or_b32_e32 v33, 1, v31
	v_cndmask_b32_e64 v29, 0, 1, s0
	s_and_b32 s0, s1, s6
	v_cmp_ne_u64_e32 vcc_lo, v[9:10], v[11:12]
	v_cndmask_b32_e64 v32, 0, 1, s0
	v_cmp_gt_u32_e64 s0, s21, v30
	v_cmp_ne_u64_e64 s1, v[13:14], v[15:16]
	v_or_b32_e32 v34, 2, v31
	v_cmp_gt_u32_e64 s4, s21, v33
	v_cmp_ne_u64_e64 s5, v[15:16], v[9:10]
	s_and_b32 s0, s0, vcc_lo
	v_lshlrev_b16 v29, 8, v29
	v_cmp_gt_u32_e64 s6, s21, v34
	v_cndmask_b32_e64 v30, 0, 1, s0
	s_and_b32 s0, s4, s1
	v_lshlrev_b16 v28, 8, v28
	v_cndmask_b32_e64 v33, 0, 1, s0
	s_and_b32 s0, s6, s5
	v_lshlrev_b16 v30, 8, v30
	v_cndmask_b32_e64 v34, 0, 1, s0
	v_or_b32_e32 v29, v32, v29
	v_lshlrev_b16 v33, 8, v33
	v_or_b32_e32 v27, v27, v28
	s_waitcnt lgkmcnt(0)
	v_or_b32_e32 v28, v34, v30
	v_and_b32_e32 v29, 0xffff, v29
	v_or_b32_e32 v30, 1, v33
	v_lshlrev_b32_e32 v27, 16, v27
	s_barrier
	v_lshlrev_b32_e32 v32, 16, v28
	buffer_gl0_inv
	v_and_b32_e32 v30, 0xffff, v30
	v_or_b32_e32 v28, v29, v27
                                        ; implicit-def: $sgpr0
	s_delay_alu instid0(VALU_DEP_2)
	v_or_b32_e32 v27, v30, v32
	s_and_saveexec_b32 s1, s3
	s_cbranch_execz .LBB1059_62
; %bb.61:
	v_add_nc_u32_e32 v29, -8, v31
	v_cmp_gt_u32_e64 s0, s21, v31
	s_or_b32 s22, s22, exec_lo
	ds_load_b64 v[29:30], v29
	s_waitcnt lgkmcnt(0)
	v_cmp_ne_u64_e32 vcc_lo, v[29:30], v[13:14]
	s_and_b32 s0, s0, vcc_lo
	s_delay_alu instid0(SALU_CYCLE_1)
	s_and_b32 s0, s0, exec_lo
.LBB1059_62:
	s_or_b32 exec_lo, exec_lo, s1
.LBB1059_63:
	s_and_saveexec_b32 s1, s22
	s_cbranch_execz .LBB1059_65
; %bb.64:
	s_waitcnt vmcnt(0) lgkmcnt(1)
	v_and_b32_e32 v29, 0xffffff00, v27
	v_cndmask_b32_e64 v30, 0, 1, s0
	s_delay_alu instid0(VALU_DEP_1) | instskip(NEXT) | instid1(VALU_DEP_1)
	v_or_b32_e32 v29, v30, v29
	v_and_b32_e32 v29, 0xffff, v29
	s_delay_alu instid0(VALU_DEP_1)
	v_and_or_b32 v27, 0xffff0000, v27, v29
.LBB1059_65:
	s_or_b32 exec_lo, exec_lo, s1
	s_delay_alu instid0(SALU_CYCLE_1)
	s_and_not1_b32 vcc_lo, exec_lo, s18
	s_cbranch_vccnz .LBB1059_67
; %bb.66:
	v_cmp_gt_u32_e32 vcc_lo, s21, v31
	s_waitcnt vmcnt(0) lgkmcnt(1)
	v_or_b32_e32 v30, 1, v31
	v_or_b32_e32 v33, 2, v31
	v_dual_cndmask_b32 v29, 0, v27 :: v_dual_and_b32 v32, 0xffffff00, v28
	s_delay_alu instid0(VALU_DEP_3) | instskip(SKIP_1) | instid1(VALU_DEP_4)
	v_cmp_gt_u32_e32 vcc_lo, s21, v30
	v_or_b32_e32 v30, 4, v31
	v_cmp_gt_u32_e64 s0, s21, v33
	v_or_b32_e32 v33, 3, v31
	v_and_b32_e32 v29, 0xff, v29
	s_delay_alu instid0(VALU_DEP_2) | instskip(NEXT) | instid1(VALU_DEP_2)
	v_cmp_gt_u32_e64 s1, s21, v33
	v_cndmask_b32_e32 v29, v29, v27, vcc_lo
	v_cmp_gt_u32_e32 vcc_lo, s21, v30
	v_cndmask_b32_e32 v30, v32, v28, vcc_lo
	v_or_b32_e32 v32, 5, v31
	s_delay_alu instid0(VALU_DEP_2) | instskip(SKIP_1) | instid1(VALU_DEP_1)
	v_and_b32_e32 v30, 0xffff00ff, v30
	v_and_b32_e32 v29, 0xffff, v29
	v_cndmask_b32_e64 v29, v29, v27, s0
	s_delay_alu instid0(VALU_DEP_4) | instskip(SKIP_2) | instid1(VALU_DEP_4)
	v_cmp_gt_u32_e64 s0, s21, v32
	v_or_b32_e32 v32, 6, v31
	v_or_b32_e32 v31, 7, v31
	v_and_b32_e32 v29, 0xffffff, v29
	s_delay_alu instid0(VALU_DEP_4) | instskip(NEXT) | instid1(VALU_DEP_2)
	v_cndmask_b32_e64 v30, v30, v28, s0
	v_cndmask_b32_e64 v29, v29, v27, s1
	s_delay_alu instid0(VALU_DEP_1) | instskip(SKIP_1) | instid1(VALU_DEP_2)
	v_dual_cndmask_b32 v29, v29, v27 :: v_dual_and_b32 v30, 0xff00ffff, v30
	v_cmp_gt_u32_e32 vcc_lo, s21, v32
	v_cndmask_b32_e64 v29, v29, v27, s0
	s_delay_alu instid0(VALU_DEP_1) | instskip(NEXT) | instid1(VALU_DEP_1)
	v_dual_cndmask_b32 v30, v30, v28 :: v_dual_cndmask_b32 v29, v29, v27
	v_and_b32_e32 v30, 0xffffff, v30
	v_cmp_gt_u32_e32 vcc_lo, s21, v31
	s_delay_alu instid0(VALU_DEP_2)
	v_dual_cndmask_b32 v28, v30, v28 :: v_dual_cndmask_b32 v27, v29, v27
.LBB1059_67:
	s_delay_alu instid0(VALU_DEP_1) | instskip(SKIP_1) | instid1(VALU_DEP_2)
	v_and_b32_e32 v38, 0xff, v27
	s_waitcnt vmcnt(0) lgkmcnt(1)
	v_alignbit_b32 v29, v28, v27, 24
	v_bfe_u32 v40, v27, 8, 8
	v_bfe_u32 v42, v27, 16, 8
	v_and_b32_e32 v46, 0xff, v28
	v_bfe_u32 v48, v28, 8, 8
	v_and_b32_e32 v44, 0xff, v29
	v_add_nc_u32_e32 v29, v40, v38
	v_mbcnt_lo_u32_b32 v51, -1, 0
	v_bfe_u32 v50, v28, 16, 8
	v_lshrrev_b32_e32 v49, 24, v28
	v_lshrrev_b32_e32 v52, 5, v0
	v_add3_u32 v29, v29, v42, v44
	v_and_b32_e32 v30, 15, v51
	v_and_b32_e32 v31, 16, v51
	s_and_b32 vcc_lo, exec_lo, s9
	s_mov_b32 s7, -1
	v_add3_u32 v29, v29, v46, v48
	v_cmp_eq_u32_e64 s3, 0, v30
	v_cmp_lt_u32_e64 s0, 1, v30
	v_cmp_lt_u32_e64 s4, 3, v30
	;; [unrolled: 1-line block ×3, first 2 shown]
	v_add3_u32 v53, v29, v50, v49
	v_or_b32_e32 v29, 31, v0
	v_cmp_eq_u32_e64 s6, 0, v31
	s_waitcnt lgkmcnt(0)
	s_barrier
	buffer_gl0_inv
	v_cmp_eq_u32_e64 s5, v29, v0
	s_cbranch_vccz .LBB1059_98
; %bb.68:
	v_mov_b32_dpp v29, v53 row_shr:1 row_mask:0xf bank_mask:0xf
	s_delay_alu instid0(VALU_DEP_1) | instskip(NEXT) | instid1(VALU_DEP_1)
	v_cndmask_b32_e64 v29, v29, 0, s3
	v_add_nc_u32_e32 v29, v29, v53
	s_delay_alu instid0(VALU_DEP_1) | instskip(NEXT) | instid1(VALU_DEP_1)
	v_mov_b32_dpp v30, v29 row_shr:2 row_mask:0xf bank_mask:0xf
	v_cndmask_b32_e64 v30, 0, v30, s0
	s_delay_alu instid0(VALU_DEP_1) | instskip(NEXT) | instid1(VALU_DEP_1)
	v_add_nc_u32_e32 v29, v29, v30
	v_mov_b32_dpp v30, v29 row_shr:4 row_mask:0xf bank_mask:0xf
	s_delay_alu instid0(VALU_DEP_1) | instskip(NEXT) | instid1(VALU_DEP_1)
	v_cndmask_b32_e64 v30, 0, v30, s4
	v_add_nc_u32_e32 v29, v29, v30
	s_delay_alu instid0(VALU_DEP_1) | instskip(NEXT) | instid1(VALU_DEP_1)
	v_mov_b32_dpp v30, v29 row_shr:8 row_mask:0xf bank_mask:0xf
	v_cndmask_b32_e64 v30, 0, v30, s1
	s_delay_alu instid0(VALU_DEP_1) | instskip(SKIP_3) | instid1(VALU_DEP_1)
	v_add_nc_u32_e32 v29, v29, v30
	ds_swizzle_b32 v30, v29 offset:swizzle(BROADCAST,32,15)
	s_waitcnt lgkmcnt(0)
	v_cndmask_b32_e64 v30, v30, 0, s6
	v_add_nc_u32_e32 v29, v29, v30
	s_and_saveexec_b32 s7, s5
	s_cbranch_execz .LBB1059_70
; %bb.69:
	v_lshlrev_b32_e32 v30, 2, v52
	ds_store_b32 v30, v29
.LBB1059_70:
	s_or_b32 exec_lo, exec_lo, s7
	s_delay_alu instid0(SALU_CYCLE_1)
	s_mov_b32 s7, exec_lo
	s_waitcnt lgkmcnt(0)
	s_barrier
	buffer_gl0_inv
	v_cmpx_gt_u32_e32 16, v0
	s_cbranch_execz .LBB1059_72
; %bb.71:
	v_lshlrev_b32_e32 v30, 2, v0
	ds_load_b32 v31, v30
	s_waitcnt lgkmcnt(0)
	v_mov_b32_dpp v32, v31 row_shr:1 row_mask:0xf bank_mask:0xf
	s_delay_alu instid0(VALU_DEP_1) | instskip(NEXT) | instid1(VALU_DEP_1)
	v_cndmask_b32_e64 v32, v32, 0, s3
	v_add_nc_u32_e32 v31, v32, v31
	s_delay_alu instid0(VALU_DEP_1) | instskip(NEXT) | instid1(VALU_DEP_1)
	v_mov_b32_dpp v32, v31 row_shr:2 row_mask:0xf bank_mask:0xf
	v_cndmask_b32_e64 v32, 0, v32, s0
	s_delay_alu instid0(VALU_DEP_1) | instskip(NEXT) | instid1(VALU_DEP_1)
	v_add_nc_u32_e32 v31, v31, v32
	v_mov_b32_dpp v32, v31 row_shr:4 row_mask:0xf bank_mask:0xf
	s_delay_alu instid0(VALU_DEP_1) | instskip(NEXT) | instid1(VALU_DEP_1)
	v_cndmask_b32_e64 v32, 0, v32, s4
	v_add_nc_u32_e32 v31, v31, v32
	s_delay_alu instid0(VALU_DEP_1) | instskip(NEXT) | instid1(VALU_DEP_1)
	v_mov_b32_dpp v32, v31 row_shr:8 row_mask:0xf bank_mask:0xf
	v_cndmask_b32_e64 v32, 0, v32, s1
	s_delay_alu instid0(VALU_DEP_1)
	v_add_nc_u32_e32 v31, v31, v32
	ds_store_b32 v30, v31
.LBB1059_72:
	s_or_b32 exec_lo, exec_lo, s7
	v_cmp_gt_u32_e32 vcc_lo, 32, v0
	s_mov_b32 s8, exec_lo
	s_waitcnt lgkmcnt(0)
	s_barrier
	buffer_gl0_inv
                                        ; implicit-def: $vgpr37
	v_cmpx_lt_u32_e32 31, v0
	s_cbranch_execz .LBB1059_74
; %bb.73:
	v_lshl_add_u32 v30, v52, 2, -4
	ds_load_b32 v37, v30
	s_waitcnt lgkmcnt(0)
	v_add_nc_u32_e32 v29, v37, v29
.LBB1059_74:
	s_or_b32 exec_lo, exec_lo, s8
	v_add_nc_u32_e32 v30, -1, v51
	s_delay_alu instid0(VALU_DEP_1) | instskip(NEXT) | instid1(VALU_DEP_1)
	v_cmp_gt_i32_e64 s7, 0, v30
	v_cndmask_b32_e64 v30, v30, v51, s7
	v_cmp_eq_u32_e64 s7, 0, v51
	s_delay_alu instid0(VALU_DEP_2)
	v_lshlrev_b32_e32 v30, 2, v30
	ds_bpermute_b32 v39, v30, v29
	s_and_saveexec_b32 s8, vcc_lo
	s_cbranch_execz .LBB1059_97
; %bb.75:
	v_mov_b32_e32 v33, 0
	ds_load_b32 v29, v33 offset:60
	s_and_saveexec_b32 s9, s7
	s_cbranch_execz .LBB1059_77
; %bb.76:
	s_add_i32 s18, s20, 32
	s_mov_b32 s19, 0
	v_mov_b32_e32 v30, 1
	s_lshl_b64 s[18:19], s[18:19], 3
	s_delay_alu instid0(SALU_CYCLE_1)
	s_add_u32 s18, s16, s18
	s_addc_u32 s19, s17, s19
	s_waitcnt lgkmcnt(0)
	global_store_b64 v33, v[29:30], s[18:19]
.LBB1059_77:
	s_or_b32 exec_lo, exec_lo, s9
	v_xad_u32 v31, v51, -1, s20
	s_mov_b32 s18, 0
	s_mov_b32 s9, exec_lo
	s_delay_alu instid0(VALU_DEP_1) | instskip(NEXT) | instid1(VALU_DEP_1)
	v_add_nc_u32_e32 v32, 32, v31
	v_lshlrev_b64 v[32:33], 3, v[32:33]
	s_delay_alu instid0(VALU_DEP_1) | instskip(NEXT) | instid1(VALU_DEP_2)
	v_add_co_u32 v35, vcc_lo, s16, v32
	v_add_co_ci_u32_e32 v36, vcc_lo, s17, v33, vcc_lo
	global_load_b64 v[33:34], v[35:36], off glc
	s_waitcnt vmcnt(0)
	v_and_b32_e32 v30, 0xff, v34
	s_delay_alu instid0(VALU_DEP_1)
	v_cmpx_eq_u16_e32 0, v30
	s_cbranch_execz .LBB1059_83
; %bb.78:
	s_mov_b32 s19, 1
	.p2align	6
.LBB1059_79:                            ; =>This Loop Header: Depth=1
                                        ;     Child Loop BB1059_80 Depth 2
	s_delay_alu instid0(SALU_CYCLE_1)
	s_max_u32 s21, s19, 1
.LBB1059_80:                            ;   Parent Loop BB1059_79 Depth=1
                                        ; =>  This Inner Loop Header: Depth=2
	s_delay_alu instid0(SALU_CYCLE_1)
	s_add_i32 s21, s21, -1
	s_sleep 1
	s_cmp_eq_u32 s21, 0
	s_cbranch_scc0 .LBB1059_80
; %bb.81:                               ;   in Loop: Header=BB1059_79 Depth=1
	global_load_b64 v[33:34], v[35:36], off glc
	s_cmp_lt_u32 s19, 32
	s_cselect_b32 s21, -1, 0
	s_delay_alu instid0(SALU_CYCLE_1) | instskip(SKIP_3) | instid1(VALU_DEP_1)
	s_cmp_lg_u32 s21, 0
	s_addc_u32 s19, s19, 0
	s_waitcnt vmcnt(0)
	v_and_b32_e32 v30, 0xff, v34
	v_cmp_ne_u16_e32 vcc_lo, 0, v30
	s_or_b32 s18, vcc_lo, s18
	s_delay_alu instid0(SALU_CYCLE_1)
	s_and_not1_b32 exec_lo, exec_lo, s18
	s_cbranch_execnz .LBB1059_79
; %bb.82:
	s_or_b32 exec_lo, exec_lo, s18
.LBB1059_83:
	s_delay_alu instid0(SALU_CYCLE_1)
	s_or_b32 exec_lo, exec_lo, s9
	v_cmp_ne_u32_e32 vcc_lo, 31, v51
	v_lshlrev_b32_e64 v43, v51, -1
	v_add_nc_u32_e32 v47, 2, v51
	v_add_nc_u32_e32 v55, 4, v51
	;; [unrolled: 1-line block ×3, first 2 shown]
	v_add_co_ci_u32_e32 v30, vcc_lo, 0, v51, vcc_lo
	v_add_nc_u32_e32 v59, 16, v51
	s_delay_alu instid0(VALU_DEP_2)
	v_lshlrev_b32_e32 v41, 2, v30
	v_and_b32_e32 v30, 0xff, v34
	ds_bpermute_b32 v32, v41, v33
	v_cmp_eq_u16_e32 vcc_lo, 2, v30
	v_and_or_b32 v30, vcc_lo, v43, 0x80000000
	v_cmp_gt_u32_e32 vcc_lo, 30, v51
	s_delay_alu instid0(VALU_DEP_2) | instskip(SKIP_1) | instid1(VALU_DEP_2)
	v_ctz_i32_b32_e32 v30, v30
	v_cndmask_b32_e64 v35, 0, 1, vcc_lo
	v_cmp_lt_u32_e32 vcc_lo, v51, v30
	s_waitcnt lgkmcnt(0)
	s_delay_alu instid0(VALU_DEP_2) | instskip(NEXT) | instid1(VALU_DEP_1)
	v_dual_cndmask_b32 v32, 0, v32 :: v_dual_lshlrev_b32 v35, 1, v35
	v_add_lshl_u32 v45, v35, v51, 2
	v_cmp_gt_u32_e32 vcc_lo, 28, v51
	s_delay_alu instid0(VALU_DEP_3) | instskip(SKIP_4) | instid1(VALU_DEP_1)
	v_add_nc_u32_e32 v32, v32, v33
	v_cndmask_b32_e64 v35, 0, 1, vcc_lo
	v_cmp_le_u32_e32 vcc_lo, v47, v30
	ds_bpermute_b32 v33, v45, v32
	v_lshlrev_b32_e32 v35, 2, v35
	v_add_lshl_u32 v54, v35, v51, 2
	s_waitcnt lgkmcnt(0)
	v_cndmask_b32_e32 v33, 0, v33, vcc_lo
	v_cmp_gt_u32_e32 vcc_lo, 24, v51
	s_delay_alu instid0(VALU_DEP_2) | instskip(SKIP_4) | instid1(VALU_DEP_1)
	v_add_nc_u32_e32 v32, v32, v33
	v_cndmask_b32_e64 v35, 0, 1, vcc_lo
	v_cmp_le_u32_e32 vcc_lo, v55, v30
	ds_bpermute_b32 v33, v54, v32
	v_lshlrev_b32_e32 v35, 3, v35
	v_add_lshl_u32 v56, v35, v51, 2
	s_waitcnt lgkmcnt(0)
	v_cndmask_b32_e32 v33, 0, v33, vcc_lo
	v_cmp_gt_u32_e32 vcc_lo, 16, v51
	s_delay_alu instid0(VALU_DEP_2) | instskip(SKIP_4) | instid1(VALU_DEP_1)
	v_add_nc_u32_e32 v32, v32, v33
	v_cndmask_b32_e64 v35, 0, 1, vcc_lo
	v_cmp_le_u32_e32 vcc_lo, v57, v30
	ds_bpermute_b32 v33, v56, v32
	v_lshlrev_b32_e32 v35, 4, v35
	v_add_lshl_u32 v58, v35, v51, 2
	s_waitcnt lgkmcnt(0)
	v_cndmask_b32_e32 v33, 0, v33, vcc_lo
	v_cmp_le_u32_e32 vcc_lo, v59, v30
	s_delay_alu instid0(VALU_DEP_2) | instskip(SKIP_3) | instid1(VALU_DEP_1)
	v_add_nc_u32_e32 v32, v32, v33
	ds_bpermute_b32 v33, v58, v32
	s_waitcnt lgkmcnt(0)
	v_cndmask_b32_e32 v30, 0, v33, vcc_lo
	v_dual_mov_b32 v32, 0 :: v_dual_add_nc_u32 v33, v32, v30
	s_branch .LBB1059_85
.LBB1059_84:                            ;   in Loop: Header=BB1059_85 Depth=1
	s_or_b32 exec_lo, exec_lo, s9
	ds_bpermute_b32 v36, v41, v33
	v_and_b32_e32 v35, 0xff, v34
	v_subrev_nc_u32_e32 v31, 32, v31
	s_delay_alu instid0(VALU_DEP_2) | instskip(SKIP_1) | instid1(VALU_DEP_1)
	v_cmp_eq_u16_e32 vcc_lo, 2, v35
	v_and_or_b32 v35, vcc_lo, v43, 0x80000000
	v_ctz_i32_b32_e32 v35, v35
	s_delay_alu instid0(VALU_DEP_1) | instskip(SKIP_3) | instid1(VALU_DEP_2)
	v_cmp_lt_u32_e32 vcc_lo, v51, v35
	s_waitcnt lgkmcnt(0)
	v_cndmask_b32_e32 v36, 0, v36, vcc_lo
	v_cmp_le_u32_e32 vcc_lo, v47, v35
	v_add_nc_u32_e32 v33, v36, v33
	ds_bpermute_b32 v36, v45, v33
	s_waitcnt lgkmcnt(0)
	v_cndmask_b32_e32 v36, 0, v36, vcc_lo
	v_cmp_le_u32_e32 vcc_lo, v55, v35
	s_delay_alu instid0(VALU_DEP_2) | instskip(SKIP_4) | instid1(VALU_DEP_2)
	v_add_nc_u32_e32 v33, v33, v36
	ds_bpermute_b32 v36, v54, v33
	s_waitcnt lgkmcnt(0)
	v_cndmask_b32_e32 v36, 0, v36, vcc_lo
	v_cmp_le_u32_e32 vcc_lo, v57, v35
	v_add_nc_u32_e32 v33, v33, v36
	ds_bpermute_b32 v36, v56, v33
	s_waitcnt lgkmcnt(0)
	v_cndmask_b32_e32 v36, 0, v36, vcc_lo
	v_cmp_le_u32_e32 vcc_lo, v59, v35
	s_delay_alu instid0(VALU_DEP_2) | instskip(SKIP_3) | instid1(VALU_DEP_1)
	v_add_nc_u32_e32 v33, v33, v36
	ds_bpermute_b32 v36, v58, v33
	s_waitcnt lgkmcnt(0)
	v_cndmask_b32_e32 v35, 0, v36, vcc_lo
	v_add3_u32 v33, v35, v30, v33
.LBB1059_85:                            ; =>This Loop Header: Depth=1
                                        ;     Child Loop BB1059_88 Depth 2
                                        ;       Child Loop BB1059_89 Depth 3
	v_and_b32_e32 v30, 0xff, v34
	s_delay_alu instid0(VALU_DEP_1) | instskip(SKIP_2) | instid1(VALU_DEP_1)
	v_cmp_ne_u16_e32 vcc_lo, 2, v30
	v_cndmask_b32_e64 v30, 0, 1, vcc_lo
	;;#ASMSTART
	;;#ASMEND
	v_cmp_ne_u32_e32 vcc_lo, 0, v30
	v_mov_b32_e32 v30, v33
	s_cmp_lg_u32 vcc_lo, exec_lo
	s_cbranch_scc1 .LBB1059_92
; %bb.86:                               ;   in Loop: Header=BB1059_85 Depth=1
	v_lshlrev_b64 v[33:34], 3, v[31:32]
	s_mov_b32 s9, exec_lo
	s_delay_alu instid0(VALU_DEP_1) | instskip(NEXT) | instid1(VALU_DEP_2)
	v_add_co_u32 v35, vcc_lo, s16, v33
	v_add_co_ci_u32_e32 v36, vcc_lo, s17, v34, vcc_lo
	global_load_b64 v[33:34], v[35:36], off glc
	s_waitcnt vmcnt(0)
	v_and_b32_e32 v60, 0xff, v34
	s_delay_alu instid0(VALU_DEP_1)
	v_cmpx_eq_u16_e32 0, v60
	s_cbranch_execz .LBB1059_84
; %bb.87:                               ;   in Loop: Header=BB1059_85 Depth=1
	s_mov_b32 s19, 1
	s_mov_b32 s18, 0
	.p2align	6
.LBB1059_88:                            ;   Parent Loop BB1059_85 Depth=1
                                        ; =>  This Loop Header: Depth=2
                                        ;       Child Loop BB1059_89 Depth 3
	s_max_u32 s21, s19, 1
.LBB1059_89:                            ;   Parent Loop BB1059_85 Depth=1
                                        ;     Parent Loop BB1059_88 Depth=2
                                        ; =>    This Inner Loop Header: Depth=3
	s_delay_alu instid0(SALU_CYCLE_1)
	s_add_i32 s21, s21, -1
	s_sleep 1
	s_cmp_eq_u32 s21, 0
	s_cbranch_scc0 .LBB1059_89
; %bb.90:                               ;   in Loop: Header=BB1059_88 Depth=2
	global_load_b64 v[33:34], v[35:36], off glc
	s_cmp_lt_u32 s19, 32
	s_cselect_b32 s21, -1, 0
	s_delay_alu instid0(SALU_CYCLE_1) | instskip(SKIP_3) | instid1(VALU_DEP_1)
	s_cmp_lg_u32 s21, 0
	s_addc_u32 s19, s19, 0
	s_waitcnt vmcnt(0)
	v_and_b32_e32 v60, 0xff, v34
	v_cmp_ne_u16_e32 vcc_lo, 0, v60
	s_or_b32 s18, vcc_lo, s18
	s_delay_alu instid0(SALU_CYCLE_1)
	s_and_not1_b32 exec_lo, exec_lo, s18
	s_cbranch_execnz .LBB1059_88
; %bb.91:                               ;   in Loop: Header=BB1059_85 Depth=1
	s_or_b32 exec_lo, exec_lo, s18
	s_branch .LBB1059_84
.LBB1059_92:                            ;   in Loop: Header=BB1059_85 Depth=1
                                        ; implicit-def: $vgpr33
                                        ; implicit-def: $vgpr34
	s_cbranch_execz .LBB1059_85
; %bb.93:
	s_and_saveexec_b32 s9, s7
	s_cbranch_execz .LBB1059_95
; %bb.94:
	s_add_i32 s18, s20, 32
	s_mov_b32 s19, 0
	v_dual_mov_b32 v32, 2 :: v_dual_add_nc_u32 v31, v30, v29
	s_lshl_b64 s[18:19], s[18:19], 3
	v_mov_b32_e32 v33, 0
	s_add_u32 s18, s16, s18
	s_addc_u32 s19, s17, s19
	global_store_b64 v33, v[31:32], s[18:19]
	ds_store_b64 v33, v[29:30] offset:33792
.LBB1059_95:
	s_or_b32 exec_lo, exec_lo, s9
	s_delay_alu instid0(SALU_CYCLE_1)
	s_and_b32 exec_lo, exec_lo, s2
	s_cbranch_execz .LBB1059_97
; %bb.96:
	v_mov_b32_e32 v29, 0
	ds_store_b32 v29, v30 offset:60
.LBB1059_97:
	s_or_b32 exec_lo, exec_lo, s8
	v_mov_b32_e32 v29, 0
	s_waitcnt lgkmcnt(0)
	s_waitcnt_vscnt null, 0x0
	s_barrier
	buffer_gl0_inv
	v_cndmask_b32_e64 v31, v39, v37, s7
	ds_load_b32 v30, v29 offset:60
	s_waitcnt lgkmcnt(0)
	s_barrier
	buffer_gl0_inv
	v_cndmask_b32_e64 v31, v31, 0, s2
	s_delay_alu instid0(VALU_DEP_1) | instskip(SKIP_2) | instid1(VALU_DEP_1)
	v_add_nc_u32_e32 v47, v30, v31
	ds_load_b64 v[29:30], v29 offset:33792
	v_add_nc_u32_e32 v45, v47, v38
	v_add_nc_u32_e32 v43, v45, v40
	s_delay_alu instid0(VALU_DEP_1) | instskip(NEXT) | instid1(VALU_DEP_1)
	v_add_nc_u32_e32 v41, v43, v42
	v_add_nc_u32_e32 v39, v41, v44
	s_delay_alu instid0(VALU_DEP_1) | instskip(NEXT) | instid1(VALU_DEP_1)
	v_add_nc_u32_e32 v37, v39, v46
	v_add_nc_u32_e32 v35, v37, v48
	s_delay_alu instid0(VALU_DEP_1)
	v_add_nc_u32_e32 v33, v35, v50
	v_lshrrev_b64 v[31:32], 24, v[27:28]
	s_branch .LBB1059_108
.LBB1059_98:
                                        ; implicit-def: $vgpr33
                                        ; implicit-def: $vgpr35
                                        ; implicit-def: $vgpr37
                                        ; implicit-def: $vgpr39
                                        ; implicit-def: $vgpr41
                                        ; implicit-def: $vgpr43
                                        ; implicit-def: $vgpr45
                                        ; implicit-def: $vgpr47
                                        ; implicit-def: $vgpr30
	v_lshrrev_b64 v[31:32], 24, v[27:28]
	s_and_b32 vcc_lo, exec_lo, s7
	s_cbranch_vccz .LBB1059_108
; %bb.99:
	s_waitcnt lgkmcnt(0)
	v_mov_b32_dpp v29, v53 row_shr:1 row_mask:0xf bank_mask:0xf
	s_delay_alu instid0(VALU_DEP_1) | instskip(NEXT) | instid1(VALU_DEP_1)
	v_cndmask_b32_e64 v29, v29, 0, s3
	v_add_nc_u32_e32 v29, v29, v53
	s_delay_alu instid0(VALU_DEP_1) | instskip(NEXT) | instid1(VALU_DEP_1)
	v_mov_b32_dpp v30, v29 row_shr:2 row_mask:0xf bank_mask:0xf
	v_cndmask_b32_e64 v30, 0, v30, s0
	s_delay_alu instid0(VALU_DEP_1) | instskip(NEXT) | instid1(VALU_DEP_1)
	v_add_nc_u32_e32 v29, v29, v30
	v_mov_b32_dpp v30, v29 row_shr:4 row_mask:0xf bank_mask:0xf
	s_delay_alu instid0(VALU_DEP_1) | instskip(NEXT) | instid1(VALU_DEP_1)
	v_cndmask_b32_e64 v30, 0, v30, s4
	v_add_nc_u32_e32 v29, v29, v30
	s_delay_alu instid0(VALU_DEP_1) | instskip(NEXT) | instid1(VALU_DEP_1)
	v_mov_b32_dpp v30, v29 row_shr:8 row_mask:0xf bank_mask:0xf
	v_cndmask_b32_e64 v30, 0, v30, s1
	s_delay_alu instid0(VALU_DEP_1) | instskip(SKIP_3) | instid1(VALU_DEP_1)
	v_add_nc_u32_e32 v29, v29, v30
	ds_swizzle_b32 v30, v29 offset:swizzle(BROADCAST,32,15)
	s_waitcnt lgkmcnt(0)
	v_cndmask_b32_e64 v30, v30, 0, s6
	v_add_nc_u32_e32 v29, v29, v30
	s_and_saveexec_b32 s6, s5
	s_cbranch_execz .LBB1059_101
; %bb.100:
	v_lshlrev_b32_e32 v30, 2, v52
	ds_store_b32 v30, v29
.LBB1059_101:
	s_or_b32 exec_lo, exec_lo, s6
	s_delay_alu instid0(SALU_CYCLE_1)
	s_mov_b32 s5, exec_lo
	s_waitcnt lgkmcnt(0)
	s_barrier
	buffer_gl0_inv
	v_cmpx_gt_u32_e32 16, v0
	s_cbranch_execz .LBB1059_103
; %bb.102:
	v_lshlrev_b32_e32 v30, 2, v0
	ds_load_b32 v32, v30
	s_waitcnt lgkmcnt(0)
	v_mov_b32_dpp v33, v32 row_shr:1 row_mask:0xf bank_mask:0xf
	s_delay_alu instid0(VALU_DEP_1) | instskip(NEXT) | instid1(VALU_DEP_1)
	v_cndmask_b32_e64 v33, v33, 0, s3
	v_add_nc_u32_e32 v32, v33, v32
	s_delay_alu instid0(VALU_DEP_1) | instskip(NEXT) | instid1(VALU_DEP_1)
	v_mov_b32_dpp v33, v32 row_shr:2 row_mask:0xf bank_mask:0xf
	v_cndmask_b32_e64 v33, 0, v33, s0
	s_delay_alu instid0(VALU_DEP_1) | instskip(NEXT) | instid1(VALU_DEP_1)
	v_add_nc_u32_e32 v32, v32, v33
	v_mov_b32_dpp v33, v32 row_shr:4 row_mask:0xf bank_mask:0xf
	s_delay_alu instid0(VALU_DEP_1) | instskip(NEXT) | instid1(VALU_DEP_1)
	v_cndmask_b32_e64 v33, 0, v33, s4
	v_add_nc_u32_e32 v32, v32, v33
	s_delay_alu instid0(VALU_DEP_1) | instskip(NEXT) | instid1(VALU_DEP_1)
	v_mov_b32_dpp v33, v32 row_shr:8 row_mask:0xf bank_mask:0xf
	v_cndmask_b32_e64 v33, 0, v33, s1
	s_delay_alu instid0(VALU_DEP_1)
	v_add_nc_u32_e32 v32, v32, v33
	ds_store_b32 v30, v32
.LBB1059_103:
	s_or_b32 exec_lo, exec_lo, s5
	v_mov_b32_e32 v30, 0
	v_mov_b32_e32 v32, 0
	s_mov_b32 s0, exec_lo
	s_waitcnt lgkmcnt(0)
	s_barrier
	buffer_gl0_inv
	v_cmpx_lt_u32_e32 31, v0
	s_cbranch_execz .LBB1059_105
; %bb.104:
	v_lshl_add_u32 v32, v52, 2, -4
	ds_load_b32 v32, v32
.LBB1059_105:
	s_or_b32 exec_lo, exec_lo, s0
	v_add_nc_u32_e32 v33, -1, v51
	s_waitcnt lgkmcnt(0)
	v_add_nc_u32_e32 v29, v32, v29
	s_delay_alu instid0(VALU_DEP_2) | instskip(SKIP_1) | instid1(VALU_DEP_1)
	v_cmp_gt_i32_e32 vcc_lo, 0, v33
	v_cndmask_b32_e32 v33, v33, v51, vcc_lo
	v_lshlrev_b32_e32 v33, 2, v33
	ds_bpermute_b32 v33, v33, v29
	ds_load_b32 v29, v30 offset:60
	s_and_saveexec_b32 s0, s2
	s_cbranch_execz .LBB1059_107
; %bb.106:
	v_mov_b32_e32 v34, 0
	v_mov_b32_e32 v30, 2
	s_waitcnt lgkmcnt(0)
	global_store_b64 v34, v[29:30], s[16:17] offset:256
.LBB1059_107:
	s_or_b32 exec_lo, exec_lo, s0
	v_cmp_eq_u32_e32 vcc_lo, 0, v51
	s_waitcnt lgkmcnt(0)
	s_waitcnt_vscnt null, 0x0
	s_barrier
	buffer_gl0_inv
	v_cndmask_b32_e32 v30, v33, v32, vcc_lo
	s_delay_alu instid0(VALU_DEP_1) | instskip(NEXT) | instid1(VALU_DEP_1)
	v_cndmask_b32_e64 v47, v30, 0, s2
	v_dual_mov_b32 v30, 0 :: v_dual_add_nc_u32 v45, v47, v38
	s_delay_alu instid0(VALU_DEP_1) | instskip(NEXT) | instid1(VALU_DEP_1)
	v_add_nc_u32_e32 v43, v45, v40
	v_add_nc_u32_e32 v41, v43, v42
	s_delay_alu instid0(VALU_DEP_1) | instskip(NEXT) | instid1(VALU_DEP_1)
	v_add_nc_u32_e32 v39, v41, v44
	v_add_nc_u32_e32 v37, v39, v46
	;; [unrolled: 3-line block ×3, first 2 shown]
.LBB1059_108:
	v_lshrrev_b32_e32 v52, 8, v27
	v_lshrrev_b32_e32 v51, 16, v27
	v_and_b32_e32 v27, 1, v27
	s_waitcnt lgkmcnt(0)
	v_cmp_gt_u32_e64 s0, 0x201, v29
	v_lshrrev_b32_e32 v50, 8, v28
	v_lshrrev_b32_e32 v32, 16, v28
	v_cmp_eq_u32_e64 s1, 1, v27
	s_delay_alu instid0(VALU_DEP_4)
	s_and_b32 vcc_lo, exec_lo, s0
	s_cbranch_vccnz .LBB1059_126
; %bb.109:
	s_delay_alu instid0(VALU_DEP_1)
	s_and_saveexec_b32 s3, s1
	s_cbranch_execz .LBB1059_111
; %bb.110:
	v_sub_nc_u32_e32 v34, v47, v30
	s_delay_alu instid0(VALU_DEP_1)
	v_lshlrev_b32_e32 v34, 3, v34
	ds_store_b64 v34, v[13:14]
.LBB1059_111:
	s_or_b32 exec_lo, exec_lo, s3
	v_and_b32_e32 v13, 1, v52
	s_mov_b32 s1, exec_lo
	s_delay_alu instid0(VALU_DEP_1)
	v_cmpx_eq_u32_e32 1, v13
	s_cbranch_execz .LBB1059_113
; %bb.112:
	v_sub_nc_u32_e32 v13, v45, v30
	s_delay_alu instid0(VALU_DEP_1)
	v_lshlrev_b32_e32 v13, 3, v13
	ds_store_b64 v13, v[15:16]
.LBB1059_113:
	s_or_b32 exec_lo, exec_lo, s1
	v_and_b32_e32 v13, 1, v51
	s_mov_b32 s1, exec_lo
	s_delay_alu instid0(VALU_DEP_1)
	v_cmpx_eq_u32_e32 1, v13
	;; [unrolled: 12-line block ×7, first 2 shown]
	s_cbranch_execz .LBB1059_125
; %bb.124:
	v_sub_nc_u32_e32 v1, v33, v30
	s_delay_alu instid0(VALU_DEP_1)
	v_lshlrev_b32_e32 v1, 3, v1
	ds_store_b64 v1, v[3:4]
.LBB1059_125:
	s_or_b32 exec_lo, exec_lo, s1
	s_waitcnt lgkmcnt(0)
	s_barrier
	buffer_gl0_inv
.LBB1059_126:
	s_and_b32 vcc_lo, exec_lo, s0
	s_mov_b32 s0, -1
	s_barrier
	buffer_gl0_inv
	s_cbranch_vccz .LBB1059_154
; %bb.127:
	v_lshlrev_b64 v[1:2], 2, v[17:18]
	v_add_nc_u32_e32 v3, v30, v29
	s_delay_alu instid0(VALU_DEP_1) | instskip(NEXT) | instid1(VALU_DEP_3)
	v_cmp_lt_u32_e32 vcc_lo, v47, v3
	v_add_co_u32 v1, s0, s10, v1
	s_delay_alu instid0(VALU_DEP_1) | instskip(SKIP_1) | instid1(SALU_CYCLE_1)
	v_add_co_ci_u32_e64 v2, s0, s11, v2, s0
	s_or_b32 s1, s15, vcc_lo
	s_and_saveexec_b32 s0, s1
	s_cbranch_execz .LBB1059_130
; %bb.128:
	v_cmp_eq_u32_e32 vcc_lo, 1, v27
	s_and_b32 exec_lo, exec_lo, vcc_lo
	s_cbranch_execz .LBB1059_130
; %bb.129:
	v_mov_b32_e32 v48, 0
	s_delay_alu instid0(VALU_DEP_1) | instskip(NEXT) | instid1(VALU_DEP_1)
	v_lshlrev_b64 v[4:5], 2, v[47:48]
	v_add_co_u32 v4, vcc_lo, v1, v4
	s_delay_alu instid0(VALU_DEP_2)
	v_add_co_ci_u32_e32 v5, vcc_lo, v2, v5, vcc_lo
	global_store_b32 v[4:5], v25, off
.LBB1059_130:
	s_or_b32 exec_lo, exec_lo, s0
	v_cmp_lt_u32_e32 vcc_lo, v45, v3
	s_or_b32 s1, s15, vcc_lo
	s_delay_alu instid0(SALU_CYCLE_1)
	s_and_saveexec_b32 s0, s1
	s_cbranch_execz .LBB1059_133
; %bb.131:
	v_and_b32_e32 v4, 1, v52
	s_delay_alu instid0(VALU_DEP_1)
	v_cmp_eq_u32_e32 vcc_lo, 1, v4
	s_and_b32 exec_lo, exec_lo, vcc_lo
	s_cbranch_execz .LBB1059_133
; %bb.132:
	v_mov_b32_e32 v46, 0
	s_delay_alu instid0(VALU_DEP_1) | instskip(NEXT) | instid1(VALU_DEP_1)
	v_lshlrev_b64 v[4:5], 2, v[45:46]
	v_add_co_u32 v4, vcc_lo, v1, v4
	s_delay_alu instid0(VALU_DEP_2)
	v_add_co_ci_u32_e32 v5, vcc_lo, v2, v5, vcc_lo
	global_store_b32 v[4:5], v26, off
.LBB1059_133:
	s_or_b32 exec_lo, exec_lo, s0
	v_cmp_lt_u32_e32 vcc_lo, v43, v3
	s_or_b32 s1, s15, vcc_lo
	s_delay_alu instid0(SALU_CYCLE_1)
	s_and_saveexec_b32 s0, s1
	s_cbranch_execz .LBB1059_136
; %bb.134:
	v_and_b32_e32 v4, 1, v51
	s_delay_alu instid0(VALU_DEP_1)
	v_cmp_eq_u32_e32 vcc_lo, 1, v4
	s_and_b32 exec_lo, exec_lo, vcc_lo
	s_cbranch_execz .LBB1059_136
; %bb.135:
	v_mov_b32_e32 v44, 0
	s_delay_alu instid0(VALU_DEP_1) | instskip(NEXT) | instid1(VALU_DEP_1)
	v_lshlrev_b64 v[4:5], 2, v[43:44]
	v_add_co_u32 v4, vcc_lo, v1, v4
	s_delay_alu instid0(VALU_DEP_2)
	v_add_co_ci_u32_e32 v5, vcc_lo, v2, v5, vcc_lo
	global_store_b32 v[4:5], v23, off
.LBB1059_136:
	;; [unrolled: 21-line block ×7, first 2 shown]
	s_or_b32 exec_lo, exec_lo, s0
.LBB1059_152:
	s_and_b32 s0, s2, s14
	s_delay_alu instid0(SALU_CYCLE_1)
	s_and_saveexec_b32 s1, s0
	s_cbranch_execz .LBB1059_175
.LBB1059_153:
	v_add_co_u32 v0, vcc_lo, v17, v29
	v_add_co_ci_u32_e32 v1, vcc_lo, 0, v18, vcc_lo
	v_mov_b32_e32 v2, 0
	s_delay_alu instid0(VALU_DEP_3) | instskip(NEXT) | instid1(VALU_DEP_3)
	v_add_co_u32 v0, vcc_lo, v0, v30
	v_add_co_ci_u32_e32 v1, vcc_lo, 0, v1, vcc_lo
	global_store_b64 v2, v[0:1], s[12:13]
	s_nop 0
	s_sendmsg sendmsg(MSG_DEALLOC_VGPRS)
	s_endpgm
.LBB1059_154:
	s_and_b32 vcc_lo, exec_lo, s0
	s_cbranch_vccz .LBB1059_152
; %bb.155:
	s_mov_b32 s0, exec_lo
	v_cmpx_eq_u32_e32 1, v27
	s_cbranch_execz .LBB1059_157
; %bb.156:
	v_sub_nc_u32_e32 v1, v47, v30
	s_delay_alu instid0(VALU_DEP_1)
	v_lshlrev_b32_e32 v1, 2, v1
	ds_store_b32 v1, v25
.LBB1059_157:
	s_or_b32 exec_lo, exec_lo, s0
	v_and_b32_e32 v1, 1, v52
	s_mov_b32 s0, exec_lo
	s_delay_alu instid0(VALU_DEP_1)
	v_cmpx_eq_u32_e32 1, v1
	s_cbranch_execz .LBB1059_159
; %bb.158:
	v_sub_nc_u32_e32 v1, v45, v30
	s_delay_alu instid0(VALU_DEP_1)
	v_lshlrev_b32_e32 v1, 2, v1
	ds_store_b32 v1, v26
.LBB1059_159:
	s_or_b32 exec_lo, exec_lo, s0
	v_and_b32_e32 v1, 1, v51
	s_mov_b32 s0, exec_lo
	s_delay_alu instid0(VALU_DEP_1)
	;; [unrolled: 12-line block ×7, first 2 shown]
	v_cmpx_eq_u32_e32 1, v1
	s_cbranch_execz .LBB1059_171
; %bb.170:
	v_sub_nc_u32_e32 v1, v33, v30
	s_delay_alu instid0(VALU_DEP_1)
	v_lshlrev_b32_e32 v1, 2, v1
	ds_store_b32 v1, v20
.LBB1059_171:
	s_or_b32 exec_lo, exec_lo, s0
	s_delay_alu instid0(SALU_CYCLE_1)
	s_mov_b32 s1, exec_lo
	s_waitcnt lgkmcnt(0)
	s_waitcnt_vscnt null, 0x0
	s_barrier
	buffer_gl0_inv
	v_cmpx_lt_u32_e64 v0, v29
	s_cbranch_execz .LBB1059_174
; %bb.172:
	v_dual_mov_b32 v2, 0 :: v_dual_mov_b32 v1, v30
	v_lshlrev_b64 v[3:4], 2, v[17:18]
	s_mov_b32 s3, 0
	s_delay_alu instid0(VALU_DEP_2) | instskip(NEXT) | instid1(VALU_DEP_1)
	v_lshlrev_b64 v[1:2], 2, v[1:2]
	v_add_co_u32 v1, vcc_lo, v3, v1
	s_delay_alu instid0(VALU_DEP_2) | instskip(SKIP_1) | instid1(VALU_DEP_3)
	v_add_co_ci_u32_e32 v2, vcc_lo, v4, v2, vcc_lo
	v_lshlrev_b32_e32 v3, 2, v0
	v_add_co_u32 v1, vcc_lo, s10, v1
	s_delay_alu instid0(VALU_DEP_3) | instskip(NEXT) | instid1(VALU_DEP_2)
	v_add_co_ci_u32_e32 v2, vcc_lo, s11, v2, vcc_lo
	v_add_co_u32 v1, vcc_lo, v1, v3
	s_delay_alu instid0(VALU_DEP_2)
	v_add_co_ci_u32_e32 v2, vcc_lo, 0, v2, vcc_lo
	.p2align	6
.LBB1059_173:                           ; =>This Inner Loop Header: Depth=1
	ds_load_b32 v4, v3
	v_add_nc_u32_e32 v0, 0x200, v0
	v_add_nc_u32_e32 v3, 0x800, v3
	s_delay_alu instid0(VALU_DEP_2) | instskip(SKIP_4) | instid1(VALU_DEP_1)
	v_cmp_ge_u32_e32 vcc_lo, v0, v29
	s_or_b32 s3, vcc_lo, s3
	s_waitcnt lgkmcnt(0)
	global_store_b32 v[1:2], v4, off
	v_add_co_u32 v1, s0, 0x800, v1
	v_add_co_ci_u32_e64 v2, s0, 0, v2, s0
	s_and_not1_b32 exec_lo, exec_lo, s3
	s_cbranch_execnz .LBB1059_173
.LBB1059_174:
	s_or_b32 exec_lo, exec_lo, s1
	s_and_b32 s0, s2, s14
	s_delay_alu instid0(SALU_CYCLE_1)
	s_and_saveexec_b32 s1, s0
	s_cbranch_execnz .LBB1059_153
.LBB1059_175:
	s_nop 0
	s_sendmsg sendmsg(MSG_DEALLOC_VGPRS)
	s_endpgm
	.section	.rodata,"a",@progbits
	.p2align	6, 0x0
	.amdhsa_kernel _ZN7rocprim17ROCPRIM_400000_NS6detail17trampoline_kernelINS0_14default_configENS1_25partition_config_selectorILNS1_17partition_subalgoE9ExjbEEZZNS1_14partition_implILS5_9ELb0ES3_jN6thrust23THRUST_200600_302600_NS6detail15normal_iteratorINS9_10device_ptrIxEEEENSB_INSC_IjEEEEPNS0_10empty_typeENS0_5tupleIJNS9_16discard_iteratorINS9_11use_defaultEEESH_EEENSJ_IJSG_SI_EEENS0_18inequality_wrapperINS9_8equal_toIxEEEEPmJSH_EEE10hipError_tPvRmT3_T4_T5_T6_T7_T9_mT8_P12ihipStream_tbDpT10_ENKUlT_T0_E_clISt17integral_constantIbLb1EES1D_EEDaS18_S19_EUlS18_E_NS1_11comp_targetILNS1_3genE9ELNS1_11target_archE1100ELNS1_3gpuE3ELNS1_3repE0EEENS1_30default_config_static_selectorELNS0_4arch9wavefront6targetE0EEEvT1_
		.amdhsa_group_segment_fixed_size 33800
		.amdhsa_private_segment_fixed_size 0
		.amdhsa_kernarg_size 136
		.amdhsa_user_sgpr_count 15
		.amdhsa_user_sgpr_dispatch_ptr 0
		.amdhsa_user_sgpr_queue_ptr 0
		.amdhsa_user_sgpr_kernarg_segment_ptr 1
		.amdhsa_user_sgpr_dispatch_id 0
		.amdhsa_user_sgpr_private_segment_size 0
		.amdhsa_wavefront_size32 1
		.amdhsa_uses_dynamic_stack 0
		.amdhsa_enable_private_segment 0
		.amdhsa_system_sgpr_workgroup_id_x 1
		.amdhsa_system_sgpr_workgroup_id_y 0
		.amdhsa_system_sgpr_workgroup_id_z 0
		.amdhsa_system_sgpr_workgroup_info 0
		.amdhsa_system_vgpr_workitem_id 0
		.amdhsa_next_free_vgpr 61
		.amdhsa_next_free_sgpr 26
		.amdhsa_reserve_vcc 1
		.amdhsa_float_round_mode_32 0
		.amdhsa_float_round_mode_16_64 0
		.amdhsa_float_denorm_mode_32 3
		.amdhsa_float_denorm_mode_16_64 3
		.amdhsa_dx10_clamp 1
		.amdhsa_ieee_mode 1
		.amdhsa_fp16_overflow 0
		.amdhsa_workgroup_processor_mode 1
		.amdhsa_memory_ordered 1
		.amdhsa_forward_progress 0
		.amdhsa_shared_vgpr_count 0
		.amdhsa_exception_fp_ieee_invalid_op 0
		.amdhsa_exception_fp_denorm_src 0
		.amdhsa_exception_fp_ieee_div_zero 0
		.amdhsa_exception_fp_ieee_overflow 0
		.amdhsa_exception_fp_ieee_underflow 0
		.amdhsa_exception_fp_ieee_inexact 0
		.amdhsa_exception_int_div_zero 0
	.end_amdhsa_kernel
	.section	.text._ZN7rocprim17ROCPRIM_400000_NS6detail17trampoline_kernelINS0_14default_configENS1_25partition_config_selectorILNS1_17partition_subalgoE9ExjbEEZZNS1_14partition_implILS5_9ELb0ES3_jN6thrust23THRUST_200600_302600_NS6detail15normal_iteratorINS9_10device_ptrIxEEEENSB_INSC_IjEEEEPNS0_10empty_typeENS0_5tupleIJNS9_16discard_iteratorINS9_11use_defaultEEESH_EEENSJ_IJSG_SI_EEENS0_18inequality_wrapperINS9_8equal_toIxEEEEPmJSH_EEE10hipError_tPvRmT3_T4_T5_T6_T7_T9_mT8_P12ihipStream_tbDpT10_ENKUlT_T0_E_clISt17integral_constantIbLb1EES1D_EEDaS18_S19_EUlS18_E_NS1_11comp_targetILNS1_3genE9ELNS1_11target_archE1100ELNS1_3gpuE3ELNS1_3repE0EEENS1_30default_config_static_selectorELNS0_4arch9wavefront6targetE0EEEvT1_,"axG",@progbits,_ZN7rocprim17ROCPRIM_400000_NS6detail17trampoline_kernelINS0_14default_configENS1_25partition_config_selectorILNS1_17partition_subalgoE9ExjbEEZZNS1_14partition_implILS5_9ELb0ES3_jN6thrust23THRUST_200600_302600_NS6detail15normal_iteratorINS9_10device_ptrIxEEEENSB_INSC_IjEEEEPNS0_10empty_typeENS0_5tupleIJNS9_16discard_iteratorINS9_11use_defaultEEESH_EEENSJ_IJSG_SI_EEENS0_18inequality_wrapperINS9_8equal_toIxEEEEPmJSH_EEE10hipError_tPvRmT3_T4_T5_T6_T7_T9_mT8_P12ihipStream_tbDpT10_ENKUlT_T0_E_clISt17integral_constantIbLb1EES1D_EEDaS18_S19_EUlS18_E_NS1_11comp_targetILNS1_3genE9ELNS1_11target_archE1100ELNS1_3gpuE3ELNS1_3repE0EEENS1_30default_config_static_selectorELNS0_4arch9wavefront6targetE0EEEvT1_,comdat
.Lfunc_end1059:
	.size	_ZN7rocprim17ROCPRIM_400000_NS6detail17trampoline_kernelINS0_14default_configENS1_25partition_config_selectorILNS1_17partition_subalgoE9ExjbEEZZNS1_14partition_implILS5_9ELb0ES3_jN6thrust23THRUST_200600_302600_NS6detail15normal_iteratorINS9_10device_ptrIxEEEENSB_INSC_IjEEEEPNS0_10empty_typeENS0_5tupleIJNS9_16discard_iteratorINS9_11use_defaultEEESH_EEENSJ_IJSG_SI_EEENS0_18inequality_wrapperINS9_8equal_toIxEEEEPmJSH_EEE10hipError_tPvRmT3_T4_T5_T6_T7_T9_mT8_P12ihipStream_tbDpT10_ENKUlT_T0_E_clISt17integral_constantIbLb1EES1D_EEDaS18_S19_EUlS18_E_NS1_11comp_targetILNS1_3genE9ELNS1_11target_archE1100ELNS1_3gpuE3ELNS1_3repE0EEENS1_30default_config_static_selectorELNS0_4arch9wavefront6targetE0EEEvT1_, .Lfunc_end1059-_ZN7rocprim17ROCPRIM_400000_NS6detail17trampoline_kernelINS0_14default_configENS1_25partition_config_selectorILNS1_17partition_subalgoE9ExjbEEZZNS1_14partition_implILS5_9ELb0ES3_jN6thrust23THRUST_200600_302600_NS6detail15normal_iteratorINS9_10device_ptrIxEEEENSB_INSC_IjEEEEPNS0_10empty_typeENS0_5tupleIJNS9_16discard_iteratorINS9_11use_defaultEEESH_EEENSJ_IJSG_SI_EEENS0_18inequality_wrapperINS9_8equal_toIxEEEEPmJSH_EEE10hipError_tPvRmT3_T4_T5_T6_T7_T9_mT8_P12ihipStream_tbDpT10_ENKUlT_T0_E_clISt17integral_constantIbLb1EES1D_EEDaS18_S19_EUlS18_E_NS1_11comp_targetILNS1_3genE9ELNS1_11target_archE1100ELNS1_3gpuE3ELNS1_3repE0EEENS1_30default_config_static_selectorELNS0_4arch9wavefront6targetE0EEEvT1_
                                        ; -- End function
	.section	.AMDGPU.csdata,"",@progbits
; Kernel info:
; codeLenInByte = 8676
; NumSgprs: 28
; NumVgprs: 61
; ScratchSize: 0
; MemoryBound: 0
; FloatMode: 240
; IeeeMode: 1
; LDSByteSize: 33800 bytes/workgroup (compile time only)
; SGPRBlocks: 3
; VGPRBlocks: 7
; NumSGPRsForWavesPerEU: 28
; NumVGPRsForWavesPerEU: 61
; Occupancy: 12
; WaveLimiterHint : 1
; COMPUTE_PGM_RSRC2:SCRATCH_EN: 0
; COMPUTE_PGM_RSRC2:USER_SGPR: 15
; COMPUTE_PGM_RSRC2:TRAP_HANDLER: 0
; COMPUTE_PGM_RSRC2:TGID_X_EN: 1
; COMPUTE_PGM_RSRC2:TGID_Y_EN: 0
; COMPUTE_PGM_RSRC2:TGID_Z_EN: 0
; COMPUTE_PGM_RSRC2:TIDIG_COMP_CNT: 0
	.section	.text._ZN7rocprim17ROCPRIM_400000_NS6detail17trampoline_kernelINS0_14default_configENS1_25partition_config_selectorILNS1_17partition_subalgoE9ExjbEEZZNS1_14partition_implILS5_9ELb0ES3_jN6thrust23THRUST_200600_302600_NS6detail15normal_iteratorINS9_10device_ptrIxEEEENSB_INSC_IjEEEEPNS0_10empty_typeENS0_5tupleIJNS9_16discard_iteratorINS9_11use_defaultEEESH_EEENSJ_IJSG_SI_EEENS0_18inequality_wrapperINS9_8equal_toIxEEEEPmJSH_EEE10hipError_tPvRmT3_T4_T5_T6_T7_T9_mT8_P12ihipStream_tbDpT10_ENKUlT_T0_E_clISt17integral_constantIbLb1EES1D_EEDaS18_S19_EUlS18_E_NS1_11comp_targetILNS1_3genE8ELNS1_11target_archE1030ELNS1_3gpuE2ELNS1_3repE0EEENS1_30default_config_static_selectorELNS0_4arch9wavefront6targetE0EEEvT1_,"axG",@progbits,_ZN7rocprim17ROCPRIM_400000_NS6detail17trampoline_kernelINS0_14default_configENS1_25partition_config_selectorILNS1_17partition_subalgoE9ExjbEEZZNS1_14partition_implILS5_9ELb0ES3_jN6thrust23THRUST_200600_302600_NS6detail15normal_iteratorINS9_10device_ptrIxEEEENSB_INSC_IjEEEEPNS0_10empty_typeENS0_5tupleIJNS9_16discard_iteratorINS9_11use_defaultEEESH_EEENSJ_IJSG_SI_EEENS0_18inequality_wrapperINS9_8equal_toIxEEEEPmJSH_EEE10hipError_tPvRmT3_T4_T5_T6_T7_T9_mT8_P12ihipStream_tbDpT10_ENKUlT_T0_E_clISt17integral_constantIbLb1EES1D_EEDaS18_S19_EUlS18_E_NS1_11comp_targetILNS1_3genE8ELNS1_11target_archE1030ELNS1_3gpuE2ELNS1_3repE0EEENS1_30default_config_static_selectorELNS0_4arch9wavefront6targetE0EEEvT1_,comdat
	.protected	_ZN7rocprim17ROCPRIM_400000_NS6detail17trampoline_kernelINS0_14default_configENS1_25partition_config_selectorILNS1_17partition_subalgoE9ExjbEEZZNS1_14partition_implILS5_9ELb0ES3_jN6thrust23THRUST_200600_302600_NS6detail15normal_iteratorINS9_10device_ptrIxEEEENSB_INSC_IjEEEEPNS0_10empty_typeENS0_5tupleIJNS9_16discard_iteratorINS9_11use_defaultEEESH_EEENSJ_IJSG_SI_EEENS0_18inequality_wrapperINS9_8equal_toIxEEEEPmJSH_EEE10hipError_tPvRmT3_T4_T5_T6_T7_T9_mT8_P12ihipStream_tbDpT10_ENKUlT_T0_E_clISt17integral_constantIbLb1EES1D_EEDaS18_S19_EUlS18_E_NS1_11comp_targetILNS1_3genE8ELNS1_11target_archE1030ELNS1_3gpuE2ELNS1_3repE0EEENS1_30default_config_static_selectorELNS0_4arch9wavefront6targetE0EEEvT1_ ; -- Begin function _ZN7rocprim17ROCPRIM_400000_NS6detail17trampoline_kernelINS0_14default_configENS1_25partition_config_selectorILNS1_17partition_subalgoE9ExjbEEZZNS1_14partition_implILS5_9ELb0ES3_jN6thrust23THRUST_200600_302600_NS6detail15normal_iteratorINS9_10device_ptrIxEEEENSB_INSC_IjEEEEPNS0_10empty_typeENS0_5tupleIJNS9_16discard_iteratorINS9_11use_defaultEEESH_EEENSJ_IJSG_SI_EEENS0_18inequality_wrapperINS9_8equal_toIxEEEEPmJSH_EEE10hipError_tPvRmT3_T4_T5_T6_T7_T9_mT8_P12ihipStream_tbDpT10_ENKUlT_T0_E_clISt17integral_constantIbLb1EES1D_EEDaS18_S19_EUlS18_E_NS1_11comp_targetILNS1_3genE8ELNS1_11target_archE1030ELNS1_3gpuE2ELNS1_3repE0EEENS1_30default_config_static_selectorELNS0_4arch9wavefront6targetE0EEEvT1_
	.globl	_ZN7rocprim17ROCPRIM_400000_NS6detail17trampoline_kernelINS0_14default_configENS1_25partition_config_selectorILNS1_17partition_subalgoE9ExjbEEZZNS1_14partition_implILS5_9ELb0ES3_jN6thrust23THRUST_200600_302600_NS6detail15normal_iteratorINS9_10device_ptrIxEEEENSB_INSC_IjEEEEPNS0_10empty_typeENS0_5tupleIJNS9_16discard_iteratorINS9_11use_defaultEEESH_EEENSJ_IJSG_SI_EEENS0_18inequality_wrapperINS9_8equal_toIxEEEEPmJSH_EEE10hipError_tPvRmT3_T4_T5_T6_T7_T9_mT8_P12ihipStream_tbDpT10_ENKUlT_T0_E_clISt17integral_constantIbLb1EES1D_EEDaS18_S19_EUlS18_E_NS1_11comp_targetILNS1_3genE8ELNS1_11target_archE1030ELNS1_3gpuE2ELNS1_3repE0EEENS1_30default_config_static_selectorELNS0_4arch9wavefront6targetE0EEEvT1_
	.p2align	8
	.type	_ZN7rocprim17ROCPRIM_400000_NS6detail17trampoline_kernelINS0_14default_configENS1_25partition_config_selectorILNS1_17partition_subalgoE9ExjbEEZZNS1_14partition_implILS5_9ELb0ES3_jN6thrust23THRUST_200600_302600_NS6detail15normal_iteratorINS9_10device_ptrIxEEEENSB_INSC_IjEEEEPNS0_10empty_typeENS0_5tupleIJNS9_16discard_iteratorINS9_11use_defaultEEESH_EEENSJ_IJSG_SI_EEENS0_18inequality_wrapperINS9_8equal_toIxEEEEPmJSH_EEE10hipError_tPvRmT3_T4_T5_T6_T7_T9_mT8_P12ihipStream_tbDpT10_ENKUlT_T0_E_clISt17integral_constantIbLb1EES1D_EEDaS18_S19_EUlS18_E_NS1_11comp_targetILNS1_3genE8ELNS1_11target_archE1030ELNS1_3gpuE2ELNS1_3repE0EEENS1_30default_config_static_selectorELNS0_4arch9wavefront6targetE0EEEvT1_,@function
_ZN7rocprim17ROCPRIM_400000_NS6detail17trampoline_kernelINS0_14default_configENS1_25partition_config_selectorILNS1_17partition_subalgoE9ExjbEEZZNS1_14partition_implILS5_9ELb0ES3_jN6thrust23THRUST_200600_302600_NS6detail15normal_iteratorINS9_10device_ptrIxEEEENSB_INSC_IjEEEEPNS0_10empty_typeENS0_5tupleIJNS9_16discard_iteratorINS9_11use_defaultEEESH_EEENSJ_IJSG_SI_EEENS0_18inequality_wrapperINS9_8equal_toIxEEEEPmJSH_EEE10hipError_tPvRmT3_T4_T5_T6_T7_T9_mT8_P12ihipStream_tbDpT10_ENKUlT_T0_E_clISt17integral_constantIbLb1EES1D_EEDaS18_S19_EUlS18_E_NS1_11comp_targetILNS1_3genE8ELNS1_11target_archE1030ELNS1_3gpuE2ELNS1_3repE0EEENS1_30default_config_static_selectorELNS0_4arch9wavefront6targetE0EEEvT1_: ; @_ZN7rocprim17ROCPRIM_400000_NS6detail17trampoline_kernelINS0_14default_configENS1_25partition_config_selectorILNS1_17partition_subalgoE9ExjbEEZZNS1_14partition_implILS5_9ELb0ES3_jN6thrust23THRUST_200600_302600_NS6detail15normal_iteratorINS9_10device_ptrIxEEEENSB_INSC_IjEEEEPNS0_10empty_typeENS0_5tupleIJNS9_16discard_iteratorINS9_11use_defaultEEESH_EEENSJ_IJSG_SI_EEENS0_18inequality_wrapperINS9_8equal_toIxEEEEPmJSH_EEE10hipError_tPvRmT3_T4_T5_T6_T7_T9_mT8_P12ihipStream_tbDpT10_ENKUlT_T0_E_clISt17integral_constantIbLb1EES1D_EEDaS18_S19_EUlS18_E_NS1_11comp_targetILNS1_3genE8ELNS1_11target_archE1030ELNS1_3gpuE2ELNS1_3repE0EEENS1_30default_config_static_selectorELNS0_4arch9wavefront6targetE0EEEvT1_
; %bb.0:
	.section	.rodata,"a",@progbits
	.p2align	6, 0x0
	.amdhsa_kernel _ZN7rocprim17ROCPRIM_400000_NS6detail17trampoline_kernelINS0_14default_configENS1_25partition_config_selectorILNS1_17partition_subalgoE9ExjbEEZZNS1_14partition_implILS5_9ELb0ES3_jN6thrust23THRUST_200600_302600_NS6detail15normal_iteratorINS9_10device_ptrIxEEEENSB_INSC_IjEEEEPNS0_10empty_typeENS0_5tupleIJNS9_16discard_iteratorINS9_11use_defaultEEESH_EEENSJ_IJSG_SI_EEENS0_18inequality_wrapperINS9_8equal_toIxEEEEPmJSH_EEE10hipError_tPvRmT3_T4_T5_T6_T7_T9_mT8_P12ihipStream_tbDpT10_ENKUlT_T0_E_clISt17integral_constantIbLb1EES1D_EEDaS18_S19_EUlS18_E_NS1_11comp_targetILNS1_3genE8ELNS1_11target_archE1030ELNS1_3gpuE2ELNS1_3repE0EEENS1_30default_config_static_selectorELNS0_4arch9wavefront6targetE0EEEvT1_
		.amdhsa_group_segment_fixed_size 0
		.amdhsa_private_segment_fixed_size 0
		.amdhsa_kernarg_size 136
		.amdhsa_user_sgpr_count 15
		.amdhsa_user_sgpr_dispatch_ptr 0
		.amdhsa_user_sgpr_queue_ptr 0
		.amdhsa_user_sgpr_kernarg_segment_ptr 1
		.amdhsa_user_sgpr_dispatch_id 0
		.amdhsa_user_sgpr_private_segment_size 0
		.amdhsa_wavefront_size32 1
		.amdhsa_uses_dynamic_stack 0
		.amdhsa_enable_private_segment 0
		.amdhsa_system_sgpr_workgroup_id_x 1
		.amdhsa_system_sgpr_workgroup_id_y 0
		.amdhsa_system_sgpr_workgroup_id_z 0
		.amdhsa_system_sgpr_workgroup_info 0
		.amdhsa_system_vgpr_workitem_id 0
		.amdhsa_next_free_vgpr 1
		.amdhsa_next_free_sgpr 1
		.amdhsa_reserve_vcc 0
		.amdhsa_float_round_mode_32 0
		.amdhsa_float_round_mode_16_64 0
		.amdhsa_float_denorm_mode_32 3
		.amdhsa_float_denorm_mode_16_64 3
		.amdhsa_dx10_clamp 1
		.amdhsa_ieee_mode 1
		.amdhsa_fp16_overflow 0
		.amdhsa_workgroup_processor_mode 1
		.amdhsa_memory_ordered 1
		.amdhsa_forward_progress 0
		.amdhsa_shared_vgpr_count 0
		.amdhsa_exception_fp_ieee_invalid_op 0
		.amdhsa_exception_fp_denorm_src 0
		.amdhsa_exception_fp_ieee_div_zero 0
		.amdhsa_exception_fp_ieee_overflow 0
		.amdhsa_exception_fp_ieee_underflow 0
		.amdhsa_exception_fp_ieee_inexact 0
		.amdhsa_exception_int_div_zero 0
	.end_amdhsa_kernel
	.section	.text._ZN7rocprim17ROCPRIM_400000_NS6detail17trampoline_kernelINS0_14default_configENS1_25partition_config_selectorILNS1_17partition_subalgoE9ExjbEEZZNS1_14partition_implILS5_9ELb0ES3_jN6thrust23THRUST_200600_302600_NS6detail15normal_iteratorINS9_10device_ptrIxEEEENSB_INSC_IjEEEEPNS0_10empty_typeENS0_5tupleIJNS9_16discard_iteratorINS9_11use_defaultEEESH_EEENSJ_IJSG_SI_EEENS0_18inequality_wrapperINS9_8equal_toIxEEEEPmJSH_EEE10hipError_tPvRmT3_T4_T5_T6_T7_T9_mT8_P12ihipStream_tbDpT10_ENKUlT_T0_E_clISt17integral_constantIbLb1EES1D_EEDaS18_S19_EUlS18_E_NS1_11comp_targetILNS1_3genE8ELNS1_11target_archE1030ELNS1_3gpuE2ELNS1_3repE0EEENS1_30default_config_static_selectorELNS0_4arch9wavefront6targetE0EEEvT1_,"axG",@progbits,_ZN7rocprim17ROCPRIM_400000_NS6detail17trampoline_kernelINS0_14default_configENS1_25partition_config_selectorILNS1_17partition_subalgoE9ExjbEEZZNS1_14partition_implILS5_9ELb0ES3_jN6thrust23THRUST_200600_302600_NS6detail15normal_iteratorINS9_10device_ptrIxEEEENSB_INSC_IjEEEEPNS0_10empty_typeENS0_5tupleIJNS9_16discard_iteratorINS9_11use_defaultEEESH_EEENSJ_IJSG_SI_EEENS0_18inequality_wrapperINS9_8equal_toIxEEEEPmJSH_EEE10hipError_tPvRmT3_T4_T5_T6_T7_T9_mT8_P12ihipStream_tbDpT10_ENKUlT_T0_E_clISt17integral_constantIbLb1EES1D_EEDaS18_S19_EUlS18_E_NS1_11comp_targetILNS1_3genE8ELNS1_11target_archE1030ELNS1_3gpuE2ELNS1_3repE0EEENS1_30default_config_static_selectorELNS0_4arch9wavefront6targetE0EEEvT1_,comdat
.Lfunc_end1060:
	.size	_ZN7rocprim17ROCPRIM_400000_NS6detail17trampoline_kernelINS0_14default_configENS1_25partition_config_selectorILNS1_17partition_subalgoE9ExjbEEZZNS1_14partition_implILS5_9ELb0ES3_jN6thrust23THRUST_200600_302600_NS6detail15normal_iteratorINS9_10device_ptrIxEEEENSB_INSC_IjEEEEPNS0_10empty_typeENS0_5tupleIJNS9_16discard_iteratorINS9_11use_defaultEEESH_EEENSJ_IJSG_SI_EEENS0_18inequality_wrapperINS9_8equal_toIxEEEEPmJSH_EEE10hipError_tPvRmT3_T4_T5_T6_T7_T9_mT8_P12ihipStream_tbDpT10_ENKUlT_T0_E_clISt17integral_constantIbLb1EES1D_EEDaS18_S19_EUlS18_E_NS1_11comp_targetILNS1_3genE8ELNS1_11target_archE1030ELNS1_3gpuE2ELNS1_3repE0EEENS1_30default_config_static_selectorELNS0_4arch9wavefront6targetE0EEEvT1_, .Lfunc_end1060-_ZN7rocprim17ROCPRIM_400000_NS6detail17trampoline_kernelINS0_14default_configENS1_25partition_config_selectorILNS1_17partition_subalgoE9ExjbEEZZNS1_14partition_implILS5_9ELb0ES3_jN6thrust23THRUST_200600_302600_NS6detail15normal_iteratorINS9_10device_ptrIxEEEENSB_INSC_IjEEEEPNS0_10empty_typeENS0_5tupleIJNS9_16discard_iteratorINS9_11use_defaultEEESH_EEENSJ_IJSG_SI_EEENS0_18inequality_wrapperINS9_8equal_toIxEEEEPmJSH_EEE10hipError_tPvRmT3_T4_T5_T6_T7_T9_mT8_P12ihipStream_tbDpT10_ENKUlT_T0_E_clISt17integral_constantIbLb1EES1D_EEDaS18_S19_EUlS18_E_NS1_11comp_targetILNS1_3genE8ELNS1_11target_archE1030ELNS1_3gpuE2ELNS1_3repE0EEENS1_30default_config_static_selectorELNS0_4arch9wavefront6targetE0EEEvT1_
                                        ; -- End function
	.section	.AMDGPU.csdata,"",@progbits
; Kernel info:
; codeLenInByte = 0
; NumSgprs: 0
; NumVgprs: 0
; ScratchSize: 0
; MemoryBound: 0
; FloatMode: 240
; IeeeMode: 1
; LDSByteSize: 0 bytes/workgroup (compile time only)
; SGPRBlocks: 0
; VGPRBlocks: 0
; NumSGPRsForWavesPerEU: 1
; NumVGPRsForWavesPerEU: 1
; Occupancy: 16
; WaveLimiterHint : 0
; COMPUTE_PGM_RSRC2:SCRATCH_EN: 0
; COMPUTE_PGM_RSRC2:USER_SGPR: 15
; COMPUTE_PGM_RSRC2:TRAP_HANDLER: 0
; COMPUTE_PGM_RSRC2:TGID_X_EN: 1
; COMPUTE_PGM_RSRC2:TGID_Y_EN: 0
; COMPUTE_PGM_RSRC2:TGID_Z_EN: 0
; COMPUTE_PGM_RSRC2:TIDIG_COMP_CNT: 0
	.section	.text._ZN7rocprim17ROCPRIM_400000_NS6detail17trampoline_kernelINS0_14default_configENS1_25partition_config_selectorILNS1_17partition_subalgoE9ExjbEEZZNS1_14partition_implILS5_9ELb0ES3_jN6thrust23THRUST_200600_302600_NS6detail15normal_iteratorINS9_10device_ptrIxEEEENSB_INSC_IjEEEEPNS0_10empty_typeENS0_5tupleIJNS9_16discard_iteratorINS9_11use_defaultEEESH_EEENSJ_IJSG_SI_EEENS0_18inequality_wrapperINS9_8equal_toIxEEEEPmJSH_EEE10hipError_tPvRmT3_T4_T5_T6_T7_T9_mT8_P12ihipStream_tbDpT10_ENKUlT_T0_E_clISt17integral_constantIbLb1EES1C_IbLb0EEEEDaS18_S19_EUlS18_E_NS1_11comp_targetILNS1_3genE0ELNS1_11target_archE4294967295ELNS1_3gpuE0ELNS1_3repE0EEENS1_30default_config_static_selectorELNS0_4arch9wavefront6targetE0EEEvT1_,"axG",@progbits,_ZN7rocprim17ROCPRIM_400000_NS6detail17trampoline_kernelINS0_14default_configENS1_25partition_config_selectorILNS1_17partition_subalgoE9ExjbEEZZNS1_14partition_implILS5_9ELb0ES3_jN6thrust23THRUST_200600_302600_NS6detail15normal_iteratorINS9_10device_ptrIxEEEENSB_INSC_IjEEEEPNS0_10empty_typeENS0_5tupleIJNS9_16discard_iteratorINS9_11use_defaultEEESH_EEENSJ_IJSG_SI_EEENS0_18inequality_wrapperINS9_8equal_toIxEEEEPmJSH_EEE10hipError_tPvRmT3_T4_T5_T6_T7_T9_mT8_P12ihipStream_tbDpT10_ENKUlT_T0_E_clISt17integral_constantIbLb1EES1C_IbLb0EEEEDaS18_S19_EUlS18_E_NS1_11comp_targetILNS1_3genE0ELNS1_11target_archE4294967295ELNS1_3gpuE0ELNS1_3repE0EEENS1_30default_config_static_selectorELNS0_4arch9wavefront6targetE0EEEvT1_,comdat
	.protected	_ZN7rocprim17ROCPRIM_400000_NS6detail17trampoline_kernelINS0_14default_configENS1_25partition_config_selectorILNS1_17partition_subalgoE9ExjbEEZZNS1_14partition_implILS5_9ELb0ES3_jN6thrust23THRUST_200600_302600_NS6detail15normal_iteratorINS9_10device_ptrIxEEEENSB_INSC_IjEEEEPNS0_10empty_typeENS0_5tupleIJNS9_16discard_iteratorINS9_11use_defaultEEESH_EEENSJ_IJSG_SI_EEENS0_18inequality_wrapperINS9_8equal_toIxEEEEPmJSH_EEE10hipError_tPvRmT3_T4_T5_T6_T7_T9_mT8_P12ihipStream_tbDpT10_ENKUlT_T0_E_clISt17integral_constantIbLb1EES1C_IbLb0EEEEDaS18_S19_EUlS18_E_NS1_11comp_targetILNS1_3genE0ELNS1_11target_archE4294967295ELNS1_3gpuE0ELNS1_3repE0EEENS1_30default_config_static_selectorELNS0_4arch9wavefront6targetE0EEEvT1_ ; -- Begin function _ZN7rocprim17ROCPRIM_400000_NS6detail17trampoline_kernelINS0_14default_configENS1_25partition_config_selectorILNS1_17partition_subalgoE9ExjbEEZZNS1_14partition_implILS5_9ELb0ES3_jN6thrust23THRUST_200600_302600_NS6detail15normal_iteratorINS9_10device_ptrIxEEEENSB_INSC_IjEEEEPNS0_10empty_typeENS0_5tupleIJNS9_16discard_iteratorINS9_11use_defaultEEESH_EEENSJ_IJSG_SI_EEENS0_18inequality_wrapperINS9_8equal_toIxEEEEPmJSH_EEE10hipError_tPvRmT3_T4_T5_T6_T7_T9_mT8_P12ihipStream_tbDpT10_ENKUlT_T0_E_clISt17integral_constantIbLb1EES1C_IbLb0EEEEDaS18_S19_EUlS18_E_NS1_11comp_targetILNS1_3genE0ELNS1_11target_archE4294967295ELNS1_3gpuE0ELNS1_3repE0EEENS1_30default_config_static_selectorELNS0_4arch9wavefront6targetE0EEEvT1_
	.globl	_ZN7rocprim17ROCPRIM_400000_NS6detail17trampoline_kernelINS0_14default_configENS1_25partition_config_selectorILNS1_17partition_subalgoE9ExjbEEZZNS1_14partition_implILS5_9ELb0ES3_jN6thrust23THRUST_200600_302600_NS6detail15normal_iteratorINS9_10device_ptrIxEEEENSB_INSC_IjEEEEPNS0_10empty_typeENS0_5tupleIJNS9_16discard_iteratorINS9_11use_defaultEEESH_EEENSJ_IJSG_SI_EEENS0_18inequality_wrapperINS9_8equal_toIxEEEEPmJSH_EEE10hipError_tPvRmT3_T4_T5_T6_T7_T9_mT8_P12ihipStream_tbDpT10_ENKUlT_T0_E_clISt17integral_constantIbLb1EES1C_IbLb0EEEEDaS18_S19_EUlS18_E_NS1_11comp_targetILNS1_3genE0ELNS1_11target_archE4294967295ELNS1_3gpuE0ELNS1_3repE0EEENS1_30default_config_static_selectorELNS0_4arch9wavefront6targetE0EEEvT1_
	.p2align	8
	.type	_ZN7rocprim17ROCPRIM_400000_NS6detail17trampoline_kernelINS0_14default_configENS1_25partition_config_selectorILNS1_17partition_subalgoE9ExjbEEZZNS1_14partition_implILS5_9ELb0ES3_jN6thrust23THRUST_200600_302600_NS6detail15normal_iteratorINS9_10device_ptrIxEEEENSB_INSC_IjEEEEPNS0_10empty_typeENS0_5tupleIJNS9_16discard_iteratorINS9_11use_defaultEEESH_EEENSJ_IJSG_SI_EEENS0_18inequality_wrapperINS9_8equal_toIxEEEEPmJSH_EEE10hipError_tPvRmT3_T4_T5_T6_T7_T9_mT8_P12ihipStream_tbDpT10_ENKUlT_T0_E_clISt17integral_constantIbLb1EES1C_IbLb0EEEEDaS18_S19_EUlS18_E_NS1_11comp_targetILNS1_3genE0ELNS1_11target_archE4294967295ELNS1_3gpuE0ELNS1_3repE0EEENS1_30default_config_static_selectorELNS0_4arch9wavefront6targetE0EEEvT1_,@function
_ZN7rocprim17ROCPRIM_400000_NS6detail17trampoline_kernelINS0_14default_configENS1_25partition_config_selectorILNS1_17partition_subalgoE9ExjbEEZZNS1_14partition_implILS5_9ELb0ES3_jN6thrust23THRUST_200600_302600_NS6detail15normal_iteratorINS9_10device_ptrIxEEEENSB_INSC_IjEEEEPNS0_10empty_typeENS0_5tupleIJNS9_16discard_iteratorINS9_11use_defaultEEESH_EEENSJ_IJSG_SI_EEENS0_18inequality_wrapperINS9_8equal_toIxEEEEPmJSH_EEE10hipError_tPvRmT3_T4_T5_T6_T7_T9_mT8_P12ihipStream_tbDpT10_ENKUlT_T0_E_clISt17integral_constantIbLb1EES1C_IbLb0EEEEDaS18_S19_EUlS18_E_NS1_11comp_targetILNS1_3genE0ELNS1_11target_archE4294967295ELNS1_3gpuE0ELNS1_3repE0EEENS1_30default_config_static_selectorELNS0_4arch9wavefront6targetE0EEEvT1_: ; @_ZN7rocprim17ROCPRIM_400000_NS6detail17trampoline_kernelINS0_14default_configENS1_25partition_config_selectorILNS1_17partition_subalgoE9ExjbEEZZNS1_14partition_implILS5_9ELb0ES3_jN6thrust23THRUST_200600_302600_NS6detail15normal_iteratorINS9_10device_ptrIxEEEENSB_INSC_IjEEEEPNS0_10empty_typeENS0_5tupleIJNS9_16discard_iteratorINS9_11use_defaultEEESH_EEENSJ_IJSG_SI_EEENS0_18inequality_wrapperINS9_8equal_toIxEEEEPmJSH_EEE10hipError_tPvRmT3_T4_T5_T6_T7_T9_mT8_P12ihipStream_tbDpT10_ENKUlT_T0_E_clISt17integral_constantIbLb1EES1C_IbLb0EEEEDaS18_S19_EUlS18_E_NS1_11comp_targetILNS1_3genE0ELNS1_11target_archE4294967295ELNS1_3gpuE0ELNS1_3repE0EEENS1_30default_config_static_selectorELNS0_4arch9wavefront6targetE0EEEvT1_
; %bb.0:
	.section	.rodata,"a",@progbits
	.p2align	6, 0x0
	.amdhsa_kernel _ZN7rocprim17ROCPRIM_400000_NS6detail17trampoline_kernelINS0_14default_configENS1_25partition_config_selectorILNS1_17partition_subalgoE9ExjbEEZZNS1_14partition_implILS5_9ELb0ES3_jN6thrust23THRUST_200600_302600_NS6detail15normal_iteratorINS9_10device_ptrIxEEEENSB_INSC_IjEEEEPNS0_10empty_typeENS0_5tupleIJNS9_16discard_iteratorINS9_11use_defaultEEESH_EEENSJ_IJSG_SI_EEENS0_18inequality_wrapperINS9_8equal_toIxEEEEPmJSH_EEE10hipError_tPvRmT3_T4_T5_T6_T7_T9_mT8_P12ihipStream_tbDpT10_ENKUlT_T0_E_clISt17integral_constantIbLb1EES1C_IbLb0EEEEDaS18_S19_EUlS18_E_NS1_11comp_targetILNS1_3genE0ELNS1_11target_archE4294967295ELNS1_3gpuE0ELNS1_3repE0EEENS1_30default_config_static_selectorELNS0_4arch9wavefront6targetE0EEEvT1_
		.amdhsa_group_segment_fixed_size 0
		.amdhsa_private_segment_fixed_size 0
		.amdhsa_kernarg_size 120
		.amdhsa_user_sgpr_count 15
		.amdhsa_user_sgpr_dispatch_ptr 0
		.amdhsa_user_sgpr_queue_ptr 0
		.amdhsa_user_sgpr_kernarg_segment_ptr 1
		.amdhsa_user_sgpr_dispatch_id 0
		.amdhsa_user_sgpr_private_segment_size 0
		.amdhsa_wavefront_size32 1
		.amdhsa_uses_dynamic_stack 0
		.amdhsa_enable_private_segment 0
		.amdhsa_system_sgpr_workgroup_id_x 1
		.amdhsa_system_sgpr_workgroup_id_y 0
		.amdhsa_system_sgpr_workgroup_id_z 0
		.amdhsa_system_sgpr_workgroup_info 0
		.amdhsa_system_vgpr_workitem_id 0
		.amdhsa_next_free_vgpr 1
		.amdhsa_next_free_sgpr 1
		.amdhsa_reserve_vcc 0
		.amdhsa_float_round_mode_32 0
		.amdhsa_float_round_mode_16_64 0
		.amdhsa_float_denorm_mode_32 3
		.amdhsa_float_denorm_mode_16_64 3
		.amdhsa_dx10_clamp 1
		.amdhsa_ieee_mode 1
		.amdhsa_fp16_overflow 0
		.amdhsa_workgroup_processor_mode 1
		.amdhsa_memory_ordered 1
		.amdhsa_forward_progress 0
		.amdhsa_shared_vgpr_count 0
		.amdhsa_exception_fp_ieee_invalid_op 0
		.amdhsa_exception_fp_denorm_src 0
		.amdhsa_exception_fp_ieee_div_zero 0
		.amdhsa_exception_fp_ieee_overflow 0
		.amdhsa_exception_fp_ieee_underflow 0
		.amdhsa_exception_fp_ieee_inexact 0
		.amdhsa_exception_int_div_zero 0
	.end_amdhsa_kernel
	.section	.text._ZN7rocprim17ROCPRIM_400000_NS6detail17trampoline_kernelINS0_14default_configENS1_25partition_config_selectorILNS1_17partition_subalgoE9ExjbEEZZNS1_14partition_implILS5_9ELb0ES3_jN6thrust23THRUST_200600_302600_NS6detail15normal_iteratorINS9_10device_ptrIxEEEENSB_INSC_IjEEEEPNS0_10empty_typeENS0_5tupleIJNS9_16discard_iteratorINS9_11use_defaultEEESH_EEENSJ_IJSG_SI_EEENS0_18inequality_wrapperINS9_8equal_toIxEEEEPmJSH_EEE10hipError_tPvRmT3_T4_T5_T6_T7_T9_mT8_P12ihipStream_tbDpT10_ENKUlT_T0_E_clISt17integral_constantIbLb1EES1C_IbLb0EEEEDaS18_S19_EUlS18_E_NS1_11comp_targetILNS1_3genE0ELNS1_11target_archE4294967295ELNS1_3gpuE0ELNS1_3repE0EEENS1_30default_config_static_selectorELNS0_4arch9wavefront6targetE0EEEvT1_,"axG",@progbits,_ZN7rocprim17ROCPRIM_400000_NS6detail17trampoline_kernelINS0_14default_configENS1_25partition_config_selectorILNS1_17partition_subalgoE9ExjbEEZZNS1_14partition_implILS5_9ELb0ES3_jN6thrust23THRUST_200600_302600_NS6detail15normal_iteratorINS9_10device_ptrIxEEEENSB_INSC_IjEEEEPNS0_10empty_typeENS0_5tupleIJNS9_16discard_iteratorINS9_11use_defaultEEESH_EEENSJ_IJSG_SI_EEENS0_18inequality_wrapperINS9_8equal_toIxEEEEPmJSH_EEE10hipError_tPvRmT3_T4_T5_T6_T7_T9_mT8_P12ihipStream_tbDpT10_ENKUlT_T0_E_clISt17integral_constantIbLb1EES1C_IbLb0EEEEDaS18_S19_EUlS18_E_NS1_11comp_targetILNS1_3genE0ELNS1_11target_archE4294967295ELNS1_3gpuE0ELNS1_3repE0EEENS1_30default_config_static_selectorELNS0_4arch9wavefront6targetE0EEEvT1_,comdat
.Lfunc_end1061:
	.size	_ZN7rocprim17ROCPRIM_400000_NS6detail17trampoline_kernelINS0_14default_configENS1_25partition_config_selectorILNS1_17partition_subalgoE9ExjbEEZZNS1_14partition_implILS5_9ELb0ES3_jN6thrust23THRUST_200600_302600_NS6detail15normal_iteratorINS9_10device_ptrIxEEEENSB_INSC_IjEEEEPNS0_10empty_typeENS0_5tupleIJNS9_16discard_iteratorINS9_11use_defaultEEESH_EEENSJ_IJSG_SI_EEENS0_18inequality_wrapperINS9_8equal_toIxEEEEPmJSH_EEE10hipError_tPvRmT3_T4_T5_T6_T7_T9_mT8_P12ihipStream_tbDpT10_ENKUlT_T0_E_clISt17integral_constantIbLb1EES1C_IbLb0EEEEDaS18_S19_EUlS18_E_NS1_11comp_targetILNS1_3genE0ELNS1_11target_archE4294967295ELNS1_3gpuE0ELNS1_3repE0EEENS1_30default_config_static_selectorELNS0_4arch9wavefront6targetE0EEEvT1_, .Lfunc_end1061-_ZN7rocprim17ROCPRIM_400000_NS6detail17trampoline_kernelINS0_14default_configENS1_25partition_config_selectorILNS1_17partition_subalgoE9ExjbEEZZNS1_14partition_implILS5_9ELb0ES3_jN6thrust23THRUST_200600_302600_NS6detail15normal_iteratorINS9_10device_ptrIxEEEENSB_INSC_IjEEEEPNS0_10empty_typeENS0_5tupleIJNS9_16discard_iteratorINS9_11use_defaultEEESH_EEENSJ_IJSG_SI_EEENS0_18inequality_wrapperINS9_8equal_toIxEEEEPmJSH_EEE10hipError_tPvRmT3_T4_T5_T6_T7_T9_mT8_P12ihipStream_tbDpT10_ENKUlT_T0_E_clISt17integral_constantIbLb1EES1C_IbLb0EEEEDaS18_S19_EUlS18_E_NS1_11comp_targetILNS1_3genE0ELNS1_11target_archE4294967295ELNS1_3gpuE0ELNS1_3repE0EEENS1_30default_config_static_selectorELNS0_4arch9wavefront6targetE0EEEvT1_
                                        ; -- End function
	.section	.AMDGPU.csdata,"",@progbits
; Kernel info:
; codeLenInByte = 0
; NumSgprs: 0
; NumVgprs: 0
; ScratchSize: 0
; MemoryBound: 0
; FloatMode: 240
; IeeeMode: 1
; LDSByteSize: 0 bytes/workgroup (compile time only)
; SGPRBlocks: 0
; VGPRBlocks: 0
; NumSGPRsForWavesPerEU: 1
; NumVGPRsForWavesPerEU: 1
; Occupancy: 16
; WaveLimiterHint : 0
; COMPUTE_PGM_RSRC2:SCRATCH_EN: 0
; COMPUTE_PGM_RSRC2:USER_SGPR: 15
; COMPUTE_PGM_RSRC2:TRAP_HANDLER: 0
; COMPUTE_PGM_RSRC2:TGID_X_EN: 1
; COMPUTE_PGM_RSRC2:TGID_Y_EN: 0
; COMPUTE_PGM_RSRC2:TGID_Z_EN: 0
; COMPUTE_PGM_RSRC2:TIDIG_COMP_CNT: 0
	.section	.text._ZN7rocprim17ROCPRIM_400000_NS6detail17trampoline_kernelINS0_14default_configENS1_25partition_config_selectorILNS1_17partition_subalgoE9ExjbEEZZNS1_14partition_implILS5_9ELb0ES3_jN6thrust23THRUST_200600_302600_NS6detail15normal_iteratorINS9_10device_ptrIxEEEENSB_INSC_IjEEEEPNS0_10empty_typeENS0_5tupleIJNS9_16discard_iteratorINS9_11use_defaultEEESH_EEENSJ_IJSG_SI_EEENS0_18inequality_wrapperINS9_8equal_toIxEEEEPmJSH_EEE10hipError_tPvRmT3_T4_T5_T6_T7_T9_mT8_P12ihipStream_tbDpT10_ENKUlT_T0_E_clISt17integral_constantIbLb1EES1C_IbLb0EEEEDaS18_S19_EUlS18_E_NS1_11comp_targetILNS1_3genE5ELNS1_11target_archE942ELNS1_3gpuE9ELNS1_3repE0EEENS1_30default_config_static_selectorELNS0_4arch9wavefront6targetE0EEEvT1_,"axG",@progbits,_ZN7rocprim17ROCPRIM_400000_NS6detail17trampoline_kernelINS0_14default_configENS1_25partition_config_selectorILNS1_17partition_subalgoE9ExjbEEZZNS1_14partition_implILS5_9ELb0ES3_jN6thrust23THRUST_200600_302600_NS6detail15normal_iteratorINS9_10device_ptrIxEEEENSB_INSC_IjEEEEPNS0_10empty_typeENS0_5tupleIJNS9_16discard_iteratorINS9_11use_defaultEEESH_EEENSJ_IJSG_SI_EEENS0_18inequality_wrapperINS9_8equal_toIxEEEEPmJSH_EEE10hipError_tPvRmT3_T4_T5_T6_T7_T9_mT8_P12ihipStream_tbDpT10_ENKUlT_T0_E_clISt17integral_constantIbLb1EES1C_IbLb0EEEEDaS18_S19_EUlS18_E_NS1_11comp_targetILNS1_3genE5ELNS1_11target_archE942ELNS1_3gpuE9ELNS1_3repE0EEENS1_30default_config_static_selectorELNS0_4arch9wavefront6targetE0EEEvT1_,comdat
	.protected	_ZN7rocprim17ROCPRIM_400000_NS6detail17trampoline_kernelINS0_14default_configENS1_25partition_config_selectorILNS1_17partition_subalgoE9ExjbEEZZNS1_14partition_implILS5_9ELb0ES3_jN6thrust23THRUST_200600_302600_NS6detail15normal_iteratorINS9_10device_ptrIxEEEENSB_INSC_IjEEEEPNS0_10empty_typeENS0_5tupleIJNS9_16discard_iteratorINS9_11use_defaultEEESH_EEENSJ_IJSG_SI_EEENS0_18inequality_wrapperINS9_8equal_toIxEEEEPmJSH_EEE10hipError_tPvRmT3_T4_T5_T6_T7_T9_mT8_P12ihipStream_tbDpT10_ENKUlT_T0_E_clISt17integral_constantIbLb1EES1C_IbLb0EEEEDaS18_S19_EUlS18_E_NS1_11comp_targetILNS1_3genE5ELNS1_11target_archE942ELNS1_3gpuE9ELNS1_3repE0EEENS1_30default_config_static_selectorELNS0_4arch9wavefront6targetE0EEEvT1_ ; -- Begin function _ZN7rocprim17ROCPRIM_400000_NS6detail17trampoline_kernelINS0_14default_configENS1_25partition_config_selectorILNS1_17partition_subalgoE9ExjbEEZZNS1_14partition_implILS5_9ELb0ES3_jN6thrust23THRUST_200600_302600_NS6detail15normal_iteratorINS9_10device_ptrIxEEEENSB_INSC_IjEEEEPNS0_10empty_typeENS0_5tupleIJNS9_16discard_iteratorINS9_11use_defaultEEESH_EEENSJ_IJSG_SI_EEENS0_18inequality_wrapperINS9_8equal_toIxEEEEPmJSH_EEE10hipError_tPvRmT3_T4_T5_T6_T7_T9_mT8_P12ihipStream_tbDpT10_ENKUlT_T0_E_clISt17integral_constantIbLb1EES1C_IbLb0EEEEDaS18_S19_EUlS18_E_NS1_11comp_targetILNS1_3genE5ELNS1_11target_archE942ELNS1_3gpuE9ELNS1_3repE0EEENS1_30default_config_static_selectorELNS0_4arch9wavefront6targetE0EEEvT1_
	.globl	_ZN7rocprim17ROCPRIM_400000_NS6detail17trampoline_kernelINS0_14default_configENS1_25partition_config_selectorILNS1_17partition_subalgoE9ExjbEEZZNS1_14partition_implILS5_9ELb0ES3_jN6thrust23THRUST_200600_302600_NS6detail15normal_iteratorINS9_10device_ptrIxEEEENSB_INSC_IjEEEEPNS0_10empty_typeENS0_5tupleIJNS9_16discard_iteratorINS9_11use_defaultEEESH_EEENSJ_IJSG_SI_EEENS0_18inequality_wrapperINS9_8equal_toIxEEEEPmJSH_EEE10hipError_tPvRmT3_T4_T5_T6_T7_T9_mT8_P12ihipStream_tbDpT10_ENKUlT_T0_E_clISt17integral_constantIbLb1EES1C_IbLb0EEEEDaS18_S19_EUlS18_E_NS1_11comp_targetILNS1_3genE5ELNS1_11target_archE942ELNS1_3gpuE9ELNS1_3repE0EEENS1_30default_config_static_selectorELNS0_4arch9wavefront6targetE0EEEvT1_
	.p2align	8
	.type	_ZN7rocprim17ROCPRIM_400000_NS6detail17trampoline_kernelINS0_14default_configENS1_25partition_config_selectorILNS1_17partition_subalgoE9ExjbEEZZNS1_14partition_implILS5_9ELb0ES3_jN6thrust23THRUST_200600_302600_NS6detail15normal_iteratorINS9_10device_ptrIxEEEENSB_INSC_IjEEEEPNS0_10empty_typeENS0_5tupleIJNS9_16discard_iteratorINS9_11use_defaultEEESH_EEENSJ_IJSG_SI_EEENS0_18inequality_wrapperINS9_8equal_toIxEEEEPmJSH_EEE10hipError_tPvRmT3_T4_T5_T6_T7_T9_mT8_P12ihipStream_tbDpT10_ENKUlT_T0_E_clISt17integral_constantIbLb1EES1C_IbLb0EEEEDaS18_S19_EUlS18_E_NS1_11comp_targetILNS1_3genE5ELNS1_11target_archE942ELNS1_3gpuE9ELNS1_3repE0EEENS1_30default_config_static_selectorELNS0_4arch9wavefront6targetE0EEEvT1_,@function
_ZN7rocprim17ROCPRIM_400000_NS6detail17trampoline_kernelINS0_14default_configENS1_25partition_config_selectorILNS1_17partition_subalgoE9ExjbEEZZNS1_14partition_implILS5_9ELb0ES3_jN6thrust23THRUST_200600_302600_NS6detail15normal_iteratorINS9_10device_ptrIxEEEENSB_INSC_IjEEEEPNS0_10empty_typeENS0_5tupleIJNS9_16discard_iteratorINS9_11use_defaultEEESH_EEENSJ_IJSG_SI_EEENS0_18inequality_wrapperINS9_8equal_toIxEEEEPmJSH_EEE10hipError_tPvRmT3_T4_T5_T6_T7_T9_mT8_P12ihipStream_tbDpT10_ENKUlT_T0_E_clISt17integral_constantIbLb1EES1C_IbLb0EEEEDaS18_S19_EUlS18_E_NS1_11comp_targetILNS1_3genE5ELNS1_11target_archE942ELNS1_3gpuE9ELNS1_3repE0EEENS1_30default_config_static_selectorELNS0_4arch9wavefront6targetE0EEEvT1_: ; @_ZN7rocprim17ROCPRIM_400000_NS6detail17trampoline_kernelINS0_14default_configENS1_25partition_config_selectorILNS1_17partition_subalgoE9ExjbEEZZNS1_14partition_implILS5_9ELb0ES3_jN6thrust23THRUST_200600_302600_NS6detail15normal_iteratorINS9_10device_ptrIxEEEENSB_INSC_IjEEEEPNS0_10empty_typeENS0_5tupleIJNS9_16discard_iteratorINS9_11use_defaultEEESH_EEENSJ_IJSG_SI_EEENS0_18inequality_wrapperINS9_8equal_toIxEEEEPmJSH_EEE10hipError_tPvRmT3_T4_T5_T6_T7_T9_mT8_P12ihipStream_tbDpT10_ENKUlT_T0_E_clISt17integral_constantIbLb1EES1C_IbLb0EEEEDaS18_S19_EUlS18_E_NS1_11comp_targetILNS1_3genE5ELNS1_11target_archE942ELNS1_3gpuE9ELNS1_3repE0EEENS1_30default_config_static_selectorELNS0_4arch9wavefront6targetE0EEEvT1_
; %bb.0:
	.section	.rodata,"a",@progbits
	.p2align	6, 0x0
	.amdhsa_kernel _ZN7rocprim17ROCPRIM_400000_NS6detail17trampoline_kernelINS0_14default_configENS1_25partition_config_selectorILNS1_17partition_subalgoE9ExjbEEZZNS1_14partition_implILS5_9ELb0ES3_jN6thrust23THRUST_200600_302600_NS6detail15normal_iteratorINS9_10device_ptrIxEEEENSB_INSC_IjEEEEPNS0_10empty_typeENS0_5tupleIJNS9_16discard_iteratorINS9_11use_defaultEEESH_EEENSJ_IJSG_SI_EEENS0_18inequality_wrapperINS9_8equal_toIxEEEEPmJSH_EEE10hipError_tPvRmT3_T4_T5_T6_T7_T9_mT8_P12ihipStream_tbDpT10_ENKUlT_T0_E_clISt17integral_constantIbLb1EES1C_IbLb0EEEEDaS18_S19_EUlS18_E_NS1_11comp_targetILNS1_3genE5ELNS1_11target_archE942ELNS1_3gpuE9ELNS1_3repE0EEENS1_30default_config_static_selectorELNS0_4arch9wavefront6targetE0EEEvT1_
		.amdhsa_group_segment_fixed_size 0
		.amdhsa_private_segment_fixed_size 0
		.amdhsa_kernarg_size 120
		.amdhsa_user_sgpr_count 15
		.amdhsa_user_sgpr_dispatch_ptr 0
		.amdhsa_user_sgpr_queue_ptr 0
		.amdhsa_user_sgpr_kernarg_segment_ptr 1
		.amdhsa_user_sgpr_dispatch_id 0
		.amdhsa_user_sgpr_private_segment_size 0
		.amdhsa_wavefront_size32 1
		.amdhsa_uses_dynamic_stack 0
		.amdhsa_enable_private_segment 0
		.amdhsa_system_sgpr_workgroup_id_x 1
		.amdhsa_system_sgpr_workgroup_id_y 0
		.amdhsa_system_sgpr_workgroup_id_z 0
		.amdhsa_system_sgpr_workgroup_info 0
		.amdhsa_system_vgpr_workitem_id 0
		.amdhsa_next_free_vgpr 1
		.amdhsa_next_free_sgpr 1
		.amdhsa_reserve_vcc 0
		.amdhsa_float_round_mode_32 0
		.amdhsa_float_round_mode_16_64 0
		.amdhsa_float_denorm_mode_32 3
		.amdhsa_float_denorm_mode_16_64 3
		.amdhsa_dx10_clamp 1
		.amdhsa_ieee_mode 1
		.amdhsa_fp16_overflow 0
		.amdhsa_workgroup_processor_mode 1
		.amdhsa_memory_ordered 1
		.amdhsa_forward_progress 0
		.amdhsa_shared_vgpr_count 0
		.amdhsa_exception_fp_ieee_invalid_op 0
		.amdhsa_exception_fp_denorm_src 0
		.amdhsa_exception_fp_ieee_div_zero 0
		.amdhsa_exception_fp_ieee_overflow 0
		.amdhsa_exception_fp_ieee_underflow 0
		.amdhsa_exception_fp_ieee_inexact 0
		.amdhsa_exception_int_div_zero 0
	.end_amdhsa_kernel
	.section	.text._ZN7rocprim17ROCPRIM_400000_NS6detail17trampoline_kernelINS0_14default_configENS1_25partition_config_selectorILNS1_17partition_subalgoE9ExjbEEZZNS1_14partition_implILS5_9ELb0ES3_jN6thrust23THRUST_200600_302600_NS6detail15normal_iteratorINS9_10device_ptrIxEEEENSB_INSC_IjEEEEPNS0_10empty_typeENS0_5tupleIJNS9_16discard_iteratorINS9_11use_defaultEEESH_EEENSJ_IJSG_SI_EEENS0_18inequality_wrapperINS9_8equal_toIxEEEEPmJSH_EEE10hipError_tPvRmT3_T4_T5_T6_T7_T9_mT8_P12ihipStream_tbDpT10_ENKUlT_T0_E_clISt17integral_constantIbLb1EES1C_IbLb0EEEEDaS18_S19_EUlS18_E_NS1_11comp_targetILNS1_3genE5ELNS1_11target_archE942ELNS1_3gpuE9ELNS1_3repE0EEENS1_30default_config_static_selectorELNS0_4arch9wavefront6targetE0EEEvT1_,"axG",@progbits,_ZN7rocprim17ROCPRIM_400000_NS6detail17trampoline_kernelINS0_14default_configENS1_25partition_config_selectorILNS1_17partition_subalgoE9ExjbEEZZNS1_14partition_implILS5_9ELb0ES3_jN6thrust23THRUST_200600_302600_NS6detail15normal_iteratorINS9_10device_ptrIxEEEENSB_INSC_IjEEEEPNS0_10empty_typeENS0_5tupleIJNS9_16discard_iteratorINS9_11use_defaultEEESH_EEENSJ_IJSG_SI_EEENS0_18inequality_wrapperINS9_8equal_toIxEEEEPmJSH_EEE10hipError_tPvRmT3_T4_T5_T6_T7_T9_mT8_P12ihipStream_tbDpT10_ENKUlT_T0_E_clISt17integral_constantIbLb1EES1C_IbLb0EEEEDaS18_S19_EUlS18_E_NS1_11comp_targetILNS1_3genE5ELNS1_11target_archE942ELNS1_3gpuE9ELNS1_3repE0EEENS1_30default_config_static_selectorELNS0_4arch9wavefront6targetE0EEEvT1_,comdat
.Lfunc_end1062:
	.size	_ZN7rocprim17ROCPRIM_400000_NS6detail17trampoline_kernelINS0_14default_configENS1_25partition_config_selectorILNS1_17partition_subalgoE9ExjbEEZZNS1_14partition_implILS5_9ELb0ES3_jN6thrust23THRUST_200600_302600_NS6detail15normal_iteratorINS9_10device_ptrIxEEEENSB_INSC_IjEEEEPNS0_10empty_typeENS0_5tupleIJNS9_16discard_iteratorINS9_11use_defaultEEESH_EEENSJ_IJSG_SI_EEENS0_18inequality_wrapperINS9_8equal_toIxEEEEPmJSH_EEE10hipError_tPvRmT3_T4_T5_T6_T7_T9_mT8_P12ihipStream_tbDpT10_ENKUlT_T0_E_clISt17integral_constantIbLb1EES1C_IbLb0EEEEDaS18_S19_EUlS18_E_NS1_11comp_targetILNS1_3genE5ELNS1_11target_archE942ELNS1_3gpuE9ELNS1_3repE0EEENS1_30default_config_static_selectorELNS0_4arch9wavefront6targetE0EEEvT1_, .Lfunc_end1062-_ZN7rocprim17ROCPRIM_400000_NS6detail17trampoline_kernelINS0_14default_configENS1_25partition_config_selectorILNS1_17partition_subalgoE9ExjbEEZZNS1_14partition_implILS5_9ELb0ES3_jN6thrust23THRUST_200600_302600_NS6detail15normal_iteratorINS9_10device_ptrIxEEEENSB_INSC_IjEEEEPNS0_10empty_typeENS0_5tupleIJNS9_16discard_iteratorINS9_11use_defaultEEESH_EEENSJ_IJSG_SI_EEENS0_18inequality_wrapperINS9_8equal_toIxEEEEPmJSH_EEE10hipError_tPvRmT3_T4_T5_T6_T7_T9_mT8_P12ihipStream_tbDpT10_ENKUlT_T0_E_clISt17integral_constantIbLb1EES1C_IbLb0EEEEDaS18_S19_EUlS18_E_NS1_11comp_targetILNS1_3genE5ELNS1_11target_archE942ELNS1_3gpuE9ELNS1_3repE0EEENS1_30default_config_static_selectorELNS0_4arch9wavefront6targetE0EEEvT1_
                                        ; -- End function
	.section	.AMDGPU.csdata,"",@progbits
; Kernel info:
; codeLenInByte = 0
; NumSgprs: 0
; NumVgprs: 0
; ScratchSize: 0
; MemoryBound: 0
; FloatMode: 240
; IeeeMode: 1
; LDSByteSize: 0 bytes/workgroup (compile time only)
; SGPRBlocks: 0
; VGPRBlocks: 0
; NumSGPRsForWavesPerEU: 1
; NumVGPRsForWavesPerEU: 1
; Occupancy: 16
; WaveLimiterHint : 0
; COMPUTE_PGM_RSRC2:SCRATCH_EN: 0
; COMPUTE_PGM_RSRC2:USER_SGPR: 15
; COMPUTE_PGM_RSRC2:TRAP_HANDLER: 0
; COMPUTE_PGM_RSRC2:TGID_X_EN: 1
; COMPUTE_PGM_RSRC2:TGID_Y_EN: 0
; COMPUTE_PGM_RSRC2:TGID_Z_EN: 0
; COMPUTE_PGM_RSRC2:TIDIG_COMP_CNT: 0
	.section	.text._ZN7rocprim17ROCPRIM_400000_NS6detail17trampoline_kernelINS0_14default_configENS1_25partition_config_selectorILNS1_17partition_subalgoE9ExjbEEZZNS1_14partition_implILS5_9ELb0ES3_jN6thrust23THRUST_200600_302600_NS6detail15normal_iteratorINS9_10device_ptrIxEEEENSB_INSC_IjEEEEPNS0_10empty_typeENS0_5tupleIJNS9_16discard_iteratorINS9_11use_defaultEEESH_EEENSJ_IJSG_SI_EEENS0_18inequality_wrapperINS9_8equal_toIxEEEEPmJSH_EEE10hipError_tPvRmT3_T4_T5_T6_T7_T9_mT8_P12ihipStream_tbDpT10_ENKUlT_T0_E_clISt17integral_constantIbLb1EES1C_IbLb0EEEEDaS18_S19_EUlS18_E_NS1_11comp_targetILNS1_3genE4ELNS1_11target_archE910ELNS1_3gpuE8ELNS1_3repE0EEENS1_30default_config_static_selectorELNS0_4arch9wavefront6targetE0EEEvT1_,"axG",@progbits,_ZN7rocprim17ROCPRIM_400000_NS6detail17trampoline_kernelINS0_14default_configENS1_25partition_config_selectorILNS1_17partition_subalgoE9ExjbEEZZNS1_14partition_implILS5_9ELb0ES3_jN6thrust23THRUST_200600_302600_NS6detail15normal_iteratorINS9_10device_ptrIxEEEENSB_INSC_IjEEEEPNS0_10empty_typeENS0_5tupleIJNS9_16discard_iteratorINS9_11use_defaultEEESH_EEENSJ_IJSG_SI_EEENS0_18inequality_wrapperINS9_8equal_toIxEEEEPmJSH_EEE10hipError_tPvRmT3_T4_T5_T6_T7_T9_mT8_P12ihipStream_tbDpT10_ENKUlT_T0_E_clISt17integral_constantIbLb1EES1C_IbLb0EEEEDaS18_S19_EUlS18_E_NS1_11comp_targetILNS1_3genE4ELNS1_11target_archE910ELNS1_3gpuE8ELNS1_3repE0EEENS1_30default_config_static_selectorELNS0_4arch9wavefront6targetE0EEEvT1_,comdat
	.protected	_ZN7rocprim17ROCPRIM_400000_NS6detail17trampoline_kernelINS0_14default_configENS1_25partition_config_selectorILNS1_17partition_subalgoE9ExjbEEZZNS1_14partition_implILS5_9ELb0ES3_jN6thrust23THRUST_200600_302600_NS6detail15normal_iteratorINS9_10device_ptrIxEEEENSB_INSC_IjEEEEPNS0_10empty_typeENS0_5tupleIJNS9_16discard_iteratorINS9_11use_defaultEEESH_EEENSJ_IJSG_SI_EEENS0_18inequality_wrapperINS9_8equal_toIxEEEEPmJSH_EEE10hipError_tPvRmT3_T4_T5_T6_T7_T9_mT8_P12ihipStream_tbDpT10_ENKUlT_T0_E_clISt17integral_constantIbLb1EES1C_IbLb0EEEEDaS18_S19_EUlS18_E_NS1_11comp_targetILNS1_3genE4ELNS1_11target_archE910ELNS1_3gpuE8ELNS1_3repE0EEENS1_30default_config_static_selectorELNS0_4arch9wavefront6targetE0EEEvT1_ ; -- Begin function _ZN7rocprim17ROCPRIM_400000_NS6detail17trampoline_kernelINS0_14default_configENS1_25partition_config_selectorILNS1_17partition_subalgoE9ExjbEEZZNS1_14partition_implILS5_9ELb0ES3_jN6thrust23THRUST_200600_302600_NS6detail15normal_iteratorINS9_10device_ptrIxEEEENSB_INSC_IjEEEEPNS0_10empty_typeENS0_5tupleIJNS9_16discard_iteratorINS9_11use_defaultEEESH_EEENSJ_IJSG_SI_EEENS0_18inequality_wrapperINS9_8equal_toIxEEEEPmJSH_EEE10hipError_tPvRmT3_T4_T5_T6_T7_T9_mT8_P12ihipStream_tbDpT10_ENKUlT_T0_E_clISt17integral_constantIbLb1EES1C_IbLb0EEEEDaS18_S19_EUlS18_E_NS1_11comp_targetILNS1_3genE4ELNS1_11target_archE910ELNS1_3gpuE8ELNS1_3repE0EEENS1_30default_config_static_selectorELNS0_4arch9wavefront6targetE0EEEvT1_
	.globl	_ZN7rocprim17ROCPRIM_400000_NS6detail17trampoline_kernelINS0_14default_configENS1_25partition_config_selectorILNS1_17partition_subalgoE9ExjbEEZZNS1_14partition_implILS5_9ELb0ES3_jN6thrust23THRUST_200600_302600_NS6detail15normal_iteratorINS9_10device_ptrIxEEEENSB_INSC_IjEEEEPNS0_10empty_typeENS0_5tupleIJNS9_16discard_iteratorINS9_11use_defaultEEESH_EEENSJ_IJSG_SI_EEENS0_18inequality_wrapperINS9_8equal_toIxEEEEPmJSH_EEE10hipError_tPvRmT3_T4_T5_T6_T7_T9_mT8_P12ihipStream_tbDpT10_ENKUlT_T0_E_clISt17integral_constantIbLb1EES1C_IbLb0EEEEDaS18_S19_EUlS18_E_NS1_11comp_targetILNS1_3genE4ELNS1_11target_archE910ELNS1_3gpuE8ELNS1_3repE0EEENS1_30default_config_static_selectorELNS0_4arch9wavefront6targetE0EEEvT1_
	.p2align	8
	.type	_ZN7rocprim17ROCPRIM_400000_NS6detail17trampoline_kernelINS0_14default_configENS1_25partition_config_selectorILNS1_17partition_subalgoE9ExjbEEZZNS1_14partition_implILS5_9ELb0ES3_jN6thrust23THRUST_200600_302600_NS6detail15normal_iteratorINS9_10device_ptrIxEEEENSB_INSC_IjEEEEPNS0_10empty_typeENS0_5tupleIJNS9_16discard_iteratorINS9_11use_defaultEEESH_EEENSJ_IJSG_SI_EEENS0_18inequality_wrapperINS9_8equal_toIxEEEEPmJSH_EEE10hipError_tPvRmT3_T4_T5_T6_T7_T9_mT8_P12ihipStream_tbDpT10_ENKUlT_T0_E_clISt17integral_constantIbLb1EES1C_IbLb0EEEEDaS18_S19_EUlS18_E_NS1_11comp_targetILNS1_3genE4ELNS1_11target_archE910ELNS1_3gpuE8ELNS1_3repE0EEENS1_30default_config_static_selectorELNS0_4arch9wavefront6targetE0EEEvT1_,@function
_ZN7rocprim17ROCPRIM_400000_NS6detail17trampoline_kernelINS0_14default_configENS1_25partition_config_selectorILNS1_17partition_subalgoE9ExjbEEZZNS1_14partition_implILS5_9ELb0ES3_jN6thrust23THRUST_200600_302600_NS6detail15normal_iteratorINS9_10device_ptrIxEEEENSB_INSC_IjEEEEPNS0_10empty_typeENS0_5tupleIJNS9_16discard_iteratorINS9_11use_defaultEEESH_EEENSJ_IJSG_SI_EEENS0_18inequality_wrapperINS9_8equal_toIxEEEEPmJSH_EEE10hipError_tPvRmT3_T4_T5_T6_T7_T9_mT8_P12ihipStream_tbDpT10_ENKUlT_T0_E_clISt17integral_constantIbLb1EES1C_IbLb0EEEEDaS18_S19_EUlS18_E_NS1_11comp_targetILNS1_3genE4ELNS1_11target_archE910ELNS1_3gpuE8ELNS1_3repE0EEENS1_30default_config_static_selectorELNS0_4arch9wavefront6targetE0EEEvT1_: ; @_ZN7rocprim17ROCPRIM_400000_NS6detail17trampoline_kernelINS0_14default_configENS1_25partition_config_selectorILNS1_17partition_subalgoE9ExjbEEZZNS1_14partition_implILS5_9ELb0ES3_jN6thrust23THRUST_200600_302600_NS6detail15normal_iteratorINS9_10device_ptrIxEEEENSB_INSC_IjEEEEPNS0_10empty_typeENS0_5tupleIJNS9_16discard_iteratorINS9_11use_defaultEEESH_EEENSJ_IJSG_SI_EEENS0_18inequality_wrapperINS9_8equal_toIxEEEEPmJSH_EEE10hipError_tPvRmT3_T4_T5_T6_T7_T9_mT8_P12ihipStream_tbDpT10_ENKUlT_T0_E_clISt17integral_constantIbLb1EES1C_IbLb0EEEEDaS18_S19_EUlS18_E_NS1_11comp_targetILNS1_3genE4ELNS1_11target_archE910ELNS1_3gpuE8ELNS1_3repE0EEENS1_30default_config_static_selectorELNS0_4arch9wavefront6targetE0EEEvT1_
; %bb.0:
	.section	.rodata,"a",@progbits
	.p2align	6, 0x0
	.amdhsa_kernel _ZN7rocprim17ROCPRIM_400000_NS6detail17trampoline_kernelINS0_14default_configENS1_25partition_config_selectorILNS1_17partition_subalgoE9ExjbEEZZNS1_14partition_implILS5_9ELb0ES3_jN6thrust23THRUST_200600_302600_NS6detail15normal_iteratorINS9_10device_ptrIxEEEENSB_INSC_IjEEEEPNS0_10empty_typeENS0_5tupleIJNS9_16discard_iteratorINS9_11use_defaultEEESH_EEENSJ_IJSG_SI_EEENS0_18inequality_wrapperINS9_8equal_toIxEEEEPmJSH_EEE10hipError_tPvRmT3_T4_T5_T6_T7_T9_mT8_P12ihipStream_tbDpT10_ENKUlT_T0_E_clISt17integral_constantIbLb1EES1C_IbLb0EEEEDaS18_S19_EUlS18_E_NS1_11comp_targetILNS1_3genE4ELNS1_11target_archE910ELNS1_3gpuE8ELNS1_3repE0EEENS1_30default_config_static_selectorELNS0_4arch9wavefront6targetE0EEEvT1_
		.amdhsa_group_segment_fixed_size 0
		.amdhsa_private_segment_fixed_size 0
		.amdhsa_kernarg_size 120
		.amdhsa_user_sgpr_count 15
		.amdhsa_user_sgpr_dispatch_ptr 0
		.amdhsa_user_sgpr_queue_ptr 0
		.amdhsa_user_sgpr_kernarg_segment_ptr 1
		.amdhsa_user_sgpr_dispatch_id 0
		.amdhsa_user_sgpr_private_segment_size 0
		.amdhsa_wavefront_size32 1
		.amdhsa_uses_dynamic_stack 0
		.amdhsa_enable_private_segment 0
		.amdhsa_system_sgpr_workgroup_id_x 1
		.amdhsa_system_sgpr_workgroup_id_y 0
		.amdhsa_system_sgpr_workgroup_id_z 0
		.amdhsa_system_sgpr_workgroup_info 0
		.amdhsa_system_vgpr_workitem_id 0
		.amdhsa_next_free_vgpr 1
		.amdhsa_next_free_sgpr 1
		.amdhsa_reserve_vcc 0
		.amdhsa_float_round_mode_32 0
		.amdhsa_float_round_mode_16_64 0
		.amdhsa_float_denorm_mode_32 3
		.amdhsa_float_denorm_mode_16_64 3
		.amdhsa_dx10_clamp 1
		.amdhsa_ieee_mode 1
		.amdhsa_fp16_overflow 0
		.amdhsa_workgroup_processor_mode 1
		.amdhsa_memory_ordered 1
		.amdhsa_forward_progress 0
		.amdhsa_shared_vgpr_count 0
		.amdhsa_exception_fp_ieee_invalid_op 0
		.amdhsa_exception_fp_denorm_src 0
		.amdhsa_exception_fp_ieee_div_zero 0
		.amdhsa_exception_fp_ieee_overflow 0
		.amdhsa_exception_fp_ieee_underflow 0
		.amdhsa_exception_fp_ieee_inexact 0
		.amdhsa_exception_int_div_zero 0
	.end_amdhsa_kernel
	.section	.text._ZN7rocprim17ROCPRIM_400000_NS6detail17trampoline_kernelINS0_14default_configENS1_25partition_config_selectorILNS1_17partition_subalgoE9ExjbEEZZNS1_14partition_implILS5_9ELb0ES3_jN6thrust23THRUST_200600_302600_NS6detail15normal_iteratorINS9_10device_ptrIxEEEENSB_INSC_IjEEEEPNS0_10empty_typeENS0_5tupleIJNS9_16discard_iteratorINS9_11use_defaultEEESH_EEENSJ_IJSG_SI_EEENS0_18inequality_wrapperINS9_8equal_toIxEEEEPmJSH_EEE10hipError_tPvRmT3_T4_T5_T6_T7_T9_mT8_P12ihipStream_tbDpT10_ENKUlT_T0_E_clISt17integral_constantIbLb1EES1C_IbLb0EEEEDaS18_S19_EUlS18_E_NS1_11comp_targetILNS1_3genE4ELNS1_11target_archE910ELNS1_3gpuE8ELNS1_3repE0EEENS1_30default_config_static_selectorELNS0_4arch9wavefront6targetE0EEEvT1_,"axG",@progbits,_ZN7rocprim17ROCPRIM_400000_NS6detail17trampoline_kernelINS0_14default_configENS1_25partition_config_selectorILNS1_17partition_subalgoE9ExjbEEZZNS1_14partition_implILS5_9ELb0ES3_jN6thrust23THRUST_200600_302600_NS6detail15normal_iteratorINS9_10device_ptrIxEEEENSB_INSC_IjEEEEPNS0_10empty_typeENS0_5tupleIJNS9_16discard_iteratorINS9_11use_defaultEEESH_EEENSJ_IJSG_SI_EEENS0_18inequality_wrapperINS9_8equal_toIxEEEEPmJSH_EEE10hipError_tPvRmT3_T4_T5_T6_T7_T9_mT8_P12ihipStream_tbDpT10_ENKUlT_T0_E_clISt17integral_constantIbLb1EES1C_IbLb0EEEEDaS18_S19_EUlS18_E_NS1_11comp_targetILNS1_3genE4ELNS1_11target_archE910ELNS1_3gpuE8ELNS1_3repE0EEENS1_30default_config_static_selectorELNS0_4arch9wavefront6targetE0EEEvT1_,comdat
.Lfunc_end1063:
	.size	_ZN7rocprim17ROCPRIM_400000_NS6detail17trampoline_kernelINS0_14default_configENS1_25partition_config_selectorILNS1_17partition_subalgoE9ExjbEEZZNS1_14partition_implILS5_9ELb0ES3_jN6thrust23THRUST_200600_302600_NS6detail15normal_iteratorINS9_10device_ptrIxEEEENSB_INSC_IjEEEEPNS0_10empty_typeENS0_5tupleIJNS9_16discard_iteratorINS9_11use_defaultEEESH_EEENSJ_IJSG_SI_EEENS0_18inequality_wrapperINS9_8equal_toIxEEEEPmJSH_EEE10hipError_tPvRmT3_T4_T5_T6_T7_T9_mT8_P12ihipStream_tbDpT10_ENKUlT_T0_E_clISt17integral_constantIbLb1EES1C_IbLb0EEEEDaS18_S19_EUlS18_E_NS1_11comp_targetILNS1_3genE4ELNS1_11target_archE910ELNS1_3gpuE8ELNS1_3repE0EEENS1_30default_config_static_selectorELNS0_4arch9wavefront6targetE0EEEvT1_, .Lfunc_end1063-_ZN7rocprim17ROCPRIM_400000_NS6detail17trampoline_kernelINS0_14default_configENS1_25partition_config_selectorILNS1_17partition_subalgoE9ExjbEEZZNS1_14partition_implILS5_9ELb0ES3_jN6thrust23THRUST_200600_302600_NS6detail15normal_iteratorINS9_10device_ptrIxEEEENSB_INSC_IjEEEEPNS0_10empty_typeENS0_5tupleIJNS9_16discard_iteratorINS9_11use_defaultEEESH_EEENSJ_IJSG_SI_EEENS0_18inequality_wrapperINS9_8equal_toIxEEEEPmJSH_EEE10hipError_tPvRmT3_T4_T5_T6_T7_T9_mT8_P12ihipStream_tbDpT10_ENKUlT_T0_E_clISt17integral_constantIbLb1EES1C_IbLb0EEEEDaS18_S19_EUlS18_E_NS1_11comp_targetILNS1_3genE4ELNS1_11target_archE910ELNS1_3gpuE8ELNS1_3repE0EEENS1_30default_config_static_selectorELNS0_4arch9wavefront6targetE0EEEvT1_
                                        ; -- End function
	.section	.AMDGPU.csdata,"",@progbits
; Kernel info:
; codeLenInByte = 0
; NumSgprs: 0
; NumVgprs: 0
; ScratchSize: 0
; MemoryBound: 0
; FloatMode: 240
; IeeeMode: 1
; LDSByteSize: 0 bytes/workgroup (compile time only)
; SGPRBlocks: 0
; VGPRBlocks: 0
; NumSGPRsForWavesPerEU: 1
; NumVGPRsForWavesPerEU: 1
; Occupancy: 15
; WaveLimiterHint : 0
; COMPUTE_PGM_RSRC2:SCRATCH_EN: 0
; COMPUTE_PGM_RSRC2:USER_SGPR: 15
; COMPUTE_PGM_RSRC2:TRAP_HANDLER: 0
; COMPUTE_PGM_RSRC2:TGID_X_EN: 1
; COMPUTE_PGM_RSRC2:TGID_Y_EN: 0
; COMPUTE_PGM_RSRC2:TGID_Z_EN: 0
; COMPUTE_PGM_RSRC2:TIDIG_COMP_CNT: 0
	.section	.text._ZN7rocprim17ROCPRIM_400000_NS6detail17trampoline_kernelINS0_14default_configENS1_25partition_config_selectorILNS1_17partition_subalgoE9ExjbEEZZNS1_14partition_implILS5_9ELb0ES3_jN6thrust23THRUST_200600_302600_NS6detail15normal_iteratorINS9_10device_ptrIxEEEENSB_INSC_IjEEEEPNS0_10empty_typeENS0_5tupleIJNS9_16discard_iteratorINS9_11use_defaultEEESH_EEENSJ_IJSG_SI_EEENS0_18inequality_wrapperINS9_8equal_toIxEEEEPmJSH_EEE10hipError_tPvRmT3_T4_T5_T6_T7_T9_mT8_P12ihipStream_tbDpT10_ENKUlT_T0_E_clISt17integral_constantIbLb1EES1C_IbLb0EEEEDaS18_S19_EUlS18_E_NS1_11comp_targetILNS1_3genE3ELNS1_11target_archE908ELNS1_3gpuE7ELNS1_3repE0EEENS1_30default_config_static_selectorELNS0_4arch9wavefront6targetE0EEEvT1_,"axG",@progbits,_ZN7rocprim17ROCPRIM_400000_NS6detail17trampoline_kernelINS0_14default_configENS1_25partition_config_selectorILNS1_17partition_subalgoE9ExjbEEZZNS1_14partition_implILS5_9ELb0ES3_jN6thrust23THRUST_200600_302600_NS6detail15normal_iteratorINS9_10device_ptrIxEEEENSB_INSC_IjEEEEPNS0_10empty_typeENS0_5tupleIJNS9_16discard_iteratorINS9_11use_defaultEEESH_EEENSJ_IJSG_SI_EEENS0_18inequality_wrapperINS9_8equal_toIxEEEEPmJSH_EEE10hipError_tPvRmT3_T4_T5_T6_T7_T9_mT8_P12ihipStream_tbDpT10_ENKUlT_T0_E_clISt17integral_constantIbLb1EES1C_IbLb0EEEEDaS18_S19_EUlS18_E_NS1_11comp_targetILNS1_3genE3ELNS1_11target_archE908ELNS1_3gpuE7ELNS1_3repE0EEENS1_30default_config_static_selectorELNS0_4arch9wavefront6targetE0EEEvT1_,comdat
	.protected	_ZN7rocprim17ROCPRIM_400000_NS6detail17trampoline_kernelINS0_14default_configENS1_25partition_config_selectorILNS1_17partition_subalgoE9ExjbEEZZNS1_14partition_implILS5_9ELb0ES3_jN6thrust23THRUST_200600_302600_NS6detail15normal_iteratorINS9_10device_ptrIxEEEENSB_INSC_IjEEEEPNS0_10empty_typeENS0_5tupleIJNS9_16discard_iteratorINS9_11use_defaultEEESH_EEENSJ_IJSG_SI_EEENS0_18inequality_wrapperINS9_8equal_toIxEEEEPmJSH_EEE10hipError_tPvRmT3_T4_T5_T6_T7_T9_mT8_P12ihipStream_tbDpT10_ENKUlT_T0_E_clISt17integral_constantIbLb1EES1C_IbLb0EEEEDaS18_S19_EUlS18_E_NS1_11comp_targetILNS1_3genE3ELNS1_11target_archE908ELNS1_3gpuE7ELNS1_3repE0EEENS1_30default_config_static_selectorELNS0_4arch9wavefront6targetE0EEEvT1_ ; -- Begin function _ZN7rocprim17ROCPRIM_400000_NS6detail17trampoline_kernelINS0_14default_configENS1_25partition_config_selectorILNS1_17partition_subalgoE9ExjbEEZZNS1_14partition_implILS5_9ELb0ES3_jN6thrust23THRUST_200600_302600_NS6detail15normal_iteratorINS9_10device_ptrIxEEEENSB_INSC_IjEEEEPNS0_10empty_typeENS0_5tupleIJNS9_16discard_iteratorINS9_11use_defaultEEESH_EEENSJ_IJSG_SI_EEENS0_18inequality_wrapperINS9_8equal_toIxEEEEPmJSH_EEE10hipError_tPvRmT3_T4_T5_T6_T7_T9_mT8_P12ihipStream_tbDpT10_ENKUlT_T0_E_clISt17integral_constantIbLb1EES1C_IbLb0EEEEDaS18_S19_EUlS18_E_NS1_11comp_targetILNS1_3genE3ELNS1_11target_archE908ELNS1_3gpuE7ELNS1_3repE0EEENS1_30default_config_static_selectorELNS0_4arch9wavefront6targetE0EEEvT1_
	.globl	_ZN7rocprim17ROCPRIM_400000_NS6detail17trampoline_kernelINS0_14default_configENS1_25partition_config_selectorILNS1_17partition_subalgoE9ExjbEEZZNS1_14partition_implILS5_9ELb0ES3_jN6thrust23THRUST_200600_302600_NS6detail15normal_iteratorINS9_10device_ptrIxEEEENSB_INSC_IjEEEEPNS0_10empty_typeENS0_5tupleIJNS9_16discard_iteratorINS9_11use_defaultEEESH_EEENSJ_IJSG_SI_EEENS0_18inequality_wrapperINS9_8equal_toIxEEEEPmJSH_EEE10hipError_tPvRmT3_T4_T5_T6_T7_T9_mT8_P12ihipStream_tbDpT10_ENKUlT_T0_E_clISt17integral_constantIbLb1EES1C_IbLb0EEEEDaS18_S19_EUlS18_E_NS1_11comp_targetILNS1_3genE3ELNS1_11target_archE908ELNS1_3gpuE7ELNS1_3repE0EEENS1_30default_config_static_selectorELNS0_4arch9wavefront6targetE0EEEvT1_
	.p2align	8
	.type	_ZN7rocprim17ROCPRIM_400000_NS6detail17trampoline_kernelINS0_14default_configENS1_25partition_config_selectorILNS1_17partition_subalgoE9ExjbEEZZNS1_14partition_implILS5_9ELb0ES3_jN6thrust23THRUST_200600_302600_NS6detail15normal_iteratorINS9_10device_ptrIxEEEENSB_INSC_IjEEEEPNS0_10empty_typeENS0_5tupleIJNS9_16discard_iteratorINS9_11use_defaultEEESH_EEENSJ_IJSG_SI_EEENS0_18inequality_wrapperINS9_8equal_toIxEEEEPmJSH_EEE10hipError_tPvRmT3_T4_T5_T6_T7_T9_mT8_P12ihipStream_tbDpT10_ENKUlT_T0_E_clISt17integral_constantIbLb1EES1C_IbLb0EEEEDaS18_S19_EUlS18_E_NS1_11comp_targetILNS1_3genE3ELNS1_11target_archE908ELNS1_3gpuE7ELNS1_3repE0EEENS1_30default_config_static_selectorELNS0_4arch9wavefront6targetE0EEEvT1_,@function
_ZN7rocprim17ROCPRIM_400000_NS6detail17trampoline_kernelINS0_14default_configENS1_25partition_config_selectorILNS1_17partition_subalgoE9ExjbEEZZNS1_14partition_implILS5_9ELb0ES3_jN6thrust23THRUST_200600_302600_NS6detail15normal_iteratorINS9_10device_ptrIxEEEENSB_INSC_IjEEEEPNS0_10empty_typeENS0_5tupleIJNS9_16discard_iteratorINS9_11use_defaultEEESH_EEENSJ_IJSG_SI_EEENS0_18inequality_wrapperINS9_8equal_toIxEEEEPmJSH_EEE10hipError_tPvRmT3_T4_T5_T6_T7_T9_mT8_P12ihipStream_tbDpT10_ENKUlT_T0_E_clISt17integral_constantIbLb1EES1C_IbLb0EEEEDaS18_S19_EUlS18_E_NS1_11comp_targetILNS1_3genE3ELNS1_11target_archE908ELNS1_3gpuE7ELNS1_3repE0EEENS1_30default_config_static_selectorELNS0_4arch9wavefront6targetE0EEEvT1_: ; @_ZN7rocprim17ROCPRIM_400000_NS6detail17trampoline_kernelINS0_14default_configENS1_25partition_config_selectorILNS1_17partition_subalgoE9ExjbEEZZNS1_14partition_implILS5_9ELb0ES3_jN6thrust23THRUST_200600_302600_NS6detail15normal_iteratorINS9_10device_ptrIxEEEENSB_INSC_IjEEEEPNS0_10empty_typeENS0_5tupleIJNS9_16discard_iteratorINS9_11use_defaultEEESH_EEENSJ_IJSG_SI_EEENS0_18inequality_wrapperINS9_8equal_toIxEEEEPmJSH_EEE10hipError_tPvRmT3_T4_T5_T6_T7_T9_mT8_P12ihipStream_tbDpT10_ENKUlT_T0_E_clISt17integral_constantIbLb1EES1C_IbLb0EEEEDaS18_S19_EUlS18_E_NS1_11comp_targetILNS1_3genE3ELNS1_11target_archE908ELNS1_3gpuE7ELNS1_3repE0EEENS1_30default_config_static_selectorELNS0_4arch9wavefront6targetE0EEEvT1_
; %bb.0:
	.section	.rodata,"a",@progbits
	.p2align	6, 0x0
	.amdhsa_kernel _ZN7rocprim17ROCPRIM_400000_NS6detail17trampoline_kernelINS0_14default_configENS1_25partition_config_selectorILNS1_17partition_subalgoE9ExjbEEZZNS1_14partition_implILS5_9ELb0ES3_jN6thrust23THRUST_200600_302600_NS6detail15normal_iteratorINS9_10device_ptrIxEEEENSB_INSC_IjEEEEPNS0_10empty_typeENS0_5tupleIJNS9_16discard_iteratorINS9_11use_defaultEEESH_EEENSJ_IJSG_SI_EEENS0_18inequality_wrapperINS9_8equal_toIxEEEEPmJSH_EEE10hipError_tPvRmT3_T4_T5_T6_T7_T9_mT8_P12ihipStream_tbDpT10_ENKUlT_T0_E_clISt17integral_constantIbLb1EES1C_IbLb0EEEEDaS18_S19_EUlS18_E_NS1_11comp_targetILNS1_3genE3ELNS1_11target_archE908ELNS1_3gpuE7ELNS1_3repE0EEENS1_30default_config_static_selectorELNS0_4arch9wavefront6targetE0EEEvT1_
		.amdhsa_group_segment_fixed_size 0
		.amdhsa_private_segment_fixed_size 0
		.amdhsa_kernarg_size 120
		.amdhsa_user_sgpr_count 15
		.amdhsa_user_sgpr_dispatch_ptr 0
		.amdhsa_user_sgpr_queue_ptr 0
		.amdhsa_user_sgpr_kernarg_segment_ptr 1
		.amdhsa_user_sgpr_dispatch_id 0
		.amdhsa_user_sgpr_private_segment_size 0
		.amdhsa_wavefront_size32 1
		.amdhsa_uses_dynamic_stack 0
		.amdhsa_enable_private_segment 0
		.amdhsa_system_sgpr_workgroup_id_x 1
		.amdhsa_system_sgpr_workgroup_id_y 0
		.amdhsa_system_sgpr_workgroup_id_z 0
		.amdhsa_system_sgpr_workgroup_info 0
		.amdhsa_system_vgpr_workitem_id 0
		.amdhsa_next_free_vgpr 1
		.amdhsa_next_free_sgpr 1
		.amdhsa_reserve_vcc 0
		.amdhsa_float_round_mode_32 0
		.amdhsa_float_round_mode_16_64 0
		.amdhsa_float_denorm_mode_32 3
		.amdhsa_float_denorm_mode_16_64 3
		.amdhsa_dx10_clamp 1
		.amdhsa_ieee_mode 1
		.amdhsa_fp16_overflow 0
		.amdhsa_workgroup_processor_mode 1
		.amdhsa_memory_ordered 1
		.amdhsa_forward_progress 0
		.amdhsa_shared_vgpr_count 0
		.amdhsa_exception_fp_ieee_invalid_op 0
		.amdhsa_exception_fp_denorm_src 0
		.amdhsa_exception_fp_ieee_div_zero 0
		.amdhsa_exception_fp_ieee_overflow 0
		.amdhsa_exception_fp_ieee_underflow 0
		.amdhsa_exception_fp_ieee_inexact 0
		.amdhsa_exception_int_div_zero 0
	.end_amdhsa_kernel
	.section	.text._ZN7rocprim17ROCPRIM_400000_NS6detail17trampoline_kernelINS0_14default_configENS1_25partition_config_selectorILNS1_17partition_subalgoE9ExjbEEZZNS1_14partition_implILS5_9ELb0ES3_jN6thrust23THRUST_200600_302600_NS6detail15normal_iteratorINS9_10device_ptrIxEEEENSB_INSC_IjEEEEPNS0_10empty_typeENS0_5tupleIJNS9_16discard_iteratorINS9_11use_defaultEEESH_EEENSJ_IJSG_SI_EEENS0_18inequality_wrapperINS9_8equal_toIxEEEEPmJSH_EEE10hipError_tPvRmT3_T4_T5_T6_T7_T9_mT8_P12ihipStream_tbDpT10_ENKUlT_T0_E_clISt17integral_constantIbLb1EES1C_IbLb0EEEEDaS18_S19_EUlS18_E_NS1_11comp_targetILNS1_3genE3ELNS1_11target_archE908ELNS1_3gpuE7ELNS1_3repE0EEENS1_30default_config_static_selectorELNS0_4arch9wavefront6targetE0EEEvT1_,"axG",@progbits,_ZN7rocprim17ROCPRIM_400000_NS6detail17trampoline_kernelINS0_14default_configENS1_25partition_config_selectorILNS1_17partition_subalgoE9ExjbEEZZNS1_14partition_implILS5_9ELb0ES3_jN6thrust23THRUST_200600_302600_NS6detail15normal_iteratorINS9_10device_ptrIxEEEENSB_INSC_IjEEEEPNS0_10empty_typeENS0_5tupleIJNS9_16discard_iteratorINS9_11use_defaultEEESH_EEENSJ_IJSG_SI_EEENS0_18inequality_wrapperINS9_8equal_toIxEEEEPmJSH_EEE10hipError_tPvRmT3_T4_T5_T6_T7_T9_mT8_P12ihipStream_tbDpT10_ENKUlT_T0_E_clISt17integral_constantIbLb1EES1C_IbLb0EEEEDaS18_S19_EUlS18_E_NS1_11comp_targetILNS1_3genE3ELNS1_11target_archE908ELNS1_3gpuE7ELNS1_3repE0EEENS1_30default_config_static_selectorELNS0_4arch9wavefront6targetE0EEEvT1_,comdat
.Lfunc_end1064:
	.size	_ZN7rocprim17ROCPRIM_400000_NS6detail17trampoline_kernelINS0_14default_configENS1_25partition_config_selectorILNS1_17partition_subalgoE9ExjbEEZZNS1_14partition_implILS5_9ELb0ES3_jN6thrust23THRUST_200600_302600_NS6detail15normal_iteratorINS9_10device_ptrIxEEEENSB_INSC_IjEEEEPNS0_10empty_typeENS0_5tupleIJNS9_16discard_iteratorINS9_11use_defaultEEESH_EEENSJ_IJSG_SI_EEENS0_18inequality_wrapperINS9_8equal_toIxEEEEPmJSH_EEE10hipError_tPvRmT3_T4_T5_T6_T7_T9_mT8_P12ihipStream_tbDpT10_ENKUlT_T0_E_clISt17integral_constantIbLb1EES1C_IbLb0EEEEDaS18_S19_EUlS18_E_NS1_11comp_targetILNS1_3genE3ELNS1_11target_archE908ELNS1_3gpuE7ELNS1_3repE0EEENS1_30default_config_static_selectorELNS0_4arch9wavefront6targetE0EEEvT1_, .Lfunc_end1064-_ZN7rocprim17ROCPRIM_400000_NS6detail17trampoline_kernelINS0_14default_configENS1_25partition_config_selectorILNS1_17partition_subalgoE9ExjbEEZZNS1_14partition_implILS5_9ELb0ES3_jN6thrust23THRUST_200600_302600_NS6detail15normal_iteratorINS9_10device_ptrIxEEEENSB_INSC_IjEEEEPNS0_10empty_typeENS0_5tupleIJNS9_16discard_iteratorINS9_11use_defaultEEESH_EEENSJ_IJSG_SI_EEENS0_18inequality_wrapperINS9_8equal_toIxEEEEPmJSH_EEE10hipError_tPvRmT3_T4_T5_T6_T7_T9_mT8_P12ihipStream_tbDpT10_ENKUlT_T0_E_clISt17integral_constantIbLb1EES1C_IbLb0EEEEDaS18_S19_EUlS18_E_NS1_11comp_targetILNS1_3genE3ELNS1_11target_archE908ELNS1_3gpuE7ELNS1_3repE0EEENS1_30default_config_static_selectorELNS0_4arch9wavefront6targetE0EEEvT1_
                                        ; -- End function
	.section	.AMDGPU.csdata,"",@progbits
; Kernel info:
; codeLenInByte = 0
; NumSgprs: 0
; NumVgprs: 0
; ScratchSize: 0
; MemoryBound: 0
; FloatMode: 240
; IeeeMode: 1
; LDSByteSize: 0 bytes/workgroup (compile time only)
; SGPRBlocks: 0
; VGPRBlocks: 0
; NumSGPRsForWavesPerEU: 1
; NumVGPRsForWavesPerEU: 1
; Occupancy: 16
; WaveLimiterHint : 0
; COMPUTE_PGM_RSRC2:SCRATCH_EN: 0
; COMPUTE_PGM_RSRC2:USER_SGPR: 15
; COMPUTE_PGM_RSRC2:TRAP_HANDLER: 0
; COMPUTE_PGM_RSRC2:TGID_X_EN: 1
; COMPUTE_PGM_RSRC2:TGID_Y_EN: 0
; COMPUTE_PGM_RSRC2:TGID_Z_EN: 0
; COMPUTE_PGM_RSRC2:TIDIG_COMP_CNT: 0
	.section	.text._ZN7rocprim17ROCPRIM_400000_NS6detail17trampoline_kernelINS0_14default_configENS1_25partition_config_selectorILNS1_17partition_subalgoE9ExjbEEZZNS1_14partition_implILS5_9ELb0ES3_jN6thrust23THRUST_200600_302600_NS6detail15normal_iteratorINS9_10device_ptrIxEEEENSB_INSC_IjEEEEPNS0_10empty_typeENS0_5tupleIJNS9_16discard_iteratorINS9_11use_defaultEEESH_EEENSJ_IJSG_SI_EEENS0_18inequality_wrapperINS9_8equal_toIxEEEEPmJSH_EEE10hipError_tPvRmT3_T4_T5_T6_T7_T9_mT8_P12ihipStream_tbDpT10_ENKUlT_T0_E_clISt17integral_constantIbLb1EES1C_IbLb0EEEEDaS18_S19_EUlS18_E_NS1_11comp_targetILNS1_3genE2ELNS1_11target_archE906ELNS1_3gpuE6ELNS1_3repE0EEENS1_30default_config_static_selectorELNS0_4arch9wavefront6targetE0EEEvT1_,"axG",@progbits,_ZN7rocprim17ROCPRIM_400000_NS6detail17trampoline_kernelINS0_14default_configENS1_25partition_config_selectorILNS1_17partition_subalgoE9ExjbEEZZNS1_14partition_implILS5_9ELb0ES3_jN6thrust23THRUST_200600_302600_NS6detail15normal_iteratorINS9_10device_ptrIxEEEENSB_INSC_IjEEEEPNS0_10empty_typeENS0_5tupleIJNS9_16discard_iteratorINS9_11use_defaultEEESH_EEENSJ_IJSG_SI_EEENS0_18inequality_wrapperINS9_8equal_toIxEEEEPmJSH_EEE10hipError_tPvRmT3_T4_T5_T6_T7_T9_mT8_P12ihipStream_tbDpT10_ENKUlT_T0_E_clISt17integral_constantIbLb1EES1C_IbLb0EEEEDaS18_S19_EUlS18_E_NS1_11comp_targetILNS1_3genE2ELNS1_11target_archE906ELNS1_3gpuE6ELNS1_3repE0EEENS1_30default_config_static_selectorELNS0_4arch9wavefront6targetE0EEEvT1_,comdat
	.protected	_ZN7rocprim17ROCPRIM_400000_NS6detail17trampoline_kernelINS0_14default_configENS1_25partition_config_selectorILNS1_17partition_subalgoE9ExjbEEZZNS1_14partition_implILS5_9ELb0ES3_jN6thrust23THRUST_200600_302600_NS6detail15normal_iteratorINS9_10device_ptrIxEEEENSB_INSC_IjEEEEPNS0_10empty_typeENS0_5tupleIJNS9_16discard_iteratorINS9_11use_defaultEEESH_EEENSJ_IJSG_SI_EEENS0_18inequality_wrapperINS9_8equal_toIxEEEEPmJSH_EEE10hipError_tPvRmT3_T4_T5_T6_T7_T9_mT8_P12ihipStream_tbDpT10_ENKUlT_T0_E_clISt17integral_constantIbLb1EES1C_IbLb0EEEEDaS18_S19_EUlS18_E_NS1_11comp_targetILNS1_3genE2ELNS1_11target_archE906ELNS1_3gpuE6ELNS1_3repE0EEENS1_30default_config_static_selectorELNS0_4arch9wavefront6targetE0EEEvT1_ ; -- Begin function _ZN7rocprim17ROCPRIM_400000_NS6detail17trampoline_kernelINS0_14default_configENS1_25partition_config_selectorILNS1_17partition_subalgoE9ExjbEEZZNS1_14partition_implILS5_9ELb0ES3_jN6thrust23THRUST_200600_302600_NS6detail15normal_iteratorINS9_10device_ptrIxEEEENSB_INSC_IjEEEEPNS0_10empty_typeENS0_5tupleIJNS9_16discard_iteratorINS9_11use_defaultEEESH_EEENSJ_IJSG_SI_EEENS0_18inequality_wrapperINS9_8equal_toIxEEEEPmJSH_EEE10hipError_tPvRmT3_T4_T5_T6_T7_T9_mT8_P12ihipStream_tbDpT10_ENKUlT_T0_E_clISt17integral_constantIbLb1EES1C_IbLb0EEEEDaS18_S19_EUlS18_E_NS1_11comp_targetILNS1_3genE2ELNS1_11target_archE906ELNS1_3gpuE6ELNS1_3repE0EEENS1_30default_config_static_selectorELNS0_4arch9wavefront6targetE0EEEvT1_
	.globl	_ZN7rocprim17ROCPRIM_400000_NS6detail17trampoline_kernelINS0_14default_configENS1_25partition_config_selectorILNS1_17partition_subalgoE9ExjbEEZZNS1_14partition_implILS5_9ELb0ES3_jN6thrust23THRUST_200600_302600_NS6detail15normal_iteratorINS9_10device_ptrIxEEEENSB_INSC_IjEEEEPNS0_10empty_typeENS0_5tupleIJNS9_16discard_iteratorINS9_11use_defaultEEESH_EEENSJ_IJSG_SI_EEENS0_18inequality_wrapperINS9_8equal_toIxEEEEPmJSH_EEE10hipError_tPvRmT3_T4_T5_T6_T7_T9_mT8_P12ihipStream_tbDpT10_ENKUlT_T0_E_clISt17integral_constantIbLb1EES1C_IbLb0EEEEDaS18_S19_EUlS18_E_NS1_11comp_targetILNS1_3genE2ELNS1_11target_archE906ELNS1_3gpuE6ELNS1_3repE0EEENS1_30default_config_static_selectorELNS0_4arch9wavefront6targetE0EEEvT1_
	.p2align	8
	.type	_ZN7rocprim17ROCPRIM_400000_NS6detail17trampoline_kernelINS0_14default_configENS1_25partition_config_selectorILNS1_17partition_subalgoE9ExjbEEZZNS1_14partition_implILS5_9ELb0ES3_jN6thrust23THRUST_200600_302600_NS6detail15normal_iteratorINS9_10device_ptrIxEEEENSB_INSC_IjEEEEPNS0_10empty_typeENS0_5tupleIJNS9_16discard_iteratorINS9_11use_defaultEEESH_EEENSJ_IJSG_SI_EEENS0_18inequality_wrapperINS9_8equal_toIxEEEEPmJSH_EEE10hipError_tPvRmT3_T4_T5_T6_T7_T9_mT8_P12ihipStream_tbDpT10_ENKUlT_T0_E_clISt17integral_constantIbLb1EES1C_IbLb0EEEEDaS18_S19_EUlS18_E_NS1_11comp_targetILNS1_3genE2ELNS1_11target_archE906ELNS1_3gpuE6ELNS1_3repE0EEENS1_30default_config_static_selectorELNS0_4arch9wavefront6targetE0EEEvT1_,@function
_ZN7rocprim17ROCPRIM_400000_NS6detail17trampoline_kernelINS0_14default_configENS1_25partition_config_selectorILNS1_17partition_subalgoE9ExjbEEZZNS1_14partition_implILS5_9ELb0ES3_jN6thrust23THRUST_200600_302600_NS6detail15normal_iteratorINS9_10device_ptrIxEEEENSB_INSC_IjEEEEPNS0_10empty_typeENS0_5tupleIJNS9_16discard_iteratorINS9_11use_defaultEEESH_EEENSJ_IJSG_SI_EEENS0_18inequality_wrapperINS9_8equal_toIxEEEEPmJSH_EEE10hipError_tPvRmT3_T4_T5_T6_T7_T9_mT8_P12ihipStream_tbDpT10_ENKUlT_T0_E_clISt17integral_constantIbLb1EES1C_IbLb0EEEEDaS18_S19_EUlS18_E_NS1_11comp_targetILNS1_3genE2ELNS1_11target_archE906ELNS1_3gpuE6ELNS1_3repE0EEENS1_30default_config_static_selectorELNS0_4arch9wavefront6targetE0EEEvT1_: ; @_ZN7rocprim17ROCPRIM_400000_NS6detail17trampoline_kernelINS0_14default_configENS1_25partition_config_selectorILNS1_17partition_subalgoE9ExjbEEZZNS1_14partition_implILS5_9ELb0ES3_jN6thrust23THRUST_200600_302600_NS6detail15normal_iteratorINS9_10device_ptrIxEEEENSB_INSC_IjEEEEPNS0_10empty_typeENS0_5tupleIJNS9_16discard_iteratorINS9_11use_defaultEEESH_EEENSJ_IJSG_SI_EEENS0_18inequality_wrapperINS9_8equal_toIxEEEEPmJSH_EEE10hipError_tPvRmT3_T4_T5_T6_T7_T9_mT8_P12ihipStream_tbDpT10_ENKUlT_T0_E_clISt17integral_constantIbLb1EES1C_IbLb0EEEEDaS18_S19_EUlS18_E_NS1_11comp_targetILNS1_3genE2ELNS1_11target_archE906ELNS1_3gpuE6ELNS1_3repE0EEENS1_30default_config_static_selectorELNS0_4arch9wavefront6targetE0EEEvT1_
; %bb.0:
	.section	.rodata,"a",@progbits
	.p2align	6, 0x0
	.amdhsa_kernel _ZN7rocprim17ROCPRIM_400000_NS6detail17trampoline_kernelINS0_14default_configENS1_25partition_config_selectorILNS1_17partition_subalgoE9ExjbEEZZNS1_14partition_implILS5_9ELb0ES3_jN6thrust23THRUST_200600_302600_NS6detail15normal_iteratorINS9_10device_ptrIxEEEENSB_INSC_IjEEEEPNS0_10empty_typeENS0_5tupleIJNS9_16discard_iteratorINS9_11use_defaultEEESH_EEENSJ_IJSG_SI_EEENS0_18inequality_wrapperINS9_8equal_toIxEEEEPmJSH_EEE10hipError_tPvRmT3_T4_T5_T6_T7_T9_mT8_P12ihipStream_tbDpT10_ENKUlT_T0_E_clISt17integral_constantIbLb1EES1C_IbLb0EEEEDaS18_S19_EUlS18_E_NS1_11comp_targetILNS1_3genE2ELNS1_11target_archE906ELNS1_3gpuE6ELNS1_3repE0EEENS1_30default_config_static_selectorELNS0_4arch9wavefront6targetE0EEEvT1_
		.amdhsa_group_segment_fixed_size 0
		.amdhsa_private_segment_fixed_size 0
		.amdhsa_kernarg_size 120
		.amdhsa_user_sgpr_count 15
		.amdhsa_user_sgpr_dispatch_ptr 0
		.amdhsa_user_sgpr_queue_ptr 0
		.amdhsa_user_sgpr_kernarg_segment_ptr 1
		.amdhsa_user_sgpr_dispatch_id 0
		.amdhsa_user_sgpr_private_segment_size 0
		.amdhsa_wavefront_size32 1
		.amdhsa_uses_dynamic_stack 0
		.amdhsa_enable_private_segment 0
		.amdhsa_system_sgpr_workgroup_id_x 1
		.amdhsa_system_sgpr_workgroup_id_y 0
		.amdhsa_system_sgpr_workgroup_id_z 0
		.amdhsa_system_sgpr_workgroup_info 0
		.amdhsa_system_vgpr_workitem_id 0
		.amdhsa_next_free_vgpr 1
		.amdhsa_next_free_sgpr 1
		.amdhsa_reserve_vcc 0
		.amdhsa_float_round_mode_32 0
		.amdhsa_float_round_mode_16_64 0
		.amdhsa_float_denorm_mode_32 3
		.amdhsa_float_denorm_mode_16_64 3
		.amdhsa_dx10_clamp 1
		.amdhsa_ieee_mode 1
		.amdhsa_fp16_overflow 0
		.amdhsa_workgroup_processor_mode 1
		.amdhsa_memory_ordered 1
		.amdhsa_forward_progress 0
		.amdhsa_shared_vgpr_count 0
		.amdhsa_exception_fp_ieee_invalid_op 0
		.amdhsa_exception_fp_denorm_src 0
		.amdhsa_exception_fp_ieee_div_zero 0
		.amdhsa_exception_fp_ieee_overflow 0
		.amdhsa_exception_fp_ieee_underflow 0
		.amdhsa_exception_fp_ieee_inexact 0
		.amdhsa_exception_int_div_zero 0
	.end_amdhsa_kernel
	.section	.text._ZN7rocprim17ROCPRIM_400000_NS6detail17trampoline_kernelINS0_14default_configENS1_25partition_config_selectorILNS1_17partition_subalgoE9ExjbEEZZNS1_14partition_implILS5_9ELb0ES3_jN6thrust23THRUST_200600_302600_NS6detail15normal_iteratorINS9_10device_ptrIxEEEENSB_INSC_IjEEEEPNS0_10empty_typeENS0_5tupleIJNS9_16discard_iteratorINS9_11use_defaultEEESH_EEENSJ_IJSG_SI_EEENS0_18inequality_wrapperINS9_8equal_toIxEEEEPmJSH_EEE10hipError_tPvRmT3_T4_T5_T6_T7_T9_mT8_P12ihipStream_tbDpT10_ENKUlT_T0_E_clISt17integral_constantIbLb1EES1C_IbLb0EEEEDaS18_S19_EUlS18_E_NS1_11comp_targetILNS1_3genE2ELNS1_11target_archE906ELNS1_3gpuE6ELNS1_3repE0EEENS1_30default_config_static_selectorELNS0_4arch9wavefront6targetE0EEEvT1_,"axG",@progbits,_ZN7rocprim17ROCPRIM_400000_NS6detail17trampoline_kernelINS0_14default_configENS1_25partition_config_selectorILNS1_17partition_subalgoE9ExjbEEZZNS1_14partition_implILS5_9ELb0ES3_jN6thrust23THRUST_200600_302600_NS6detail15normal_iteratorINS9_10device_ptrIxEEEENSB_INSC_IjEEEEPNS0_10empty_typeENS0_5tupleIJNS9_16discard_iteratorINS9_11use_defaultEEESH_EEENSJ_IJSG_SI_EEENS0_18inequality_wrapperINS9_8equal_toIxEEEEPmJSH_EEE10hipError_tPvRmT3_T4_T5_T6_T7_T9_mT8_P12ihipStream_tbDpT10_ENKUlT_T0_E_clISt17integral_constantIbLb1EES1C_IbLb0EEEEDaS18_S19_EUlS18_E_NS1_11comp_targetILNS1_3genE2ELNS1_11target_archE906ELNS1_3gpuE6ELNS1_3repE0EEENS1_30default_config_static_selectorELNS0_4arch9wavefront6targetE0EEEvT1_,comdat
.Lfunc_end1065:
	.size	_ZN7rocprim17ROCPRIM_400000_NS6detail17trampoline_kernelINS0_14default_configENS1_25partition_config_selectorILNS1_17partition_subalgoE9ExjbEEZZNS1_14partition_implILS5_9ELb0ES3_jN6thrust23THRUST_200600_302600_NS6detail15normal_iteratorINS9_10device_ptrIxEEEENSB_INSC_IjEEEEPNS0_10empty_typeENS0_5tupleIJNS9_16discard_iteratorINS9_11use_defaultEEESH_EEENSJ_IJSG_SI_EEENS0_18inequality_wrapperINS9_8equal_toIxEEEEPmJSH_EEE10hipError_tPvRmT3_T4_T5_T6_T7_T9_mT8_P12ihipStream_tbDpT10_ENKUlT_T0_E_clISt17integral_constantIbLb1EES1C_IbLb0EEEEDaS18_S19_EUlS18_E_NS1_11comp_targetILNS1_3genE2ELNS1_11target_archE906ELNS1_3gpuE6ELNS1_3repE0EEENS1_30default_config_static_selectorELNS0_4arch9wavefront6targetE0EEEvT1_, .Lfunc_end1065-_ZN7rocprim17ROCPRIM_400000_NS6detail17trampoline_kernelINS0_14default_configENS1_25partition_config_selectorILNS1_17partition_subalgoE9ExjbEEZZNS1_14partition_implILS5_9ELb0ES3_jN6thrust23THRUST_200600_302600_NS6detail15normal_iteratorINS9_10device_ptrIxEEEENSB_INSC_IjEEEEPNS0_10empty_typeENS0_5tupleIJNS9_16discard_iteratorINS9_11use_defaultEEESH_EEENSJ_IJSG_SI_EEENS0_18inequality_wrapperINS9_8equal_toIxEEEEPmJSH_EEE10hipError_tPvRmT3_T4_T5_T6_T7_T9_mT8_P12ihipStream_tbDpT10_ENKUlT_T0_E_clISt17integral_constantIbLb1EES1C_IbLb0EEEEDaS18_S19_EUlS18_E_NS1_11comp_targetILNS1_3genE2ELNS1_11target_archE906ELNS1_3gpuE6ELNS1_3repE0EEENS1_30default_config_static_selectorELNS0_4arch9wavefront6targetE0EEEvT1_
                                        ; -- End function
	.section	.AMDGPU.csdata,"",@progbits
; Kernel info:
; codeLenInByte = 0
; NumSgprs: 0
; NumVgprs: 0
; ScratchSize: 0
; MemoryBound: 0
; FloatMode: 240
; IeeeMode: 1
; LDSByteSize: 0 bytes/workgroup (compile time only)
; SGPRBlocks: 0
; VGPRBlocks: 0
; NumSGPRsForWavesPerEU: 1
; NumVGPRsForWavesPerEU: 1
; Occupancy: 16
; WaveLimiterHint : 0
; COMPUTE_PGM_RSRC2:SCRATCH_EN: 0
; COMPUTE_PGM_RSRC2:USER_SGPR: 15
; COMPUTE_PGM_RSRC2:TRAP_HANDLER: 0
; COMPUTE_PGM_RSRC2:TGID_X_EN: 1
; COMPUTE_PGM_RSRC2:TGID_Y_EN: 0
; COMPUTE_PGM_RSRC2:TGID_Z_EN: 0
; COMPUTE_PGM_RSRC2:TIDIG_COMP_CNT: 0
	.section	.text._ZN7rocprim17ROCPRIM_400000_NS6detail17trampoline_kernelINS0_14default_configENS1_25partition_config_selectorILNS1_17partition_subalgoE9ExjbEEZZNS1_14partition_implILS5_9ELb0ES3_jN6thrust23THRUST_200600_302600_NS6detail15normal_iteratorINS9_10device_ptrIxEEEENSB_INSC_IjEEEEPNS0_10empty_typeENS0_5tupleIJNS9_16discard_iteratorINS9_11use_defaultEEESH_EEENSJ_IJSG_SI_EEENS0_18inequality_wrapperINS9_8equal_toIxEEEEPmJSH_EEE10hipError_tPvRmT3_T4_T5_T6_T7_T9_mT8_P12ihipStream_tbDpT10_ENKUlT_T0_E_clISt17integral_constantIbLb1EES1C_IbLb0EEEEDaS18_S19_EUlS18_E_NS1_11comp_targetILNS1_3genE10ELNS1_11target_archE1200ELNS1_3gpuE4ELNS1_3repE0EEENS1_30default_config_static_selectorELNS0_4arch9wavefront6targetE0EEEvT1_,"axG",@progbits,_ZN7rocprim17ROCPRIM_400000_NS6detail17trampoline_kernelINS0_14default_configENS1_25partition_config_selectorILNS1_17partition_subalgoE9ExjbEEZZNS1_14partition_implILS5_9ELb0ES3_jN6thrust23THRUST_200600_302600_NS6detail15normal_iteratorINS9_10device_ptrIxEEEENSB_INSC_IjEEEEPNS0_10empty_typeENS0_5tupleIJNS9_16discard_iteratorINS9_11use_defaultEEESH_EEENSJ_IJSG_SI_EEENS0_18inequality_wrapperINS9_8equal_toIxEEEEPmJSH_EEE10hipError_tPvRmT3_T4_T5_T6_T7_T9_mT8_P12ihipStream_tbDpT10_ENKUlT_T0_E_clISt17integral_constantIbLb1EES1C_IbLb0EEEEDaS18_S19_EUlS18_E_NS1_11comp_targetILNS1_3genE10ELNS1_11target_archE1200ELNS1_3gpuE4ELNS1_3repE0EEENS1_30default_config_static_selectorELNS0_4arch9wavefront6targetE0EEEvT1_,comdat
	.protected	_ZN7rocprim17ROCPRIM_400000_NS6detail17trampoline_kernelINS0_14default_configENS1_25partition_config_selectorILNS1_17partition_subalgoE9ExjbEEZZNS1_14partition_implILS5_9ELb0ES3_jN6thrust23THRUST_200600_302600_NS6detail15normal_iteratorINS9_10device_ptrIxEEEENSB_INSC_IjEEEEPNS0_10empty_typeENS0_5tupleIJNS9_16discard_iteratorINS9_11use_defaultEEESH_EEENSJ_IJSG_SI_EEENS0_18inequality_wrapperINS9_8equal_toIxEEEEPmJSH_EEE10hipError_tPvRmT3_T4_T5_T6_T7_T9_mT8_P12ihipStream_tbDpT10_ENKUlT_T0_E_clISt17integral_constantIbLb1EES1C_IbLb0EEEEDaS18_S19_EUlS18_E_NS1_11comp_targetILNS1_3genE10ELNS1_11target_archE1200ELNS1_3gpuE4ELNS1_3repE0EEENS1_30default_config_static_selectorELNS0_4arch9wavefront6targetE0EEEvT1_ ; -- Begin function _ZN7rocprim17ROCPRIM_400000_NS6detail17trampoline_kernelINS0_14default_configENS1_25partition_config_selectorILNS1_17partition_subalgoE9ExjbEEZZNS1_14partition_implILS5_9ELb0ES3_jN6thrust23THRUST_200600_302600_NS6detail15normal_iteratorINS9_10device_ptrIxEEEENSB_INSC_IjEEEEPNS0_10empty_typeENS0_5tupleIJNS9_16discard_iteratorINS9_11use_defaultEEESH_EEENSJ_IJSG_SI_EEENS0_18inequality_wrapperINS9_8equal_toIxEEEEPmJSH_EEE10hipError_tPvRmT3_T4_T5_T6_T7_T9_mT8_P12ihipStream_tbDpT10_ENKUlT_T0_E_clISt17integral_constantIbLb1EES1C_IbLb0EEEEDaS18_S19_EUlS18_E_NS1_11comp_targetILNS1_3genE10ELNS1_11target_archE1200ELNS1_3gpuE4ELNS1_3repE0EEENS1_30default_config_static_selectorELNS0_4arch9wavefront6targetE0EEEvT1_
	.globl	_ZN7rocprim17ROCPRIM_400000_NS6detail17trampoline_kernelINS0_14default_configENS1_25partition_config_selectorILNS1_17partition_subalgoE9ExjbEEZZNS1_14partition_implILS5_9ELb0ES3_jN6thrust23THRUST_200600_302600_NS6detail15normal_iteratorINS9_10device_ptrIxEEEENSB_INSC_IjEEEEPNS0_10empty_typeENS0_5tupleIJNS9_16discard_iteratorINS9_11use_defaultEEESH_EEENSJ_IJSG_SI_EEENS0_18inequality_wrapperINS9_8equal_toIxEEEEPmJSH_EEE10hipError_tPvRmT3_T4_T5_T6_T7_T9_mT8_P12ihipStream_tbDpT10_ENKUlT_T0_E_clISt17integral_constantIbLb1EES1C_IbLb0EEEEDaS18_S19_EUlS18_E_NS1_11comp_targetILNS1_3genE10ELNS1_11target_archE1200ELNS1_3gpuE4ELNS1_3repE0EEENS1_30default_config_static_selectorELNS0_4arch9wavefront6targetE0EEEvT1_
	.p2align	8
	.type	_ZN7rocprim17ROCPRIM_400000_NS6detail17trampoline_kernelINS0_14default_configENS1_25partition_config_selectorILNS1_17partition_subalgoE9ExjbEEZZNS1_14partition_implILS5_9ELb0ES3_jN6thrust23THRUST_200600_302600_NS6detail15normal_iteratorINS9_10device_ptrIxEEEENSB_INSC_IjEEEEPNS0_10empty_typeENS0_5tupleIJNS9_16discard_iteratorINS9_11use_defaultEEESH_EEENSJ_IJSG_SI_EEENS0_18inequality_wrapperINS9_8equal_toIxEEEEPmJSH_EEE10hipError_tPvRmT3_T4_T5_T6_T7_T9_mT8_P12ihipStream_tbDpT10_ENKUlT_T0_E_clISt17integral_constantIbLb1EES1C_IbLb0EEEEDaS18_S19_EUlS18_E_NS1_11comp_targetILNS1_3genE10ELNS1_11target_archE1200ELNS1_3gpuE4ELNS1_3repE0EEENS1_30default_config_static_selectorELNS0_4arch9wavefront6targetE0EEEvT1_,@function
_ZN7rocprim17ROCPRIM_400000_NS6detail17trampoline_kernelINS0_14default_configENS1_25partition_config_selectorILNS1_17partition_subalgoE9ExjbEEZZNS1_14partition_implILS5_9ELb0ES3_jN6thrust23THRUST_200600_302600_NS6detail15normal_iteratorINS9_10device_ptrIxEEEENSB_INSC_IjEEEEPNS0_10empty_typeENS0_5tupleIJNS9_16discard_iteratorINS9_11use_defaultEEESH_EEENSJ_IJSG_SI_EEENS0_18inequality_wrapperINS9_8equal_toIxEEEEPmJSH_EEE10hipError_tPvRmT3_T4_T5_T6_T7_T9_mT8_P12ihipStream_tbDpT10_ENKUlT_T0_E_clISt17integral_constantIbLb1EES1C_IbLb0EEEEDaS18_S19_EUlS18_E_NS1_11comp_targetILNS1_3genE10ELNS1_11target_archE1200ELNS1_3gpuE4ELNS1_3repE0EEENS1_30default_config_static_selectorELNS0_4arch9wavefront6targetE0EEEvT1_: ; @_ZN7rocprim17ROCPRIM_400000_NS6detail17trampoline_kernelINS0_14default_configENS1_25partition_config_selectorILNS1_17partition_subalgoE9ExjbEEZZNS1_14partition_implILS5_9ELb0ES3_jN6thrust23THRUST_200600_302600_NS6detail15normal_iteratorINS9_10device_ptrIxEEEENSB_INSC_IjEEEEPNS0_10empty_typeENS0_5tupleIJNS9_16discard_iteratorINS9_11use_defaultEEESH_EEENSJ_IJSG_SI_EEENS0_18inequality_wrapperINS9_8equal_toIxEEEEPmJSH_EEE10hipError_tPvRmT3_T4_T5_T6_T7_T9_mT8_P12ihipStream_tbDpT10_ENKUlT_T0_E_clISt17integral_constantIbLb1EES1C_IbLb0EEEEDaS18_S19_EUlS18_E_NS1_11comp_targetILNS1_3genE10ELNS1_11target_archE1200ELNS1_3gpuE4ELNS1_3repE0EEENS1_30default_config_static_selectorELNS0_4arch9wavefront6targetE0EEEvT1_
; %bb.0:
	.section	.rodata,"a",@progbits
	.p2align	6, 0x0
	.amdhsa_kernel _ZN7rocprim17ROCPRIM_400000_NS6detail17trampoline_kernelINS0_14default_configENS1_25partition_config_selectorILNS1_17partition_subalgoE9ExjbEEZZNS1_14partition_implILS5_9ELb0ES3_jN6thrust23THRUST_200600_302600_NS6detail15normal_iteratorINS9_10device_ptrIxEEEENSB_INSC_IjEEEEPNS0_10empty_typeENS0_5tupleIJNS9_16discard_iteratorINS9_11use_defaultEEESH_EEENSJ_IJSG_SI_EEENS0_18inequality_wrapperINS9_8equal_toIxEEEEPmJSH_EEE10hipError_tPvRmT3_T4_T5_T6_T7_T9_mT8_P12ihipStream_tbDpT10_ENKUlT_T0_E_clISt17integral_constantIbLb1EES1C_IbLb0EEEEDaS18_S19_EUlS18_E_NS1_11comp_targetILNS1_3genE10ELNS1_11target_archE1200ELNS1_3gpuE4ELNS1_3repE0EEENS1_30default_config_static_selectorELNS0_4arch9wavefront6targetE0EEEvT1_
		.amdhsa_group_segment_fixed_size 0
		.amdhsa_private_segment_fixed_size 0
		.amdhsa_kernarg_size 120
		.amdhsa_user_sgpr_count 15
		.amdhsa_user_sgpr_dispatch_ptr 0
		.amdhsa_user_sgpr_queue_ptr 0
		.amdhsa_user_sgpr_kernarg_segment_ptr 1
		.amdhsa_user_sgpr_dispatch_id 0
		.amdhsa_user_sgpr_private_segment_size 0
		.amdhsa_wavefront_size32 1
		.amdhsa_uses_dynamic_stack 0
		.amdhsa_enable_private_segment 0
		.amdhsa_system_sgpr_workgroup_id_x 1
		.amdhsa_system_sgpr_workgroup_id_y 0
		.amdhsa_system_sgpr_workgroup_id_z 0
		.amdhsa_system_sgpr_workgroup_info 0
		.amdhsa_system_vgpr_workitem_id 0
		.amdhsa_next_free_vgpr 1
		.amdhsa_next_free_sgpr 1
		.amdhsa_reserve_vcc 0
		.amdhsa_float_round_mode_32 0
		.amdhsa_float_round_mode_16_64 0
		.amdhsa_float_denorm_mode_32 3
		.amdhsa_float_denorm_mode_16_64 3
		.amdhsa_dx10_clamp 1
		.amdhsa_ieee_mode 1
		.amdhsa_fp16_overflow 0
		.amdhsa_workgroup_processor_mode 1
		.amdhsa_memory_ordered 1
		.amdhsa_forward_progress 0
		.amdhsa_shared_vgpr_count 0
		.amdhsa_exception_fp_ieee_invalid_op 0
		.amdhsa_exception_fp_denorm_src 0
		.amdhsa_exception_fp_ieee_div_zero 0
		.amdhsa_exception_fp_ieee_overflow 0
		.amdhsa_exception_fp_ieee_underflow 0
		.amdhsa_exception_fp_ieee_inexact 0
		.amdhsa_exception_int_div_zero 0
	.end_amdhsa_kernel
	.section	.text._ZN7rocprim17ROCPRIM_400000_NS6detail17trampoline_kernelINS0_14default_configENS1_25partition_config_selectorILNS1_17partition_subalgoE9ExjbEEZZNS1_14partition_implILS5_9ELb0ES3_jN6thrust23THRUST_200600_302600_NS6detail15normal_iteratorINS9_10device_ptrIxEEEENSB_INSC_IjEEEEPNS0_10empty_typeENS0_5tupleIJNS9_16discard_iteratorINS9_11use_defaultEEESH_EEENSJ_IJSG_SI_EEENS0_18inequality_wrapperINS9_8equal_toIxEEEEPmJSH_EEE10hipError_tPvRmT3_T4_T5_T6_T7_T9_mT8_P12ihipStream_tbDpT10_ENKUlT_T0_E_clISt17integral_constantIbLb1EES1C_IbLb0EEEEDaS18_S19_EUlS18_E_NS1_11comp_targetILNS1_3genE10ELNS1_11target_archE1200ELNS1_3gpuE4ELNS1_3repE0EEENS1_30default_config_static_selectorELNS0_4arch9wavefront6targetE0EEEvT1_,"axG",@progbits,_ZN7rocprim17ROCPRIM_400000_NS6detail17trampoline_kernelINS0_14default_configENS1_25partition_config_selectorILNS1_17partition_subalgoE9ExjbEEZZNS1_14partition_implILS5_9ELb0ES3_jN6thrust23THRUST_200600_302600_NS6detail15normal_iteratorINS9_10device_ptrIxEEEENSB_INSC_IjEEEEPNS0_10empty_typeENS0_5tupleIJNS9_16discard_iteratorINS9_11use_defaultEEESH_EEENSJ_IJSG_SI_EEENS0_18inequality_wrapperINS9_8equal_toIxEEEEPmJSH_EEE10hipError_tPvRmT3_T4_T5_T6_T7_T9_mT8_P12ihipStream_tbDpT10_ENKUlT_T0_E_clISt17integral_constantIbLb1EES1C_IbLb0EEEEDaS18_S19_EUlS18_E_NS1_11comp_targetILNS1_3genE10ELNS1_11target_archE1200ELNS1_3gpuE4ELNS1_3repE0EEENS1_30default_config_static_selectorELNS0_4arch9wavefront6targetE0EEEvT1_,comdat
.Lfunc_end1066:
	.size	_ZN7rocprim17ROCPRIM_400000_NS6detail17trampoline_kernelINS0_14default_configENS1_25partition_config_selectorILNS1_17partition_subalgoE9ExjbEEZZNS1_14partition_implILS5_9ELb0ES3_jN6thrust23THRUST_200600_302600_NS6detail15normal_iteratorINS9_10device_ptrIxEEEENSB_INSC_IjEEEEPNS0_10empty_typeENS0_5tupleIJNS9_16discard_iteratorINS9_11use_defaultEEESH_EEENSJ_IJSG_SI_EEENS0_18inequality_wrapperINS9_8equal_toIxEEEEPmJSH_EEE10hipError_tPvRmT3_T4_T5_T6_T7_T9_mT8_P12ihipStream_tbDpT10_ENKUlT_T0_E_clISt17integral_constantIbLb1EES1C_IbLb0EEEEDaS18_S19_EUlS18_E_NS1_11comp_targetILNS1_3genE10ELNS1_11target_archE1200ELNS1_3gpuE4ELNS1_3repE0EEENS1_30default_config_static_selectorELNS0_4arch9wavefront6targetE0EEEvT1_, .Lfunc_end1066-_ZN7rocprim17ROCPRIM_400000_NS6detail17trampoline_kernelINS0_14default_configENS1_25partition_config_selectorILNS1_17partition_subalgoE9ExjbEEZZNS1_14partition_implILS5_9ELb0ES3_jN6thrust23THRUST_200600_302600_NS6detail15normal_iteratorINS9_10device_ptrIxEEEENSB_INSC_IjEEEEPNS0_10empty_typeENS0_5tupleIJNS9_16discard_iteratorINS9_11use_defaultEEESH_EEENSJ_IJSG_SI_EEENS0_18inequality_wrapperINS9_8equal_toIxEEEEPmJSH_EEE10hipError_tPvRmT3_T4_T5_T6_T7_T9_mT8_P12ihipStream_tbDpT10_ENKUlT_T0_E_clISt17integral_constantIbLb1EES1C_IbLb0EEEEDaS18_S19_EUlS18_E_NS1_11comp_targetILNS1_3genE10ELNS1_11target_archE1200ELNS1_3gpuE4ELNS1_3repE0EEENS1_30default_config_static_selectorELNS0_4arch9wavefront6targetE0EEEvT1_
                                        ; -- End function
	.section	.AMDGPU.csdata,"",@progbits
; Kernel info:
; codeLenInByte = 0
; NumSgprs: 0
; NumVgprs: 0
; ScratchSize: 0
; MemoryBound: 0
; FloatMode: 240
; IeeeMode: 1
; LDSByteSize: 0 bytes/workgroup (compile time only)
; SGPRBlocks: 0
; VGPRBlocks: 0
; NumSGPRsForWavesPerEU: 1
; NumVGPRsForWavesPerEU: 1
; Occupancy: 15
; WaveLimiterHint : 0
; COMPUTE_PGM_RSRC2:SCRATCH_EN: 0
; COMPUTE_PGM_RSRC2:USER_SGPR: 15
; COMPUTE_PGM_RSRC2:TRAP_HANDLER: 0
; COMPUTE_PGM_RSRC2:TGID_X_EN: 1
; COMPUTE_PGM_RSRC2:TGID_Y_EN: 0
; COMPUTE_PGM_RSRC2:TGID_Z_EN: 0
; COMPUTE_PGM_RSRC2:TIDIG_COMP_CNT: 0
	.section	.text._ZN7rocprim17ROCPRIM_400000_NS6detail17trampoline_kernelINS0_14default_configENS1_25partition_config_selectorILNS1_17partition_subalgoE9ExjbEEZZNS1_14partition_implILS5_9ELb0ES3_jN6thrust23THRUST_200600_302600_NS6detail15normal_iteratorINS9_10device_ptrIxEEEENSB_INSC_IjEEEEPNS0_10empty_typeENS0_5tupleIJNS9_16discard_iteratorINS9_11use_defaultEEESH_EEENSJ_IJSG_SI_EEENS0_18inequality_wrapperINS9_8equal_toIxEEEEPmJSH_EEE10hipError_tPvRmT3_T4_T5_T6_T7_T9_mT8_P12ihipStream_tbDpT10_ENKUlT_T0_E_clISt17integral_constantIbLb1EES1C_IbLb0EEEEDaS18_S19_EUlS18_E_NS1_11comp_targetILNS1_3genE9ELNS1_11target_archE1100ELNS1_3gpuE3ELNS1_3repE0EEENS1_30default_config_static_selectorELNS0_4arch9wavefront6targetE0EEEvT1_,"axG",@progbits,_ZN7rocprim17ROCPRIM_400000_NS6detail17trampoline_kernelINS0_14default_configENS1_25partition_config_selectorILNS1_17partition_subalgoE9ExjbEEZZNS1_14partition_implILS5_9ELb0ES3_jN6thrust23THRUST_200600_302600_NS6detail15normal_iteratorINS9_10device_ptrIxEEEENSB_INSC_IjEEEEPNS0_10empty_typeENS0_5tupleIJNS9_16discard_iteratorINS9_11use_defaultEEESH_EEENSJ_IJSG_SI_EEENS0_18inequality_wrapperINS9_8equal_toIxEEEEPmJSH_EEE10hipError_tPvRmT3_T4_T5_T6_T7_T9_mT8_P12ihipStream_tbDpT10_ENKUlT_T0_E_clISt17integral_constantIbLb1EES1C_IbLb0EEEEDaS18_S19_EUlS18_E_NS1_11comp_targetILNS1_3genE9ELNS1_11target_archE1100ELNS1_3gpuE3ELNS1_3repE0EEENS1_30default_config_static_selectorELNS0_4arch9wavefront6targetE0EEEvT1_,comdat
	.protected	_ZN7rocprim17ROCPRIM_400000_NS6detail17trampoline_kernelINS0_14default_configENS1_25partition_config_selectorILNS1_17partition_subalgoE9ExjbEEZZNS1_14partition_implILS5_9ELb0ES3_jN6thrust23THRUST_200600_302600_NS6detail15normal_iteratorINS9_10device_ptrIxEEEENSB_INSC_IjEEEEPNS0_10empty_typeENS0_5tupleIJNS9_16discard_iteratorINS9_11use_defaultEEESH_EEENSJ_IJSG_SI_EEENS0_18inequality_wrapperINS9_8equal_toIxEEEEPmJSH_EEE10hipError_tPvRmT3_T4_T5_T6_T7_T9_mT8_P12ihipStream_tbDpT10_ENKUlT_T0_E_clISt17integral_constantIbLb1EES1C_IbLb0EEEEDaS18_S19_EUlS18_E_NS1_11comp_targetILNS1_3genE9ELNS1_11target_archE1100ELNS1_3gpuE3ELNS1_3repE0EEENS1_30default_config_static_selectorELNS0_4arch9wavefront6targetE0EEEvT1_ ; -- Begin function _ZN7rocprim17ROCPRIM_400000_NS6detail17trampoline_kernelINS0_14default_configENS1_25partition_config_selectorILNS1_17partition_subalgoE9ExjbEEZZNS1_14partition_implILS5_9ELb0ES3_jN6thrust23THRUST_200600_302600_NS6detail15normal_iteratorINS9_10device_ptrIxEEEENSB_INSC_IjEEEEPNS0_10empty_typeENS0_5tupleIJNS9_16discard_iteratorINS9_11use_defaultEEESH_EEENSJ_IJSG_SI_EEENS0_18inequality_wrapperINS9_8equal_toIxEEEEPmJSH_EEE10hipError_tPvRmT3_T4_T5_T6_T7_T9_mT8_P12ihipStream_tbDpT10_ENKUlT_T0_E_clISt17integral_constantIbLb1EES1C_IbLb0EEEEDaS18_S19_EUlS18_E_NS1_11comp_targetILNS1_3genE9ELNS1_11target_archE1100ELNS1_3gpuE3ELNS1_3repE0EEENS1_30default_config_static_selectorELNS0_4arch9wavefront6targetE0EEEvT1_
	.globl	_ZN7rocprim17ROCPRIM_400000_NS6detail17trampoline_kernelINS0_14default_configENS1_25partition_config_selectorILNS1_17partition_subalgoE9ExjbEEZZNS1_14partition_implILS5_9ELb0ES3_jN6thrust23THRUST_200600_302600_NS6detail15normal_iteratorINS9_10device_ptrIxEEEENSB_INSC_IjEEEEPNS0_10empty_typeENS0_5tupleIJNS9_16discard_iteratorINS9_11use_defaultEEESH_EEENSJ_IJSG_SI_EEENS0_18inequality_wrapperINS9_8equal_toIxEEEEPmJSH_EEE10hipError_tPvRmT3_T4_T5_T6_T7_T9_mT8_P12ihipStream_tbDpT10_ENKUlT_T0_E_clISt17integral_constantIbLb1EES1C_IbLb0EEEEDaS18_S19_EUlS18_E_NS1_11comp_targetILNS1_3genE9ELNS1_11target_archE1100ELNS1_3gpuE3ELNS1_3repE0EEENS1_30default_config_static_selectorELNS0_4arch9wavefront6targetE0EEEvT1_
	.p2align	8
	.type	_ZN7rocprim17ROCPRIM_400000_NS6detail17trampoline_kernelINS0_14default_configENS1_25partition_config_selectorILNS1_17partition_subalgoE9ExjbEEZZNS1_14partition_implILS5_9ELb0ES3_jN6thrust23THRUST_200600_302600_NS6detail15normal_iteratorINS9_10device_ptrIxEEEENSB_INSC_IjEEEEPNS0_10empty_typeENS0_5tupleIJNS9_16discard_iteratorINS9_11use_defaultEEESH_EEENSJ_IJSG_SI_EEENS0_18inequality_wrapperINS9_8equal_toIxEEEEPmJSH_EEE10hipError_tPvRmT3_T4_T5_T6_T7_T9_mT8_P12ihipStream_tbDpT10_ENKUlT_T0_E_clISt17integral_constantIbLb1EES1C_IbLb0EEEEDaS18_S19_EUlS18_E_NS1_11comp_targetILNS1_3genE9ELNS1_11target_archE1100ELNS1_3gpuE3ELNS1_3repE0EEENS1_30default_config_static_selectorELNS0_4arch9wavefront6targetE0EEEvT1_,@function
_ZN7rocprim17ROCPRIM_400000_NS6detail17trampoline_kernelINS0_14default_configENS1_25partition_config_selectorILNS1_17partition_subalgoE9ExjbEEZZNS1_14partition_implILS5_9ELb0ES3_jN6thrust23THRUST_200600_302600_NS6detail15normal_iteratorINS9_10device_ptrIxEEEENSB_INSC_IjEEEEPNS0_10empty_typeENS0_5tupleIJNS9_16discard_iteratorINS9_11use_defaultEEESH_EEENSJ_IJSG_SI_EEENS0_18inequality_wrapperINS9_8equal_toIxEEEEPmJSH_EEE10hipError_tPvRmT3_T4_T5_T6_T7_T9_mT8_P12ihipStream_tbDpT10_ENKUlT_T0_E_clISt17integral_constantIbLb1EES1C_IbLb0EEEEDaS18_S19_EUlS18_E_NS1_11comp_targetILNS1_3genE9ELNS1_11target_archE1100ELNS1_3gpuE3ELNS1_3repE0EEENS1_30default_config_static_selectorELNS0_4arch9wavefront6targetE0EEEvT1_: ; @_ZN7rocprim17ROCPRIM_400000_NS6detail17trampoline_kernelINS0_14default_configENS1_25partition_config_selectorILNS1_17partition_subalgoE9ExjbEEZZNS1_14partition_implILS5_9ELb0ES3_jN6thrust23THRUST_200600_302600_NS6detail15normal_iteratorINS9_10device_ptrIxEEEENSB_INSC_IjEEEEPNS0_10empty_typeENS0_5tupleIJNS9_16discard_iteratorINS9_11use_defaultEEESH_EEENSJ_IJSG_SI_EEENS0_18inequality_wrapperINS9_8equal_toIxEEEEPmJSH_EEE10hipError_tPvRmT3_T4_T5_T6_T7_T9_mT8_P12ihipStream_tbDpT10_ENKUlT_T0_E_clISt17integral_constantIbLb1EES1C_IbLb0EEEEDaS18_S19_EUlS18_E_NS1_11comp_targetILNS1_3genE9ELNS1_11target_archE1100ELNS1_3gpuE3ELNS1_3repE0EEENS1_30default_config_static_selectorELNS0_4arch9wavefront6targetE0EEEvT1_
; %bb.0:
	s_clause 0x4
	s_load_b128 s[4:7], s[0:1], 0x8
	s_load_b32 s14, s[0:1], 0x70
	s_load_b128 s[16:19], s[0:1], 0x48
	s_load_b64 s[2:3], s[0:1], 0x58
	s_load_b64 s[12:13], s[0:1], 0x18
	s_mov_b32 s9, 0
	v_lshlrev_b32_e32 v29, 3, v0
	v_lshrrev_b32_e32 v24, 2, v0
	v_or_b32_e32 v21, 0x200, v0
	v_or_b32_e32 v20, 0x400, v0
	;; [unrolled: 1-line block ×7, first 2 shown]
	s_waitcnt lgkmcnt(0)
	s_lshl_b64 s[10:11], s[6:7], 3
	s_delay_alu instid0(SALU_CYCLE_1)
	s_add_u32 s21, s4, s10
	s_addc_u32 s22, s5, s11
	s_add_i32 s20, s14, -1
	s_load_b64 s[10:11], s[18:19], 0x0
	s_lshl_b32 s4, s20, 12
	s_lshl_b32 s5, s14, 12
	s_add_i32 s4, s6, s4
	s_lshl_b32 s8, s15, 12
	s_sub_i32 s19, s2, s4
	s_add_u32 s4, s6, s5
	s_addc_u32 s5, s7, 0
	s_cmp_eq_u32 s15, s20
	v_cmp_ge_u64_e64 s2, s[4:5], s[2:3]
	s_cselect_b32 s14, -1, 0
	s_mov_b32 s5, -1
	s_delay_alu instid0(VALU_DEP_1)
	s_and_b32 s20, s14, s2
	s_lshl_b64 s[2:3], s[8:9], 3
	s_xor_b32 s18, s20, -1
	s_add_u32 s4, s21, s2
	s_addc_u32 s3, s22, s3
	s_and_b32 vcc_lo, exec_lo, s18
	s_cbranch_vccz .LBB1067_2
; %bb.1:
	v_add_co_u32 v1, s2, s4, v29
	s_delay_alu instid0(VALU_DEP_1) | instskip(SKIP_1) | instid1(VALU_DEP_3)
	v_add_co_ci_u32_e64 v2, null, s3, 0, s2
	v_lshrrev_b32_e32 v26, 2, v21
	v_add_co_u32 v3, vcc_lo, 0x1000, v1
	s_delay_alu instid0(VALU_DEP_3)
	v_add_co_ci_u32_e32 v4, vcc_lo, 0, v2, vcc_lo
	v_add_co_u32 v5, vcc_lo, 0x2000, v1
	v_add_co_ci_u32_e32 v6, vcc_lo, 0, v2, vcc_lo
	v_add_co_u32 v7, vcc_lo, 0x3000, v1
	;; [unrolled: 2-line block ×6, first 2 shown]
	v_add_co_ci_u32_e32 v16, vcc_lo, 0, v2, vcc_lo
	s_clause 0x7
	flat_load_b64 v[1:2], v[1:2]
	flat_load_b64 v[3:4], v[3:4]
	;; [unrolled: 1-line block ×8, first 2 shown]
	v_lshrrev_b32_e32 v27, 2, v20
	v_lshrrev_b32_e32 v28, 2, v23
	;; [unrolled: 1-line block ×3, first 2 shown]
	v_and_b32_e32 v25, 0x78, v24
	v_lshrrev_b32_e32 v31, 2, v18
	v_lshrrev_b32_e32 v32, 2, v17
	;; [unrolled: 1-line block ×3, first 2 shown]
	v_and_b32_e32 v26, 0xf8, v26
	v_and_b32_e32 v27, 0x178, v27
	;; [unrolled: 1-line block ×4, first 2 shown]
	v_add_nc_u32_e32 v25, v25, v29
	v_and_b32_e32 v31, 0x2f8, v31
	v_and_b32_e32 v32, 0x378, v32
	;; [unrolled: 1-line block ×3, first 2 shown]
	v_add_nc_u32_e32 v26, v26, v29
	v_add_nc_u32_e32 v27, v27, v29
	;; [unrolled: 1-line block ×4, first 2 shown]
	s_mov_b32 s5, s9
	v_add_nc_u32_e32 v31, v31, v29
	v_add_nc_u32_e32 v32, v32, v29
	;; [unrolled: 1-line block ×3, first 2 shown]
	s_waitcnt vmcnt(7) lgkmcnt(0)
	ds_store_b64 v25, v[1:2]
	s_waitcnt vmcnt(6)
	ds_store_b64 v26, v[3:4] offset:4096
	s_waitcnt vmcnt(5)
	ds_store_b64 v27, v[5:6] offset:8192
	;; [unrolled: 2-line block ×7, first 2 shown]
	s_waitcnt lgkmcnt(0)
	s_barrier
.LBB1067_2:
	v_cmp_gt_u32_e64 s2, s19, v0
	s_and_not1_b32 vcc_lo, exec_lo, s5
	s_cbranch_vccnz .LBB1067_20
; %bb.3:
                                        ; implicit-def: $vgpr1_vgpr2_vgpr3_vgpr4_vgpr5_vgpr6_vgpr7_vgpr8_vgpr9_vgpr10_vgpr11_vgpr12_vgpr13_vgpr14_vgpr15_vgpr16
	s_delay_alu instid0(VALU_DEP_1)
	s_and_saveexec_b32 s5, s2
	s_cbranch_execz .LBB1067_11
; %bb.4:
	v_add_co_u32 v1, s2, s4, v29
	s_delay_alu instid0(VALU_DEP_1) | instskip(SKIP_2) | instid1(SALU_CYCLE_1)
	v_add_co_ci_u32_e64 v2, null, s3, 0, s2
	flat_load_b64 v[1:2], v[1:2]
	s_or_b32 exec_lo, exec_lo, s5
	s_mov_b32 s2, exec_lo
	v_cmpx_gt_u32_e64 s19, v21
	s_cbranch_execnz .LBB1067_12
.LBB1067_5:
	s_or_b32 exec_lo, exec_lo, s2
	s_delay_alu instid0(SALU_CYCLE_1)
	s_mov_b32 s2, exec_lo
	v_cmpx_gt_u32_e64 s19, v20
	s_cbranch_execz .LBB1067_13
.LBB1067_6:
	v_lshlrev_b32_e32 v5, 3, v20
	s_delay_alu instid0(VALU_DEP_1) | instskip(NEXT) | instid1(VALU_DEP_1)
	v_add_co_u32 v5, s5, s4, v5
	v_add_co_ci_u32_e64 v6, null, s3, 0, s5
	flat_load_b64 v[5:6], v[5:6]
	s_or_b32 exec_lo, exec_lo, s2
	s_delay_alu instid0(SALU_CYCLE_1)
	s_mov_b32 s2, exec_lo
	v_cmpx_gt_u32_e64 s19, v23
	s_cbranch_execnz .LBB1067_14
.LBB1067_7:
	s_or_b32 exec_lo, exec_lo, s2
	s_delay_alu instid0(SALU_CYCLE_1)
	s_mov_b32 s2, exec_lo
	v_cmpx_gt_u32_e64 s19, v22
	s_cbranch_execz .LBB1067_15
.LBB1067_8:
	v_lshlrev_b32_e32 v9, 3, v22
	s_delay_alu instid0(VALU_DEP_1) | instskip(NEXT) | instid1(VALU_DEP_1)
	v_add_co_u32 v9, s5, s4, v9
	v_add_co_ci_u32_e64 v10, null, s3, 0, s5
	flat_load_b64 v[9:10], v[9:10]
	s_or_b32 exec_lo, exec_lo, s2
	s_delay_alu instid0(SALU_CYCLE_1)
	s_mov_b32 s2, exec_lo
	v_cmpx_gt_u32_e64 s19, v18
	s_cbranch_execnz .LBB1067_16
.LBB1067_9:
	s_or_b32 exec_lo, exec_lo, s2
	s_delay_alu instid0(SALU_CYCLE_1)
	s_mov_b32 s2, exec_lo
	v_cmpx_gt_u32_e64 s19, v17
	s_cbranch_execz .LBB1067_17
.LBB1067_10:
	v_lshlrev_b32_e32 v13, 3, v17
	s_delay_alu instid0(VALU_DEP_1) | instskip(NEXT) | instid1(VALU_DEP_1)
	v_add_co_u32 v13, s5, s4, v13
	v_add_co_ci_u32_e64 v14, null, s3, 0, s5
	flat_load_b64 v[13:14], v[13:14]
	s_or_b32 exec_lo, exec_lo, s2
	s_delay_alu instid0(SALU_CYCLE_1)
	s_mov_b32 s2, exec_lo
	v_cmpx_gt_u32_e64 s19, v19
	s_cbranch_execnz .LBB1067_18
	s_branch .LBB1067_19
.LBB1067_11:
	s_or_b32 exec_lo, exec_lo, s5
	s_delay_alu instid0(SALU_CYCLE_1)
	s_mov_b32 s2, exec_lo
	v_cmpx_gt_u32_e64 s19, v21
	s_cbranch_execz .LBB1067_5
.LBB1067_12:
	v_lshlrev_b32_e32 v3, 3, v21
	s_delay_alu instid0(VALU_DEP_1) | instskip(NEXT) | instid1(VALU_DEP_1)
	v_add_co_u32 v3, s5, s4, v3
	v_add_co_ci_u32_e64 v4, null, s3, 0, s5
	flat_load_b64 v[3:4], v[3:4]
	s_or_b32 exec_lo, exec_lo, s2
	s_delay_alu instid0(SALU_CYCLE_1)
	s_mov_b32 s2, exec_lo
	v_cmpx_gt_u32_e64 s19, v20
	s_cbranch_execnz .LBB1067_6
.LBB1067_13:
	s_or_b32 exec_lo, exec_lo, s2
	s_delay_alu instid0(SALU_CYCLE_1)
	s_mov_b32 s2, exec_lo
	v_cmpx_gt_u32_e64 s19, v23
	s_cbranch_execz .LBB1067_7
.LBB1067_14:
	v_lshlrev_b32_e32 v7, 3, v23
	s_delay_alu instid0(VALU_DEP_1) | instskip(NEXT) | instid1(VALU_DEP_1)
	v_add_co_u32 v7, s5, s4, v7
	v_add_co_ci_u32_e64 v8, null, s3, 0, s5
	flat_load_b64 v[7:8], v[7:8]
	s_or_b32 exec_lo, exec_lo, s2
	s_delay_alu instid0(SALU_CYCLE_1)
	s_mov_b32 s2, exec_lo
	v_cmpx_gt_u32_e64 s19, v22
	s_cbranch_execnz .LBB1067_8
.LBB1067_15:
	s_or_b32 exec_lo, exec_lo, s2
	s_delay_alu instid0(SALU_CYCLE_1)
	s_mov_b32 s2, exec_lo
	v_cmpx_gt_u32_e64 s19, v18
	s_cbranch_execz .LBB1067_9
.LBB1067_16:
	v_lshlrev_b32_e32 v11, 3, v18
	s_delay_alu instid0(VALU_DEP_1) | instskip(NEXT) | instid1(VALU_DEP_1)
	v_add_co_u32 v11, s5, s4, v11
	v_add_co_ci_u32_e64 v12, null, s3, 0, s5
	flat_load_b64 v[11:12], v[11:12]
	s_or_b32 exec_lo, exec_lo, s2
	s_delay_alu instid0(SALU_CYCLE_1)
	s_mov_b32 s2, exec_lo
	v_cmpx_gt_u32_e64 s19, v17
	s_cbranch_execnz .LBB1067_10
.LBB1067_17:
	s_or_b32 exec_lo, exec_lo, s2
	s_delay_alu instid0(SALU_CYCLE_1)
	s_mov_b32 s2, exec_lo
	v_cmpx_gt_u32_e64 s19, v19
	s_cbranch_execz .LBB1067_19
.LBB1067_18:
	v_lshlrev_b32_e32 v15, 3, v19
	s_delay_alu instid0(VALU_DEP_1) | instskip(NEXT) | instid1(VALU_DEP_1)
	v_add_co_u32 v15, s5, s4, v15
	v_add_co_ci_u32_e64 v16, null, s3, 0, s5
	flat_load_b64 v[15:16], v[15:16]
.LBB1067_19:
	s_or_b32 exec_lo, exec_lo, s2
	v_lshrrev_b32_e32 v25, 2, v21
	v_lshrrev_b32_e32 v26, 2, v20
	;; [unrolled: 1-line block ×4, first 2 shown]
	v_and_b32_e32 v27, 0x78, v24
	v_lshrrev_b32_e32 v31, 2, v18
	v_lshrrev_b32_e32 v32, 2, v17
	;; [unrolled: 1-line block ×3, first 2 shown]
	v_and_b32_e32 v25, 0xf8, v25
	v_and_b32_e32 v26, 0x1f8, v26
	;; [unrolled: 1-line block ×4, first 2 shown]
	v_add_nc_u32_e32 v27, v27, v29
	v_and_b32_e32 v31, 0x3f8, v31
	v_and_b32_e32 v32, 0x3f8, v32
	;; [unrolled: 1-line block ×3, first 2 shown]
	v_add_nc_u32_e32 v25, v25, v29
	v_add_nc_u32_e32 v26, v26, v29
	;; [unrolled: 1-line block ×7, first 2 shown]
	s_waitcnt vmcnt(0) lgkmcnt(0)
	ds_store_b64 v27, v[1:2]
	ds_store_b64 v25, v[3:4] offset:4096
	ds_store_b64 v26, v[5:6] offset:8192
	;; [unrolled: 1-line block ×7, first 2 shown]
	s_waitcnt lgkmcnt(0)
	s_barrier
.LBB1067_20:
	v_add_nc_u32_e32 v24, v24, v29
	s_waitcnt lgkmcnt(0)
	buffer_gl0_inv
	s_lshl_b64 s[22:23], s[6:7], 2
	v_lshrrev_b32_e32 v26, 3, v0
	s_add_u32 s2, s12, s22
	v_lshlrev_b32_e32 v25, 3, v24
	s_addc_u32 s5, s13, s23
	s_lshl_b64 s[8:9], s[8:9], 2
	ds_load_2addr_b64 v[13:16], v25 offset1:1
	ds_load_2addr_b64 v[9:12], v25 offset0:2 offset1:3
	ds_load_2addr_b64 v[5:8], v25 offset0:4 offset1:5
	;; [unrolled: 1-line block ×3, first 2 shown]
	s_add_u32 s2, s2, s8
	s_addc_u32 s5, s5, s9
	s_and_b32 vcc_lo, exec_lo, s18
	s_mov_b32 s8, -1
	s_waitcnt lgkmcnt(0)
	s_barrier
	buffer_gl0_inv
	s_cbranch_vccz .LBB1067_22
; %bb.21:
	v_lshlrev_b32_e32 v36, 2, v0
	v_lshrrev_b32_e32 v38, 3, v21
	v_lshrrev_b32_e32 v39, 3, v20
	;; [unrolled: 1-line block ×4, first 2 shown]
	v_add_co_u32 v27, s8, s2, v36
	s_delay_alu instid0(VALU_DEP_1) | instskip(SKIP_1) | instid1(VALU_DEP_3)
	v_add_co_ci_u32_e64 v28, null, s5, 0, s8
	v_lshrrev_b32_e32 v42, 3, v18
	v_add_co_u32 v30, vcc_lo, 0x1000, v27
	s_delay_alu instid0(VALU_DEP_3)
	v_add_co_ci_u32_e32 v31, vcc_lo, 0, v28, vcc_lo
	v_add_co_u32 v32, vcc_lo, 0x2000, v27
	v_add_co_ci_u32_e32 v33, vcc_lo, 0, v28, vcc_lo
	v_add_co_u32 v34, vcc_lo, 0x3000, v27
	v_add_co_ci_u32_e32 v35, vcc_lo, 0, v28, vcc_lo
	s_clause 0x7
	flat_load_b32 v37, v[27:28]
	flat_load_b32 v27, v[27:28] offset:2048
	flat_load_b32 v28, v[30:31]
	flat_load_b32 v30, v[30:31] offset:2048
	;; [unrolled: 2-line block ×4, first 2 shown]
	v_and_b32_e32 v35, 60, v26
	v_lshrrev_b32_e32 v43, 3, v17
	v_lshrrev_b32_e32 v44, 3, v19
	v_and_b32_e32 v38, 0x7c, v38
	v_and_b32_e32 v39, 0xbc, v39
	;; [unrolled: 1-line block ×4, first 2 shown]
	v_add_nc_u32_e32 v35, v35, v36
	v_and_b32_e32 v42, 0x17c, v42
	v_and_b32_e32 v43, 0x1bc, v43
	;; [unrolled: 1-line block ×3, first 2 shown]
	v_add_nc_u32_e32 v38, v38, v36
	v_add_nc_u32_e32 v39, v39, v36
	;; [unrolled: 1-line block ×4, first 2 shown]
	s_mov_b32 s8, 0
	v_add_nc_u32_e32 v42, v42, v36
	v_add_nc_u32_e32 v43, v43, v36
	;; [unrolled: 1-line block ×3, first 2 shown]
	s_waitcnt vmcnt(7) lgkmcnt(7)
	ds_store_b32 v35, v37
	s_waitcnt vmcnt(6) lgkmcnt(7)
	ds_store_b32 v38, v27 offset:2048
	s_waitcnt vmcnt(5) lgkmcnt(7)
	ds_store_b32 v39, v28 offset:4096
	;; [unrolled: 2-line block ×7, first 2 shown]
	s_waitcnt lgkmcnt(0)
	s_barrier
.LBB1067_22:
	s_and_not1_b32 vcc_lo, exec_lo, s8
	s_cbranch_vccnz .LBB1067_40
; %bb.23:
	s_mov_b32 s8, exec_lo
                                        ; implicit-def: $vgpr27
	v_cmpx_gt_u32_e64 s19, v0
	s_cbranch_execz .LBB1067_25
; %bb.24:
	v_lshlrev_b32_e32 v27, 2, v0
	s_delay_alu instid0(VALU_DEP_1) | instskip(NEXT) | instid1(VALU_DEP_1)
	v_add_co_u32 v27, s9, s2, v27
	v_add_co_ci_u32_e64 v28, null, s5, 0, s9
	flat_load_b32 v27, v[27:28]
.LBB1067_25:
	s_or_b32 exec_lo, exec_lo, s8
	s_delay_alu instid0(SALU_CYCLE_1)
	s_mov_b32 s8, exec_lo
                                        ; implicit-def: $vgpr28
	v_cmpx_gt_u32_e64 s19, v21
	s_cbranch_execz .LBB1067_27
; %bb.26:
	v_lshlrev_b32_e32 v28, 2, v0
	s_delay_alu instid0(VALU_DEP_1) | instskip(NEXT) | instid1(VALU_DEP_1)
	v_add_co_u32 v30, s9, s2, v28
	v_add_co_ci_u32_e64 v31, null, s5, 0, s9
	flat_load_b32 v28, v[30:31] offset:2048
.LBB1067_27:
	s_or_b32 exec_lo, exec_lo, s8
	s_delay_alu instid0(SALU_CYCLE_1)
	s_mov_b32 s8, exec_lo
                                        ; implicit-def: $vgpr30
	v_cmpx_gt_u32_e64 s19, v20
	s_cbranch_execz .LBB1067_29
; %bb.28:
	v_lshlrev_b32_e32 v30, 2, v20
	s_delay_alu instid0(VALU_DEP_1) | instskip(NEXT) | instid1(VALU_DEP_1)
	v_add_co_u32 v30, s9, s2, v30
	v_add_co_ci_u32_e64 v31, null, s5, 0, s9
	flat_load_b32 v30, v[30:31]
.LBB1067_29:
	s_or_b32 exec_lo, exec_lo, s8
	s_delay_alu instid0(SALU_CYCLE_1)
	s_mov_b32 s8, exec_lo
                                        ; implicit-def: $vgpr31
	v_cmpx_gt_u32_e64 s19, v23
	s_cbranch_execz .LBB1067_31
; %bb.30:
	v_lshlrev_b32_e32 v31, 2, v23
	s_delay_alu instid0(VALU_DEP_1) | instskip(NEXT) | instid1(VALU_DEP_1)
	v_add_co_u32 v31, s9, s2, v31
	v_add_co_ci_u32_e64 v32, null, s5, 0, s9
	flat_load_b32 v31, v[31:32]
.LBB1067_31:
	s_or_b32 exec_lo, exec_lo, s8
	s_delay_alu instid0(SALU_CYCLE_1)
	s_mov_b32 s8, exec_lo
                                        ; implicit-def: $vgpr32
	v_cmpx_gt_u32_e64 s19, v22
	s_cbranch_execz .LBB1067_33
; %bb.32:
	v_lshlrev_b32_e32 v32, 2, v22
	s_delay_alu instid0(VALU_DEP_1) | instskip(NEXT) | instid1(VALU_DEP_1)
	v_add_co_u32 v32, s9, s2, v32
	v_add_co_ci_u32_e64 v33, null, s5, 0, s9
	flat_load_b32 v32, v[32:33]
.LBB1067_33:
	s_or_b32 exec_lo, exec_lo, s8
	s_delay_alu instid0(SALU_CYCLE_1)
	s_mov_b32 s8, exec_lo
                                        ; implicit-def: $vgpr33
	v_cmpx_gt_u32_e64 s19, v18
	s_cbranch_execz .LBB1067_35
; %bb.34:
	v_lshlrev_b32_e32 v33, 2, v18
	s_delay_alu instid0(VALU_DEP_1) | instskip(NEXT) | instid1(VALU_DEP_1)
	v_add_co_u32 v33, s9, s2, v33
	v_add_co_ci_u32_e64 v34, null, s5, 0, s9
	flat_load_b32 v33, v[33:34]
.LBB1067_35:
	s_or_b32 exec_lo, exec_lo, s8
	s_delay_alu instid0(SALU_CYCLE_1)
	s_mov_b32 s8, exec_lo
                                        ; implicit-def: $vgpr34
	v_cmpx_gt_u32_e64 s19, v17
	s_cbranch_execz .LBB1067_37
; %bb.36:
	v_lshlrev_b32_e32 v34, 2, v17
	s_delay_alu instid0(VALU_DEP_1) | instskip(NEXT) | instid1(VALU_DEP_1)
	v_add_co_u32 v34, s9, s2, v34
	v_add_co_ci_u32_e64 v35, null, s5, 0, s9
	flat_load_b32 v34, v[34:35]
.LBB1067_37:
	s_or_b32 exec_lo, exec_lo, s8
	s_delay_alu instid0(SALU_CYCLE_1)
	s_mov_b32 s8, exec_lo
                                        ; implicit-def: $vgpr35
	v_cmpx_gt_u32_e64 s19, v19
	s_cbranch_execz .LBB1067_39
; %bb.38:
	v_lshlrev_b32_e32 v35, 2, v19
	s_delay_alu instid0(VALU_DEP_1) | instskip(NEXT) | instid1(VALU_DEP_1)
	v_add_co_u32 v35, s2, s2, v35
	v_add_co_ci_u32_e64 v36, null, s5, 0, s2
	flat_load_b32 v35, v[35:36]
.LBB1067_39:
	s_or_b32 exec_lo, exec_lo, s8
	v_lshrrev_b32_e32 v21, 3, v21
	v_lshrrev_b32_e32 v20, 3, v20
	;; [unrolled: 1-line block ×4, first 2 shown]
	v_and_b32_e32 v26, 60, v26
	v_lshlrev_b32_e32 v36, 2, v0
	v_lshrrev_b32_e32 v18, 3, v18
	v_lshrrev_b32_e32 v17, 3, v17
	;; [unrolled: 1-line block ×3, first 2 shown]
	v_and_b32_e32 v21, 0x7c, v21
	v_and_b32_e32 v20, 0xfc, v20
	;; [unrolled: 1-line block ×4, first 2 shown]
	v_add_nc_u32_e32 v26, v26, v36
	v_and_b32_e32 v18, 0x1fc, v18
	v_and_b32_e32 v17, 0x1fc, v17
	;; [unrolled: 1-line block ×3, first 2 shown]
	v_add_nc_u32_e32 v21, v21, v36
	v_add_nc_u32_e32 v20, v20, v36
	;; [unrolled: 1-line block ×7, first 2 shown]
	s_waitcnt vmcnt(0) lgkmcnt(0)
	ds_store_b32 v26, v27
	ds_store_b32 v21, v28 offset:2048
	ds_store_b32 v20, v30 offset:4096
	ds_store_b32 v23, v31 offset:6144
	ds_store_b32 v22, v32 offset:8192
	ds_store_b32 v18, v33 offset:10240
	ds_store_b32 v17, v34 offset:12288
	ds_store_b32 v19, v35 offset:14336
	s_waitcnt lgkmcnt(0)
	s_barrier
.LBB1067_40:
	v_lshlrev_b32_e32 v17, 2, v24
	buffer_gl0_inv
	s_cmp_lg_u32 s15, 0
	s_mov_b32 s12, 0
	s_cselect_b32 s9, -1, 0
	v_sub_nc_u32_e32 v17, v25, v17
	s_cmp_lg_u64 s[6:7], 0
	ds_load_2addr_b32 v[23:24], v17 offset1:1
	ds_load_2addr_b32 v[21:22], v17 offset0:2 offset1:3
	ds_load_2addr_b32 v[19:20], v17 offset0:4 offset1:5
	;; [unrolled: 1-line block ×3, first 2 shown]
	s_cselect_b32 s2, -1, 0
	s_waitcnt lgkmcnt(0)
	s_or_b32 s2, s9, s2
	s_barrier
	s_and_b32 vcc_lo, exec_lo, s2
	buffer_gl0_inv
	s_cbranch_vccz .LBB1067_45
; %bb.41:
	v_add_co_u32 v25, s2, -8, s4
	s_delay_alu instid0(VALU_DEP_1)
	v_add_co_ci_u32_e64 v26, null, -1, s3, s2
	s_mov_b32 s3, -1
	s_and_b32 vcc_lo, exec_lo, s18
	flat_load_b64 v[27:28], v[25:26]
	ds_store_b64 v29, v[3:4]
	s_cbranch_vccz .LBB1067_46
; %bb.42:
	s_waitcnt vmcnt(0) lgkmcnt(1)
	v_dual_mov_b32 v25, v27 :: v_dual_mov_b32 v26, v28
	s_mov_b32 s3, 0
	s_mov_b32 s2, exec_lo
	s_waitcnt lgkmcnt(0)
	s_barrier
	buffer_gl0_inv
	v_cmpx_ne_u32_e32 0, v0
	s_cbranch_execz .LBB1067_44
; %bb.43:
	v_add_nc_u32_e32 v25, -8, v29
	ds_load_b64 v[25:26], v25
.LBB1067_44:
	s_or_b32 exec_lo, exec_lo, s2
	v_cmp_ne_u64_e32 vcc_lo, v[1:2], v[3:4]
	s_waitcnt lgkmcnt(0)
	v_cmp_ne_u64_e64 s2, v[25:26], v[13:14]
	v_cndmask_b32_e64 v30, 0, 1, vcc_lo
	v_cmp_ne_u64_e32 vcc_lo, v[7:8], v[1:2]
	s_delay_alu instid0(VALU_DEP_2) | instskip(SKIP_2) | instid1(VALU_DEP_2)
	v_lshlrev_b16 v30, 8, v30
	v_cndmask_b32_e64 v31, 0, 1, vcc_lo
	v_cmp_ne_u64_e32 vcc_lo, v[5:6], v[7:8]
	v_or_b32_e32 v30, v31, v30
	v_cndmask_b32_e64 v32, 0, 1, vcc_lo
	v_cmp_ne_u64_e32 vcc_lo, v[9:10], v[11:12]
	s_delay_alu instid0(VALU_DEP_3) | instskip(NEXT) | instid1(VALU_DEP_3)
	v_lshlrev_b32_e32 v30, 16, v30
	v_lshlrev_b16 v32, 8, v32
	v_cndmask_b32_e64 v33, 0, 1, vcc_lo
	v_cmp_ne_u64_e32 vcc_lo, v[11:12], v[5:6]
	s_delay_alu instid0(VALU_DEP_2) | instskip(SKIP_2) | instid1(VALU_DEP_2)
	v_lshlrev_b16 v33, 8, v33
	v_cndmask_b32_e64 v34, 0, 1, vcc_lo
	v_cmp_ne_u64_e32 vcc_lo, v[15:16], v[9:10]
	v_or_b32_e32 v32, v34, v32
	v_cndmask_b32_e64 v35, 0, 1, vcc_lo
	v_cmp_ne_u64_e32 vcc_lo, v[13:14], v[15:16]
	s_delay_alu instid0(VALU_DEP_3) | instskip(NEXT) | instid1(VALU_DEP_3)
	v_and_b32_e32 v32, 0xffff, v32
	v_or_b32_e32 v33, v35, v33
	v_cndmask_b32_e64 v36, 0, 1, vcc_lo
	s_delay_alu instid0(VALU_DEP_3) | instskip(NEXT) | instid1(VALU_DEP_3)
	v_or_b32_e32 v26, v32, v30
	v_lshlrev_b32_e32 v31, 16, v33
	s_delay_alu instid0(VALU_DEP_3) | instskip(NEXT) | instid1(VALU_DEP_1)
	v_lshlrev_b16 v35, 8, v36
	v_and_b32_e32 v33, 0xffff, v35
	s_delay_alu instid0(VALU_DEP_1)
	v_or_b32_e32 v25, v33, v31
	s_and_b32 vcc_lo, exec_lo, s3
	s_cbranch_vccnz .LBB1067_47
	s_branch .LBB1067_50
.LBB1067_45:
                                        ; implicit-def: $sgpr2
                                        ; implicit-def: $vgpr26
	s_branch .LBB1067_51
.LBB1067_46:
                                        ; implicit-def: $sgpr2
                                        ; implicit-def: $vgpr26
	s_and_b32 vcc_lo, exec_lo, s3
	s_cbranch_vccz .LBB1067_50
.LBB1067_47:
	s_mov_b32 s2, exec_lo
	s_waitcnt vmcnt(0) lgkmcnt(0)
	s_barrier
	buffer_gl0_inv
	v_cmpx_ne_u32_e32 0, v0
	s_cbranch_execz .LBB1067_49
; %bb.48:
	v_add_nc_u32_e32 v25, -8, v29
	ds_load_b64 v[27:28], v25
.LBB1067_49:
	s_or_b32 exec_lo, exec_lo, s2
	v_or_b32_e32 v25, 7, v29
	v_or_b32_e32 v26, 6, v29
	v_cmp_ne_u64_e32 vcc_lo, v[1:2], v[3:4]
	v_or_b32_e32 v30, 5, v29
	v_cmp_ne_u64_e64 s3, v[7:8], v[1:2]
	v_cmp_gt_u32_e64 s2, s19, v25
	v_cmp_gt_u32_e64 s4, s19, v26
	v_cmp_ne_u64_e64 s5, v[5:6], v[7:8]
	v_cmp_gt_u32_e64 s6, s19, v30
	v_or_b32_e32 v30, 3, v29
	s_and_b32 s2, s2, vcc_lo
	v_or_b32_e32 v31, 4, v29
	v_cndmask_b32_e64 v25, 0, 1, s2
	s_and_b32 s2, s4, s3
	v_cmp_ne_u64_e32 vcc_lo, v[9:10], v[11:12]
	v_cndmask_b32_e64 v26, 0, 1, s2
	s_and_b32 s2, s6, s5
	v_cmp_gt_u32_e64 s3, s19, v31
	v_cndmask_b32_e64 v32, 0, 1, s2
	v_cmp_gt_u32_e64 s2, s19, v30
	v_or_b32_e32 v30, 2, v29
	v_or_b32_e32 v31, 1, v29
	v_cmp_ne_u64_e64 s4, v[11:12], v[5:6]
	v_cmp_ne_u64_e64 s6, v[13:14], v[15:16]
	s_and_b32 s2, s2, vcc_lo
	v_cmp_ne_u64_e32 vcc_lo, v[15:16], v[9:10]
	v_cndmask_b32_e64 v33, 0, 1, s2
	v_cmp_gt_u32_e64 s2, s19, v30
	v_cmp_gt_u32_e64 s5, s19, v31
	s_and_b32 s3, s3, s4
	v_lshlrev_b16 v32, 8, v32
	v_cndmask_b32_e64 v30, 0, 1, s3
	s_and_b32 s2, s2, vcc_lo
	v_lshlrev_b16 v33, 8, v33
	v_cndmask_b32_e64 v31, 0, 1, s2
	s_and_b32 s2, s5, s6
	v_lshlrev_b16 v25, 8, v25
	v_cndmask_b32_e64 v34, 0, 1, s2
	v_or_b32_e32 v30, v30, v32
	v_or_b32_e32 v31, v31, v33
	s_waitcnt lgkmcnt(0)
	v_cmp_ne_u64_e32 vcc_lo, v[27:28], v[13:14]
	v_or_b32_e32 v25, v26, v25
	v_lshlrev_b16 v33, 8, v34
	v_and_b32_e32 v30, 0xffff, v30
	v_lshlrev_b32_e32 v26, 16, v31
	v_cmp_gt_u32_e64 s2, s19, v29
	v_lshlrev_b32_e32 v32, 16, v25
	v_and_b32_e32 v31, 0xffff, v33
	s_delay_alu instid0(VALU_DEP_3) | instskip(NEXT) | instid1(VALU_DEP_1)
	s_and_b32 s2, s2, vcc_lo
	v_or_b32_e32 v25, v31, v26
	s_delay_alu instid0(VALU_DEP_3)
	v_or_b32_e32 v26, v30, v32
.LBB1067_50:
	s_mov_b32 s12, -1
	s_cbranch_execnz .LBB1067_59
.LBB1067_51:
	v_cmp_ne_u64_e64 s3, v[1:2], v[3:4]
	v_cmp_ne_u64_e64 s4, v[7:8], v[1:2]
	;; [unrolled: 1-line block ×7, first 2 shown]
	s_and_b32 vcc_lo, exec_lo, s18
	ds_store_b64 v29, v[3:4]
	s_cbranch_vccz .LBB1067_55
; %bb.52:
	v_cndmask_b32_e64 v25, 0, 1, s3
	s_waitcnt vmcnt(0) lgkmcnt(2)
	v_cndmask_b32_e64 v27, 0, 1, s5
	v_cndmask_b32_e64 v30, 0, 1, s7
	;; [unrolled: 1-line block ×6, first 2 shown]
	v_lshlrev_b16 v27, 8, v27
	v_lshlrev_b16 v25, 8, v25
	;; [unrolled: 1-line block ×4, first 2 shown]
	s_mov_b32 s3, 0
	v_or_b32_e32 v27, v28, v27
	v_or_b32_e32 v25, v26, v25
	;; [unrolled: 1-line block ×4, first 2 shown]
	s_mov_b32 s4, exec_lo
	v_and_b32_e32 v27, 0xffff, v27
	v_lshlrev_b32_e32 v25, 16, v25
	v_lshlrev_b32_e32 v30, 16, v26
	v_and_b32_e32 v28, 0xffff, v28
	s_waitcnt lgkmcnt(0)
	s_barrier
	v_or_b32_e32 v26, v27, v25
	buffer_gl0_inv
	v_or_b32_e32 v25, v28, v30
                                        ; implicit-def: $sgpr2
	v_cmpx_ne_u32_e32 0, v0
	s_xor_b32 s4, exec_lo, s4
	s_cbranch_execz .LBB1067_54
; %bb.53:
	v_add_nc_u32_e32 v27, -8, v29
	s_or_b32 s12, s12, exec_lo
	ds_load_b64 v[27:28], v27
	s_waitcnt lgkmcnt(0)
	v_cmp_ne_u64_e32 vcc_lo, v[27:28], v[13:14]
	s_and_b32 s2, vcc_lo, exec_lo
.LBB1067_54:
	s_or_b32 exec_lo, exec_lo, s4
	s_delay_alu instid0(SALU_CYCLE_1)
	s_and_b32 vcc_lo, exec_lo, s3
	s_cbranch_vccnz .LBB1067_56
	s_branch .LBB1067_59
.LBB1067_55:
                                        ; implicit-def: $sgpr2
                                        ; implicit-def: $vgpr26
	s_cbranch_execz .LBB1067_59
.LBB1067_56:
	v_or_b32_e32 v25, 7, v29
	v_or_b32_e32 v26, 6, v29
	v_cmp_ne_u64_e32 vcc_lo, v[1:2], v[3:4]
	v_cmp_ne_u64_e64 s2, v[7:8], v[1:2]
	s_waitcnt vmcnt(0) lgkmcnt(2)
	v_or_b32_e32 v27, 4, v29
	v_cmp_gt_u32_e64 s3, s19, v25
	v_or_b32_e32 v25, 5, v29
	v_cmp_gt_u32_e64 s5, s19, v26
	v_cmp_ne_u64_e64 s4, v[5:6], v[7:8]
	v_cmp_ne_u64_e64 s6, v[11:12], v[5:6]
	s_and_b32 s3, s3, vcc_lo
	v_cmp_gt_u32_e32 vcc_lo, s19, v25
	v_cndmask_b32_e64 v26, 0, 1, s3
	v_cmp_gt_u32_e64 s3, s19, v27
	s_and_b32 s2, s5, s2
	v_or_b32_e32 v28, 3, v29
	v_cndmask_b32_e64 v25, 0, 1, s2
	s_and_b32 s2, vcc_lo, s4
	v_or_b32_e32 v31, 1, v29
	v_cndmask_b32_e64 v27, 0, 1, s2
	s_and_b32 s2, s3, s6
	v_cmp_ne_u64_e32 vcc_lo, v[9:10], v[11:12]
	v_cndmask_b32_e64 v30, 0, 1, s2
	v_cmp_gt_u32_e64 s2, s19, v28
	v_cmp_ne_u64_e64 s3, v[13:14], v[15:16]
	v_or_b32_e32 v32, 2, v29
	v_cmp_gt_u32_e64 s4, s19, v31
	v_cmp_ne_u64_e64 s5, v[15:16], v[9:10]
	s_and_b32 s2, s2, vcc_lo
	v_lshlrev_b16 v27, 8, v27
	v_cmp_gt_u32_e64 s6, s19, v32
	v_cndmask_b32_e64 v28, 0, 1, s2
	s_and_b32 s2, s4, s3
	v_lshlrev_b16 v26, 8, v26
	v_cndmask_b32_e64 v31, 0, 1, s2
	s_and_b32 s2, s6, s5
	v_lshlrev_b16 v28, 8, v28
	v_cndmask_b32_e64 v32, 0, 1, s2
	v_or_b32_e32 v27, v30, v27
	v_lshlrev_b16 v31, 8, v31
	v_or_b32_e32 v25, v25, v26
	s_mov_b32 s3, exec_lo
	v_or_b32_e32 v26, v32, v28
	v_and_b32_e32 v27, 0xffff, v27
	v_or_b32_e32 v28, 1, v31
	v_lshlrev_b32_e32 v25, 16, v25
	s_waitcnt lgkmcnt(0)
	v_lshlrev_b32_e32 v30, 16, v26
	s_barrier
	v_and_b32_e32 v28, 0xffff, v28
	v_or_b32_e32 v26, v27, v25
	buffer_gl0_inv
                                        ; implicit-def: $sgpr2
	v_or_b32_e32 v25, v28, v30
	v_cmpx_ne_u32_e32 0, v0
	s_cbranch_execz .LBB1067_58
; %bb.57:
	v_add_nc_u32_e32 v27, -8, v29
	v_cmp_gt_u32_e64 s2, s19, v29
	s_or_b32 s12, s12, exec_lo
	ds_load_b64 v[27:28], v27
	s_waitcnt lgkmcnt(0)
	v_cmp_ne_u64_e32 vcc_lo, v[27:28], v[13:14]
	s_and_b32 s2, s2, vcc_lo
	s_delay_alu instid0(SALU_CYCLE_1)
	s_and_b32 s2, s2, exec_lo
.LBB1067_58:
	s_or_b32 exec_lo, exec_lo, s3
.LBB1067_59:
	s_and_saveexec_b32 s3, s12
	s_cbranch_execz .LBB1067_61
; %bb.60:
	s_waitcnt vmcnt(0) lgkmcnt(1)
	v_and_b32_e32 v27, 0xffffff00, v25
	v_cndmask_b32_e64 v28, 0, 1, s2
	s_delay_alu instid0(VALU_DEP_1) | instskip(NEXT) | instid1(VALU_DEP_1)
	v_or_b32_e32 v27, v28, v27
	v_and_b32_e32 v27, 0xffff, v27
	s_delay_alu instid0(VALU_DEP_1)
	v_and_or_b32 v25, 0xffff0000, v25, v27
.LBB1067_61:
	s_or_b32 exec_lo, exec_lo, s3
	s_load_b64 s[12:13], s[0:1], 0x68
	s_and_not1_b32 vcc_lo, exec_lo, s20
	s_cbranch_vccnz .LBB1067_63
; %bb.62:
	v_cmp_gt_u32_e32 vcc_lo, s19, v29
	s_waitcnt vmcnt(0) lgkmcnt(0)
	v_or_b32_e32 v28, 1, v29
	v_or_b32_e32 v31, 2, v29
	v_dual_cndmask_b32 v27, 0, v25 :: v_dual_and_b32 v30, 0xffffff00, v26
	s_delay_alu instid0(VALU_DEP_3) | instskip(SKIP_1) | instid1(VALU_DEP_4)
	v_cmp_gt_u32_e32 vcc_lo, s19, v28
	v_or_b32_e32 v28, 4, v29
	v_cmp_gt_u32_e64 s2, s19, v31
	v_or_b32_e32 v31, 3, v29
	v_and_b32_e32 v27, 0xff, v27
	s_delay_alu instid0(VALU_DEP_2) | instskip(NEXT) | instid1(VALU_DEP_2)
	v_cmp_gt_u32_e64 s3, s19, v31
	v_cndmask_b32_e32 v27, v27, v25, vcc_lo
	v_cmp_gt_u32_e32 vcc_lo, s19, v28
	v_cndmask_b32_e32 v28, v30, v26, vcc_lo
	v_or_b32_e32 v30, 5, v29
	s_delay_alu instid0(VALU_DEP_2) | instskip(SKIP_1) | instid1(VALU_DEP_1)
	v_and_b32_e32 v28, 0xffff00ff, v28
	v_and_b32_e32 v27, 0xffff, v27
	v_cndmask_b32_e64 v27, v27, v25, s2
	s_delay_alu instid0(VALU_DEP_4) | instskip(SKIP_2) | instid1(VALU_DEP_4)
	v_cmp_gt_u32_e64 s2, s19, v30
	v_or_b32_e32 v30, 6, v29
	v_or_b32_e32 v29, 7, v29
	v_and_b32_e32 v27, 0xffffff, v27
	s_delay_alu instid0(VALU_DEP_4) | instskip(NEXT) | instid1(VALU_DEP_2)
	v_cndmask_b32_e64 v28, v28, v26, s2
	v_cndmask_b32_e64 v27, v27, v25, s3
	s_delay_alu instid0(VALU_DEP_1) | instskip(SKIP_1) | instid1(VALU_DEP_2)
	v_dual_cndmask_b32 v27, v27, v25 :: v_dual_and_b32 v28, 0xff00ffff, v28
	v_cmp_gt_u32_e32 vcc_lo, s19, v30
	v_cndmask_b32_e64 v27, v27, v25, s2
	s_delay_alu instid0(VALU_DEP_1) | instskip(NEXT) | instid1(VALU_DEP_1)
	v_dual_cndmask_b32 v28, v28, v26 :: v_dual_cndmask_b32 v27, v27, v25
	v_and_b32_e32 v28, 0xffffff, v28
	v_cmp_gt_u32_e32 vcc_lo, s19, v29
	s_delay_alu instid0(VALU_DEP_2)
	v_dual_cndmask_b32 v26, v28, v26 :: v_dual_cndmask_b32 v25, v27, v25
.LBB1067_63:
	s_delay_alu instid0(VALU_DEP_1) | instskip(SKIP_1) | instid1(VALU_DEP_2)
	v_and_b32_e32 v36, 0xff, v25
	s_waitcnt vmcnt(0) lgkmcnt(0)
	v_alignbit_b32 v27, v26, v25, 24
	v_bfe_u32 v38, v25, 8, 8
	v_bfe_u32 v40, v25, 16, 8
	v_and_b32_e32 v44, 0xff, v26
	v_bfe_u32 v46, v26, 8, 8
	v_and_b32_e32 v42, 0xff, v27
	v_add_nc_u32_e32 v27, v38, v36
	v_mbcnt_lo_u32_b32 v49, -1, 0
	v_bfe_u32 v48, v26, 16, 8
	v_lshrrev_b32_e32 v47, 24, v26
	v_lshrrev_b32_e32 v50, 5, v0
	v_add3_u32 v27, v27, v40, v42
	v_and_b32_e32 v28, 15, v49
	v_and_b32_e32 v29, 16, v49
	s_and_b32 vcc_lo, exec_lo, s9
	s_mov_b32 s19, -1
	v_add3_u32 v27, v27, v44, v46
	v_cmp_eq_u32_e64 s4, 0, v28
	v_cmp_lt_u32_e64 s2, 1, v28
	v_cmp_lt_u32_e64 s5, 3, v28
	v_cmp_lt_u32_e64 s3, 7, v28
	v_add3_u32 v51, v27, v48, v47
	v_or_b32_e32 v27, 31, v0
	v_cmp_eq_u32_e64 s7, 0, v29
	s_barrier
	buffer_gl0_inv
	v_cmp_eq_u32_e64 s6, v27, v0
	s_cbranch_vccz .LBB1067_94
; %bb.64:
	v_mov_b32_dpp v27, v51 row_shr:1 row_mask:0xf bank_mask:0xf
	s_delay_alu instid0(VALU_DEP_1) | instskip(NEXT) | instid1(VALU_DEP_1)
	v_cndmask_b32_e64 v27, v27, 0, s4
	v_add_nc_u32_e32 v27, v27, v51
	s_delay_alu instid0(VALU_DEP_1) | instskip(NEXT) | instid1(VALU_DEP_1)
	v_mov_b32_dpp v28, v27 row_shr:2 row_mask:0xf bank_mask:0xf
	v_cndmask_b32_e64 v28, 0, v28, s2
	s_delay_alu instid0(VALU_DEP_1) | instskip(NEXT) | instid1(VALU_DEP_1)
	v_add_nc_u32_e32 v27, v27, v28
	v_mov_b32_dpp v28, v27 row_shr:4 row_mask:0xf bank_mask:0xf
	s_delay_alu instid0(VALU_DEP_1) | instskip(NEXT) | instid1(VALU_DEP_1)
	v_cndmask_b32_e64 v28, 0, v28, s5
	v_add_nc_u32_e32 v27, v27, v28
	s_delay_alu instid0(VALU_DEP_1) | instskip(NEXT) | instid1(VALU_DEP_1)
	v_mov_b32_dpp v28, v27 row_shr:8 row_mask:0xf bank_mask:0xf
	v_cndmask_b32_e64 v28, 0, v28, s3
	s_delay_alu instid0(VALU_DEP_1) | instskip(SKIP_3) | instid1(VALU_DEP_1)
	v_add_nc_u32_e32 v27, v27, v28
	ds_swizzle_b32 v28, v27 offset:swizzle(BROADCAST,32,15)
	s_waitcnt lgkmcnt(0)
	v_cndmask_b32_e64 v28, v28, 0, s7
	v_add_nc_u32_e32 v27, v27, v28
	s_and_saveexec_b32 s8, s6
	s_cbranch_execz .LBB1067_66
; %bb.65:
	v_lshlrev_b32_e32 v28, 2, v50
	ds_store_b32 v28, v27
.LBB1067_66:
	s_or_b32 exec_lo, exec_lo, s8
	s_delay_alu instid0(SALU_CYCLE_1)
	s_mov_b32 s8, exec_lo
	s_waitcnt lgkmcnt(0)
	s_barrier
	buffer_gl0_inv
	v_cmpx_gt_u32_e32 16, v0
	s_cbranch_execz .LBB1067_68
; %bb.67:
	v_lshlrev_b32_e32 v28, 2, v0
	ds_load_b32 v29, v28
	s_waitcnt lgkmcnt(0)
	v_mov_b32_dpp v30, v29 row_shr:1 row_mask:0xf bank_mask:0xf
	s_delay_alu instid0(VALU_DEP_1) | instskip(NEXT) | instid1(VALU_DEP_1)
	v_cndmask_b32_e64 v30, v30, 0, s4
	v_add_nc_u32_e32 v29, v30, v29
	s_delay_alu instid0(VALU_DEP_1) | instskip(NEXT) | instid1(VALU_DEP_1)
	v_mov_b32_dpp v30, v29 row_shr:2 row_mask:0xf bank_mask:0xf
	v_cndmask_b32_e64 v30, 0, v30, s2
	s_delay_alu instid0(VALU_DEP_1) | instskip(NEXT) | instid1(VALU_DEP_1)
	v_add_nc_u32_e32 v29, v29, v30
	v_mov_b32_dpp v30, v29 row_shr:4 row_mask:0xf bank_mask:0xf
	s_delay_alu instid0(VALU_DEP_1) | instskip(NEXT) | instid1(VALU_DEP_1)
	v_cndmask_b32_e64 v30, 0, v30, s5
	v_add_nc_u32_e32 v29, v29, v30
	s_delay_alu instid0(VALU_DEP_1) | instskip(NEXT) | instid1(VALU_DEP_1)
	v_mov_b32_dpp v30, v29 row_shr:8 row_mask:0xf bank_mask:0xf
	v_cndmask_b32_e64 v30, 0, v30, s3
	s_delay_alu instid0(VALU_DEP_1)
	v_add_nc_u32_e32 v29, v29, v30
	ds_store_b32 v28, v29
.LBB1067_68:
	s_or_b32 exec_lo, exec_lo, s8
	v_cmp_gt_u32_e32 vcc_lo, 32, v0
	s_mov_b32 s9, exec_lo
	s_waitcnt lgkmcnt(0)
	s_barrier
	buffer_gl0_inv
                                        ; implicit-def: $vgpr35
	v_cmpx_lt_u32_e32 31, v0
	s_cbranch_execz .LBB1067_70
; %bb.69:
	v_lshl_add_u32 v28, v50, 2, -4
	ds_load_b32 v35, v28
	s_waitcnt lgkmcnt(0)
	v_add_nc_u32_e32 v27, v35, v27
.LBB1067_70:
	s_or_b32 exec_lo, exec_lo, s9
	v_add_nc_u32_e32 v28, -1, v49
	s_delay_alu instid0(VALU_DEP_1) | instskip(NEXT) | instid1(VALU_DEP_1)
	v_cmp_gt_i32_e64 s8, 0, v28
	v_cndmask_b32_e64 v28, v28, v49, s8
	v_cmp_eq_u32_e64 s8, 0, v49
	s_delay_alu instid0(VALU_DEP_2)
	v_lshlrev_b32_e32 v28, 2, v28
	ds_bpermute_b32 v37, v28, v27
	s_and_saveexec_b32 s9, vcc_lo
	s_cbranch_execz .LBB1067_93
; %bb.71:
	v_mov_b32_e32 v31, 0
	ds_load_b32 v27, v31 offset:60
	s_and_saveexec_b32 s19, s8
	s_cbranch_execz .LBB1067_73
; %bb.72:
	s_add_i32 s20, s15, 32
	s_mov_b32 s21, 0
	v_mov_b32_e32 v28, 1
	s_lshl_b64 s[20:21], s[20:21], 3
	s_delay_alu instid0(SALU_CYCLE_1)
	s_add_u32 s20, s12, s20
	s_addc_u32 s21, s13, s21
	s_waitcnt lgkmcnt(0)
	global_store_b64 v31, v[27:28], s[20:21]
.LBB1067_73:
	s_or_b32 exec_lo, exec_lo, s19
	v_xad_u32 v29, v49, -1, s15
	s_mov_b32 s20, 0
	s_mov_b32 s19, exec_lo
	s_delay_alu instid0(VALU_DEP_1) | instskip(NEXT) | instid1(VALU_DEP_1)
	v_add_nc_u32_e32 v30, 32, v29
	v_lshlrev_b64 v[30:31], 3, v[30:31]
	s_delay_alu instid0(VALU_DEP_1) | instskip(NEXT) | instid1(VALU_DEP_2)
	v_add_co_u32 v33, vcc_lo, s12, v30
	v_add_co_ci_u32_e32 v34, vcc_lo, s13, v31, vcc_lo
	global_load_b64 v[31:32], v[33:34], off glc
	s_waitcnt vmcnt(0)
	v_and_b32_e32 v28, 0xff, v32
	s_delay_alu instid0(VALU_DEP_1)
	v_cmpx_eq_u16_e32 0, v28
	s_cbranch_execz .LBB1067_79
; %bb.74:
	s_mov_b32 s21, 1
	.p2align	6
.LBB1067_75:                            ; =>This Loop Header: Depth=1
                                        ;     Child Loop BB1067_76 Depth 2
	s_delay_alu instid0(SALU_CYCLE_1)
	s_max_u32 s22, s21, 1
.LBB1067_76:                            ;   Parent Loop BB1067_75 Depth=1
                                        ; =>  This Inner Loop Header: Depth=2
	s_delay_alu instid0(SALU_CYCLE_1)
	s_add_i32 s22, s22, -1
	s_sleep 1
	s_cmp_eq_u32 s22, 0
	s_cbranch_scc0 .LBB1067_76
; %bb.77:                               ;   in Loop: Header=BB1067_75 Depth=1
	global_load_b64 v[31:32], v[33:34], off glc
	s_cmp_lt_u32 s21, 32
	s_cselect_b32 s22, -1, 0
	s_delay_alu instid0(SALU_CYCLE_1) | instskip(SKIP_3) | instid1(VALU_DEP_1)
	s_cmp_lg_u32 s22, 0
	s_addc_u32 s21, s21, 0
	s_waitcnt vmcnt(0)
	v_and_b32_e32 v28, 0xff, v32
	v_cmp_ne_u16_e32 vcc_lo, 0, v28
	s_or_b32 s20, vcc_lo, s20
	s_delay_alu instid0(SALU_CYCLE_1)
	s_and_not1_b32 exec_lo, exec_lo, s20
	s_cbranch_execnz .LBB1067_75
; %bb.78:
	s_or_b32 exec_lo, exec_lo, s20
.LBB1067_79:
	s_delay_alu instid0(SALU_CYCLE_1)
	s_or_b32 exec_lo, exec_lo, s19
	v_cmp_ne_u32_e32 vcc_lo, 31, v49
	v_lshlrev_b32_e64 v41, v49, -1
	v_add_nc_u32_e32 v45, 2, v49
	v_add_nc_u32_e32 v53, 4, v49
	v_add_nc_u32_e32 v55, 8, v49
	v_add_co_ci_u32_e32 v28, vcc_lo, 0, v49, vcc_lo
	v_add_nc_u32_e32 v57, 16, v49
	s_delay_alu instid0(VALU_DEP_2)
	v_lshlrev_b32_e32 v39, 2, v28
	v_and_b32_e32 v28, 0xff, v32
	ds_bpermute_b32 v30, v39, v31
	v_cmp_eq_u16_e32 vcc_lo, 2, v28
	v_and_or_b32 v28, vcc_lo, v41, 0x80000000
	v_cmp_gt_u32_e32 vcc_lo, 30, v49
	s_delay_alu instid0(VALU_DEP_2) | instskip(SKIP_1) | instid1(VALU_DEP_2)
	v_ctz_i32_b32_e32 v28, v28
	v_cndmask_b32_e64 v33, 0, 1, vcc_lo
	v_cmp_lt_u32_e32 vcc_lo, v49, v28
	s_waitcnt lgkmcnt(0)
	s_delay_alu instid0(VALU_DEP_2) | instskip(NEXT) | instid1(VALU_DEP_1)
	v_dual_cndmask_b32 v30, 0, v30 :: v_dual_lshlrev_b32 v33, 1, v33
	v_add_lshl_u32 v43, v33, v49, 2
	v_cmp_gt_u32_e32 vcc_lo, 28, v49
	s_delay_alu instid0(VALU_DEP_3) | instskip(SKIP_4) | instid1(VALU_DEP_1)
	v_add_nc_u32_e32 v30, v30, v31
	v_cndmask_b32_e64 v33, 0, 1, vcc_lo
	v_cmp_le_u32_e32 vcc_lo, v45, v28
	ds_bpermute_b32 v31, v43, v30
	v_lshlrev_b32_e32 v33, 2, v33
	v_add_lshl_u32 v52, v33, v49, 2
	s_waitcnt lgkmcnt(0)
	v_cndmask_b32_e32 v31, 0, v31, vcc_lo
	v_cmp_gt_u32_e32 vcc_lo, 24, v49
	s_delay_alu instid0(VALU_DEP_2) | instskip(SKIP_4) | instid1(VALU_DEP_1)
	v_add_nc_u32_e32 v30, v30, v31
	v_cndmask_b32_e64 v33, 0, 1, vcc_lo
	v_cmp_le_u32_e32 vcc_lo, v53, v28
	ds_bpermute_b32 v31, v52, v30
	v_lshlrev_b32_e32 v33, 3, v33
	v_add_lshl_u32 v54, v33, v49, 2
	s_waitcnt lgkmcnt(0)
	v_cndmask_b32_e32 v31, 0, v31, vcc_lo
	v_cmp_gt_u32_e32 vcc_lo, 16, v49
	s_delay_alu instid0(VALU_DEP_2) | instskip(SKIP_4) | instid1(VALU_DEP_1)
	v_add_nc_u32_e32 v30, v30, v31
	v_cndmask_b32_e64 v33, 0, 1, vcc_lo
	v_cmp_le_u32_e32 vcc_lo, v55, v28
	ds_bpermute_b32 v31, v54, v30
	v_lshlrev_b32_e32 v33, 4, v33
	v_add_lshl_u32 v56, v33, v49, 2
	s_waitcnt lgkmcnt(0)
	v_cndmask_b32_e32 v31, 0, v31, vcc_lo
	v_cmp_le_u32_e32 vcc_lo, v57, v28
	s_delay_alu instid0(VALU_DEP_2) | instskip(SKIP_3) | instid1(VALU_DEP_1)
	v_add_nc_u32_e32 v30, v30, v31
	ds_bpermute_b32 v31, v56, v30
	s_waitcnt lgkmcnt(0)
	v_cndmask_b32_e32 v28, 0, v31, vcc_lo
	v_dual_mov_b32 v30, 0 :: v_dual_add_nc_u32 v31, v30, v28
	s_branch .LBB1067_81
.LBB1067_80:                            ;   in Loop: Header=BB1067_81 Depth=1
	s_or_b32 exec_lo, exec_lo, s19
	ds_bpermute_b32 v34, v39, v31
	v_and_b32_e32 v33, 0xff, v32
	v_subrev_nc_u32_e32 v29, 32, v29
	s_delay_alu instid0(VALU_DEP_2) | instskip(SKIP_1) | instid1(VALU_DEP_1)
	v_cmp_eq_u16_e32 vcc_lo, 2, v33
	v_and_or_b32 v33, vcc_lo, v41, 0x80000000
	v_ctz_i32_b32_e32 v33, v33
	s_delay_alu instid0(VALU_DEP_1) | instskip(SKIP_3) | instid1(VALU_DEP_2)
	v_cmp_lt_u32_e32 vcc_lo, v49, v33
	s_waitcnt lgkmcnt(0)
	v_cndmask_b32_e32 v34, 0, v34, vcc_lo
	v_cmp_le_u32_e32 vcc_lo, v45, v33
	v_add_nc_u32_e32 v31, v34, v31
	ds_bpermute_b32 v34, v43, v31
	s_waitcnt lgkmcnt(0)
	v_cndmask_b32_e32 v34, 0, v34, vcc_lo
	v_cmp_le_u32_e32 vcc_lo, v53, v33
	s_delay_alu instid0(VALU_DEP_2) | instskip(SKIP_4) | instid1(VALU_DEP_2)
	v_add_nc_u32_e32 v31, v31, v34
	ds_bpermute_b32 v34, v52, v31
	s_waitcnt lgkmcnt(0)
	v_cndmask_b32_e32 v34, 0, v34, vcc_lo
	v_cmp_le_u32_e32 vcc_lo, v55, v33
	v_add_nc_u32_e32 v31, v31, v34
	ds_bpermute_b32 v34, v54, v31
	s_waitcnt lgkmcnt(0)
	v_cndmask_b32_e32 v34, 0, v34, vcc_lo
	v_cmp_le_u32_e32 vcc_lo, v57, v33
	s_delay_alu instid0(VALU_DEP_2) | instskip(SKIP_3) | instid1(VALU_DEP_1)
	v_add_nc_u32_e32 v31, v31, v34
	ds_bpermute_b32 v34, v56, v31
	s_waitcnt lgkmcnt(0)
	v_cndmask_b32_e32 v33, 0, v34, vcc_lo
	v_add3_u32 v31, v33, v28, v31
.LBB1067_81:                            ; =>This Loop Header: Depth=1
                                        ;     Child Loop BB1067_84 Depth 2
                                        ;       Child Loop BB1067_85 Depth 3
	v_and_b32_e32 v28, 0xff, v32
	s_delay_alu instid0(VALU_DEP_1) | instskip(SKIP_2) | instid1(VALU_DEP_1)
	v_cmp_ne_u16_e32 vcc_lo, 2, v28
	v_cndmask_b32_e64 v28, 0, 1, vcc_lo
	;;#ASMSTART
	;;#ASMEND
	v_cmp_ne_u32_e32 vcc_lo, 0, v28
	v_mov_b32_e32 v28, v31
	s_cmp_lg_u32 vcc_lo, exec_lo
	s_cbranch_scc1 .LBB1067_88
; %bb.82:                               ;   in Loop: Header=BB1067_81 Depth=1
	v_lshlrev_b64 v[31:32], 3, v[29:30]
	s_mov_b32 s19, exec_lo
	s_delay_alu instid0(VALU_DEP_1) | instskip(NEXT) | instid1(VALU_DEP_2)
	v_add_co_u32 v33, vcc_lo, s12, v31
	v_add_co_ci_u32_e32 v34, vcc_lo, s13, v32, vcc_lo
	global_load_b64 v[31:32], v[33:34], off glc
	s_waitcnt vmcnt(0)
	v_and_b32_e32 v58, 0xff, v32
	s_delay_alu instid0(VALU_DEP_1)
	v_cmpx_eq_u16_e32 0, v58
	s_cbranch_execz .LBB1067_80
; %bb.83:                               ;   in Loop: Header=BB1067_81 Depth=1
	s_mov_b32 s21, 1
	s_mov_b32 s20, 0
	.p2align	6
.LBB1067_84:                            ;   Parent Loop BB1067_81 Depth=1
                                        ; =>  This Loop Header: Depth=2
                                        ;       Child Loop BB1067_85 Depth 3
	s_max_u32 s22, s21, 1
.LBB1067_85:                            ;   Parent Loop BB1067_81 Depth=1
                                        ;     Parent Loop BB1067_84 Depth=2
                                        ; =>    This Inner Loop Header: Depth=3
	s_delay_alu instid0(SALU_CYCLE_1)
	s_add_i32 s22, s22, -1
	s_sleep 1
	s_cmp_eq_u32 s22, 0
	s_cbranch_scc0 .LBB1067_85
; %bb.86:                               ;   in Loop: Header=BB1067_84 Depth=2
	global_load_b64 v[31:32], v[33:34], off glc
	s_cmp_lt_u32 s21, 32
	s_cselect_b32 s22, -1, 0
	s_delay_alu instid0(SALU_CYCLE_1) | instskip(SKIP_3) | instid1(VALU_DEP_1)
	s_cmp_lg_u32 s22, 0
	s_addc_u32 s21, s21, 0
	s_waitcnt vmcnt(0)
	v_and_b32_e32 v58, 0xff, v32
	v_cmp_ne_u16_e32 vcc_lo, 0, v58
	s_or_b32 s20, vcc_lo, s20
	s_delay_alu instid0(SALU_CYCLE_1)
	s_and_not1_b32 exec_lo, exec_lo, s20
	s_cbranch_execnz .LBB1067_84
; %bb.87:                               ;   in Loop: Header=BB1067_81 Depth=1
	s_or_b32 exec_lo, exec_lo, s20
	s_branch .LBB1067_80
.LBB1067_88:                            ;   in Loop: Header=BB1067_81 Depth=1
                                        ; implicit-def: $vgpr31
                                        ; implicit-def: $vgpr32
	s_cbranch_execz .LBB1067_81
; %bb.89:
	s_and_saveexec_b32 s19, s8
	s_cbranch_execz .LBB1067_91
; %bb.90:
	s_add_i32 s20, s15, 32
	s_mov_b32 s21, 0
	v_dual_mov_b32 v30, 2 :: v_dual_add_nc_u32 v29, v28, v27
	s_lshl_b64 s[20:21], s[20:21], 3
	v_mov_b32_e32 v31, 0
	s_add_u32 s20, s12, s20
	s_addc_u32 s21, s13, s21
	global_store_b64 v31, v[29:30], s[20:21]
	ds_store_b64 v31, v[27:28] offset:33792
.LBB1067_91:
	s_or_b32 exec_lo, exec_lo, s19
	v_cmp_eq_u32_e32 vcc_lo, 0, v0
	s_and_b32 exec_lo, exec_lo, vcc_lo
	s_cbranch_execz .LBB1067_93
; %bb.92:
	v_mov_b32_e32 v27, 0
	ds_store_b32 v27, v28 offset:60
.LBB1067_93:
	s_or_b32 exec_lo, exec_lo, s9
	v_mov_b32_e32 v27, 0
	s_waitcnt lgkmcnt(0)
	s_waitcnt_vscnt null, 0x0
	s_barrier
	buffer_gl0_inv
	v_cndmask_b32_e64 v29, v37, v35, s8
	ds_load_b32 v28, v27 offset:60
	v_cmp_ne_u32_e32 vcc_lo, 0, v0
	s_waitcnt lgkmcnt(0)
	s_barrier
	buffer_gl0_inv
	v_cndmask_b32_e32 v29, 0, v29, vcc_lo
	s_delay_alu instid0(VALU_DEP_1) | instskip(SKIP_2) | instid1(VALU_DEP_1)
	v_add_nc_u32_e32 v45, v28, v29
	ds_load_b64 v[27:28], v27 offset:33792
	v_add_nc_u32_e32 v43, v45, v36
	v_add_nc_u32_e32 v41, v43, v38
	s_delay_alu instid0(VALU_DEP_1) | instskip(NEXT) | instid1(VALU_DEP_1)
	v_add_nc_u32_e32 v39, v41, v40
	v_add_nc_u32_e32 v37, v39, v42
	s_delay_alu instid0(VALU_DEP_1) | instskip(NEXT) | instid1(VALU_DEP_1)
	v_add_nc_u32_e32 v35, v37, v44
	v_add_nc_u32_e32 v33, v35, v46
	s_delay_alu instid0(VALU_DEP_1)
	v_add_nc_u32_e32 v31, v33, v48
	s_load_b64 s[8:9], s[0:1], 0x38
	v_lshrrev_b64 v[29:30], 24, v[25:26]
	s_branch .LBB1067_104
.LBB1067_94:
                                        ; implicit-def: $vgpr31
                                        ; implicit-def: $vgpr33
                                        ; implicit-def: $vgpr35
                                        ; implicit-def: $vgpr37
                                        ; implicit-def: $vgpr39
                                        ; implicit-def: $vgpr41
                                        ; implicit-def: $vgpr43
                                        ; implicit-def: $vgpr45
                                        ; implicit-def: $vgpr28
	s_load_b64 s[8:9], s[0:1], 0x38
	v_lshrrev_b64 v[29:30], 24, v[25:26]
	s_and_b32 vcc_lo, exec_lo, s19
	s_cbranch_vccz .LBB1067_104
; %bb.95:
	s_waitcnt lgkmcnt(0)
	v_mov_b32_dpp v27, v51 row_shr:1 row_mask:0xf bank_mask:0xf
	s_delay_alu instid0(VALU_DEP_1) | instskip(NEXT) | instid1(VALU_DEP_1)
	v_cndmask_b32_e64 v27, v27, 0, s4
	v_add_nc_u32_e32 v27, v27, v51
	s_delay_alu instid0(VALU_DEP_1) | instskip(NEXT) | instid1(VALU_DEP_1)
	v_mov_b32_dpp v28, v27 row_shr:2 row_mask:0xf bank_mask:0xf
	v_cndmask_b32_e64 v28, 0, v28, s2
	s_delay_alu instid0(VALU_DEP_1) | instskip(NEXT) | instid1(VALU_DEP_1)
	v_add_nc_u32_e32 v27, v27, v28
	v_mov_b32_dpp v28, v27 row_shr:4 row_mask:0xf bank_mask:0xf
	s_delay_alu instid0(VALU_DEP_1) | instskip(NEXT) | instid1(VALU_DEP_1)
	v_cndmask_b32_e64 v28, 0, v28, s5
	v_add_nc_u32_e32 v27, v27, v28
	s_delay_alu instid0(VALU_DEP_1) | instskip(NEXT) | instid1(VALU_DEP_1)
	v_mov_b32_dpp v28, v27 row_shr:8 row_mask:0xf bank_mask:0xf
	v_cndmask_b32_e64 v28, 0, v28, s3
	s_delay_alu instid0(VALU_DEP_1) | instskip(SKIP_3) | instid1(VALU_DEP_1)
	v_add_nc_u32_e32 v27, v27, v28
	ds_swizzle_b32 v28, v27 offset:swizzle(BROADCAST,32,15)
	s_waitcnt lgkmcnt(0)
	v_cndmask_b32_e64 v28, v28, 0, s7
	v_add_nc_u32_e32 v27, v27, v28
	s_and_saveexec_b32 s0, s6
	s_cbranch_execz .LBB1067_97
; %bb.96:
	v_lshlrev_b32_e32 v28, 2, v50
	ds_store_b32 v28, v27
.LBB1067_97:
	s_or_b32 exec_lo, exec_lo, s0
	s_delay_alu instid0(SALU_CYCLE_1)
	s_mov_b32 s0, exec_lo
	s_waitcnt lgkmcnt(0)
	s_barrier
	buffer_gl0_inv
	v_cmpx_gt_u32_e32 16, v0
	s_cbranch_execz .LBB1067_99
; %bb.98:
	v_lshlrev_b32_e32 v28, 2, v0
	ds_load_b32 v30, v28
	s_waitcnt lgkmcnt(0)
	v_mov_b32_dpp v31, v30 row_shr:1 row_mask:0xf bank_mask:0xf
	s_delay_alu instid0(VALU_DEP_1) | instskip(NEXT) | instid1(VALU_DEP_1)
	v_cndmask_b32_e64 v31, v31, 0, s4
	v_add_nc_u32_e32 v30, v31, v30
	s_delay_alu instid0(VALU_DEP_1) | instskip(NEXT) | instid1(VALU_DEP_1)
	v_mov_b32_dpp v31, v30 row_shr:2 row_mask:0xf bank_mask:0xf
	v_cndmask_b32_e64 v31, 0, v31, s2
	s_delay_alu instid0(VALU_DEP_1) | instskip(NEXT) | instid1(VALU_DEP_1)
	v_add_nc_u32_e32 v30, v30, v31
	v_mov_b32_dpp v31, v30 row_shr:4 row_mask:0xf bank_mask:0xf
	s_delay_alu instid0(VALU_DEP_1) | instskip(NEXT) | instid1(VALU_DEP_1)
	v_cndmask_b32_e64 v31, 0, v31, s5
	v_add_nc_u32_e32 v30, v30, v31
	s_delay_alu instid0(VALU_DEP_1) | instskip(NEXT) | instid1(VALU_DEP_1)
	v_mov_b32_dpp v31, v30 row_shr:8 row_mask:0xf bank_mask:0xf
	v_cndmask_b32_e64 v31, 0, v31, s3
	s_delay_alu instid0(VALU_DEP_1)
	v_add_nc_u32_e32 v30, v30, v31
	ds_store_b32 v28, v30
.LBB1067_99:
	s_or_b32 exec_lo, exec_lo, s0
	v_mov_b32_e32 v28, 0
	v_mov_b32_e32 v30, 0
	s_mov_b32 s0, exec_lo
	s_waitcnt lgkmcnt(0)
	s_barrier
	buffer_gl0_inv
	v_cmpx_lt_u32_e32 31, v0
	s_cbranch_execz .LBB1067_101
; %bb.100:
	v_lshl_add_u32 v30, v50, 2, -4
	ds_load_b32 v30, v30
.LBB1067_101:
	s_or_b32 exec_lo, exec_lo, s0
	v_add_nc_u32_e32 v31, -1, v49
	s_waitcnt lgkmcnt(0)
	v_add_nc_u32_e32 v27, v30, v27
	s_delay_alu instid0(VALU_DEP_2) | instskip(SKIP_2) | instid1(VALU_DEP_2)
	v_cmp_gt_i32_e32 vcc_lo, 0, v31
	v_cndmask_b32_e32 v31, v31, v49, vcc_lo
	v_cmp_eq_u32_e32 vcc_lo, 0, v0
	v_lshlrev_b32_e32 v31, 2, v31
	ds_bpermute_b32 v31, v31, v27
	ds_load_b32 v27, v28 offset:60
	s_and_saveexec_b32 s0, vcc_lo
	s_cbranch_execz .LBB1067_103
; %bb.102:
	v_mov_b32_e32 v32, 0
	v_mov_b32_e32 v28, 2
	s_waitcnt lgkmcnt(0)
	global_store_b64 v32, v[27:28], s[12:13] offset:256
.LBB1067_103:
	s_or_b32 exec_lo, exec_lo, s0
	v_cmp_eq_u32_e64 s0, 0, v49
	s_waitcnt lgkmcnt(0)
	s_waitcnt_vscnt null, 0x0
	s_barrier
	buffer_gl0_inv
	v_cndmask_b32_e64 v28, v31, v30, s0
	s_delay_alu instid0(VALU_DEP_1) | instskip(NEXT) | instid1(VALU_DEP_1)
	v_cndmask_b32_e64 v45, v28, 0, vcc_lo
	v_dual_mov_b32 v28, 0 :: v_dual_add_nc_u32 v43, v45, v36
	s_delay_alu instid0(VALU_DEP_1) | instskip(NEXT) | instid1(VALU_DEP_1)
	v_add_nc_u32_e32 v41, v43, v38
	v_add_nc_u32_e32 v39, v41, v40
	s_delay_alu instid0(VALU_DEP_1) | instskip(NEXT) | instid1(VALU_DEP_1)
	v_add_nc_u32_e32 v37, v39, v42
	v_add_nc_u32_e32 v35, v37, v44
	;; [unrolled: 3-line block ×3, first 2 shown]
.LBB1067_104:
	v_lshrrev_b32_e32 v50, 8, v25
	v_lshrrev_b32_e32 v49, 16, v25
	v_and_b32_e32 v25, 1, v25
	s_waitcnt lgkmcnt(0)
	v_cmp_gt_u32_e64 s0, 0x201, v27
	v_lshrrev_b32_e32 v48, 8, v26
	v_lshrrev_b32_e32 v30, 16, v26
	v_cmp_eq_u32_e64 s1, 1, v25
	s_delay_alu instid0(VALU_DEP_4)
	s_and_b32 vcc_lo, exec_lo, s0
	s_cbranch_vccnz .LBB1067_122
; %bb.105:
	s_delay_alu instid0(VALU_DEP_1)
	s_and_saveexec_b32 s2, s1
	s_cbranch_execz .LBB1067_107
; %bb.106:
	v_sub_nc_u32_e32 v32, v45, v28
	s_delay_alu instid0(VALU_DEP_1)
	v_lshlrev_b32_e32 v32, 3, v32
	ds_store_b64 v32, v[13:14]
.LBB1067_107:
	s_or_b32 exec_lo, exec_lo, s2
	v_and_b32_e32 v13, 1, v50
	s_mov_b32 s1, exec_lo
	s_delay_alu instid0(VALU_DEP_1)
	v_cmpx_eq_u32_e32 1, v13
	s_cbranch_execz .LBB1067_109
; %bb.108:
	v_sub_nc_u32_e32 v13, v43, v28
	s_delay_alu instid0(VALU_DEP_1)
	v_lshlrev_b32_e32 v13, 3, v13
	ds_store_b64 v13, v[15:16]
.LBB1067_109:
	s_or_b32 exec_lo, exec_lo, s1
	v_and_b32_e32 v13, 1, v49
	s_mov_b32 s1, exec_lo
	s_delay_alu instid0(VALU_DEP_1)
	v_cmpx_eq_u32_e32 1, v13
	;; [unrolled: 12-line block ×7, first 2 shown]
	s_cbranch_execz .LBB1067_121
; %bb.120:
	v_sub_nc_u32_e32 v1, v31, v28
	s_delay_alu instid0(VALU_DEP_1)
	v_lshlrev_b32_e32 v1, 3, v1
	ds_store_b64 v1, v[3:4]
.LBB1067_121:
	s_or_b32 exec_lo, exec_lo, s1
	s_waitcnt lgkmcnt(0)
	s_barrier
	buffer_gl0_inv
.LBB1067_122:
	s_and_b32 vcc_lo, exec_lo, s0
	s_mov_b32 s0, -1
	s_barrier
	buffer_gl0_inv
	s_cbranch_vccz .LBB1067_150
; %bb.123:
	v_add_nc_u32_e32 v1, v28, v27
	s_lshl_b64 s[0:1], s[10:11], 2
	s_delay_alu instid0(SALU_CYCLE_1) | instskip(SKIP_1) | instid1(VALU_DEP_1)
	s_add_u32 s0, s8, s0
	s_addc_u32 s1, s9, s1
	v_cmp_lt_u32_e32 vcc_lo, v45, v1
	s_or_b32 s3, s18, vcc_lo
	s_delay_alu instid0(SALU_CYCLE_1)
	s_and_saveexec_b32 s2, s3
	s_cbranch_execz .LBB1067_126
; %bb.124:
	v_cmp_eq_u32_e32 vcc_lo, 1, v25
	s_and_b32 exec_lo, exec_lo, vcc_lo
	s_cbranch_execz .LBB1067_126
; %bb.125:
	v_mov_b32_e32 v46, 0
	s_delay_alu instid0(VALU_DEP_1) | instskip(NEXT) | instid1(VALU_DEP_1)
	v_lshlrev_b64 v[2:3], 2, v[45:46]
	v_add_co_u32 v2, vcc_lo, s0, v2
	s_delay_alu instid0(VALU_DEP_2)
	v_add_co_ci_u32_e32 v3, vcc_lo, s1, v3, vcc_lo
	global_store_b32 v[2:3], v23, off
.LBB1067_126:
	s_or_b32 exec_lo, exec_lo, s2
	v_cmp_lt_u32_e32 vcc_lo, v43, v1
	s_or_b32 s3, s18, vcc_lo
	s_delay_alu instid0(SALU_CYCLE_1)
	s_and_saveexec_b32 s2, s3
	s_cbranch_execz .LBB1067_129
; %bb.127:
	v_and_b32_e32 v2, 1, v50
	s_delay_alu instid0(VALU_DEP_1)
	v_cmp_eq_u32_e32 vcc_lo, 1, v2
	s_and_b32 exec_lo, exec_lo, vcc_lo
	s_cbranch_execz .LBB1067_129
; %bb.128:
	v_mov_b32_e32 v44, 0
	s_delay_alu instid0(VALU_DEP_1) | instskip(NEXT) | instid1(VALU_DEP_1)
	v_lshlrev_b64 v[2:3], 2, v[43:44]
	v_add_co_u32 v2, vcc_lo, s0, v2
	s_delay_alu instid0(VALU_DEP_2)
	v_add_co_ci_u32_e32 v3, vcc_lo, s1, v3, vcc_lo
	global_store_b32 v[2:3], v24, off
.LBB1067_129:
	s_or_b32 exec_lo, exec_lo, s2
	v_cmp_lt_u32_e32 vcc_lo, v41, v1
	s_or_b32 s3, s18, vcc_lo
	s_delay_alu instid0(SALU_CYCLE_1)
	s_and_saveexec_b32 s2, s3
	s_cbranch_execz .LBB1067_132
; %bb.130:
	v_and_b32_e32 v2, 1, v49
	s_delay_alu instid0(VALU_DEP_1)
	v_cmp_eq_u32_e32 vcc_lo, 1, v2
	s_and_b32 exec_lo, exec_lo, vcc_lo
	s_cbranch_execz .LBB1067_132
; %bb.131:
	v_mov_b32_e32 v42, 0
	s_delay_alu instid0(VALU_DEP_1) | instskip(NEXT) | instid1(VALU_DEP_1)
	v_lshlrev_b64 v[2:3], 2, v[41:42]
	v_add_co_u32 v2, vcc_lo, s0, v2
	s_delay_alu instid0(VALU_DEP_2)
	v_add_co_ci_u32_e32 v3, vcc_lo, s1, v3, vcc_lo
	global_store_b32 v[2:3], v21, off
.LBB1067_132:
	;; [unrolled: 21-line block ×7, first 2 shown]
	s_or_b32 exec_lo, exec_lo, s2
.LBB1067_148:
	v_cmp_eq_u32_e32 vcc_lo, 0, v0
	s_and_b32 s0, vcc_lo, s14
	s_delay_alu instid0(SALU_CYCLE_1)
	s_and_saveexec_b32 s1, s0
	s_cbranch_execz .LBB1067_171
.LBB1067_149:
	v_add_co_u32 v0, s0, s10, v27
	s_delay_alu instid0(VALU_DEP_1) | instskip(SKIP_1) | instid1(VALU_DEP_3)
	v_add_co_ci_u32_e64 v1, null, s11, 0, s0
	v_mov_b32_e32 v2, 0
	v_add_co_u32 v0, vcc_lo, v0, v28
	s_delay_alu instid0(VALU_DEP_3)
	v_add_co_ci_u32_e32 v1, vcc_lo, 0, v1, vcc_lo
	global_store_b64 v2, v[0:1], s[16:17]
	s_nop 0
	s_sendmsg sendmsg(MSG_DEALLOC_VGPRS)
	s_endpgm
.LBB1067_150:
	s_and_b32 vcc_lo, exec_lo, s0
	s_cbranch_vccz .LBB1067_148
; %bb.151:
	s_mov_b32 s0, exec_lo
	v_cmpx_eq_u32_e32 1, v25
	s_cbranch_execz .LBB1067_153
; %bb.152:
	v_sub_nc_u32_e32 v1, v45, v28
	s_delay_alu instid0(VALU_DEP_1)
	v_lshlrev_b32_e32 v1, 2, v1
	ds_store_b32 v1, v23
.LBB1067_153:
	s_or_b32 exec_lo, exec_lo, s0
	v_and_b32_e32 v1, 1, v50
	s_mov_b32 s0, exec_lo
	s_delay_alu instid0(VALU_DEP_1)
	v_cmpx_eq_u32_e32 1, v1
	s_cbranch_execz .LBB1067_155
; %bb.154:
	v_sub_nc_u32_e32 v1, v43, v28
	s_delay_alu instid0(VALU_DEP_1)
	v_lshlrev_b32_e32 v1, 2, v1
	ds_store_b32 v1, v24
.LBB1067_155:
	s_or_b32 exec_lo, exec_lo, s0
	v_and_b32_e32 v1, 1, v49
	s_mov_b32 s0, exec_lo
	s_delay_alu instid0(VALU_DEP_1)
	;; [unrolled: 12-line block ×7, first 2 shown]
	v_cmpx_eq_u32_e32 1, v1
	s_cbranch_execz .LBB1067_167
; %bb.166:
	v_sub_nc_u32_e32 v1, v31, v28
	s_delay_alu instid0(VALU_DEP_1)
	v_lshlrev_b32_e32 v1, 2, v1
	ds_store_b32 v1, v18
.LBB1067_167:
	s_or_b32 exec_lo, exec_lo, s0
	s_delay_alu instid0(SALU_CYCLE_1)
	s_mov_b32 s1, exec_lo
	s_waitcnt lgkmcnt(0)
	s_waitcnt_vscnt null, 0x0
	s_barrier
	buffer_gl0_inv
	v_cmpx_lt_u32_e64 v0, v27
	s_cbranch_execz .LBB1067_170
; %bb.168:
	v_dual_mov_b32 v2, 0 :: v_dual_mov_b32 v1, v28
	s_lshl_b64 s[2:3], s[10:11], 2
	v_dual_mov_b32 v4, v0 :: v_dual_lshlrev_b32 v3, 2, v0
	s_delay_alu instid0(VALU_DEP_2) | instskip(NEXT) | instid1(VALU_DEP_1)
	v_lshlrev_b64 v[1:2], 2, v[1:2]
	v_add_co_u32 v1, vcc_lo, s2, v1
	s_delay_alu instid0(VALU_DEP_2) | instskip(SKIP_1) | instid1(VALU_DEP_2)
	v_add_co_ci_u32_e32 v2, vcc_lo, s3, v2, vcc_lo
	s_mov_b32 s2, 0
	v_add_co_u32 v1, vcc_lo, s8, v1
	s_delay_alu instid0(VALU_DEP_2) | instskip(NEXT) | instid1(VALU_DEP_2)
	v_add_co_ci_u32_e32 v2, vcc_lo, s9, v2, vcc_lo
	v_add_co_u32 v1, vcc_lo, v1, v3
	s_delay_alu instid0(VALU_DEP_2)
	v_add_co_ci_u32_e32 v2, vcc_lo, 0, v2, vcc_lo
	.p2align	6
.LBB1067_169:                           ; =>This Inner Loop Header: Depth=1
	ds_load_b32 v5, v3
	v_add_nc_u32_e32 v4, 0x200, v4
	v_add_nc_u32_e32 v3, 0x800, v3
	s_delay_alu instid0(VALU_DEP_2) | instskip(SKIP_4) | instid1(VALU_DEP_1)
	v_cmp_ge_u32_e32 vcc_lo, v4, v27
	s_or_b32 s2, vcc_lo, s2
	s_waitcnt lgkmcnt(0)
	global_store_b32 v[1:2], v5, off
	v_add_co_u32 v1, s0, 0x800, v1
	v_add_co_ci_u32_e64 v2, s0, 0, v2, s0
	s_and_not1_b32 exec_lo, exec_lo, s2
	s_cbranch_execnz .LBB1067_169
.LBB1067_170:
	s_or_b32 exec_lo, exec_lo, s1
	v_cmp_eq_u32_e32 vcc_lo, 0, v0
	s_and_b32 s0, vcc_lo, s14
	s_delay_alu instid0(SALU_CYCLE_1)
	s_and_saveexec_b32 s1, s0
	s_cbranch_execnz .LBB1067_149
.LBB1067_171:
	s_nop 0
	s_sendmsg sendmsg(MSG_DEALLOC_VGPRS)
	s_endpgm
	.section	.rodata,"a",@progbits
	.p2align	6, 0x0
	.amdhsa_kernel _ZN7rocprim17ROCPRIM_400000_NS6detail17trampoline_kernelINS0_14default_configENS1_25partition_config_selectorILNS1_17partition_subalgoE9ExjbEEZZNS1_14partition_implILS5_9ELb0ES3_jN6thrust23THRUST_200600_302600_NS6detail15normal_iteratorINS9_10device_ptrIxEEEENSB_INSC_IjEEEEPNS0_10empty_typeENS0_5tupleIJNS9_16discard_iteratorINS9_11use_defaultEEESH_EEENSJ_IJSG_SI_EEENS0_18inequality_wrapperINS9_8equal_toIxEEEEPmJSH_EEE10hipError_tPvRmT3_T4_T5_T6_T7_T9_mT8_P12ihipStream_tbDpT10_ENKUlT_T0_E_clISt17integral_constantIbLb1EES1C_IbLb0EEEEDaS18_S19_EUlS18_E_NS1_11comp_targetILNS1_3genE9ELNS1_11target_archE1100ELNS1_3gpuE3ELNS1_3repE0EEENS1_30default_config_static_selectorELNS0_4arch9wavefront6targetE0EEEvT1_
		.amdhsa_group_segment_fixed_size 33800
		.amdhsa_private_segment_fixed_size 0
		.amdhsa_kernarg_size 120
		.amdhsa_user_sgpr_count 15
		.amdhsa_user_sgpr_dispatch_ptr 0
		.amdhsa_user_sgpr_queue_ptr 0
		.amdhsa_user_sgpr_kernarg_segment_ptr 1
		.amdhsa_user_sgpr_dispatch_id 0
		.amdhsa_user_sgpr_private_segment_size 0
		.amdhsa_wavefront_size32 1
		.amdhsa_uses_dynamic_stack 0
		.amdhsa_enable_private_segment 0
		.amdhsa_system_sgpr_workgroup_id_x 1
		.amdhsa_system_sgpr_workgroup_id_y 0
		.amdhsa_system_sgpr_workgroup_id_z 0
		.amdhsa_system_sgpr_workgroup_info 0
		.amdhsa_system_vgpr_workitem_id 0
		.amdhsa_next_free_vgpr 59
		.amdhsa_next_free_sgpr 24
		.amdhsa_reserve_vcc 1
		.amdhsa_float_round_mode_32 0
		.amdhsa_float_round_mode_16_64 0
		.amdhsa_float_denorm_mode_32 3
		.amdhsa_float_denorm_mode_16_64 3
		.amdhsa_dx10_clamp 1
		.amdhsa_ieee_mode 1
		.amdhsa_fp16_overflow 0
		.amdhsa_workgroup_processor_mode 1
		.amdhsa_memory_ordered 1
		.amdhsa_forward_progress 0
		.amdhsa_shared_vgpr_count 0
		.amdhsa_exception_fp_ieee_invalid_op 0
		.amdhsa_exception_fp_denorm_src 0
		.amdhsa_exception_fp_ieee_div_zero 0
		.amdhsa_exception_fp_ieee_overflow 0
		.amdhsa_exception_fp_ieee_underflow 0
		.amdhsa_exception_fp_ieee_inexact 0
		.amdhsa_exception_int_div_zero 0
	.end_amdhsa_kernel
	.section	.text._ZN7rocprim17ROCPRIM_400000_NS6detail17trampoline_kernelINS0_14default_configENS1_25partition_config_selectorILNS1_17partition_subalgoE9ExjbEEZZNS1_14partition_implILS5_9ELb0ES3_jN6thrust23THRUST_200600_302600_NS6detail15normal_iteratorINS9_10device_ptrIxEEEENSB_INSC_IjEEEEPNS0_10empty_typeENS0_5tupleIJNS9_16discard_iteratorINS9_11use_defaultEEESH_EEENSJ_IJSG_SI_EEENS0_18inequality_wrapperINS9_8equal_toIxEEEEPmJSH_EEE10hipError_tPvRmT3_T4_T5_T6_T7_T9_mT8_P12ihipStream_tbDpT10_ENKUlT_T0_E_clISt17integral_constantIbLb1EES1C_IbLb0EEEEDaS18_S19_EUlS18_E_NS1_11comp_targetILNS1_3genE9ELNS1_11target_archE1100ELNS1_3gpuE3ELNS1_3repE0EEENS1_30default_config_static_selectorELNS0_4arch9wavefront6targetE0EEEvT1_,"axG",@progbits,_ZN7rocprim17ROCPRIM_400000_NS6detail17trampoline_kernelINS0_14default_configENS1_25partition_config_selectorILNS1_17partition_subalgoE9ExjbEEZZNS1_14partition_implILS5_9ELb0ES3_jN6thrust23THRUST_200600_302600_NS6detail15normal_iteratorINS9_10device_ptrIxEEEENSB_INSC_IjEEEEPNS0_10empty_typeENS0_5tupleIJNS9_16discard_iteratorINS9_11use_defaultEEESH_EEENSJ_IJSG_SI_EEENS0_18inequality_wrapperINS9_8equal_toIxEEEEPmJSH_EEE10hipError_tPvRmT3_T4_T5_T6_T7_T9_mT8_P12ihipStream_tbDpT10_ENKUlT_T0_E_clISt17integral_constantIbLb1EES1C_IbLb0EEEEDaS18_S19_EUlS18_E_NS1_11comp_targetILNS1_3genE9ELNS1_11target_archE1100ELNS1_3gpuE3ELNS1_3repE0EEENS1_30default_config_static_selectorELNS0_4arch9wavefront6targetE0EEEvT1_,comdat
.Lfunc_end1067:
	.size	_ZN7rocprim17ROCPRIM_400000_NS6detail17trampoline_kernelINS0_14default_configENS1_25partition_config_selectorILNS1_17partition_subalgoE9ExjbEEZZNS1_14partition_implILS5_9ELb0ES3_jN6thrust23THRUST_200600_302600_NS6detail15normal_iteratorINS9_10device_ptrIxEEEENSB_INSC_IjEEEEPNS0_10empty_typeENS0_5tupleIJNS9_16discard_iteratorINS9_11use_defaultEEESH_EEENSJ_IJSG_SI_EEENS0_18inequality_wrapperINS9_8equal_toIxEEEEPmJSH_EEE10hipError_tPvRmT3_T4_T5_T6_T7_T9_mT8_P12ihipStream_tbDpT10_ENKUlT_T0_E_clISt17integral_constantIbLb1EES1C_IbLb0EEEEDaS18_S19_EUlS18_E_NS1_11comp_targetILNS1_3genE9ELNS1_11target_archE1100ELNS1_3gpuE3ELNS1_3repE0EEENS1_30default_config_static_selectorELNS0_4arch9wavefront6targetE0EEEvT1_, .Lfunc_end1067-_ZN7rocprim17ROCPRIM_400000_NS6detail17trampoline_kernelINS0_14default_configENS1_25partition_config_selectorILNS1_17partition_subalgoE9ExjbEEZZNS1_14partition_implILS5_9ELb0ES3_jN6thrust23THRUST_200600_302600_NS6detail15normal_iteratorINS9_10device_ptrIxEEEENSB_INSC_IjEEEEPNS0_10empty_typeENS0_5tupleIJNS9_16discard_iteratorINS9_11use_defaultEEESH_EEENSJ_IJSG_SI_EEENS0_18inequality_wrapperINS9_8equal_toIxEEEEPmJSH_EEE10hipError_tPvRmT3_T4_T5_T6_T7_T9_mT8_P12ihipStream_tbDpT10_ENKUlT_T0_E_clISt17integral_constantIbLb1EES1C_IbLb0EEEEDaS18_S19_EUlS18_E_NS1_11comp_targetILNS1_3genE9ELNS1_11target_archE1100ELNS1_3gpuE3ELNS1_3repE0EEENS1_30default_config_static_selectorELNS0_4arch9wavefront6targetE0EEEvT1_
                                        ; -- End function
	.section	.AMDGPU.csdata,"",@progbits
; Kernel info:
; codeLenInByte = 8556
; NumSgprs: 26
; NumVgprs: 59
; ScratchSize: 0
; MemoryBound: 0
; FloatMode: 240
; IeeeMode: 1
; LDSByteSize: 33800 bytes/workgroup (compile time only)
; SGPRBlocks: 3
; VGPRBlocks: 7
; NumSGPRsForWavesPerEU: 26
; NumVGPRsForWavesPerEU: 59
; Occupancy: 12
; WaveLimiterHint : 1
; COMPUTE_PGM_RSRC2:SCRATCH_EN: 0
; COMPUTE_PGM_RSRC2:USER_SGPR: 15
; COMPUTE_PGM_RSRC2:TRAP_HANDLER: 0
; COMPUTE_PGM_RSRC2:TGID_X_EN: 1
; COMPUTE_PGM_RSRC2:TGID_Y_EN: 0
; COMPUTE_PGM_RSRC2:TGID_Z_EN: 0
; COMPUTE_PGM_RSRC2:TIDIG_COMP_CNT: 0
	.section	.text._ZN7rocprim17ROCPRIM_400000_NS6detail17trampoline_kernelINS0_14default_configENS1_25partition_config_selectorILNS1_17partition_subalgoE9ExjbEEZZNS1_14partition_implILS5_9ELb0ES3_jN6thrust23THRUST_200600_302600_NS6detail15normal_iteratorINS9_10device_ptrIxEEEENSB_INSC_IjEEEEPNS0_10empty_typeENS0_5tupleIJNS9_16discard_iteratorINS9_11use_defaultEEESH_EEENSJ_IJSG_SI_EEENS0_18inequality_wrapperINS9_8equal_toIxEEEEPmJSH_EEE10hipError_tPvRmT3_T4_T5_T6_T7_T9_mT8_P12ihipStream_tbDpT10_ENKUlT_T0_E_clISt17integral_constantIbLb1EES1C_IbLb0EEEEDaS18_S19_EUlS18_E_NS1_11comp_targetILNS1_3genE8ELNS1_11target_archE1030ELNS1_3gpuE2ELNS1_3repE0EEENS1_30default_config_static_selectorELNS0_4arch9wavefront6targetE0EEEvT1_,"axG",@progbits,_ZN7rocprim17ROCPRIM_400000_NS6detail17trampoline_kernelINS0_14default_configENS1_25partition_config_selectorILNS1_17partition_subalgoE9ExjbEEZZNS1_14partition_implILS5_9ELb0ES3_jN6thrust23THRUST_200600_302600_NS6detail15normal_iteratorINS9_10device_ptrIxEEEENSB_INSC_IjEEEEPNS0_10empty_typeENS0_5tupleIJNS9_16discard_iteratorINS9_11use_defaultEEESH_EEENSJ_IJSG_SI_EEENS0_18inequality_wrapperINS9_8equal_toIxEEEEPmJSH_EEE10hipError_tPvRmT3_T4_T5_T6_T7_T9_mT8_P12ihipStream_tbDpT10_ENKUlT_T0_E_clISt17integral_constantIbLb1EES1C_IbLb0EEEEDaS18_S19_EUlS18_E_NS1_11comp_targetILNS1_3genE8ELNS1_11target_archE1030ELNS1_3gpuE2ELNS1_3repE0EEENS1_30default_config_static_selectorELNS0_4arch9wavefront6targetE0EEEvT1_,comdat
	.protected	_ZN7rocprim17ROCPRIM_400000_NS6detail17trampoline_kernelINS0_14default_configENS1_25partition_config_selectorILNS1_17partition_subalgoE9ExjbEEZZNS1_14partition_implILS5_9ELb0ES3_jN6thrust23THRUST_200600_302600_NS6detail15normal_iteratorINS9_10device_ptrIxEEEENSB_INSC_IjEEEEPNS0_10empty_typeENS0_5tupleIJNS9_16discard_iteratorINS9_11use_defaultEEESH_EEENSJ_IJSG_SI_EEENS0_18inequality_wrapperINS9_8equal_toIxEEEEPmJSH_EEE10hipError_tPvRmT3_T4_T5_T6_T7_T9_mT8_P12ihipStream_tbDpT10_ENKUlT_T0_E_clISt17integral_constantIbLb1EES1C_IbLb0EEEEDaS18_S19_EUlS18_E_NS1_11comp_targetILNS1_3genE8ELNS1_11target_archE1030ELNS1_3gpuE2ELNS1_3repE0EEENS1_30default_config_static_selectorELNS0_4arch9wavefront6targetE0EEEvT1_ ; -- Begin function _ZN7rocprim17ROCPRIM_400000_NS6detail17trampoline_kernelINS0_14default_configENS1_25partition_config_selectorILNS1_17partition_subalgoE9ExjbEEZZNS1_14partition_implILS5_9ELb0ES3_jN6thrust23THRUST_200600_302600_NS6detail15normal_iteratorINS9_10device_ptrIxEEEENSB_INSC_IjEEEEPNS0_10empty_typeENS0_5tupleIJNS9_16discard_iteratorINS9_11use_defaultEEESH_EEENSJ_IJSG_SI_EEENS0_18inequality_wrapperINS9_8equal_toIxEEEEPmJSH_EEE10hipError_tPvRmT3_T4_T5_T6_T7_T9_mT8_P12ihipStream_tbDpT10_ENKUlT_T0_E_clISt17integral_constantIbLb1EES1C_IbLb0EEEEDaS18_S19_EUlS18_E_NS1_11comp_targetILNS1_3genE8ELNS1_11target_archE1030ELNS1_3gpuE2ELNS1_3repE0EEENS1_30default_config_static_selectorELNS0_4arch9wavefront6targetE0EEEvT1_
	.globl	_ZN7rocprim17ROCPRIM_400000_NS6detail17trampoline_kernelINS0_14default_configENS1_25partition_config_selectorILNS1_17partition_subalgoE9ExjbEEZZNS1_14partition_implILS5_9ELb0ES3_jN6thrust23THRUST_200600_302600_NS6detail15normal_iteratorINS9_10device_ptrIxEEEENSB_INSC_IjEEEEPNS0_10empty_typeENS0_5tupleIJNS9_16discard_iteratorINS9_11use_defaultEEESH_EEENSJ_IJSG_SI_EEENS0_18inequality_wrapperINS9_8equal_toIxEEEEPmJSH_EEE10hipError_tPvRmT3_T4_T5_T6_T7_T9_mT8_P12ihipStream_tbDpT10_ENKUlT_T0_E_clISt17integral_constantIbLb1EES1C_IbLb0EEEEDaS18_S19_EUlS18_E_NS1_11comp_targetILNS1_3genE8ELNS1_11target_archE1030ELNS1_3gpuE2ELNS1_3repE0EEENS1_30default_config_static_selectorELNS0_4arch9wavefront6targetE0EEEvT1_
	.p2align	8
	.type	_ZN7rocprim17ROCPRIM_400000_NS6detail17trampoline_kernelINS0_14default_configENS1_25partition_config_selectorILNS1_17partition_subalgoE9ExjbEEZZNS1_14partition_implILS5_9ELb0ES3_jN6thrust23THRUST_200600_302600_NS6detail15normal_iteratorINS9_10device_ptrIxEEEENSB_INSC_IjEEEEPNS0_10empty_typeENS0_5tupleIJNS9_16discard_iteratorINS9_11use_defaultEEESH_EEENSJ_IJSG_SI_EEENS0_18inequality_wrapperINS9_8equal_toIxEEEEPmJSH_EEE10hipError_tPvRmT3_T4_T5_T6_T7_T9_mT8_P12ihipStream_tbDpT10_ENKUlT_T0_E_clISt17integral_constantIbLb1EES1C_IbLb0EEEEDaS18_S19_EUlS18_E_NS1_11comp_targetILNS1_3genE8ELNS1_11target_archE1030ELNS1_3gpuE2ELNS1_3repE0EEENS1_30default_config_static_selectorELNS0_4arch9wavefront6targetE0EEEvT1_,@function
_ZN7rocprim17ROCPRIM_400000_NS6detail17trampoline_kernelINS0_14default_configENS1_25partition_config_selectorILNS1_17partition_subalgoE9ExjbEEZZNS1_14partition_implILS5_9ELb0ES3_jN6thrust23THRUST_200600_302600_NS6detail15normal_iteratorINS9_10device_ptrIxEEEENSB_INSC_IjEEEEPNS0_10empty_typeENS0_5tupleIJNS9_16discard_iteratorINS9_11use_defaultEEESH_EEENSJ_IJSG_SI_EEENS0_18inequality_wrapperINS9_8equal_toIxEEEEPmJSH_EEE10hipError_tPvRmT3_T4_T5_T6_T7_T9_mT8_P12ihipStream_tbDpT10_ENKUlT_T0_E_clISt17integral_constantIbLb1EES1C_IbLb0EEEEDaS18_S19_EUlS18_E_NS1_11comp_targetILNS1_3genE8ELNS1_11target_archE1030ELNS1_3gpuE2ELNS1_3repE0EEENS1_30default_config_static_selectorELNS0_4arch9wavefront6targetE0EEEvT1_: ; @_ZN7rocprim17ROCPRIM_400000_NS6detail17trampoline_kernelINS0_14default_configENS1_25partition_config_selectorILNS1_17partition_subalgoE9ExjbEEZZNS1_14partition_implILS5_9ELb0ES3_jN6thrust23THRUST_200600_302600_NS6detail15normal_iteratorINS9_10device_ptrIxEEEENSB_INSC_IjEEEEPNS0_10empty_typeENS0_5tupleIJNS9_16discard_iteratorINS9_11use_defaultEEESH_EEENSJ_IJSG_SI_EEENS0_18inequality_wrapperINS9_8equal_toIxEEEEPmJSH_EEE10hipError_tPvRmT3_T4_T5_T6_T7_T9_mT8_P12ihipStream_tbDpT10_ENKUlT_T0_E_clISt17integral_constantIbLb1EES1C_IbLb0EEEEDaS18_S19_EUlS18_E_NS1_11comp_targetILNS1_3genE8ELNS1_11target_archE1030ELNS1_3gpuE2ELNS1_3repE0EEENS1_30default_config_static_selectorELNS0_4arch9wavefront6targetE0EEEvT1_
; %bb.0:
	.section	.rodata,"a",@progbits
	.p2align	6, 0x0
	.amdhsa_kernel _ZN7rocprim17ROCPRIM_400000_NS6detail17trampoline_kernelINS0_14default_configENS1_25partition_config_selectorILNS1_17partition_subalgoE9ExjbEEZZNS1_14partition_implILS5_9ELb0ES3_jN6thrust23THRUST_200600_302600_NS6detail15normal_iteratorINS9_10device_ptrIxEEEENSB_INSC_IjEEEEPNS0_10empty_typeENS0_5tupleIJNS9_16discard_iteratorINS9_11use_defaultEEESH_EEENSJ_IJSG_SI_EEENS0_18inequality_wrapperINS9_8equal_toIxEEEEPmJSH_EEE10hipError_tPvRmT3_T4_T5_T6_T7_T9_mT8_P12ihipStream_tbDpT10_ENKUlT_T0_E_clISt17integral_constantIbLb1EES1C_IbLb0EEEEDaS18_S19_EUlS18_E_NS1_11comp_targetILNS1_3genE8ELNS1_11target_archE1030ELNS1_3gpuE2ELNS1_3repE0EEENS1_30default_config_static_selectorELNS0_4arch9wavefront6targetE0EEEvT1_
		.amdhsa_group_segment_fixed_size 0
		.amdhsa_private_segment_fixed_size 0
		.amdhsa_kernarg_size 120
		.amdhsa_user_sgpr_count 15
		.amdhsa_user_sgpr_dispatch_ptr 0
		.amdhsa_user_sgpr_queue_ptr 0
		.amdhsa_user_sgpr_kernarg_segment_ptr 1
		.amdhsa_user_sgpr_dispatch_id 0
		.amdhsa_user_sgpr_private_segment_size 0
		.amdhsa_wavefront_size32 1
		.amdhsa_uses_dynamic_stack 0
		.amdhsa_enable_private_segment 0
		.amdhsa_system_sgpr_workgroup_id_x 1
		.amdhsa_system_sgpr_workgroup_id_y 0
		.amdhsa_system_sgpr_workgroup_id_z 0
		.amdhsa_system_sgpr_workgroup_info 0
		.amdhsa_system_vgpr_workitem_id 0
		.amdhsa_next_free_vgpr 1
		.amdhsa_next_free_sgpr 1
		.amdhsa_reserve_vcc 0
		.amdhsa_float_round_mode_32 0
		.amdhsa_float_round_mode_16_64 0
		.amdhsa_float_denorm_mode_32 3
		.amdhsa_float_denorm_mode_16_64 3
		.amdhsa_dx10_clamp 1
		.amdhsa_ieee_mode 1
		.amdhsa_fp16_overflow 0
		.amdhsa_workgroup_processor_mode 1
		.amdhsa_memory_ordered 1
		.amdhsa_forward_progress 0
		.amdhsa_shared_vgpr_count 0
		.amdhsa_exception_fp_ieee_invalid_op 0
		.amdhsa_exception_fp_denorm_src 0
		.amdhsa_exception_fp_ieee_div_zero 0
		.amdhsa_exception_fp_ieee_overflow 0
		.amdhsa_exception_fp_ieee_underflow 0
		.amdhsa_exception_fp_ieee_inexact 0
		.amdhsa_exception_int_div_zero 0
	.end_amdhsa_kernel
	.section	.text._ZN7rocprim17ROCPRIM_400000_NS6detail17trampoline_kernelINS0_14default_configENS1_25partition_config_selectorILNS1_17partition_subalgoE9ExjbEEZZNS1_14partition_implILS5_9ELb0ES3_jN6thrust23THRUST_200600_302600_NS6detail15normal_iteratorINS9_10device_ptrIxEEEENSB_INSC_IjEEEEPNS0_10empty_typeENS0_5tupleIJNS9_16discard_iteratorINS9_11use_defaultEEESH_EEENSJ_IJSG_SI_EEENS0_18inequality_wrapperINS9_8equal_toIxEEEEPmJSH_EEE10hipError_tPvRmT3_T4_T5_T6_T7_T9_mT8_P12ihipStream_tbDpT10_ENKUlT_T0_E_clISt17integral_constantIbLb1EES1C_IbLb0EEEEDaS18_S19_EUlS18_E_NS1_11comp_targetILNS1_3genE8ELNS1_11target_archE1030ELNS1_3gpuE2ELNS1_3repE0EEENS1_30default_config_static_selectorELNS0_4arch9wavefront6targetE0EEEvT1_,"axG",@progbits,_ZN7rocprim17ROCPRIM_400000_NS6detail17trampoline_kernelINS0_14default_configENS1_25partition_config_selectorILNS1_17partition_subalgoE9ExjbEEZZNS1_14partition_implILS5_9ELb0ES3_jN6thrust23THRUST_200600_302600_NS6detail15normal_iteratorINS9_10device_ptrIxEEEENSB_INSC_IjEEEEPNS0_10empty_typeENS0_5tupleIJNS9_16discard_iteratorINS9_11use_defaultEEESH_EEENSJ_IJSG_SI_EEENS0_18inequality_wrapperINS9_8equal_toIxEEEEPmJSH_EEE10hipError_tPvRmT3_T4_T5_T6_T7_T9_mT8_P12ihipStream_tbDpT10_ENKUlT_T0_E_clISt17integral_constantIbLb1EES1C_IbLb0EEEEDaS18_S19_EUlS18_E_NS1_11comp_targetILNS1_3genE8ELNS1_11target_archE1030ELNS1_3gpuE2ELNS1_3repE0EEENS1_30default_config_static_selectorELNS0_4arch9wavefront6targetE0EEEvT1_,comdat
.Lfunc_end1068:
	.size	_ZN7rocprim17ROCPRIM_400000_NS6detail17trampoline_kernelINS0_14default_configENS1_25partition_config_selectorILNS1_17partition_subalgoE9ExjbEEZZNS1_14partition_implILS5_9ELb0ES3_jN6thrust23THRUST_200600_302600_NS6detail15normal_iteratorINS9_10device_ptrIxEEEENSB_INSC_IjEEEEPNS0_10empty_typeENS0_5tupleIJNS9_16discard_iteratorINS9_11use_defaultEEESH_EEENSJ_IJSG_SI_EEENS0_18inequality_wrapperINS9_8equal_toIxEEEEPmJSH_EEE10hipError_tPvRmT3_T4_T5_T6_T7_T9_mT8_P12ihipStream_tbDpT10_ENKUlT_T0_E_clISt17integral_constantIbLb1EES1C_IbLb0EEEEDaS18_S19_EUlS18_E_NS1_11comp_targetILNS1_3genE8ELNS1_11target_archE1030ELNS1_3gpuE2ELNS1_3repE0EEENS1_30default_config_static_selectorELNS0_4arch9wavefront6targetE0EEEvT1_, .Lfunc_end1068-_ZN7rocprim17ROCPRIM_400000_NS6detail17trampoline_kernelINS0_14default_configENS1_25partition_config_selectorILNS1_17partition_subalgoE9ExjbEEZZNS1_14partition_implILS5_9ELb0ES3_jN6thrust23THRUST_200600_302600_NS6detail15normal_iteratorINS9_10device_ptrIxEEEENSB_INSC_IjEEEEPNS0_10empty_typeENS0_5tupleIJNS9_16discard_iteratorINS9_11use_defaultEEESH_EEENSJ_IJSG_SI_EEENS0_18inequality_wrapperINS9_8equal_toIxEEEEPmJSH_EEE10hipError_tPvRmT3_T4_T5_T6_T7_T9_mT8_P12ihipStream_tbDpT10_ENKUlT_T0_E_clISt17integral_constantIbLb1EES1C_IbLb0EEEEDaS18_S19_EUlS18_E_NS1_11comp_targetILNS1_3genE8ELNS1_11target_archE1030ELNS1_3gpuE2ELNS1_3repE0EEENS1_30default_config_static_selectorELNS0_4arch9wavefront6targetE0EEEvT1_
                                        ; -- End function
	.section	.AMDGPU.csdata,"",@progbits
; Kernel info:
; codeLenInByte = 0
; NumSgprs: 0
; NumVgprs: 0
; ScratchSize: 0
; MemoryBound: 0
; FloatMode: 240
; IeeeMode: 1
; LDSByteSize: 0 bytes/workgroup (compile time only)
; SGPRBlocks: 0
; VGPRBlocks: 0
; NumSGPRsForWavesPerEU: 1
; NumVGPRsForWavesPerEU: 1
; Occupancy: 16
; WaveLimiterHint : 0
; COMPUTE_PGM_RSRC2:SCRATCH_EN: 0
; COMPUTE_PGM_RSRC2:USER_SGPR: 15
; COMPUTE_PGM_RSRC2:TRAP_HANDLER: 0
; COMPUTE_PGM_RSRC2:TGID_X_EN: 1
; COMPUTE_PGM_RSRC2:TGID_Y_EN: 0
; COMPUTE_PGM_RSRC2:TGID_Z_EN: 0
; COMPUTE_PGM_RSRC2:TIDIG_COMP_CNT: 0
	.section	.text._ZN7rocprim17ROCPRIM_400000_NS6detail17trampoline_kernelINS0_14default_configENS1_25partition_config_selectorILNS1_17partition_subalgoE9ExjbEEZZNS1_14partition_implILS5_9ELb0ES3_jN6thrust23THRUST_200600_302600_NS6detail15normal_iteratorINS9_10device_ptrIxEEEENSB_INSC_IjEEEEPNS0_10empty_typeENS0_5tupleIJNS9_16discard_iteratorINS9_11use_defaultEEESH_EEENSJ_IJSG_SI_EEENS0_18inequality_wrapperINS9_8equal_toIxEEEEPmJSH_EEE10hipError_tPvRmT3_T4_T5_T6_T7_T9_mT8_P12ihipStream_tbDpT10_ENKUlT_T0_E_clISt17integral_constantIbLb0EES1C_IbLb1EEEEDaS18_S19_EUlS18_E_NS1_11comp_targetILNS1_3genE0ELNS1_11target_archE4294967295ELNS1_3gpuE0ELNS1_3repE0EEENS1_30default_config_static_selectorELNS0_4arch9wavefront6targetE0EEEvT1_,"axG",@progbits,_ZN7rocprim17ROCPRIM_400000_NS6detail17trampoline_kernelINS0_14default_configENS1_25partition_config_selectorILNS1_17partition_subalgoE9ExjbEEZZNS1_14partition_implILS5_9ELb0ES3_jN6thrust23THRUST_200600_302600_NS6detail15normal_iteratorINS9_10device_ptrIxEEEENSB_INSC_IjEEEEPNS0_10empty_typeENS0_5tupleIJNS9_16discard_iteratorINS9_11use_defaultEEESH_EEENSJ_IJSG_SI_EEENS0_18inequality_wrapperINS9_8equal_toIxEEEEPmJSH_EEE10hipError_tPvRmT3_T4_T5_T6_T7_T9_mT8_P12ihipStream_tbDpT10_ENKUlT_T0_E_clISt17integral_constantIbLb0EES1C_IbLb1EEEEDaS18_S19_EUlS18_E_NS1_11comp_targetILNS1_3genE0ELNS1_11target_archE4294967295ELNS1_3gpuE0ELNS1_3repE0EEENS1_30default_config_static_selectorELNS0_4arch9wavefront6targetE0EEEvT1_,comdat
	.protected	_ZN7rocprim17ROCPRIM_400000_NS6detail17trampoline_kernelINS0_14default_configENS1_25partition_config_selectorILNS1_17partition_subalgoE9ExjbEEZZNS1_14partition_implILS5_9ELb0ES3_jN6thrust23THRUST_200600_302600_NS6detail15normal_iteratorINS9_10device_ptrIxEEEENSB_INSC_IjEEEEPNS0_10empty_typeENS0_5tupleIJNS9_16discard_iteratorINS9_11use_defaultEEESH_EEENSJ_IJSG_SI_EEENS0_18inequality_wrapperINS9_8equal_toIxEEEEPmJSH_EEE10hipError_tPvRmT3_T4_T5_T6_T7_T9_mT8_P12ihipStream_tbDpT10_ENKUlT_T0_E_clISt17integral_constantIbLb0EES1C_IbLb1EEEEDaS18_S19_EUlS18_E_NS1_11comp_targetILNS1_3genE0ELNS1_11target_archE4294967295ELNS1_3gpuE0ELNS1_3repE0EEENS1_30default_config_static_selectorELNS0_4arch9wavefront6targetE0EEEvT1_ ; -- Begin function _ZN7rocprim17ROCPRIM_400000_NS6detail17trampoline_kernelINS0_14default_configENS1_25partition_config_selectorILNS1_17partition_subalgoE9ExjbEEZZNS1_14partition_implILS5_9ELb0ES3_jN6thrust23THRUST_200600_302600_NS6detail15normal_iteratorINS9_10device_ptrIxEEEENSB_INSC_IjEEEEPNS0_10empty_typeENS0_5tupleIJNS9_16discard_iteratorINS9_11use_defaultEEESH_EEENSJ_IJSG_SI_EEENS0_18inequality_wrapperINS9_8equal_toIxEEEEPmJSH_EEE10hipError_tPvRmT3_T4_T5_T6_T7_T9_mT8_P12ihipStream_tbDpT10_ENKUlT_T0_E_clISt17integral_constantIbLb0EES1C_IbLb1EEEEDaS18_S19_EUlS18_E_NS1_11comp_targetILNS1_3genE0ELNS1_11target_archE4294967295ELNS1_3gpuE0ELNS1_3repE0EEENS1_30default_config_static_selectorELNS0_4arch9wavefront6targetE0EEEvT1_
	.globl	_ZN7rocprim17ROCPRIM_400000_NS6detail17trampoline_kernelINS0_14default_configENS1_25partition_config_selectorILNS1_17partition_subalgoE9ExjbEEZZNS1_14partition_implILS5_9ELb0ES3_jN6thrust23THRUST_200600_302600_NS6detail15normal_iteratorINS9_10device_ptrIxEEEENSB_INSC_IjEEEEPNS0_10empty_typeENS0_5tupleIJNS9_16discard_iteratorINS9_11use_defaultEEESH_EEENSJ_IJSG_SI_EEENS0_18inequality_wrapperINS9_8equal_toIxEEEEPmJSH_EEE10hipError_tPvRmT3_T4_T5_T6_T7_T9_mT8_P12ihipStream_tbDpT10_ENKUlT_T0_E_clISt17integral_constantIbLb0EES1C_IbLb1EEEEDaS18_S19_EUlS18_E_NS1_11comp_targetILNS1_3genE0ELNS1_11target_archE4294967295ELNS1_3gpuE0ELNS1_3repE0EEENS1_30default_config_static_selectorELNS0_4arch9wavefront6targetE0EEEvT1_
	.p2align	8
	.type	_ZN7rocprim17ROCPRIM_400000_NS6detail17trampoline_kernelINS0_14default_configENS1_25partition_config_selectorILNS1_17partition_subalgoE9ExjbEEZZNS1_14partition_implILS5_9ELb0ES3_jN6thrust23THRUST_200600_302600_NS6detail15normal_iteratorINS9_10device_ptrIxEEEENSB_INSC_IjEEEEPNS0_10empty_typeENS0_5tupleIJNS9_16discard_iteratorINS9_11use_defaultEEESH_EEENSJ_IJSG_SI_EEENS0_18inequality_wrapperINS9_8equal_toIxEEEEPmJSH_EEE10hipError_tPvRmT3_T4_T5_T6_T7_T9_mT8_P12ihipStream_tbDpT10_ENKUlT_T0_E_clISt17integral_constantIbLb0EES1C_IbLb1EEEEDaS18_S19_EUlS18_E_NS1_11comp_targetILNS1_3genE0ELNS1_11target_archE4294967295ELNS1_3gpuE0ELNS1_3repE0EEENS1_30default_config_static_selectorELNS0_4arch9wavefront6targetE0EEEvT1_,@function
_ZN7rocprim17ROCPRIM_400000_NS6detail17trampoline_kernelINS0_14default_configENS1_25partition_config_selectorILNS1_17partition_subalgoE9ExjbEEZZNS1_14partition_implILS5_9ELb0ES3_jN6thrust23THRUST_200600_302600_NS6detail15normal_iteratorINS9_10device_ptrIxEEEENSB_INSC_IjEEEEPNS0_10empty_typeENS0_5tupleIJNS9_16discard_iteratorINS9_11use_defaultEEESH_EEENSJ_IJSG_SI_EEENS0_18inequality_wrapperINS9_8equal_toIxEEEEPmJSH_EEE10hipError_tPvRmT3_T4_T5_T6_T7_T9_mT8_P12ihipStream_tbDpT10_ENKUlT_T0_E_clISt17integral_constantIbLb0EES1C_IbLb1EEEEDaS18_S19_EUlS18_E_NS1_11comp_targetILNS1_3genE0ELNS1_11target_archE4294967295ELNS1_3gpuE0ELNS1_3repE0EEENS1_30default_config_static_selectorELNS0_4arch9wavefront6targetE0EEEvT1_: ; @_ZN7rocprim17ROCPRIM_400000_NS6detail17trampoline_kernelINS0_14default_configENS1_25partition_config_selectorILNS1_17partition_subalgoE9ExjbEEZZNS1_14partition_implILS5_9ELb0ES3_jN6thrust23THRUST_200600_302600_NS6detail15normal_iteratorINS9_10device_ptrIxEEEENSB_INSC_IjEEEEPNS0_10empty_typeENS0_5tupleIJNS9_16discard_iteratorINS9_11use_defaultEEESH_EEENSJ_IJSG_SI_EEENS0_18inequality_wrapperINS9_8equal_toIxEEEEPmJSH_EEE10hipError_tPvRmT3_T4_T5_T6_T7_T9_mT8_P12ihipStream_tbDpT10_ENKUlT_T0_E_clISt17integral_constantIbLb0EES1C_IbLb1EEEEDaS18_S19_EUlS18_E_NS1_11comp_targetILNS1_3genE0ELNS1_11target_archE4294967295ELNS1_3gpuE0ELNS1_3repE0EEENS1_30default_config_static_selectorELNS0_4arch9wavefront6targetE0EEEvT1_
; %bb.0:
	.section	.rodata,"a",@progbits
	.p2align	6, 0x0
	.amdhsa_kernel _ZN7rocprim17ROCPRIM_400000_NS6detail17trampoline_kernelINS0_14default_configENS1_25partition_config_selectorILNS1_17partition_subalgoE9ExjbEEZZNS1_14partition_implILS5_9ELb0ES3_jN6thrust23THRUST_200600_302600_NS6detail15normal_iteratorINS9_10device_ptrIxEEEENSB_INSC_IjEEEEPNS0_10empty_typeENS0_5tupleIJNS9_16discard_iteratorINS9_11use_defaultEEESH_EEENSJ_IJSG_SI_EEENS0_18inequality_wrapperINS9_8equal_toIxEEEEPmJSH_EEE10hipError_tPvRmT3_T4_T5_T6_T7_T9_mT8_P12ihipStream_tbDpT10_ENKUlT_T0_E_clISt17integral_constantIbLb0EES1C_IbLb1EEEEDaS18_S19_EUlS18_E_NS1_11comp_targetILNS1_3genE0ELNS1_11target_archE4294967295ELNS1_3gpuE0ELNS1_3repE0EEENS1_30default_config_static_selectorELNS0_4arch9wavefront6targetE0EEEvT1_
		.amdhsa_group_segment_fixed_size 0
		.amdhsa_private_segment_fixed_size 0
		.amdhsa_kernarg_size 136
		.amdhsa_user_sgpr_count 15
		.amdhsa_user_sgpr_dispatch_ptr 0
		.amdhsa_user_sgpr_queue_ptr 0
		.amdhsa_user_sgpr_kernarg_segment_ptr 1
		.amdhsa_user_sgpr_dispatch_id 0
		.amdhsa_user_sgpr_private_segment_size 0
		.amdhsa_wavefront_size32 1
		.amdhsa_uses_dynamic_stack 0
		.amdhsa_enable_private_segment 0
		.amdhsa_system_sgpr_workgroup_id_x 1
		.amdhsa_system_sgpr_workgroup_id_y 0
		.amdhsa_system_sgpr_workgroup_id_z 0
		.amdhsa_system_sgpr_workgroup_info 0
		.amdhsa_system_vgpr_workitem_id 0
		.amdhsa_next_free_vgpr 1
		.amdhsa_next_free_sgpr 1
		.amdhsa_reserve_vcc 0
		.amdhsa_float_round_mode_32 0
		.amdhsa_float_round_mode_16_64 0
		.amdhsa_float_denorm_mode_32 3
		.amdhsa_float_denorm_mode_16_64 3
		.amdhsa_dx10_clamp 1
		.amdhsa_ieee_mode 1
		.amdhsa_fp16_overflow 0
		.amdhsa_workgroup_processor_mode 1
		.amdhsa_memory_ordered 1
		.amdhsa_forward_progress 0
		.amdhsa_shared_vgpr_count 0
		.amdhsa_exception_fp_ieee_invalid_op 0
		.amdhsa_exception_fp_denorm_src 0
		.amdhsa_exception_fp_ieee_div_zero 0
		.amdhsa_exception_fp_ieee_overflow 0
		.amdhsa_exception_fp_ieee_underflow 0
		.amdhsa_exception_fp_ieee_inexact 0
		.amdhsa_exception_int_div_zero 0
	.end_amdhsa_kernel
	.section	.text._ZN7rocprim17ROCPRIM_400000_NS6detail17trampoline_kernelINS0_14default_configENS1_25partition_config_selectorILNS1_17partition_subalgoE9ExjbEEZZNS1_14partition_implILS5_9ELb0ES3_jN6thrust23THRUST_200600_302600_NS6detail15normal_iteratorINS9_10device_ptrIxEEEENSB_INSC_IjEEEEPNS0_10empty_typeENS0_5tupleIJNS9_16discard_iteratorINS9_11use_defaultEEESH_EEENSJ_IJSG_SI_EEENS0_18inequality_wrapperINS9_8equal_toIxEEEEPmJSH_EEE10hipError_tPvRmT3_T4_T5_T6_T7_T9_mT8_P12ihipStream_tbDpT10_ENKUlT_T0_E_clISt17integral_constantIbLb0EES1C_IbLb1EEEEDaS18_S19_EUlS18_E_NS1_11comp_targetILNS1_3genE0ELNS1_11target_archE4294967295ELNS1_3gpuE0ELNS1_3repE0EEENS1_30default_config_static_selectorELNS0_4arch9wavefront6targetE0EEEvT1_,"axG",@progbits,_ZN7rocprim17ROCPRIM_400000_NS6detail17trampoline_kernelINS0_14default_configENS1_25partition_config_selectorILNS1_17partition_subalgoE9ExjbEEZZNS1_14partition_implILS5_9ELb0ES3_jN6thrust23THRUST_200600_302600_NS6detail15normal_iteratorINS9_10device_ptrIxEEEENSB_INSC_IjEEEEPNS0_10empty_typeENS0_5tupleIJNS9_16discard_iteratorINS9_11use_defaultEEESH_EEENSJ_IJSG_SI_EEENS0_18inequality_wrapperINS9_8equal_toIxEEEEPmJSH_EEE10hipError_tPvRmT3_T4_T5_T6_T7_T9_mT8_P12ihipStream_tbDpT10_ENKUlT_T0_E_clISt17integral_constantIbLb0EES1C_IbLb1EEEEDaS18_S19_EUlS18_E_NS1_11comp_targetILNS1_3genE0ELNS1_11target_archE4294967295ELNS1_3gpuE0ELNS1_3repE0EEENS1_30default_config_static_selectorELNS0_4arch9wavefront6targetE0EEEvT1_,comdat
.Lfunc_end1069:
	.size	_ZN7rocprim17ROCPRIM_400000_NS6detail17trampoline_kernelINS0_14default_configENS1_25partition_config_selectorILNS1_17partition_subalgoE9ExjbEEZZNS1_14partition_implILS5_9ELb0ES3_jN6thrust23THRUST_200600_302600_NS6detail15normal_iteratorINS9_10device_ptrIxEEEENSB_INSC_IjEEEEPNS0_10empty_typeENS0_5tupleIJNS9_16discard_iteratorINS9_11use_defaultEEESH_EEENSJ_IJSG_SI_EEENS0_18inequality_wrapperINS9_8equal_toIxEEEEPmJSH_EEE10hipError_tPvRmT3_T4_T5_T6_T7_T9_mT8_P12ihipStream_tbDpT10_ENKUlT_T0_E_clISt17integral_constantIbLb0EES1C_IbLb1EEEEDaS18_S19_EUlS18_E_NS1_11comp_targetILNS1_3genE0ELNS1_11target_archE4294967295ELNS1_3gpuE0ELNS1_3repE0EEENS1_30default_config_static_selectorELNS0_4arch9wavefront6targetE0EEEvT1_, .Lfunc_end1069-_ZN7rocprim17ROCPRIM_400000_NS6detail17trampoline_kernelINS0_14default_configENS1_25partition_config_selectorILNS1_17partition_subalgoE9ExjbEEZZNS1_14partition_implILS5_9ELb0ES3_jN6thrust23THRUST_200600_302600_NS6detail15normal_iteratorINS9_10device_ptrIxEEEENSB_INSC_IjEEEEPNS0_10empty_typeENS0_5tupleIJNS9_16discard_iteratorINS9_11use_defaultEEESH_EEENSJ_IJSG_SI_EEENS0_18inequality_wrapperINS9_8equal_toIxEEEEPmJSH_EEE10hipError_tPvRmT3_T4_T5_T6_T7_T9_mT8_P12ihipStream_tbDpT10_ENKUlT_T0_E_clISt17integral_constantIbLb0EES1C_IbLb1EEEEDaS18_S19_EUlS18_E_NS1_11comp_targetILNS1_3genE0ELNS1_11target_archE4294967295ELNS1_3gpuE0ELNS1_3repE0EEENS1_30default_config_static_selectorELNS0_4arch9wavefront6targetE0EEEvT1_
                                        ; -- End function
	.section	.AMDGPU.csdata,"",@progbits
; Kernel info:
; codeLenInByte = 0
; NumSgprs: 0
; NumVgprs: 0
; ScratchSize: 0
; MemoryBound: 0
; FloatMode: 240
; IeeeMode: 1
; LDSByteSize: 0 bytes/workgroup (compile time only)
; SGPRBlocks: 0
; VGPRBlocks: 0
; NumSGPRsForWavesPerEU: 1
; NumVGPRsForWavesPerEU: 1
; Occupancy: 16
; WaveLimiterHint : 0
; COMPUTE_PGM_RSRC2:SCRATCH_EN: 0
; COMPUTE_PGM_RSRC2:USER_SGPR: 15
; COMPUTE_PGM_RSRC2:TRAP_HANDLER: 0
; COMPUTE_PGM_RSRC2:TGID_X_EN: 1
; COMPUTE_PGM_RSRC2:TGID_Y_EN: 0
; COMPUTE_PGM_RSRC2:TGID_Z_EN: 0
; COMPUTE_PGM_RSRC2:TIDIG_COMP_CNT: 0
	.section	.text._ZN7rocprim17ROCPRIM_400000_NS6detail17trampoline_kernelINS0_14default_configENS1_25partition_config_selectorILNS1_17partition_subalgoE9ExjbEEZZNS1_14partition_implILS5_9ELb0ES3_jN6thrust23THRUST_200600_302600_NS6detail15normal_iteratorINS9_10device_ptrIxEEEENSB_INSC_IjEEEEPNS0_10empty_typeENS0_5tupleIJNS9_16discard_iteratorINS9_11use_defaultEEESH_EEENSJ_IJSG_SI_EEENS0_18inequality_wrapperINS9_8equal_toIxEEEEPmJSH_EEE10hipError_tPvRmT3_T4_T5_T6_T7_T9_mT8_P12ihipStream_tbDpT10_ENKUlT_T0_E_clISt17integral_constantIbLb0EES1C_IbLb1EEEEDaS18_S19_EUlS18_E_NS1_11comp_targetILNS1_3genE5ELNS1_11target_archE942ELNS1_3gpuE9ELNS1_3repE0EEENS1_30default_config_static_selectorELNS0_4arch9wavefront6targetE0EEEvT1_,"axG",@progbits,_ZN7rocprim17ROCPRIM_400000_NS6detail17trampoline_kernelINS0_14default_configENS1_25partition_config_selectorILNS1_17partition_subalgoE9ExjbEEZZNS1_14partition_implILS5_9ELb0ES3_jN6thrust23THRUST_200600_302600_NS6detail15normal_iteratorINS9_10device_ptrIxEEEENSB_INSC_IjEEEEPNS0_10empty_typeENS0_5tupleIJNS9_16discard_iteratorINS9_11use_defaultEEESH_EEENSJ_IJSG_SI_EEENS0_18inequality_wrapperINS9_8equal_toIxEEEEPmJSH_EEE10hipError_tPvRmT3_T4_T5_T6_T7_T9_mT8_P12ihipStream_tbDpT10_ENKUlT_T0_E_clISt17integral_constantIbLb0EES1C_IbLb1EEEEDaS18_S19_EUlS18_E_NS1_11comp_targetILNS1_3genE5ELNS1_11target_archE942ELNS1_3gpuE9ELNS1_3repE0EEENS1_30default_config_static_selectorELNS0_4arch9wavefront6targetE0EEEvT1_,comdat
	.protected	_ZN7rocprim17ROCPRIM_400000_NS6detail17trampoline_kernelINS0_14default_configENS1_25partition_config_selectorILNS1_17partition_subalgoE9ExjbEEZZNS1_14partition_implILS5_9ELb0ES3_jN6thrust23THRUST_200600_302600_NS6detail15normal_iteratorINS9_10device_ptrIxEEEENSB_INSC_IjEEEEPNS0_10empty_typeENS0_5tupleIJNS9_16discard_iteratorINS9_11use_defaultEEESH_EEENSJ_IJSG_SI_EEENS0_18inequality_wrapperINS9_8equal_toIxEEEEPmJSH_EEE10hipError_tPvRmT3_T4_T5_T6_T7_T9_mT8_P12ihipStream_tbDpT10_ENKUlT_T0_E_clISt17integral_constantIbLb0EES1C_IbLb1EEEEDaS18_S19_EUlS18_E_NS1_11comp_targetILNS1_3genE5ELNS1_11target_archE942ELNS1_3gpuE9ELNS1_3repE0EEENS1_30default_config_static_selectorELNS0_4arch9wavefront6targetE0EEEvT1_ ; -- Begin function _ZN7rocprim17ROCPRIM_400000_NS6detail17trampoline_kernelINS0_14default_configENS1_25partition_config_selectorILNS1_17partition_subalgoE9ExjbEEZZNS1_14partition_implILS5_9ELb0ES3_jN6thrust23THRUST_200600_302600_NS6detail15normal_iteratorINS9_10device_ptrIxEEEENSB_INSC_IjEEEEPNS0_10empty_typeENS0_5tupleIJNS9_16discard_iteratorINS9_11use_defaultEEESH_EEENSJ_IJSG_SI_EEENS0_18inequality_wrapperINS9_8equal_toIxEEEEPmJSH_EEE10hipError_tPvRmT3_T4_T5_T6_T7_T9_mT8_P12ihipStream_tbDpT10_ENKUlT_T0_E_clISt17integral_constantIbLb0EES1C_IbLb1EEEEDaS18_S19_EUlS18_E_NS1_11comp_targetILNS1_3genE5ELNS1_11target_archE942ELNS1_3gpuE9ELNS1_3repE0EEENS1_30default_config_static_selectorELNS0_4arch9wavefront6targetE0EEEvT1_
	.globl	_ZN7rocprim17ROCPRIM_400000_NS6detail17trampoline_kernelINS0_14default_configENS1_25partition_config_selectorILNS1_17partition_subalgoE9ExjbEEZZNS1_14partition_implILS5_9ELb0ES3_jN6thrust23THRUST_200600_302600_NS6detail15normal_iteratorINS9_10device_ptrIxEEEENSB_INSC_IjEEEEPNS0_10empty_typeENS0_5tupleIJNS9_16discard_iteratorINS9_11use_defaultEEESH_EEENSJ_IJSG_SI_EEENS0_18inequality_wrapperINS9_8equal_toIxEEEEPmJSH_EEE10hipError_tPvRmT3_T4_T5_T6_T7_T9_mT8_P12ihipStream_tbDpT10_ENKUlT_T0_E_clISt17integral_constantIbLb0EES1C_IbLb1EEEEDaS18_S19_EUlS18_E_NS1_11comp_targetILNS1_3genE5ELNS1_11target_archE942ELNS1_3gpuE9ELNS1_3repE0EEENS1_30default_config_static_selectorELNS0_4arch9wavefront6targetE0EEEvT1_
	.p2align	8
	.type	_ZN7rocprim17ROCPRIM_400000_NS6detail17trampoline_kernelINS0_14default_configENS1_25partition_config_selectorILNS1_17partition_subalgoE9ExjbEEZZNS1_14partition_implILS5_9ELb0ES3_jN6thrust23THRUST_200600_302600_NS6detail15normal_iteratorINS9_10device_ptrIxEEEENSB_INSC_IjEEEEPNS0_10empty_typeENS0_5tupleIJNS9_16discard_iteratorINS9_11use_defaultEEESH_EEENSJ_IJSG_SI_EEENS0_18inequality_wrapperINS9_8equal_toIxEEEEPmJSH_EEE10hipError_tPvRmT3_T4_T5_T6_T7_T9_mT8_P12ihipStream_tbDpT10_ENKUlT_T0_E_clISt17integral_constantIbLb0EES1C_IbLb1EEEEDaS18_S19_EUlS18_E_NS1_11comp_targetILNS1_3genE5ELNS1_11target_archE942ELNS1_3gpuE9ELNS1_3repE0EEENS1_30default_config_static_selectorELNS0_4arch9wavefront6targetE0EEEvT1_,@function
_ZN7rocprim17ROCPRIM_400000_NS6detail17trampoline_kernelINS0_14default_configENS1_25partition_config_selectorILNS1_17partition_subalgoE9ExjbEEZZNS1_14partition_implILS5_9ELb0ES3_jN6thrust23THRUST_200600_302600_NS6detail15normal_iteratorINS9_10device_ptrIxEEEENSB_INSC_IjEEEEPNS0_10empty_typeENS0_5tupleIJNS9_16discard_iteratorINS9_11use_defaultEEESH_EEENSJ_IJSG_SI_EEENS0_18inequality_wrapperINS9_8equal_toIxEEEEPmJSH_EEE10hipError_tPvRmT3_T4_T5_T6_T7_T9_mT8_P12ihipStream_tbDpT10_ENKUlT_T0_E_clISt17integral_constantIbLb0EES1C_IbLb1EEEEDaS18_S19_EUlS18_E_NS1_11comp_targetILNS1_3genE5ELNS1_11target_archE942ELNS1_3gpuE9ELNS1_3repE0EEENS1_30default_config_static_selectorELNS0_4arch9wavefront6targetE0EEEvT1_: ; @_ZN7rocprim17ROCPRIM_400000_NS6detail17trampoline_kernelINS0_14default_configENS1_25partition_config_selectorILNS1_17partition_subalgoE9ExjbEEZZNS1_14partition_implILS5_9ELb0ES3_jN6thrust23THRUST_200600_302600_NS6detail15normal_iteratorINS9_10device_ptrIxEEEENSB_INSC_IjEEEEPNS0_10empty_typeENS0_5tupleIJNS9_16discard_iteratorINS9_11use_defaultEEESH_EEENSJ_IJSG_SI_EEENS0_18inequality_wrapperINS9_8equal_toIxEEEEPmJSH_EEE10hipError_tPvRmT3_T4_T5_T6_T7_T9_mT8_P12ihipStream_tbDpT10_ENKUlT_T0_E_clISt17integral_constantIbLb0EES1C_IbLb1EEEEDaS18_S19_EUlS18_E_NS1_11comp_targetILNS1_3genE5ELNS1_11target_archE942ELNS1_3gpuE9ELNS1_3repE0EEENS1_30default_config_static_selectorELNS0_4arch9wavefront6targetE0EEEvT1_
; %bb.0:
	.section	.rodata,"a",@progbits
	.p2align	6, 0x0
	.amdhsa_kernel _ZN7rocprim17ROCPRIM_400000_NS6detail17trampoline_kernelINS0_14default_configENS1_25partition_config_selectorILNS1_17partition_subalgoE9ExjbEEZZNS1_14partition_implILS5_9ELb0ES3_jN6thrust23THRUST_200600_302600_NS6detail15normal_iteratorINS9_10device_ptrIxEEEENSB_INSC_IjEEEEPNS0_10empty_typeENS0_5tupleIJNS9_16discard_iteratorINS9_11use_defaultEEESH_EEENSJ_IJSG_SI_EEENS0_18inequality_wrapperINS9_8equal_toIxEEEEPmJSH_EEE10hipError_tPvRmT3_T4_T5_T6_T7_T9_mT8_P12ihipStream_tbDpT10_ENKUlT_T0_E_clISt17integral_constantIbLb0EES1C_IbLb1EEEEDaS18_S19_EUlS18_E_NS1_11comp_targetILNS1_3genE5ELNS1_11target_archE942ELNS1_3gpuE9ELNS1_3repE0EEENS1_30default_config_static_selectorELNS0_4arch9wavefront6targetE0EEEvT1_
		.amdhsa_group_segment_fixed_size 0
		.amdhsa_private_segment_fixed_size 0
		.amdhsa_kernarg_size 136
		.amdhsa_user_sgpr_count 15
		.amdhsa_user_sgpr_dispatch_ptr 0
		.amdhsa_user_sgpr_queue_ptr 0
		.amdhsa_user_sgpr_kernarg_segment_ptr 1
		.amdhsa_user_sgpr_dispatch_id 0
		.amdhsa_user_sgpr_private_segment_size 0
		.amdhsa_wavefront_size32 1
		.amdhsa_uses_dynamic_stack 0
		.amdhsa_enable_private_segment 0
		.amdhsa_system_sgpr_workgroup_id_x 1
		.amdhsa_system_sgpr_workgroup_id_y 0
		.amdhsa_system_sgpr_workgroup_id_z 0
		.amdhsa_system_sgpr_workgroup_info 0
		.amdhsa_system_vgpr_workitem_id 0
		.amdhsa_next_free_vgpr 1
		.amdhsa_next_free_sgpr 1
		.amdhsa_reserve_vcc 0
		.amdhsa_float_round_mode_32 0
		.amdhsa_float_round_mode_16_64 0
		.amdhsa_float_denorm_mode_32 3
		.amdhsa_float_denorm_mode_16_64 3
		.amdhsa_dx10_clamp 1
		.amdhsa_ieee_mode 1
		.amdhsa_fp16_overflow 0
		.amdhsa_workgroup_processor_mode 1
		.amdhsa_memory_ordered 1
		.amdhsa_forward_progress 0
		.amdhsa_shared_vgpr_count 0
		.amdhsa_exception_fp_ieee_invalid_op 0
		.amdhsa_exception_fp_denorm_src 0
		.amdhsa_exception_fp_ieee_div_zero 0
		.amdhsa_exception_fp_ieee_overflow 0
		.amdhsa_exception_fp_ieee_underflow 0
		.amdhsa_exception_fp_ieee_inexact 0
		.amdhsa_exception_int_div_zero 0
	.end_amdhsa_kernel
	.section	.text._ZN7rocprim17ROCPRIM_400000_NS6detail17trampoline_kernelINS0_14default_configENS1_25partition_config_selectorILNS1_17partition_subalgoE9ExjbEEZZNS1_14partition_implILS5_9ELb0ES3_jN6thrust23THRUST_200600_302600_NS6detail15normal_iteratorINS9_10device_ptrIxEEEENSB_INSC_IjEEEEPNS0_10empty_typeENS0_5tupleIJNS9_16discard_iteratorINS9_11use_defaultEEESH_EEENSJ_IJSG_SI_EEENS0_18inequality_wrapperINS9_8equal_toIxEEEEPmJSH_EEE10hipError_tPvRmT3_T4_T5_T6_T7_T9_mT8_P12ihipStream_tbDpT10_ENKUlT_T0_E_clISt17integral_constantIbLb0EES1C_IbLb1EEEEDaS18_S19_EUlS18_E_NS1_11comp_targetILNS1_3genE5ELNS1_11target_archE942ELNS1_3gpuE9ELNS1_3repE0EEENS1_30default_config_static_selectorELNS0_4arch9wavefront6targetE0EEEvT1_,"axG",@progbits,_ZN7rocprim17ROCPRIM_400000_NS6detail17trampoline_kernelINS0_14default_configENS1_25partition_config_selectorILNS1_17partition_subalgoE9ExjbEEZZNS1_14partition_implILS5_9ELb0ES3_jN6thrust23THRUST_200600_302600_NS6detail15normal_iteratorINS9_10device_ptrIxEEEENSB_INSC_IjEEEEPNS0_10empty_typeENS0_5tupleIJNS9_16discard_iteratorINS9_11use_defaultEEESH_EEENSJ_IJSG_SI_EEENS0_18inequality_wrapperINS9_8equal_toIxEEEEPmJSH_EEE10hipError_tPvRmT3_T4_T5_T6_T7_T9_mT8_P12ihipStream_tbDpT10_ENKUlT_T0_E_clISt17integral_constantIbLb0EES1C_IbLb1EEEEDaS18_S19_EUlS18_E_NS1_11comp_targetILNS1_3genE5ELNS1_11target_archE942ELNS1_3gpuE9ELNS1_3repE0EEENS1_30default_config_static_selectorELNS0_4arch9wavefront6targetE0EEEvT1_,comdat
.Lfunc_end1070:
	.size	_ZN7rocprim17ROCPRIM_400000_NS6detail17trampoline_kernelINS0_14default_configENS1_25partition_config_selectorILNS1_17partition_subalgoE9ExjbEEZZNS1_14partition_implILS5_9ELb0ES3_jN6thrust23THRUST_200600_302600_NS6detail15normal_iteratorINS9_10device_ptrIxEEEENSB_INSC_IjEEEEPNS0_10empty_typeENS0_5tupleIJNS9_16discard_iteratorINS9_11use_defaultEEESH_EEENSJ_IJSG_SI_EEENS0_18inequality_wrapperINS9_8equal_toIxEEEEPmJSH_EEE10hipError_tPvRmT3_T4_T5_T6_T7_T9_mT8_P12ihipStream_tbDpT10_ENKUlT_T0_E_clISt17integral_constantIbLb0EES1C_IbLb1EEEEDaS18_S19_EUlS18_E_NS1_11comp_targetILNS1_3genE5ELNS1_11target_archE942ELNS1_3gpuE9ELNS1_3repE0EEENS1_30default_config_static_selectorELNS0_4arch9wavefront6targetE0EEEvT1_, .Lfunc_end1070-_ZN7rocprim17ROCPRIM_400000_NS6detail17trampoline_kernelINS0_14default_configENS1_25partition_config_selectorILNS1_17partition_subalgoE9ExjbEEZZNS1_14partition_implILS5_9ELb0ES3_jN6thrust23THRUST_200600_302600_NS6detail15normal_iteratorINS9_10device_ptrIxEEEENSB_INSC_IjEEEEPNS0_10empty_typeENS0_5tupleIJNS9_16discard_iteratorINS9_11use_defaultEEESH_EEENSJ_IJSG_SI_EEENS0_18inequality_wrapperINS9_8equal_toIxEEEEPmJSH_EEE10hipError_tPvRmT3_T4_T5_T6_T7_T9_mT8_P12ihipStream_tbDpT10_ENKUlT_T0_E_clISt17integral_constantIbLb0EES1C_IbLb1EEEEDaS18_S19_EUlS18_E_NS1_11comp_targetILNS1_3genE5ELNS1_11target_archE942ELNS1_3gpuE9ELNS1_3repE0EEENS1_30default_config_static_selectorELNS0_4arch9wavefront6targetE0EEEvT1_
                                        ; -- End function
	.section	.AMDGPU.csdata,"",@progbits
; Kernel info:
; codeLenInByte = 0
; NumSgprs: 0
; NumVgprs: 0
; ScratchSize: 0
; MemoryBound: 0
; FloatMode: 240
; IeeeMode: 1
; LDSByteSize: 0 bytes/workgroup (compile time only)
; SGPRBlocks: 0
; VGPRBlocks: 0
; NumSGPRsForWavesPerEU: 1
; NumVGPRsForWavesPerEU: 1
; Occupancy: 16
; WaveLimiterHint : 0
; COMPUTE_PGM_RSRC2:SCRATCH_EN: 0
; COMPUTE_PGM_RSRC2:USER_SGPR: 15
; COMPUTE_PGM_RSRC2:TRAP_HANDLER: 0
; COMPUTE_PGM_RSRC2:TGID_X_EN: 1
; COMPUTE_PGM_RSRC2:TGID_Y_EN: 0
; COMPUTE_PGM_RSRC2:TGID_Z_EN: 0
; COMPUTE_PGM_RSRC2:TIDIG_COMP_CNT: 0
	.section	.text._ZN7rocprim17ROCPRIM_400000_NS6detail17trampoline_kernelINS0_14default_configENS1_25partition_config_selectorILNS1_17partition_subalgoE9ExjbEEZZNS1_14partition_implILS5_9ELb0ES3_jN6thrust23THRUST_200600_302600_NS6detail15normal_iteratorINS9_10device_ptrIxEEEENSB_INSC_IjEEEEPNS0_10empty_typeENS0_5tupleIJNS9_16discard_iteratorINS9_11use_defaultEEESH_EEENSJ_IJSG_SI_EEENS0_18inequality_wrapperINS9_8equal_toIxEEEEPmJSH_EEE10hipError_tPvRmT3_T4_T5_T6_T7_T9_mT8_P12ihipStream_tbDpT10_ENKUlT_T0_E_clISt17integral_constantIbLb0EES1C_IbLb1EEEEDaS18_S19_EUlS18_E_NS1_11comp_targetILNS1_3genE4ELNS1_11target_archE910ELNS1_3gpuE8ELNS1_3repE0EEENS1_30default_config_static_selectorELNS0_4arch9wavefront6targetE0EEEvT1_,"axG",@progbits,_ZN7rocprim17ROCPRIM_400000_NS6detail17trampoline_kernelINS0_14default_configENS1_25partition_config_selectorILNS1_17partition_subalgoE9ExjbEEZZNS1_14partition_implILS5_9ELb0ES3_jN6thrust23THRUST_200600_302600_NS6detail15normal_iteratorINS9_10device_ptrIxEEEENSB_INSC_IjEEEEPNS0_10empty_typeENS0_5tupleIJNS9_16discard_iteratorINS9_11use_defaultEEESH_EEENSJ_IJSG_SI_EEENS0_18inequality_wrapperINS9_8equal_toIxEEEEPmJSH_EEE10hipError_tPvRmT3_T4_T5_T6_T7_T9_mT8_P12ihipStream_tbDpT10_ENKUlT_T0_E_clISt17integral_constantIbLb0EES1C_IbLb1EEEEDaS18_S19_EUlS18_E_NS1_11comp_targetILNS1_3genE4ELNS1_11target_archE910ELNS1_3gpuE8ELNS1_3repE0EEENS1_30default_config_static_selectorELNS0_4arch9wavefront6targetE0EEEvT1_,comdat
	.protected	_ZN7rocprim17ROCPRIM_400000_NS6detail17trampoline_kernelINS0_14default_configENS1_25partition_config_selectorILNS1_17partition_subalgoE9ExjbEEZZNS1_14partition_implILS5_9ELb0ES3_jN6thrust23THRUST_200600_302600_NS6detail15normal_iteratorINS9_10device_ptrIxEEEENSB_INSC_IjEEEEPNS0_10empty_typeENS0_5tupleIJNS9_16discard_iteratorINS9_11use_defaultEEESH_EEENSJ_IJSG_SI_EEENS0_18inequality_wrapperINS9_8equal_toIxEEEEPmJSH_EEE10hipError_tPvRmT3_T4_T5_T6_T7_T9_mT8_P12ihipStream_tbDpT10_ENKUlT_T0_E_clISt17integral_constantIbLb0EES1C_IbLb1EEEEDaS18_S19_EUlS18_E_NS1_11comp_targetILNS1_3genE4ELNS1_11target_archE910ELNS1_3gpuE8ELNS1_3repE0EEENS1_30default_config_static_selectorELNS0_4arch9wavefront6targetE0EEEvT1_ ; -- Begin function _ZN7rocprim17ROCPRIM_400000_NS6detail17trampoline_kernelINS0_14default_configENS1_25partition_config_selectorILNS1_17partition_subalgoE9ExjbEEZZNS1_14partition_implILS5_9ELb0ES3_jN6thrust23THRUST_200600_302600_NS6detail15normal_iteratorINS9_10device_ptrIxEEEENSB_INSC_IjEEEEPNS0_10empty_typeENS0_5tupleIJNS9_16discard_iteratorINS9_11use_defaultEEESH_EEENSJ_IJSG_SI_EEENS0_18inequality_wrapperINS9_8equal_toIxEEEEPmJSH_EEE10hipError_tPvRmT3_T4_T5_T6_T7_T9_mT8_P12ihipStream_tbDpT10_ENKUlT_T0_E_clISt17integral_constantIbLb0EES1C_IbLb1EEEEDaS18_S19_EUlS18_E_NS1_11comp_targetILNS1_3genE4ELNS1_11target_archE910ELNS1_3gpuE8ELNS1_3repE0EEENS1_30default_config_static_selectorELNS0_4arch9wavefront6targetE0EEEvT1_
	.globl	_ZN7rocprim17ROCPRIM_400000_NS6detail17trampoline_kernelINS0_14default_configENS1_25partition_config_selectorILNS1_17partition_subalgoE9ExjbEEZZNS1_14partition_implILS5_9ELb0ES3_jN6thrust23THRUST_200600_302600_NS6detail15normal_iteratorINS9_10device_ptrIxEEEENSB_INSC_IjEEEEPNS0_10empty_typeENS0_5tupleIJNS9_16discard_iteratorINS9_11use_defaultEEESH_EEENSJ_IJSG_SI_EEENS0_18inequality_wrapperINS9_8equal_toIxEEEEPmJSH_EEE10hipError_tPvRmT3_T4_T5_T6_T7_T9_mT8_P12ihipStream_tbDpT10_ENKUlT_T0_E_clISt17integral_constantIbLb0EES1C_IbLb1EEEEDaS18_S19_EUlS18_E_NS1_11comp_targetILNS1_3genE4ELNS1_11target_archE910ELNS1_3gpuE8ELNS1_3repE0EEENS1_30default_config_static_selectorELNS0_4arch9wavefront6targetE0EEEvT1_
	.p2align	8
	.type	_ZN7rocprim17ROCPRIM_400000_NS6detail17trampoline_kernelINS0_14default_configENS1_25partition_config_selectorILNS1_17partition_subalgoE9ExjbEEZZNS1_14partition_implILS5_9ELb0ES3_jN6thrust23THRUST_200600_302600_NS6detail15normal_iteratorINS9_10device_ptrIxEEEENSB_INSC_IjEEEEPNS0_10empty_typeENS0_5tupleIJNS9_16discard_iteratorINS9_11use_defaultEEESH_EEENSJ_IJSG_SI_EEENS0_18inequality_wrapperINS9_8equal_toIxEEEEPmJSH_EEE10hipError_tPvRmT3_T4_T5_T6_T7_T9_mT8_P12ihipStream_tbDpT10_ENKUlT_T0_E_clISt17integral_constantIbLb0EES1C_IbLb1EEEEDaS18_S19_EUlS18_E_NS1_11comp_targetILNS1_3genE4ELNS1_11target_archE910ELNS1_3gpuE8ELNS1_3repE0EEENS1_30default_config_static_selectorELNS0_4arch9wavefront6targetE0EEEvT1_,@function
_ZN7rocprim17ROCPRIM_400000_NS6detail17trampoline_kernelINS0_14default_configENS1_25partition_config_selectorILNS1_17partition_subalgoE9ExjbEEZZNS1_14partition_implILS5_9ELb0ES3_jN6thrust23THRUST_200600_302600_NS6detail15normal_iteratorINS9_10device_ptrIxEEEENSB_INSC_IjEEEEPNS0_10empty_typeENS0_5tupleIJNS9_16discard_iteratorINS9_11use_defaultEEESH_EEENSJ_IJSG_SI_EEENS0_18inequality_wrapperINS9_8equal_toIxEEEEPmJSH_EEE10hipError_tPvRmT3_T4_T5_T6_T7_T9_mT8_P12ihipStream_tbDpT10_ENKUlT_T0_E_clISt17integral_constantIbLb0EES1C_IbLb1EEEEDaS18_S19_EUlS18_E_NS1_11comp_targetILNS1_3genE4ELNS1_11target_archE910ELNS1_3gpuE8ELNS1_3repE0EEENS1_30default_config_static_selectorELNS0_4arch9wavefront6targetE0EEEvT1_: ; @_ZN7rocprim17ROCPRIM_400000_NS6detail17trampoline_kernelINS0_14default_configENS1_25partition_config_selectorILNS1_17partition_subalgoE9ExjbEEZZNS1_14partition_implILS5_9ELb0ES3_jN6thrust23THRUST_200600_302600_NS6detail15normal_iteratorINS9_10device_ptrIxEEEENSB_INSC_IjEEEEPNS0_10empty_typeENS0_5tupleIJNS9_16discard_iteratorINS9_11use_defaultEEESH_EEENSJ_IJSG_SI_EEENS0_18inequality_wrapperINS9_8equal_toIxEEEEPmJSH_EEE10hipError_tPvRmT3_T4_T5_T6_T7_T9_mT8_P12ihipStream_tbDpT10_ENKUlT_T0_E_clISt17integral_constantIbLb0EES1C_IbLb1EEEEDaS18_S19_EUlS18_E_NS1_11comp_targetILNS1_3genE4ELNS1_11target_archE910ELNS1_3gpuE8ELNS1_3repE0EEENS1_30default_config_static_selectorELNS0_4arch9wavefront6targetE0EEEvT1_
; %bb.0:
	.section	.rodata,"a",@progbits
	.p2align	6, 0x0
	.amdhsa_kernel _ZN7rocprim17ROCPRIM_400000_NS6detail17trampoline_kernelINS0_14default_configENS1_25partition_config_selectorILNS1_17partition_subalgoE9ExjbEEZZNS1_14partition_implILS5_9ELb0ES3_jN6thrust23THRUST_200600_302600_NS6detail15normal_iteratorINS9_10device_ptrIxEEEENSB_INSC_IjEEEEPNS0_10empty_typeENS0_5tupleIJNS9_16discard_iteratorINS9_11use_defaultEEESH_EEENSJ_IJSG_SI_EEENS0_18inequality_wrapperINS9_8equal_toIxEEEEPmJSH_EEE10hipError_tPvRmT3_T4_T5_T6_T7_T9_mT8_P12ihipStream_tbDpT10_ENKUlT_T0_E_clISt17integral_constantIbLb0EES1C_IbLb1EEEEDaS18_S19_EUlS18_E_NS1_11comp_targetILNS1_3genE4ELNS1_11target_archE910ELNS1_3gpuE8ELNS1_3repE0EEENS1_30default_config_static_selectorELNS0_4arch9wavefront6targetE0EEEvT1_
		.amdhsa_group_segment_fixed_size 0
		.amdhsa_private_segment_fixed_size 0
		.amdhsa_kernarg_size 136
		.amdhsa_user_sgpr_count 15
		.amdhsa_user_sgpr_dispatch_ptr 0
		.amdhsa_user_sgpr_queue_ptr 0
		.amdhsa_user_sgpr_kernarg_segment_ptr 1
		.amdhsa_user_sgpr_dispatch_id 0
		.amdhsa_user_sgpr_private_segment_size 0
		.amdhsa_wavefront_size32 1
		.amdhsa_uses_dynamic_stack 0
		.amdhsa_enable_private_segment 0
		.amdhsa_system_sgpr_workgroup_id_x 1
		.amdhsa_system_sgpr_workgroup_id_y 0
		.amdhsa_system_sgpr_workgroup_id_z 0
		.amdhsa_system_sgpr_workgroup_info 0
		.amdhsa_system_vgpr_workitem_id 0
		.amdhsa_next_free_vgpr 1
		.amdhsa_next_free_sgpr 1
		.amdhsa_reserve_vcc 0
		.amdhsa_float_round_mode_32 0
		.amdhsa_float_round_mode_16_64 0
		.amdhsa_float_denorm_mode_32 3
		.amdhsa_float_denorm_mode_16_64 3
		.amdhsa_dx10_clamp 1
		.amdhsa_ieee_mode 1
		.amdhsa_fp16_overflow 0
		.amdhsa_workgroup_processor_mode 1
		.amdhsa_memory_ordered 1
		.amdhsa_forward_progress 0
		.amdhsa_shared_vgpr_count 0
		.amdhsa_exception_fp_ieee_invalid_op 0
		.amdhsa_exception_fp_denorm_src 0
		.amdhsa_exception_fp_ieee_div_zero 0
		.amdhsa_exception_fp_ieee_overflow 0
		.amdhsa_exception_fp_ieee_underflow 0
		.amdhsa_exception_fp_ieee_inexact 0
		.amdhsa_exception_int_div_zero 0
	.end_amdhsa_kernel
	.section	.text._ZN7rocprim17ROCPRIM_400000_NS6detail17trampoline_kernelINS0_14default_configENS1_25partition_config_selectorILNS1_17partition_subalgoE9ExjbEEZZNS1_14partition_implILS5_9ELb0ES3_jN6thrust23THRUST_200600_302600_NS6detail15normal_iteratorINS9_10device_ptrIxEEEENSB_INSC_IjEEEEPNS0_10empty_typeENS0_5tupleIJNS9_16discard_iteratorINS9_11use_defaultEEESH_EEENSJ_IJSG_SI_EEENS0_18inequality_wrapperINS9_8equal_toIxEEEEPmJSH_EEE10hipError_tPvRmT3_T4_T5_T6_T7_T9_mT8_P12ihipStream_tbDpT10_ENKUlT_T0_E_clISt17integral_constantIbLb0EES1C_IbLb1EEEEDaS18_S19_EUlS18_E_NS1_11comp_targetILNS1_3genE4ELNS1_11target_archE910ELNS1_3gpuE8ELNS1_3repE0EEENS1_30default_config_static_selectorELNS0_4arch9wavefront6targetE0EEEvT1_,"axG",@progbits,_ZN7rocprim17ROCPRIM_400000_NS6detail17trampoline_kernelINS0_14default_configENS1_25partition_config_selectorILNS1_17partition_subalgoE9ExjbEEZZNS1_14partition_implILS5_9ELb0ES3_jN6thrust23THRUST_200600_302600_NS6detail15normal_iteratorINS9_10device_ptrIxEEEENSB_INSC_IjEEEEPNS0_10empty_typeENS0_5tupleIJNS9_16discard_iteratorINS9_11use_defaultEEESH_EEENSJ_IJSG_SI_EEENS0_18inequality_wrapperINS9_8equal_toIxEEEEPmJSH_EEE10hipError_tPvRmT3_T4_T5_T6_T7_T9_mT8_P12ihipStream_tbDpT10_ENKUlT_T0_E_clISt17integral_constantIbLb0EES1C_IbLb1EEEEDaS18_S19_EUlS18_E_NS1_11comp_targetILNS1_3genE4ELNS1_11target_archE910ELNS1_3gpuE8ELNS1_3repE0EEENS1_30default_config_static_selectorELNS0_4arch9wavefront6targetE0EEEvT1_,comdat
.Lfunc_end1071:
	.size	_ZN7rocprim17ROCPRIM_400000_NS6detail17trampoline_kernelINS0_14default_configENS1_25partition_config_selectorILNS1_17partition_subalgoE9ExjbEEZZNS1_14partition_implILS5_9ELb0ES3_jN6thrust23THRUST_200600_302600_NS6detail15normal_iteratorINS9_10device_ptrIxEEEENSB_INSC_IjEEEEPNS0_10empty_typeENS0_5tupleIJNS9_16discard_iteratorINS9_11use_defaultEEESH_EEENSJ_IJSG_SI_EEENS0_18inequality_wrapperINS9_8equal_toIxEEEEPmJSH_EEE10hipError_tPvRmT3_T4_T5_T6_T7_T9_mT8_P12ihipStream_tbDpT10_ENKUlT_T0_E_clISt17integral_constantIbLb0EES1C_IbLb1EEEEDaS18_S19_EUlS18_E_NS1_11comp_targetILNS1_3genE4ELNS1_11target_archE910ELNS1_3gpuE8ELNS1_3repE0EEENS1_30default_config_static_selectorELNS0_4arch9wavefront6targetE0EEEvT1_, .Lfunc_end1071-_ZN7rocprim17ROCPRIM_400000_NS6detail17trampoline_kernelINS0_14default_configENS1_25partition_config_selectorILNS1_17partition_subalgoE9ExjbEEZZNS1_14partition_implILS5_9ELb0ES3_jN6thrust23THRUST_200600_302600_NS6detail15normal_iteratorINS9_10device_ptrIxEEEENSB_INSC_IjEEEEPNS0_10empty_typeENS0_5tupleIJNS9_16discard_iteratorINS9_11use_defaultEEESH_EEENSJ_IJSG_SI_EEENS0_18inequality_wrapperINS9_8equal_toIxEEEEPmJSH_EEE10hipError_tPvRmT3_T4_T5_T6_T7_T9_mT8_P12ihipStream_tbDpT10_ENKUlT_T0_E_clISt17integral_constantIbLb0EES1C_IbLb1EEEEDaS18_S19_EUlS18_E_NS1_11comp_targetILNS1_3genE4ELNS1_11target_archE910ELNS1_3gpuE8ELNS1_3repE0EEENS1_30default_config_static_selectorELNS0_4arch9wavefront6targetE0EEEvT1_
                                        ; -- End function
	.section	.AMDGPU.csdata,"",@progbits
; Kernel info:
; codeLenInByte = 0
; NumSgprs: 0
; NumVgprs: 0
; ScratchSize: 0
; MemoryBound: 0
; FloatMode: 240
; IeeeMode: 1
; LDSByteSize: 0 bytes/workgroup (compile time only)
; SGPRBlocks: 0
; VGPRBlocks: 0
; NumSGPRsForWavesPerEU: 1
; NumVGPRsForWavesPerEU: 1
; Occupancy: 15
; WaveLimiterHint : 0
; COMPUTE_PGM_RSRC2:SCRATCH_EN: 0
; COMPUTE_PGM_RSRC2:USER_SGPR: 15
; COMPUTE_PGM_RSRC2:TRAP_HANDLER: 0
; COMPUTE_PGM_RSRC2:TGID_X_EN: 1
; COMPUTE_PGM_RSRC2:TGID_Y_EN: 0
; COMPUTE_PGM_RSRC2:TGID_Z_EN: 0
; COMPUTE_PGM_RSRC2:TIDIG_COMP_CNT: 0
	.section	.text._ZN7rocprim17ROCPRIM_400000_NS6detail17trampoline_kernelINS0_14default_configENS1_25partition_config_selectorILNS1_17partition_subalgoE9ExjbEEZZNS1_14partition_implILS5_9ELb0ES3_jN6thrust23THRUST_200600_302600_NS6detail15normal_iteratorINS9_10device_ptrIxEEEENSB_INSC_IjEEEEPNS0_10empty_typeENS0_5tupleIJNS9_16discard_iteratorINS9_11use_defaultEEESH_EEENSJ_IJSG_SI_EEENS0_18inequality_wrapperINS9_8equal_toIxEEEEPmJSH_EEE10hipError_tPvRmT3_T4_T5_T6_T7_T9_mT8_P12ihipStream_tbDpT10_ENKUlT_T0_E_clISt17integral_constantIbLb0EES1C_IbLb1EEEEDaS18_S19_EUlS18_E_NS1_11comp_targetILNS1_3genE3ELNS1_11target_archE908ELNS1_3gpuE7ELNS1_3repE0EEENS1_30default_config_static_selectorELNS0_4arch9wavefront6targetE0EEEvT1_,"axG",@progbits,_ZN7rocprim17ROCPRIM_400000_NS6detail17trampoline_kernelINS0_14default_configENS1_25partition_config_selectorILNS1_17partition_subalgoE9ExjbEEZZNS1_14partition_implILS5_9ELb0ES3_jN6thrust23THRUST_200600_302600_NS6detail15normal_iteratorINS9_10device_ptrIxEEEENSB_INSC_IjEEEEPNS0_10empty_typeENS0_5tupleIJNS9_16discard_iteratorINS9_11use_defaultEEESH_EEENSJ_IJSG_SI_EEENS0_18inequality_wrapperINS9_8equal_toIxEEEEPmJSH_EEE10hipError_tPvRmT3_T4_T5_T6_T7_T9_mT8_P12ihipStream_tbDpT10_ENKUlT_T0_E_clISt17integral_constantIbLb0EES1C_IbLb1EEEEDaS18_S19_EUlS18_E_NS1_11comp_targetILNS1_3genE3ELNS1_11target_archE908ELNS1_3gpuE7ELNS1_3repE0EEENS1_30default_config_static_selectorELNS0_4arch9wavefront6targetE0EEEvT1_,comdat
	.protected	_ZN7rocprim17ROCPRIM_400000_NS6detail17trampoline_kernelINS0_14default_configENS1_25partition_config_selectorILNS1_17partition_subalgoE9ExjbEEZZNS1_14partition_implILS5_9ELb0ES3_jN6thrust23THRUST_200600_302600_NS6detail15normal_iteratorINS9_10device_ptrIxEEEENSB_INSC_IjEEEEPNS0_10empty_typeENS0_5tupleIJNS9_16discard_iteratorINS9_11use_defaultEEESH_EEENSJ_IJSG_SI_EEENS0_18inequality_wrapperINS9_8equal_toIxEEEEPmJSH_EEE10hipError_tPvRmT3_T4_T5_T6_T7_T9_mT8_P12ihipStream_tbDpT10_ENKUlT_T0_E_clISt17integral_constantIbLb0EES1C_IbLb1EEEEDaS18_S19_EUlS18_E_NS1_11comp_targetILNS1_3genE3ELNS1_11target_archE908ELNS1_3gpuE7ELNS1_3repE0EEENS1_30default_config_static_selectorELNS0_4arch9wavefront6targetE0EEEvT1_ ; -- Begin function _ZN7rocprim17ROCPRIM_400000_NS6detail17trampoline_kernelINS0_14default_configENS1_25partition_config_selectorILNS1_17partition_subalgoE9ExjbEEZZNS1_14partition_implILS5_9ELb0ES3_jN6thrust23THRUST_200600_302600_NS6detail15normal_iteratorINS9_10device_ptrIxEEEENSB_INSC_IjEEEEPNS0_10empty_typeENS0_5tupleIJNS9_16discard_iteratorINS9_11use_defaultEEESH_EEENSJ_IJSG_SI_EEENS0_18inequality_wrapperINS9_8equal_toIxEEEEPmJSH_EEE10hipError_tPvRmT3_T4_T5_T6_T7_T9_mT8_P12ihipStream_tbDpT10_ENKUlT_T0_E_clISt17integral_constantIbLb0EES1C_IbLb1EEEEDaS18_S19_EUlS18_E_NS1_11comp_targetILNS1_3genE3ELNS1_11target_archE908ELNS1_3gpuE7ELNS1_3repE0EEENS1_30default_config_static_selectorELNS0_4arch9wavefront6targetE0EEEvT1_
	.globl	_ZN7rocprim17ROCPRIM_400000_NS6detail17trampoline_kernelINS0_14default_configENS1_25partition_config_selectorILNS1_17partition_subalgoE9ExjbEEZZNS1_14partition_implILS5_9ELb0ES3_jN6thrust23THRUST_200600_302600_NS6detail15normal_iteratorINS9_10device_ptrIxEEEENSB_INSC_IjEEEEPNS0_10empty_typeENS0_5tupleIJNS9_16discard_iteratorINS9_11use_defaultEEESH_EEENSJ_IJSG_SI_EEENS0_18inequality_wrapperINS9_8equal_toIxEEEEPmJSH_EEE10hipError_tPvRmT3_T4_T5_T6_T7_T9_mT8_P12ihipStream_tbDpT10_ENKUlT_T0_E_clISt17integral_constantIbLb0EES1C_IbLb1EEEEDaS18_S19_EUlS18_E_NS1_11comp_targetILNS1_3genE3ELNS1_11target_archE908ELNS1_3gpuE7ELNS1_3repE0EEENS1_30default_config_static_selectorELNS0_4arch9wavefront6targetE0EEEvT1_
	.p2align	8
	.type	_ZN7rocprim17ROCPRIM_400000_NS6detail17trampoline_kernelINS0_14default_configENS1_25partition_config_selectorILNS1_17partition_subalgoE9ExjbEEZZNS1_14partition_implILS5_9ELb0ES3_jN6thrust23THRUST_200600_302600_NS6detail15normal_iteratorINS9_10device_ptrIxEEEENSB_INSC_IjEEEEPNS0_10empty_typeENS0_5tupleIJNS9_16discard_iteratorINS9_11use_defaultEEESH_EEENSJ_IJSG_SI_EEENS0_18inequality_wrapperINS9_8equal_toIxEEEEPmJSH_EEE10hipError_tPvRmT3_T4_T5_T6_T7_T9_mT8_P12ihipStream_tbDpT10_ENKUlT_T0_E_clISt17integral_constantIbLb0EES1C_IbLb1EEEEDaS18_S19_EUlS18_E_NS1_11comp_targetILNS1_3genE3ELNS1_11target_archE908ELNS1_3gpuE7ELNS1_3repE0EEENS1_30default_config_static_selectorELNS0_4arch9wavefront6targetE0EEEvT1_,@function
_ZN7rocprim17ROCPRIM_400000_NS6detail17trampoline_kernelINS0_14default_configENS1_25partition_config_selectorILNS1_17partition_subalgoE9ExjbEEZZNS1_14partition_implILS5_9ELb0ES3_jN6thrust23THRUST_200600_302600_NS6detail15normal_iteratorINS9_10device_ptrIxEEEENSB_INSC_IjEEEEPNS0_10empty_typeENS0_5tupleIJNS9_16discard_iteratorINS9_11use_defaultEEESH_EEENSJ_IJSG_SI_EEENS0_18inequality_wrapperINS9_8equal_toIxEEEEPmJSH_EEE10hipError_tPvRmT3_T4_T5_T6_T7_T9_mT8_P12ihipStream_tbDpT10_ENKUlT_T0_E_clISt17integral_constantIbLb0EES1C_IbLb1EEEEDaS18_S19_EUlS18_E_NS1_11comp_targetILNS1_3genE3ELNS1_11target_archE908ELNS1_3gpuE7ELNS1_3repE0EEENS1_30default_config_static_selectorELNS0_4arch9wavefront6targetE0EEEvT1_: ; @_ZN7rocprim17ROCPRIM_400000_NS6detail17trampoline_kernelINS0_14default_configENS1_25partition_config_selectorILNS1_17partition_subalgoE9ExjbEEZZNS1_14partition_implILS5_9ELb0ES3_jN6thrust23THRUST_200600_302600_NS6detail15normal_iteratorINS9_10device_ptrIxEEEENSB_INSC_IjEEEEPNS0_10empty_typeENS0_5tupleIJNS9_16discard_iteratorINS9_11use_defaultEEESH_EEENSJ_IJSG_SI_EEENS0_18inequality_wrapperINS9_8equal_toIxEEEEPmJSH_EEE10hipError_tPvRmT3_T4_T5_T6_T7_T9_mT8_P12ihipStream_tbDpT10_ENKUlT_T0_E_clISt17integral_constantIbLb0EES1C_IbLb1EEEEDaS18_S19_EUlS18_E_NS1_11comp_targetILNS1_3genE3ELNS1_11target_archE908ELNS1_3gpuE7ELNS1_3repE0EEENS1_30default_config_static_selectorELNS0_4arch9wavefront6targetE0EEEvT1_
; %bb.0:
	.section	.rodata,"a",@progbits
	.p2align	6, 0x0
	.amdhsa_kernel _ZN7rocprim17ROCPRIM_400000_NS6detail17trampoline_kernelINS0_14default_configENS1_25partition_config_selectorILNS1_17partition_subalgoE9ExjbEEZZNS1_14partition_implILS5_9ELb0ES3_jN6thrust23THRUST_200600_302600_NS6detail15normal_iteratorINS9_10device_ptrIxEEEENSB_INSC_IjEEEEPNS0_10empty_typeENS0_5tupleIJNS9_16discard_iteratorINS9_11use_defaultEEESH_EEENSJ_IJSG_SI_EEENS0_18inequality_wrapperINS9_8equal_toIxEEEEPmJSH_EEE10hipError_tPvRmT3_T4_T5_T6_T7_T9_mT8_P12ihipStream_tbDpT10_ENKUlT_T0_E_clISt17integral_constantIbLb0EES1C_IbLb1EEEEDaS18_S19_EUlS18_E_NS1_11comp_targetILNS1_3genE3ELNS1_11target_archE908ELNS1_3gpuE7ELNS1_3repE0EEENS1_30default_config_static_selectorELNS0_4arch9wavefront6targetE0EEEvT1_
		.amdhsa_group_segment_fixed_size 0
		.amdhsa_private_segment_fixed_size 0
		.amdhsa_kernarg_size 136
		.amdhsa_user_sgpr_count 15
		.amdhsa_user_sgpr_dispatch_ptr 0
		.amdhsa_user_sgpr_queue_ptr 0
		.amdhsa_user_sgpr_kernarg_segment_ptr 1
		.amdhsa_user_sgpr_dispatch_id 0
		.amdhsa_user_sgpr_private_segment_size 0
		.amdhsa_wavefront_size32 1
		.amdhsa_uses_dynamic_stack 0
		.amdhsa_enable_private_segment 0
		.amdhsa_system_sgpr_workgroup_id_x 1
		.amdhsa_system_sgpr_workgroup_id_y 0
		.amdhsa_system_sgpr_workgroup_id_z 0
		.amdhsa_system_sgpr_workgroup_info 0
		.amdhsa_system_vgpr_workitem_id 0
		.amdhsa_next_free_vgpr 1
		.amdhsa_next_free_sgpr 1
		.amdhsa_reserve_vcc 0
		.amdhsa_float_round_mode_32 0
		.amdhsa_float_round_mode_16_64 0
		.amdhsa_float_denorm_mode_32 3
		.amdhsa_float_denorm_mode_16_64 3
		.amdhsa_dx10_clamp 1
		.amdhsa_ieee_mode 1
		.amdhsa_fp16_overflow 0
		.amdhsa_workgroup_processor_mode 1
		.amdhsa_memory_ordered 1
		.amdhsa_forward_progress 0
		.amdhsa_shared_vgpr_count 0
		.amdhsa_exception_fp_ieee_invalid_op 0
		.amdhsa_exception_fp_denorm_src 0
		.amdhsa_exception_fp_ieee_div_zero 0
		.amdhsa_exception_fp_ieee_overflow 0
		.amdhsa_exception_fp_ieee_underflow 0
		.amdhsa_exception_fp_ieee_inexact 0
		.amdhsa_exception_int_div_zero 0
	.end_amdhsa_kernel
	.section	.text._ZN7rocprim17ROCPRIM_400000_NS6detail17trampoline_kernelINS0_14default_configENS1_25partition_config_selectorILNS1_17partition_subalgoE9ExjbEEZZNS1_14partition_implILS5_9ELb0ES3_jN6thrust23THRUST_200600_302600_NS6detail15normal_iteratorINS9_10device_ptrIxEEEENSB_INSC_IjEEEEPNS0_10empty_typeENS0_5tupleIJNS9_16discard_iteratorINS9_11use_defaultEEESH_EEENSJ_IJSG_SI_EEENS0_18inequality_wrapperINS9_8equal_toIxEEEEPmJSH_EEE10hipError_tPvRmT3_T4_T5_T6_T7_T9_mT8_P12ihipStream_tbDpT10_ENKUlT_T0_E_clISt17integral_constantIbLb0EES1C_IbLb1EEEEDaS18_S19_EUlS18_E_NS1_11comp_targetILNS1_3genE3ELNS1_11target_archE908ELNS1_3gpuE7ELNS1_3repE0EEENS1_30default_config_static_selectorELNS0_4arch9wavefront6targetE0EEEvT1_,"axG",@progbits,_ZN7rocprim17ROCPRIM_400000_NS6detail17trampoline_kernelINS0_14default_configENS1_25partition_config_selectorILNS1_17partition_subalgoE9ExjbEEZZNS1_14partition_implILS5_9ELb0ES3_jN6thrust23THRUST_200600_302600_NS6detail15normal_iteratorINS9_10device_ptrIxEEEENSB_INSC_IjEEEEPNS0_10empty_typeENS0_5tupleIJNS9_16discard_iteratorINS9_11use_defaultEEESH_EEENSJ_IJSG_SI_EEENS0_18inequality_wrapperINS9_8equal_toIxEEEEPmJSH_EEE10hipError_tPvRmT3_T4_T5_T6_T7_T9_mT8_P12ihipStream_tbDpT10_ENKUlT_T0_E_clISt17integral_constantIbLb0EES1C_IbLb1EEEEDaS18_S19_EUlS18_E_NS1_11comp_targetILNS1_3genE3ELNS1_11target_archE908ELNS1_3gpuE7ELNS1_3repE0EEENS1_30default_config_static_selectorELNS0_4arch9wavefront6targetE0EEEvT1_,comdat
.Lfunc_end1072:
	.size	_ZN7rocprim17ROCPRIM_400000_NS6detail17trampoline_kernelINS0_14default_configENS1_25partition_config_selectorILNS1_17partition_subalgoE9ExjbEEZZNS1_14partition_implILS5_9ELb0ES3_jN6thrust23THRUST_200600_302600_NS6detail15normal_iteratorINS9_10device_ptrIxEEEENSB_INSC_IjEEEEPNS0_10empty_typeENS0_5tupleIJNS9_16discard_iteratorINS9_11use_defaultEEESH_EEENSJ_IJSG_SI_EEENS0_18inequality_wrapperINS9_8equal_toIxEEEEPmJSH_EEE10hipError_tPvRmT3_T4_T5_T6_T7_T9_mT8_P12ihipStream_tbDpT10_ENKUlT_T0_E_clISt17integral_constantIbLb0EES1C_IbLb1EEEEDaS18_S19_EUlS18_E_NS1_11comp_targetILNS1_3genE3ELNS1_11target_archE908ELNS1_3gpuE7ELNS1_3repE0EEENS1_30default_config_static_selectorELNS0_4arch9wavefront6targetE0EEEvT1_, .Lfunc_end1072-_ZN7rocprim17ROCPRIM_400000_NS6detail17trampoline_kernelINS0_14default_configENS1_25partition_config_selectorILNS1_17partition_subalgoE9ExjbEEZZNS1_14partition_implILS5_9ELb0ES3_jN6thrust23THRUST_200600_302600_NS6detail15normal_iteratorINS9_10device_ptrIxEEEENSB_INSC_IjEEEEPNS0_10empty_typeENS0_5tupleIJNS9_16discard_iteratorINS9_11use_defaultEEESH_EEENSJ_IJSG_SI_EEENS0_18inequality_wrapperINS9_8equal_toIxEEEEPmJSH_EEE10hipError_tPvRmT3_T4_T5_T6_T7_T9_mT8_P12ihipStream_tbDpT10_ENKUlT_T0_E_clISt17integral_constantIbLb0EES1C_IbLb1EEEEDaS18_S19_EUlS18_E_NS1_11comp_targetILNS1_3genE3ELNS1_11target_archE908ELNS1_3gpuE7ELNS1_3repE0EEENS1_30default_config_static_selectorELNS0_4arch9wavefront6targetE0EEEvT1_
                                        ; -- End function
	.section	.AMDGPU.csdata,"",@progbits
; Kernel info:
; codeLenInByte = 0
; NumSgprs: 0
; NumVgprs: 0
; ScratchSize: 0
; MemoryBound: 0
; FloatMode: 240
; IeeeMode: 1
; LDSByteSize: 0 bytes/workgroup (compile time only)
; SGPRBlocks: 0
; VGPRBlocks: 0
; NumSGPRsForWavesPerEU: 1
; NumVGPRsForWavesPerEU: 1
; Occupancy: 16
; WaveLimiterHint : 0
; COMPUTE_PGM_RSRC2:SCRATCH_EN: 0
; COMPUTE_PGM_RSRC2:USER_SGPR: 15
; COMPUTE_PGM_RSRC2:TRAP_HANDLER: 0
; COMPUTE_PGM_RSRC2:TGID_X_EN: 1
; COMPUTE_PGM_RSRC2:TGID_Y_EN: 0
; COMPUTE_PGM_RSRC2:TGID_Z_EN: 0
; COMPUTE_PGM_RSRC2:TIDIG_COMP_CNT: 0
	.section	.text._ZN7rocprim17ROCPRIM_400000_NS6detail17trampoline_kernelINS0_14default_configENS1_25partition_config_selectorILNS1_17partition_subalgoE9ExjbEEZZNS1_14partition_implILS5_9ELb0ES3_jN6thrust23THRUST_200600_302600_NS6detail15normal_iteratorINS9_10device_ptrIxEEEENSB_INSC_IjEEEEPNS0_10empty_typeENS0_5tupleIJNS9_16discard_iteratorINS9_11use_defaultEEESH_EEENSJ_IJSG_SI_EEENS0_18inequality_wrapperINS9_8equal_toIxEEEEPmJSH_EEE10hipError_tPvRmT3_T4_T5_T6_T7_T9_mT8_P12ihipStream_tbDpT10_ENKUlT_T0_E_clISt17integral_constantIbLb0EES1C_IbLb1EEEEDaS18_S19_EUlS18_E_NS1_11comp_targetILNS1_3genE2ELNS1_11target_archE906ELNS1_3gpuE6ELNS1_3repE0EEENS1_30default_config_static_selectorELNS0_4arch9wavefront6targetE0EEEvT1_,"axG",@progbits,_ZN7rocprim17ROCPRIM_400000_NS6detail17trampoline_kernelINS0_14default_configENS1_25partition_config_selectorILNS1_17partition_subalgoE9ExjbEEZZNS1_14partition_implILS5_9ELb0ES3_jN6thrust23THRUST_200600_302600_NS6detail15normal_iteratorINS9_10device_ptrIxEEEENSB_INSC_IjEEEEPNS0_10empty_typeENS0_5tupleIJNS9_16discard_iteratorINS9_11use_defaultEEESH_EEENSJ_IJSG_SI_EEENS0_18inequality_wrapperINS9_8equal_toIxEEEEPmJSH_EEE10hipError_tPvRmT3_T4_T5_T6_T7_T9_mT8_P12ihipStream_tbDpT10_ENKUlT_T0_E_clISt17integral_constantIbLb0EES1C_IbLb1EEEEDaS18_S19_EUlS18_E_NS1_11comp_targetILNS1_3genE2ELNS1_11target_archE906ELNS1_3gpuE6ELNS1_3repE0EEENS1_30default_config_static_selectorELNS0_4arch9wavefront6targetE0EEEvT1_,comdat
	.protected	_ZN7rocprim17ROCPRIM_400000_NS6detail17trampoline_kernelINS0_14default_configENS1_25partition_config_selectorILNS1_17partition_subalgoE9ExjbEEZZNS1_14partition_implILS5_9ELb0ES3_jN6thrust23THRUST_200600_302600_NS6detail15normal_iteratorINS9_10device_ptrIxEEEENSB_INSC_IjEEEEPNS0_10empty_typeENS0_5tupleIJNS9_16discard_iteratorINS9_11use_defaultEEESH_EEENSJ_IJSG_SI_EEENS0_18inequality_wrapperINS9_8equal_toIxEEEEPmJSH_EEE10hipError_tPvRmT3_T4_T5_T6_T7_T9_mT8_P12ihipStream_tbDpT10_ENKUlT_T0_E_clISt17integral_constantIbLb0EES1C_IbLb1EEEEDaS18_S19_EUlS18_E_NS1_11comp_targetILNS1_3genE2ELNS1_11target_archE906ELNS1_3gpuE6ELNS1_3repE0EEENS1_30default_config_static_selectorELNS0_4arch9wavefront6targetE0EEEvT1_ ; -- Begin function _ZN7rocprim17ROCPRIM_400000_NS6detail17trampoline_kernelINS0_14default_configENS1_25partition_config_selectorILNS1_17partition_subalgoE9ExjbEEZZNS1_14partition_implILS5_9ELb0ES3_jN6thrust23THRUST_200600_302600_NS6detail15normal_iteratorINS9_10device_ptrIxEEEENSB_INSC_IjEEEEPNS0_10empty_typeENS0_5tupleIJNS9_16discard_iteratorINS9_11use_defaultEEESH_EEENSJ_IJSG_SI_EEENS0_18inequality_wrapperINS9_8equal_toIxEEEEPmJSH_EEE10hipError_tPvRmT3_T4_T5_T6_T7_T9_mT8_P12ihipStream_tbDpT10_ENKUlT_T0_E_clISt17integral_constantIbLb0EES1C_IbLb1EEEEDaS18_S19_EUlS18_E_NS1_11comp_targetILNS1_3genE2ELNS1_11target_archE906ELNS1_3gpuE6ELNS1_3repE0EEENS1_30default_config_static_selectorELNS0_4arch9wavefront6targetE0EEEvT1_
	.globl	_ZN7rocprim17ROCPRIM_400000_NS6detail17trampoline_kernelINS0_14default_configENS1_25partition_config_selectorILNS1_17partition_subalgoE9ExjbEEZZNS1_14partition_implILS5_9ELb0ES3_jN6thrust23THRUST_200600_302600_NS6detail15normal_iteratorINS9_10device_ptrIxEEEENSB_INSC_IjEEEEPNS0_10empty_typeENS0_5tupleIJNS9_16discard_iteratorINS9_11use_defaultEEESH_EEENSJ_IJSG_SI_EEENS0_18inequality_wrapperINS9_8equal_toIxEEEEPmJSH_EEE10hipError_tPvRmT3_T4_T5_T6_T7_T9_mT8_P12ihipStream_tbDpT10_ENKUlT_T0_E_clISt17integral_constantIbLb0EES1C_IbLb1EEEEDaS18_S19_EUlS18_E_NS1_11comp_targetILNS1_3genE2ELNS1_11target_archE906ELNS1_3gpuE6ELNS1_3repE0EEENS1_30default_config_static_selectorELNS0_4arch9wavefront6targetE0EEEvT1_
	.p2align	8
	.type	_ZN7rocprim17ROCPRIM_400000_NS6detail17trampoline_kernelINS0_14default_configENS1_25partition_config_selectorILNS1_17partition_subalgoE9ExjbEEZZNS1_14partition_implILS5_9ELb0ES3_jN6thrust23THRUST_200600_302600_NS6detail15normal_iteratorINS9_10device_ptrIxEEEENSB_INSC_IjEEEEPNS0_10empty_typeENS0_5tupleIJNS9_16discard_iteratorINS9_11use_defaultEEESH_EEENSJ_IJSG_SI_EEENS0_18inequality_wrapperINS9_8equal_toIxEEEEPmJSH_EEE10hipError_tPvRmT3_T4_T5_T6_T7_T9_mT8_P12ihipStream_tbDpT10_ENKUlT_T0_E_clISt17integral_constantIbLb0EES1C_IbLb1EEEEDaS18_S19_EUlS18_E_NS1_11comp_targetILNS1_3genE2ELNS1_11target_archE906ELNS1_3gpuE6ELNS1_3repE0EEENS1_30default_config_static_selectorELNS0_4arch9wavefront6targetE0EEEvT1_,@function
_ZN7rocprim17ROCPRIM_400000_NS6detail17trampoline_kernelINS0_14default_configENS1_25partition_config_selectorILNS1_17partition_subalgoE9ExjbEEZZNS1_14partition_implILS5_9ELb0ES3_jN6thrust23THRUST_200600_302600_NS6detail15normal_iteratorINS9_10device_ptrIxEEEENSB_INSC_IjEEEEPNS0_10empty_typeENS0_5tupleIJNS9_16discard_iteratorINS9_11use_defaultEEESH_EEENSJ_IJSG_SI_EEENS0_18inequality_wrapperINS9_8equal_toIxEEEEPmJSH_EEE10hipError_tPvRmT3_T4_T5_T6_T7_T9_mT8_P12ihipStream_tbDpT10_ENKUlT_T0_E_clISt17integral_constantIbLb0EES1C_IbLb1EEEEDaS18_S19_EUlS18_E_NS1_11comp_targetILNS1_3genE2ELNS1_11target_archE906ELNS1_3gpuE6ELNS1_3repE0EEENS1_30default_config_static_selectorELNS0_4arch9wavefront6targetE0EEEvT1_: ; @_ZN7rocprim17ROCPRIM_400000_NS6detail17trampoline_kernelINS0_14default_configENS1_25partition_config_selectorILNS1_17partition_subalgoE9ExjbEEZZNS1_14partition_implILS5_9ELb0ES3_jN6thrust23THRUST_200600_302600_NS6detail15normal_iteratorINS9_10device_ptrIxEEEENSB_INSC_IjEEEEPNS0_10empty_typeENS0_5tupleIJNS9_16discard_iteratorINS9_11use_defaultEEESH_EEENSJ_IJSG_SI_EEENS0_18inequality_wrapperINS9_8equal_toIxEEEEPmJSH_EEE10hipError_tPvRmT3_T4_T5_T6_T7_T9_mT8_P12ihipStream_tbDpT10_ENKUlT_T0_E_clISt17integral_constantIbLb0EES1C_IbLb1EEEEDaS18_S19_EUlS18_E_NS1_11comp_targetILNS1_3genE2ELNS1_11target_archE906ELNS1_3gpuE6ELNS1_3repE0EEENS1_30default_config_static_selectorELNS0_4arch9wavefront6targetE0EEEvT1_
; %bb.0:
	.section	.rodata,"a",@progbits
	.p2align	6, 0x0
	.amdhsa_kernel _ZN7rocprim17ROCPRIM_400000_NS6detail17trampoline_kernelINS0_14default_configENS1_25partition_config_selectorILNS1_17partition_subalgoE9ExjbEEZZNS1_14partition_implILS5_9ELb0ES3_jN6thrust23THRUST_200600_302600_NS6detail15normal_iteratorINS9_10device_ptrIxEEEENSB_INSC_IjEEEEPNS0_10empty_typeENS0_5tupleIJNS9_16discard_iteratorINS9_11use_defaultEEESH_EEENSJ_IJSG_SI_EEENS0_18inequality_wrapperINS9_8equal_toIxEEEEPmJSH_EEE10hipError_tPvRmT3_T4_T5_T6_T7_T9_mT8_P12ihipStream_tbDpT10_ENKUlT_T0_E_clISt17integral_constantIbLb0EES1C_IbLb1EEEEDaS18_S19_EUlS18_E_NS1_11comp_targetILNS1_3genE2ELNS1_11target_archE906ELNS1_3gpuE6ELNS1_3repE0EEENS1_30default_config_static_selectorELNS0_4arch9wavefront6targetE0EEEvT1_
		.amdhsa_group_segment_fixed_size 0
		.amdhsa_private_segment_fixed_size 0
		.amdhsa_kernarg_size 136
		.amdhsa_user_sgpr_count 15
		.amdhsa_user_sgpr_dispatch_ptr 0
		.amdhsa_user_sgpr_queue_ptr 0
		.amdhsa_user_sgpr_kernarg_segment_ptr 1
		.amdhsa_user_sgpr_dispatch_id 0
		.amdhsa_user_sgpr_private_segment_size 0
		.amdhsa_wavefront_size32 1
		.amdhsa_uses_dynamic_stack 0
		.amdhsa_enable_private_segment 0
		.amdhsa_system_sgpr_workgroup_id_x 1
		.amdhsa_system_sgpr_workgroup_id_y 0
		.amdhsa_system_sgpr_workgroup_id_z 0
		.amdhsa_system_sgpr_workgroup_info 0
		.amdhsa_system_vgpr_workitem_id 0
		.amdhsa_next_free_vgpr 1
		.amdhsa_next_free_sgpr 1
		.amdhsa_reserve_vcc 0
		.amdhsa_float_round_mode_32 0
		.amdhsa_float_round_mode_16_64 0
		.amdhsa_float_denorm_mode_32 3
		.amdhsa_float_denorm_mode_16_64 3
		.amdhsa_dx10_clamp 1
		.amdhsa_ieee_mode 1
		.amdhsa_fp16_overflow 0
		.amdhsa_workgroup_processor_mode 1
		.amdhsa_memory_ordered 1
		.amdhsa_forward_progress 0
		.amdhsa_shared_vgpr_count 0
		.amdhsa_exception_fp_ieee_invalid_op 0
		.amdhsa_exception_fp_denorm_src 0
		.amdhsa_exception_fp_ieee_div_zero 0
		.amdhsa_exception_fp_ieee_overflow 0
		.amdhsa_exception_fp_ieee_underflow 0
		.amdhsa_exception_fp_ieee_inexact 0
		.amdhsa_exception_int_div_zero 0
	.end_amdhsa_kernel
	.section	.text._ZN7rocprim17ROCPRIM_400000_NS6detail17trampoline_kernelINS0_14default_configENS1_25partition_config_selectorILNS1_17partition_subalgoE9ExjbEEZZNS1_14partition_implILS5_9ELb0ES3_jN6thrust23THRUST_200600_302600_NS6detail15normal_iteratorINS9_10device_ptrIxEEEENSB_INSC_IjEEEEPNS0_10empty_typeENS0_5tupleIJNS9_16discard_iteratorINS9_11use_defaultEEESH_EEENSJ_IJSG_SI_EEENS0_18inequality_wrapperINS9_8equal_toIxEEEEPmJSH_EEE10hipError_tPvRmT3_T4_T5_T6_T7_T9_mT8_P12ihipStream_tbDpT10_ENKUlT_T0_E_clISt17integral_constantIbLb0EES1C_IbLb1EEEEDaS18_S19_EUlS18_E_NS1_11comp_targetILNS1_3genE2ELNS1_11target_archE906ELNS1_3gpuE6ELNS1_3repE0EEENS1_30default_config_static_selectorELNS0_4arch9wavefront6targetE0EEEvT1_,"axG",@progbits,_ZN7rocprim17ROCPRIM_400000_NS6detail17trampoline_kernelINS0_14default_configENS1_25partition_config_selectorILNS1_17partition_subalgoE9ExjbEEZZNS1_14partition_implILS5_9ELb0ES3_jN6thrust23THRUST_200600_302600_NS6detail15normal_iteratorINS9_10device_ptrIxEEEENSB_INSC_IjEEEEPNS0_10empty_typeENS0_5tupleIJNS9_16discard_iteratorINS9_11use_defaultEEESH_EEENSJ_IJSG_SI_EEENS0_18inequality_wrapperINS9_8equal_toIxEEEEPmJSH_EEE10hipError_tPvRmT3_T4_T5_T6_T7_T9_mT8_P12ihipStream_tbDpT10_ENKUlT_T0_E_clISt17integral_constantIbLb0EES1C_IbLb1EEEEDaS18_S19_EUlS18_E_NS1_11comp_targetILNS1_3genE2ELNS1_11target_archE906ELNS1_3gpuE6ELNS1_3repE0EEENS1_30default_config_static_selectorELNS0_4arch9wavefront6targetE0EEEvT1_,comdat
.Lfunc_end1073:
	.size	_ZN7rocprim17ROCPRIM_400000_NS6detail17trampoline_kernelINS0_14default_configENS1_25partition_config_selectorILNS1_17partition_subalgoE9ExjbEEZZNS1_14partition_implILS5_9ELb0ES3_jN6thrust23THRUST_200600_302600_NS6detail15normal_iteratorINS9_10device_ptrIxEEEENSB_INSC_IjEEEEPNS0_10empty_typeENS0_5tupleIJNS9_16discard_iteratorINS9_11use_defaultEEESH_EEENSJ_IJSG_SI_EEENS0_18inequality_wrapperINS9_8equal_toIxEEEEPmJSH_EEE10hipError_tPvRmT3_T4_T5_T6_T7_T9_mT8_P12ihipStream_tbDpT10_ENKUlT_T0_E_clISt17integral_constantIbLb0EES1C_IbLb1EEEEDaS18_S19_EUlS18_E_NS1_11comp_targetILNS1_3genE2ELNS1_11target_archE906ELNS1_3gpuE6ELNS1_3repE0EEENS1_30default_config_static_selectorELNS0_4arch9wavefront6targetE0EEEvT1_, .Lfunc_end1073-_ZN7rocprim17ROCPRIM_400000_NS6detail17trampoline_kernelINS0_14default_configENS1_25partition_config_selectorILNS1_17partition_subalgoE9ExjbEEZZNS1_14partition_implILS5_9ELb0ES3_jN6thrust23THRUST_200600_302600_NS6detail15normal_iteratorINS9_10device_ptrIxEEEENSB_INSC_IjEEEEPNS0_10empty_typeENS0_5tupleIJNS9_16discard_iteratorINS9_11use_defaultEEESH_EEENSJ_IJSG_SI_EEENS0_18inequality_wrapperINS9_8equal_toIxEEEEPmJSH_EEE10hipError_tPvRmT3_T4_T5_T6_T7_T9_mT8_P12ihipStream_tbDpT10_ENKUlT_T0_E_clISt17integral_constantIbLb0EES1C_IbLb1EEEEDaS18_S19_EUlS18_E_NS1_11comp_targetILNS1_3genE2ELNS1_11target_archE906ELNS1_3gpuE6ELNS1_3repE0EEENS1_30default_config_static_selectorELNS0_4arch9wavefront6targetE0EEEvT1_
                                        ; -- End function
	.section	.AMDGPU.csdata,"",@progbits
; Kernel info:
; codeLenInByte = 0
; NumSgprs: 0
; NumVgprs: 0
; ScratchSize: 0
; MemoryBound: 0
; FloatMode: 240
; IeeeMode: 1
; LDSByteSize: 0 bytes/workgroup (compile time only)
; SGPRBlocks: 0
; VGPRBlocks: 0
; NumSGPRsForWavesPerEU: 1
; NumVGPRsForWavesPerEU: 1
; Occupancy: 16
; WaveLimiterHint : 0
; COMPUTE_PGM_RSRC2:SCRATCH_EN: 0
; COMPUTE_PGM_RSRC2:USER_SGPR: 15
; COMPUTE_PGM_RSRC2:TRAP_HANDLER: 0
; COMPUTE_PGM_RSRC2:TGID_X_EN: 1
; COMPUTE_PGM_RSRC2:TGID_Y_EN: 0
; COMPUTE_PGM_RSRC2:TGID_Z_EN: 0
; COMPUTE_PGM_RSRC2:TIDIG_COMP_CNT: 0
	.section	.text._ZN7rocprim17ROCPRIM_400000_NS6detail17trampoline_kernelINS0_14default_configENS1_25partition_config_selectorILNS1_17partition_subalgoE9ExjbEEZZNS1_14partition_implILS5_9ELb0ES3_jN6thrust23THRUST_200600_302600_NS6detail15normal_iteratorINS9_10device_ptrIxEEEENSB_INSC_IjEEEEPNS0_10empty_typeENS0_5tupleIJNS9_16discard_iteratorINS9_11use_defaultEEESH_EEENSJ_IJSG_SI_EEENS0_18inequality_wrapperINS9_8equal_toIxEEEEPmJSH_EEE10hipError_tPvRmT3_T4_T5_T6_T7_T9_mT8_P12ihipStream_tbDpT10_ENKUlT_T0_E_clISt17integral_constantIbLb0EES1C_IbLb1EEEEDaS18_S19_EUlS18_E_NS1_11comp_targetILNS1_3genE10ELNS1_11target_archE1200ELNS1_3gpuE4ELNS1_3repE0EEENS1_30default_config_static_selectorELNS0_4arch9wavefront6targetE0EEEvT1_,"axG",@progbits,_ZN7rocprim17ROCPRIM_400000_NS6detail17trampoline_kernelINS0_14default_configENS1_25partition_config_selectorILNS1_17partition_subalgoE9ExjbEEZZNS1_14partition_implILS5_9ELb0ES3_jN6thrust23THRUST_200600_302600_NS6detail15normal_iteratorINS9_10device_ptrIxEEEENSB_INSC_IjEEEEPNS0_10empty_typeENS0_5tupleIJNS9_16discard_iteratorINS9_11use_defaultEEESH_EEENSJ_IJSG_SI_EEENS0_18inequality_wrapperINS9_8equal_toIxEEEEPmJSH_EEE10hipError_tPvRmT3_T4_T5_T6_T7_T9_mT8_P12ihipStream_tbDpT10_ENKUlT_T0_E_clISt17integral_constantIbLb0EES1C_IbLb1EEEEDaS18_S19_EUlS18_E_NS1_11comp_targetILNS1_3genE10ELNS1_11target_archE1200ELNS1_3gpuE4ELNS1_3repE0EEENS1_30default_config_static_selectorELNS0_4arch9wavefront6targetE0EEEvT1_,comdat
	.protected	_ZN7rocprim17ROCPRIM_400000_NS6detail17trampoline_kernelINS0_14default_configENS1_25partition_config_selectorILNS1_17partition_subalgoE9ExjbEEZZNS1_14partition_implILS5_9ELb0ES3_jN6thrust23THRUST_200600_302600_NS6detail15normal_iteratorINS9_10device_ptrIxEEEENSB_INSC_IjEEEEPNS0_10empty_typeENS0_5tupleIJNS9_16discard_iteratorINS9_11use_defaultEEESH_EEENSJ_IJSG_SI_EEENS0_18inequality_wrapperINS9_8equal_toIxEEEEPmJSH_EEE10hipError_tPvRmT3_T4_T5_T6_T7_T9_mT8_P12ihipStream_tbDpT10_ENKUlT_T0_E_clISt17integral_constantIbLb0EES1C_IbLb1EEEEDaS18_S19_EUlS18_E_NS1_11comp_targetILNS1_3genE10ELNS1_11target_archE1200ELNS1_3gpuE4ELNS1_3repE0EEENS1_30default_config_static_selectorELNS0_4arch9wavefront6targetE0EEEvT1_ ; -- Begin function _ZN7rocprim17ROCPRIM_400000_NS6detail17trampoline_kernelINS0_14default_configENS1_25partition_config_selectorILNS1_17partition_subalgoE9ExjbEEZZNS1_14partition_implILS5_9ELb0ES3_jN6thrust23THRUST_200600_302600_NS6detail15normal_iteratorINS9_10device_ptrIxEEEENSB_INSC_IjEEEEPNS0_10empty_typeENS0_5tupleIJNS9_16discard_iteratorINS9_11use_defaultEEESH_EEENSJ_IJSG_SI_EEENS0_18inequality_wrapperINS9_8equal_toIxEEEEPmJSH_EEE10hipError_tPvRmT3_T4_T5_T6_T7_T9_mT8_P12ihipStream_tbDpT10_ENKUlT_T0_E_clISt17integral_constantIbLb0EES1C_IbLb1EEEEDaS18_S19_EUlS18_E_NS1_11comp_targetILNS1_3genE10ELNS1_11target_archE1200ELNS1_3gpuE4ELNS1_3repE0EEENS1_30default_config_static_selectorELNS0_4arch9wavefront6targetE0EEEvT1_
	.globl	_ZN7rocprim17ROCPRIM_400000_NS6detail17trampoline_kernelINS0_14default_configENS1_25partition_config_selectorILNS1_17partition_subalgoE9ExjbEEZZNS1_14partition_implILS5_9ELb0ES3_jN6thrust23THRUST_200600_302600_NS6detail15normal_iteratorINS9_10device_ptrIxEEEENSB_INSC_IjEEEEPNS0_10empty_typeENS0_5tupleIJNS9_16discard_iteratorINS9_11use_defaultEEESH_EEENSJ_IJSG_SI_EEENS0_18inequality_wrapperINS9_8equal_toIxEEEEPmJSH_EEE10hipError_tPvRmT3_T4_T5_T6_T7_T9_mT8_P12ihipStream_tbDpT10_ENKUlT_T0_E_clISt17integral_constantIbLb0EES1C_IbLb1EEEEDaS18_S19_EUlS18_E_NS1_11comp_targetILNS1_3genE10ELNS1_11target_archE1200ELNS1_3gpuE4ELNS1_3repE0EEENS1_30default_config_static_selectorELNS0_4arch9wavefront6targetE0EEEvT1_
	.p2align	8
	.type	_ZN7rocprim17ROCPRIM_400000_NS6detail17trampoline_kernelINS0_14default_configENS1_25partition_config_selectorILNS1_17partition_subalgoE9ExjbEEZZNS1_14partition_implILS5_9ELb0ES3_jN6thrust23THRUST_200600_302600_NS6detail15normal_iteratorINS9_10device_ptrIxEEEENSB_INSC_IjEEEEPNS0_10empty_typeENS0_5tupleIJNS9_16discard_iteratorINS9_11use_defaultEEESH_EEENSJ_IJSG_SI_EEENS0_18inequality_wrapperINS9_8equal_toIxEEEEPmJSH_EEE10hipError_tPvRmT3_T4_T5_T6_T7_T9_mT8_P12ihipStream_tbDpT10_ENKUlT_T0_E_clISt17integral_constantIbLb0EES1C_IbLb1EEEEDaS18_S19_EUlS18_E_NS1_11comp_targetILNS1_3genE10ELNS1_11target_archE1200ELNS1_3gpuE4ELNS1_3repE0EEENS1_30default_config_static_selectorELNS0_4arch9wavefront6targetE0EEEvT1_,@function
_ZN7rocprim17ROCPRIM_400000_NS6detail17trampoline_kernelINS0_14default_configENS1_25partition_config_selectorILNS1_17partition_subalgoE9ExjbEEZZNS1_14partition_implILS5_9ELb0ES3_jN6thrust23THRUST_200600_302600_NS6detail15normal_iteratorINS9_10device_ptrIxEEEENSB_INSC_IjEEEEPNS0_10empty_typeENS0_5tupleIJNS9_16discard_iteratorINS9_11use_defaultEEESH_EEENSJ_IJSG_SI_EEENS0_18inequality_wrapperINS9_8equal_toIxEEEEPmJSH_EEE10hipError_tPvRmT3_T4_T5_T6_T7_T9_mT8_P12ihipStream_tbDpT10_ENKUlT_T0_E_clISt17integral_constantIbLb0EES1C_IbLb1EEEEDaS18_S19_EUlS18_E_NS1_11comp_targetILNS1_3genE10ELNS1_11target_archE1200ELNS1_3gpuE4ELNS1_3repE0EEENS1_30default_config_static_selectorELNS0_4arch9wavefront6targetE0EEEvT1_: ; @_ZN7rocprim17ROCPRIM_400000_NS6detail17trampoline_kernelINS0_14default_configENS1_25partition_config_selectorILNS1_17partition_subalgoE9ExjbEEZZNS1_14partition_implILS5_9ELb0ES3_jN6thrust23THRUST_200600_302600_NS6detail15normal_iteratorINS9_10device_ptrIxEEEENSB_INSC_IjEEEEPNS0_10empty_typeENS0_5tupleIJNS9_16discard_iteratorINS9_11use_defaultEEESH_EEENSJ_IJSG_SI_EEENS0_18inequality_wrapperINS9_8equal_toIxEEEEPmJSH_EEE10hipError_tPvRmT3_T4_T5_T6_T7_T9_mT8_P12ihipStream_tbDpT10_ENKUlT_T0_E_clISt17integral_constantIbLb0EES1C_IbLb1EEEEDaS18_S19_EUlS18_E_NS1_11comp_targetILNS1_3genE10ELNS1_11target_archE1200ELNS1_3gpuE4ELNS1_3repE0EEENS1_30default_config_static_selectorELNS0_4arch9wavefront6targetE0EEEvT1_
; %bb.0:
	.section	.rodata,"a",@progbits
	.p2align	6, 0x0
	.amdhsa_kernel _ZN7rocprim17ROCPRIM_400000_NS6detail17trampoline_kernelINS0_14default_configENS1_25partition_config_selectorILNS1_17partition_subalgoE9ExjbEEZZNS1_14partition_implILS5_9ELb0ES3_jN6thrust23THRUST_200600_302600_NS6detail15normal_iteratorINS9_10device_ptrIxEEEENSB_INSC_IjEEEEPNS0_10empty_typeENS0_5tupleIJNS9_16discard_iteratorINS9_11use_defaultEEESH_EEENSJ_IJSG_SI_EEENS0_18inequality_wrapperINS9_8equal_toIxEEEEPmJSH_EEE10hipError_tPvRmT3_T4_T5_T6_T7_T9_mT8_P12ihipStream_tbDpT10_ENKUlT_T0_E_clISt17integral_constantIbLb0EES1C_IbLb1EEEEDaS18_S19_EUlS18_E_NS1_11comp_targetILNS1_3genE10ELNS1_11target_archE1200ELNS1_3gpuE4ELNS1_3repE0EEENS1_30default_config_static_selectorELNS0_4arch9wavefront6targetE0EEEvT1_
		.amdhsa_group_segment_fixed_size 0
		.amdhsa_private_segment_fixed_size 0
		.amdhsa_kernarg_size 136
		.amdhsa_user_sgpr_count 15
		.amdhsa_user_sgpr_dispatch_ptr 0
		.amdhsa_user_sgpr_queue_ptr 0
		.amdhsa_user_sgpr_kernarg_segment_ptr 1
		.amdhsa_user_sgpr_dispatch_id 0
		.amdhsa_user_sgpr_private_segment_size 0
		.amdhsa_wavefront_size32 1
		.amdhsa_uses_dynamic_stack 0
		.amdhsa_enable_private_segment 0
		.amdhsa_system_sgpr_workgroup_id_x 1
		.amdhsa_system_sgpr_workgroup_id_y 0
		.amdhsa_system_sgpr_workgroup_id_z 0
		.amdhsa_system_sgpr_workgroup_info 0
		.amdhsa_system_vgpr_workitem_id 0
		.amdhsa_next_free_vgpr 1
		.amdhsa_next_free_sgpr 1
		.amdhsa_reserve_vcc 0
		.amdhsa_float_round_mode_32 0
		.amdhsa_float_round_mode_16_64 0
		.amdhsa_float_denorm_mode_32 3
		.amdhsa_float_denorm_mode_16_64 3
		.amdhsa_dx10_clamp 1
		.amdhsa_ieee_mode 1
		.amdhsa_fp16_overflow 0
		.amdhsa_workgroup_processor_mode 1
		.amdhsa_memory_ordered 1
		.amdhsa_forward_progress 0
		.amdhsa_shared_vgpr_count 0
		.amdhsa_exception_fp_ieee_invalid_op 0
		.amdhsa_exception_fp_denorm_src 0
		.amdhsa_exception_fp_ieee_div_zero 0
		.amdhsa_exception_fp_ieee_overflow 0
		.amdhsa_exception_fp_ieee_underflow 0
		.amdhsa_exception_fp_ieee_inexact 0
		.amdhsa_exception_int_div_zero 0
	.end_amdhsa_kernel
	.section	.text._ZN7rocprim17ROCPRIM_400000_NS6detail17trampoline_kernelINS0_14default_configENS1_25partition_config_selectorILNS1_17partition_subalgoE9ExjbEEZZNS1_14partition_implILS5_9ELb0ES3_jN6thrust23THRUST_200600_302600_NS6detail15normal_iteratorINS9_10device_ptrIxEEEENSB_INSC_IjEEEEPNS0_10empty_typeENS0_5tupleIJNS9_16discard_iteratorINS9_11use_defaultEEESH_EEENSJ_IJSG_SI_EEENS0_18inequality_wrapperINS9_8equal_toIxEEEEPmJSH_EEE10hipError_tPvRmT3_T4_T5_T6_T7_T9_mT8_P12ihipStream_tbDpT10_ENKUlT_T0_E_clISt17integral_constantIbLb0EES1C_IbLb1EEEEDaS18_S19_EUlS18_E_NS1_11comp_targetILNS1_3genE10ELNS1_11target_archE1200ELNS1_3gpuE4ELNS1_3repE0EEENS1_30default_config_static_selectorELNS0_4arch9wavefront6targetE0EEEvT1_,"axG",@progbits,_ZN7rocprim17ROCPRIM_400000_NS6detail17trampoline_kernelINS0_14default_configENS1_25partition_config_selectorILNS1_17partition_subalgoE9ExjbEEZZNS1_14partition_implILS5_9ELb0ES3_jN6thrust23THRUST_200600_302600_NS6detail15normal_iteratorINS9_10device_ptrIxEEEENSB_INSC_IjEEEEPNS0_10empty_typeENS0_5tupleIJNS9_16discard_iteratorINS9_11use_defaultEEESH_EEENSJ_IJSG_SI_EEENS0_18inequality_wrapperINS9_8equal_toIxEEEEPmJSH_EEE10hipError_tPvRmT3_T4_T5_T6_T7_T9_mT8_P12ihipStream_tbDpT10_ENKUlT_T0_E_clISt17integral_constantIbLb0EES1C_IbLb1EEEEDaS18_S19_EUlS18_E_NS1_11comp_targetILNS1_3genE10ELNS1_11target_archE1200ELNS1_3gpuE4ELNS1_3repE0EEENS1_30default_config_static_selectorELNS0_4arch9wavefront6targetE0EEEvT1_,comdat
.Lfunc_end1074:
	.size	_ZN7rocprim17ROCPRIM_400000_NS6detail17trampoline_kernelINS0_14default_configENS1_25partition_config_selectorILNS1_17partition_subalgoE9ExjbEEZZNS1_14partition_implILS5_9ELb0ES3_jN6thrust23THRUST_200600_302600_NS6detail15normal_iteratorINS9_10device_ptrIxEEEENSB_INSC_IjEEEEPNS0_10empty_typeENS0_5tupleIJNS9_16discard_iteratorINS9_11use_defaultEEESH_EEENSJ_IJSG_SI_EEENS0_18inequality_wrapperINS9_8equal_toIxEEEEPmJSH_EEE10hipError_tPvRmT3_T4_T5_T6_T7_T9_mT8_P12ihipStream_tbDpT10_ENKUlT_T0_E_clISt17integral_constantIbLb0EES1C_IbLb1EEEEDaS18_S19_EUlS18_E_NS1_11comp_targetILNS1_3genE10ELNS1_11target_archE1200ELNS1_3gpuE4ELNS1_3repE0EEENS1_30default_config_static_selectorELNS0_4arch9wavefront6targetE0EEEvT1_, .Lfunc_end1074-_ZN7rocprim17ROCPRIM_400000_NS6detail17trampoline_kernelINS0_14default_configENS1_25partition_config_selectorILNS1_17partition_subalgoE9ExjbEEZZNS1_14partition_implILS5_9ELb0ES3_jN6thrust23THRUST_200600_302600_NS6detail15normal_iteratorINS9_10device_ptrIxEEEENSB_INSC_IjEEEEPNS0_10empty_typeENS0_5tupleIJNS9_16discard_iteratorINS9_11use_defaultEEESH_EEENSJ_IJSG_SI_EEENS0_18inequality_wrapperINS9_8equal_toIxEEEEPmJSH_EEE10hipError_tPvRmT3_T4_T5_T6_T7_T9_mT8_P12ihipStream_tbDpT10_ENKUlT_T0_E_clISt17integral_constantIbLb0EES1C_IbLb1EEEEDaS18_S19_EUlS18_E_NS1_11comp_targetILNS1_3genE10ELNS1_11target_archE1200ELNS1_3gpuE4ELNS1_3repE0EEENS1_30default_config_static_selectorELNS0_4arch9wavefront6targetE0EEEvT1_
                                        ; -- End function
	.section	.AMDGPU.csdata,"",@progbits
; Kernel info:
; codeLenInByte = 0
; NumSgprs: 0
; NumVgprs: 0
; ScratchSize: 0
; MemoryBound: 0
; FloatMode: 240
; IeeeMode: 1
; LDSByteSize: 0 bytes/workgroup (compile time only)
; SGPRBlocks: 0
; VGPRBlocks: 0
; NumSGPRsForWavesPerEU: 1
; NumVGPRsForWavesPerEU: 1
; Occupancy: 15
; WaveLimiterHint : 0
; COMPUTE_PGM_RSRC2:SCRATCH_EN: 0
; COMPUTE_PGM_RSRC2:USER_SGPR: 15
; COMPUTE_PGM_RSRC2:TRAP_HANDLER: 0
; COMPUTE_PGM_RSRC2:TGID_X_EN: 1
; COMPUTE_PGM_RSRC2:TGID_Y_EN: 0
; COMPUTE_PGM_RSRC2:TGID_Z_EN: 0
; COMPUTE_PGM_RSRC2:TIDIG_COMP_CNT: 0
	.section	.text._ZN7rocprim17ROCPRIM_400000_NS6detail17trampoline_kernelINS0_14default_configENS1_25partition_config_selectorILNS1_17partition_subalgoE9ExjbEEZZNS1_14partition_implILS5_9ELb0ES3_jN6thrust23THRUST_200600_302600_NS6detail15normal_iteratorINS9_10device_ptrIxEEEENSB_INSC_IjEEEEPNS0_10empty_typeENS0_5tupleIJNS9_16discard_iteratorINS9_11use_defaultEEESH_EEENSJ_IJSG_SI_EEENS0_18inequality_wrapperINS9_8equal_toIxEEEEPmJSH_EEE10hipError_tPvRmT3_T4_T5_T6_T7_T9_mT8_P12ihipStream_tbDpT10_ENKUlT_T0_E_clISt17integral_constantIbLb0EES1C_IbLb1EEEEDaS18_S19_EUlS18_E_NS1_11comp_targetILNS1_3genE9ELNS1_11target_archE1100ELNS1_3gpuE3ELNS1_3repE0EEENS1_30default_config_static_selectorELNS0_4arch9wavefront6targetE0EEEvT1_,"axG",@progbits,_ZN7rocprim17ROCPRIM_400000_NS6detail17trampoline_kernelINS0_14default_configENS1_25partition_config_selectorILNS1_17partition_subalgoE9ExjbEEZZNS1_14partition_implILS5_9ELb0ES3_jN6thrust23THRUST_200600_302600_NS6detail15normal_iteratorINS9_10device_ptrIxEEEENSB_INSC_IjEEEEPNS0_10empty_typeENS0_5tupleIJNS9_16discard_iteratorINS9_11use_defaultEEESH_EEENSJ_IJSG_SI_EEENS0_18inequality_wrapperINS9_8equal_toIxEEEEPmJSH_EEE10hipError_tPvRmT3_T4_T5_T6_T7_T9_mT8_P12ihipStream_tbDpT10_ENKUlT_T0_E_clISt17integral_constantIbLb0EES1C_IbLb1EEEEDaS18_S19_EUlS18_E_NS1_11comp_targetILNS1_3genE9ELNS1_11target_archE1100ELNS1_3gpuE3ELNS1_3repE0EEENS1_30default_config_static_selectorELNS0_4arch9wavefront6targetE0EEEvT1_,comdat
	.protected	_ZN7rocprim17ROCPRIM_400000_NS6detail17trampoline_kernelINS0_14default_configENS1_25partition_config_selectorILNS1_17partition_subalgoE9ExjbEEZZNS1_14partition_implILS5_9ELb0ES3_jN6thrust23THRUST_200600_302600_NS6detail15normal_iteratorINS9_10device_ptrIxEEEENSB_INSC_IjEEEEPNS0_10empty_typeENS0_5tupleIJNS9_16discard_iteratorINS9_11use_defaultEEESH_EEENSJ_IJSG_SI_EEENS0_18inequality_wrapperINS9_8equal_toIxEEEEPmJSH_EEE10hipError_tPvRmT3_T4_T5_T6_T7_T9_mT8_P12ihipStream_tbDpT10_ENKUlT_T0_E_clISt17integral_constantIbLb0EES1C_IbLb1EEEEDaS18_S19_EUlS18_E_NS1_11comp_targetILNS1_3genE9ELNS1_11target_archE1100ELNS1_3gpuE3ELNS1_3repE0EEENS1_30default_config_static_selectorELNS0_4arch9wavefront6targetE0EEEvT1_ ; -- Begin function _ZN7rocprim17ROCPRIM_400000_NS6detail17trampoline_kernelINS0_14default_configENS1_25partition_config_selectorILNS1_17partition_subalgoE9ExjbEEZZNS1_14partition_implILS5_9ELb0ES3_jN6thrust23THRUST_200600_302600_NS6detail15normal_iteratorINS9_10device_ptrIxEEEENSB_INSC_IjEEEEPNS0_10empty_typeENS0_5tupleIJNS9_16discard_iteratorINS9_11use_defaultEEESH_EEENSJ_IJSG_SI_EEENS0_18inequality_wrapperINS9_8equal_toIxEEEEPmJSH_EEE10hipError_tPvRmT3_T4_T5_T6_T7_T9_mT8_P12ihipStream_tbDpT10_ENKUlT_T0_E_clISt17integral_constantIbLb0EES1C_IbLb1EEEEDaS18_S19_EUlS18_E_NS1_11comp_targetILNS1_3genE9ELNS1_11target_archE1100ELNS1_3gpuE3ELNS1_3repE0EEENS1_30default_config_static_selectorELNS0_4arch9wavefront6targetE0EEEvT1_
	.globl	_ZN7rocprim17ROCPRIM_400000_NS6detail17trampoline_kernelINS0_14default_configENS1_25partition_config_selectorILNS1_17partition_subalgoE9ExjbEEZZNS1_14partition_implILS5_9ELb0ES3_jN6thrust23THRUST_200600_302600_NS6detail15normal_iteratorINS9_10device_ptrIxEEEENSB_INSC_IjEEEEPNS0_10empty_typeENS0_5tupleIJNS9_16discard_iteratorINS9_11use_defaultEEESH_EEENSJ_IJSG_SI_EEENS0_18inequality_wrapperINS9_8equal_toIxEEEEPmJSH_EEE10hipError_tPvRmT3_T4_T5_T6_T7_T9_mT8_P12ihipStream_tbDpT10_ENKUlT_T0_E_clISt17integral_constantIbLb0EES1C_IbLb1EEEEDaS18_S19_EUlS18_E_NS1_11comp_targetILNS1_3genE9ELNS1_11target_archE1100ELNS1_3gpuE3ELNS1_3repE0EEENS1_30default_config_static_selectorELNS0_4arch9wavefront6targetE0EEEvT1_
	.p2align	8
	.type	_ZN7rocprim17ROCPRIM_400000_NS6detail17trampoline_kernelINS0_14default_configENS1_25partition_config_selectorILNS1_17partition_subalgoE9ExjbEEZZNS1_14partition_implILS5_9ELb0ES3_jN6thrust23THRUST_200600_302600_NS6detail15normal_iteratorINS9_10device_ptrIxEEEENSB_INSC_IjEEEEPNS0_10empty_typeENS0_5tupleIJNS9_16discard_iteratorINS9_11use_defaultEEESH_EEENSJ_IJSG_SI_EEENS0_18inequality_wrapperINS9_8equal_toIxEEEEPmJSH_EEE10hipError_tPvRmT3_T4_T5_T6_T7_T9_mT8_P12ihipStream_tbDpT10_ENKUlT_T0_E_clISt17integral_constantIbLb0EES1C_IbLb1EEEEDaS18_S19_EUlS18_E_NS1_11comp_targetILNS1_3genE9ELNS1_11target_archE1100ELNS1_3gpuE3ELNS1_3repE0EEENS1_30default_config_static_selectorELNS0_4arch9wavefront6targetE0EEEvT1_,@function
_ZN7rocprim17ROCPRIM_400000_NS6detail17trampoline_kernelINS0_14default_configENS1_25partition_config_selectorILNS1_17partition_subalgoE9ExjbEEZZNS1_14partition_implILS5_9ELb0ES3_jN6thrust23THRUST_200600_302600_NS6detail15normal_iteratorINS9_10device_ptrIxEEEENSB_INSC_IjEEEEPNS0_10empty_typeENS0_5tupleIJNS9_16discard_iteratorINS9_11use_defaultEEESH_EEENSJ_IJSG_SI_EEENS0_18inequality_wrapperINS9_8equal_toIxEEEEPmJSH_EEE10hipError_tPvRmT3_T4_T5_T6_T7_T9_mT8_P12ihipStream_tbDpT10_ENKUlT_T0_E_clISt17integral_constantIbLb0EES1C_IbLb1EEEEDaS18_S19_EUlS18_E_NS1_11comp_targetILNS1_3genE9ELNS1_11target_archE1100ELNS1_3gpuE3ELNS1_3repE0EEENS1_30default_config_static_selectorELNS0_4arch9wavefront6targetE0EEEvT1_: ; @_ZN7rocprim17ROCPRIM_400000_NS6detail17trampoline_kernelINS0_14default_configENS1_25partition_config_selectorILNS1_17partition_subalgoE9ExjbEEZZNS1_14partition_implILS5_9ELb0ES3_jN6thrust23THRUST_200600_302600_NS6detail15normal_iteratorINS9_10device_ptrIxEEEENSB_INSC_IjEEEEPNS0_10empty_typeENS0_5tupleIJNS9_16discard_iteratorINS9_11use_defaultEEESH_EEENSJ_IJSG_SI_EEENS0_18inequality_wrapperINS9_8equal_toIxEEEEPmJSH_EEE10hipError_tPvRmT3_T4_T5_T6_T7_T9_mT8_P12ihipStream_tbDpT10_ENKUlT_T0_E_clISt17integral_constantIbLb0EES1C_IbLb1EEEEDaS18_S19_EUlS18_E_NS1_11comp_targetILNS1_3genE9ELNS1_11target_archE1100ELNS1_3gpuE3ELNS1_3repE0EEENS1_30default_config_static_selectorELNS0_4arch9wavefront6targetE0EEEvT1_
; %bb.0:
	s_clause 0x5
	s_load_b128 s[4:7], s[0:1], 0x8
	s_load_b64 s[8:9], s[0:1], 0x18
	s_load_b64 s[10:11], s[0:1], 0x38
	s_load_b128 s[12:15], s[0:1], 0x48
	s_load_b64 s[18:19], s[0:1], 0x58
	s_load_b64 s[16:17], s[0:1], 0x68
	v_cmp_ne_u32_e64 s3, 0, v0
	v_cmp_eq_u32_e64 s2, 0, v0
	s_delay_alu instid0(VALU_DEP_1)
	s_and_saveexec_b32 s20, s2
	s_cbranch_execz .LBB1075_4
; %bb.1:
	s_mov_b32 s22, exec_lo
	s_mov_b32 s21, exec_lo
	v_mbcnt_lo_u32_b32 v1, s22, 0
                                        ; implicit-def: $vgpr2
	s_delay_alu instid0(VALU_DEP_1)
	v_cmpx_eq_u32_e32 0, v1
	s_cbranch_execz .LBB1075_3
; %bb.2:
	s_load_b64 s[24:25], s[0:1], 0x78
	s_bcnt1_i32_b32 s22, s22
	s_delay_alu instid0(SALU_CYCLE_1)
	v_dual_mov_b32 v2, 0 :: v_dual_mov_b32 v3, s22
	s_waitcnt lgkmcnt(0)
	global_atomic_add_u32 v2, v2, v3, s[24:25] glc
.LBB1075_3:
	s_or_b32 exec_lo, exec_lo, s21
	s_waitcnt vmcnt(0)
	v_readfirstlane_b32 s21, v2
	s_delay_alu instid0(VALU_DEP_1)
	v_dual_mov_b32 v2, 0 :: v_dual_add_nc_u32 v1, s21, v1
	ds_store_b32 v2, v1
.LBB1075_4:
	s_or_b32 exec_lo, exec_lo, s20
	v_mov_b32_e32 v1, 0
	s_waitcnt lgkmcnt(0)
	s_barrier
	buffer_gl0_inv
	s_load_b32 s0, s[0:1], 0x70
	ds_load_b32 v2, v1
	s_waitcnt lgkmcnt(0)
	s_barrier
	buffer_gl0_inv
	global_load_b64 v[17:18], v1, s[14:15]
	s_lshl_b64 s[14:15], s[6:7], 3
	v_lshlrev_b32_e32 v31, 3, v0
	s_add_u32 s22, s4, s14
	s_addc_u32 s23, s5, s15
	v_lshrrev_b32_e32 v26, 2, v0
	v_or_b32_e32 v25, 0x200, v0
	v_or_b32_e32 v24, 0x400, v0
	;; [unrolled: 1-line block ×7, first 2 shown]
	s_add_i32 s5, s0, -1
	v_readfirstlane_b32 s20, v2
	s_lshl_b32 s1, s5, 12
	s_lshl_b32 s0, s0, 12
	s_add_i32 s1, s6, s1
	s_delay_alu instid0(SALU_CYCLE_1)
	s_sub_i32 s21, s18, s1
	s_lshl_b32 s4, s20, 12
	s_add_u32 s0, s6, s0
	s_addc_u32 s1, s7, 0
	s_cmp_eq_u32 s20, s5
	v_cmp_ge_u64_e64 s0, s[0:1], s[18:19]
	s_cselect_b32 s14, -1, 0
	s_mov_b32 s5, 0
	s_delay_alu instid0(VALU_DEP_1)
	s_and_b32 s18, s0, s14
	s_lshl_b64 s[0:1], s[4:5], 3
	s_xor_b32 s15, s18, -1
	s_add_u32 s19, s22, s0
	s_addc_u32 s1, s23, s1
	s_and_b32 vcc_lo, exec_lo, s15
	s_mov_b32 s22, -1
	s_cbranch_vccz .LBB1075_6
; %bb.5:
	v_add_co_u32 v1, s0, s19, v31
	s_delay_alu instid0(VALU_DEP_1) | instskip(SKIP_1) | instid1(VALU_DEP_3)
	v_add_co_ci_u32_e64 v2, null, s1, 0, s0
	v_lshrrev_b32_e32 v28, 2, v25
	v_add_co_u32 v3, vcc_lo, 0x1000, v1
	s_delay_alu instid0(VALU_DEP_3)
	v_add_co_ci_u32_e32 v4, vcc_lo, 0, v2, vcc_lo
	v_add_co_u32 v5, vcc_lo, 0x2000, v1
	v_add_co_ci_u32_e32 v6, vcc_lo, 0, v2, vcc_lo
	v_add_co_u32 v7, vcc_lo, 0x3000, v1
	;; [unrolled: 2-line block ×6, first 2 shown]
	v_add_co_ci_u32_e32 v16, vcc_lo, 0, v2, vcc_lo
	s_clause 0x7
	flat_load_b64 v[1:2], v[1:2]
	flat_load_b64 v[3:4], v[3:4]
	;; [unrolled: 1-line block ×8, first 2 shown]
	v_lshrrev_b32_e32 v29, 2, v24
	v_lshrrev_b32_e32 v30, 2, v23
	;; [unrolled: 1-line block ×3, first 2 shown]
	v_and_b32_e32 v27, 0x78, v26
	v_lshrrev_b32_e32 v33, 2, v21
	v_lshrrev_b32_e32 v34, 2, v20
	;; [unrolled: 1-line block ×3, first 2 shown]
	v_and_b32_e32 v28, 0xf8, v28
	v_and_b32_e32 v29, 0x178, v29
	;; [unrolled: 1-line block ×4, first 2 shown]
	v_add_nc_u32_e32 v27, v27, v31
	v_and_b32_e32 v33, 0x2f8, v33
	v_and_b32_e32 v34, 0x378, v34
	;; [unrolled: 1-line block ×3, first 2 shown]
	v_add_nc_u32_e32 v28, v28, v31
	v_add_nc_u32_e32 v29, v29, v31
	;; [unrolled: 1-line block ×4, first 2 shown]
	s_mov_b32 s22, s5
	v_add_nc_u32_e32 v33, v33, v31
	v_add_nc_u32_e32 v34, v34, v31
	v_add_nc_u32_e32 v35, v35, v31
	s_waitcnt vmcnt(7) lgkmcnt(7)
	ds_store_b64 v27, v[1:2]
	s_waitcnt vmcnt(6) lgkmcnt(7)
	ds_store_b64 v28, v[3:4] offset:4096
	s_waitcnt vmcnt(5) lgkmcnt(7)
	ds_store_b64 v29, v[5:6] offset:8192
	;; [unrolled: 2-line block ×7, first 2 shown]
	s_waitcnt lgkmcnt(0)
	s_barrier
.LBB1075_6:
	v_cmp_gt_u32_e64 s0, s21, v0
	s_and_not1_b32 vcc_lo, exec_lo, s22
	s_cbranch_vccnz .LBB1075_24
; %bb.7:
                                        ; implicit-def: $vgpr1_vgpr2_vgpr3_vgpr4_vgpr5_vgpr6_vgpr7_vgpr8_vgpr9_vgpr10_vgpr11_vgpr12_vgpr13_vgpr14_vgpr15_vgpr16
	s_delay_alu instid0(VALU_DEP_1)
	s_and_saveexec_b32 s22, s0
	s_cbranch_execz .LBB1075_15
; %bb.8:
	v_add_co_u32 v1, s0, s19, v31
	s_delay_alu instid0(VALU_DEP_1) | instskip(SKIP_2) | instid1(SALU_CYCLE_1)
	v_add_co_ci_u32_e64 v2, null, s1, 0, s0
	flat_load_b64 v[1:2], v[1:2]
	s_or_b32 exec_lo, exec_lo, s22
	s_mov_b32 s0, exec_lo
	v_cmpx_gt_u32_e64 s21, v25
	s_cbranch_execnz .LBB1075_16
.LBB1075_9:
	s_or_b32 exec_lo, exec_lo, s0
	s_delay_alu instid0(SALU_CYCLE_1)
	s_mov_b32 s0, exec_lo
	v_cmpx_gt_u32_e64 s21, v24
	s_cbranch_execz .LBB1075_17
.LBB1075_10:
	v_lshlrev_b32_e32 v5, 3, v24
	s_delay_alu instid0(VALU_DEP_1) | instskip(NEXT) | instid1(VALU_DEP_1)
	v_add_co_u32 v5, s22, s19, v5
	v_add_co_ci_u32_e64 v6, null, s1, 0, s22
	flat_load_b64 v[5:6], v[5:6]
	s_or_b32 exec_lo, exec_lo, s0
	s_delay_alu instid0(SALU_CYCLE_1)
	s_mov_b32 s0, exec_lo
	v_cmpx_gt_u32_e64 s21, v23
	s_cbranch_execnz .LBB1075_18
.LBB1075_11:
	s_or_b32 exec_lo, exec_lo, s0
	s_delay_alu instid0(SALU_CYCLE_1)
	s_mov_b32 s0, exec_lo
	v_cmpx_gt_u32_e64 s21, v22
	s_cbranch_execz .LBB1075_19
.LBB1075_12:
	v_lshlrev_b32_e32 v9, 3, v22
	s_delay_alu instid0(VALU_DEP_1) | instskip(NEXT) | instid1(VALU_DEP_1)
	v_add_co_u32 v9, s22, s19, v9
	v_add_co_ci_u32_e64 v10, null, s1, 0, s22
	flat_load_b64 v[9:10], v[9:10]
	s_or_b32 exec_lo, exec_lo, s0
	s_delay_alu instid0(SALU_CYCLE_1)
	s_mov_b32 s0, exec_lo
	v_cmpx_gt_u32_e64 s21, v21
	s_cbranch_execnz .LBB1075_20
.LBB1075_13:
	s_or_b32 exec_lo, exec_lo, s0
	s_delay_alu instid0(SALU_CYCLE_1)
	s_mov_b32 s0, exec_lo
	v_cmpx_gt_u32_e64 s21, v20
	s_cbranch_execz .LBB1075_21
.LBB1075_14:
	v_lshlrev_b32_e32 v13, 3, v20
	s_delay_alu instid0(VALU_DEP_1) | instskip(NEXT) | instid1(VALU_DEP_1)
	v_add_co_u32 v13, s22, s19, v13
	v_add_co_ci_u32_e64 v14, null, s1, 0, s22
	flat_load_b64 v[13:14], v[13:14]
	s_or_b32 exec_lo, exec_lo, s0
	s_delay_alu instid0(SALU_CYCLE_1)
	s_mov_b32 s0, exec_lo
	v_cmpx_gt_u32_e64 s21, v19
	s_cbranch_execnz .LBB1075_22
	s_branch .LBB1075_23
.LBB1075_15:
	s_or_b32 exec_lo, exec_lo, s22
	s_delay_alu instid0(SALU_CYCLE_1)
	s_mov_b32 s0, exec_lo
	v_cmpx_gt_u32_e64 s21, v25
	s_cbranch_execz .LBB1075_9
.LBB1075_16:
	v_lshlrev_b32_e32 v3, 3, v25
	s_delay_alu instid0(VALU_DEP_1) | instskip(NEXT) | instid1(VALU_DEP_1)
	v_add_co_u32 v3, s22, s19, v3
	v_add_co_ci_u32_e64 v4, null, s1, 0, s22
	flat_load_b64 v[3:4], v[3:4]
	s_or_b32 exec_lo, exec_lo, s0
	s_delay_alu instid0(SALU_CYCLE_1)
	s_mov_b32 s0, exec_lo
	v_cmpx_gt_u32_e64 s21, v24
	s_cbranch_execnz .LBB1075_10
.LBB1075_17:
	s_or_b32 exec_lo, exec_lo, s0
	s_delay_alu instid0(SALU_CYCLE_1)
	s_mov_b32 s0, exec_lo
	v_cmpx_gt_u32_e64 s21, v23
	s_cbranch_execz .LBB1075_11
.LBB1075_18:
	v_lshlrev_b32_e32 v7, 3, v23
	s_delay_alu instid0(VALU_DEP_1) | instskip(NEXT) | instid1(VALU_DEP_1)
	v_add_co_u32 v7, s22, s19, v7
	v_add_co_ci_u32_e64 v8, null, s1, 0, s22
	flat_load_b64 v[7:8], v[7:8]
	s_or_b32 exec_lo, exec_lo, s0
	s_delay_alu instid0(SALU_CYCLE_1)
	s_mov_b32 s0, exec_lo
	v_cmpx_gt_u32_e64 s21, v22
	s_cbranch_execnz .LBB1075_12
.LBB1075_19:
	s_or_b32 exec_lo, exec_lo, s0
	s_delay_alu instid0(SALU_CYCLE_1)
	s_mov_b32 s0, exec_lo
	v_cmpx_gt_u32_e64 s21, v21
	s_cbranch_execz .LBB1075_13
.LBB1075_20:
	v_lshlrev_b32_e32 v11, 3, v21
	s_delay_alu instid0(VALU_DEP_1) | instskip(NEXT) | instid1(VALU_DEP_1)
	v_add_co_u32 v11, s22, s19, v11
	v_add_co_ci_u32_e64 v12, null, s1, 0, s22
	flat_load_b64 v[11:12], v[11:12]
	s_or_b32 exec_lo, exec_lo, s0
	s_delay_alu instid0(SALU_CYCLE_1)
	s_mov_b32 s0, exec_lo
	v_cmpx_gt_u32_e64 s21, v20
	s_cbranch_execnz .LBB1075_14
.LBB1075_21:
	s_or_b32 exec_lo, exec_lo, s0
	s_delay_alu instid0(SALU_CYCLE_1)
	s_mov_b32 s0, exec_lo
	v_cmpx_gt_u32_e64 s21, v19
	s_cbranch_execz .LBB1075_23
.LBB1075_22:
	v_lshlrev_b32_e32 v15, 3, v19
	s_delay_alu instid0(VALU_DEP_1) | instskip(NEXT) | instid1(VALU_DEP_1)
	v_add_co_u32 v15, s22, s19, v15
	v_add_co_ci_u32_e64 v16, null, s1, 0, s22
	flat_load_b64 v[15:16], v[15:16]
.LBB1075_23:
	s_or_b32 exec_lo, exec_lo, s0
	v_lshrrev_b32_e32 v27, 2, v25
	v_lshrrev_b32_e32 v28, 2, v24
	;; [unrolled: 1-line block ×4, first 2 shown]
	v_and_b32_e32 v29, 0x78, v26
	v_lshrrev_b32_e32 v33, 2, v21
	v_lshrrev_b32_e32 v34, 2, v20
	;; [unrolled: 1-line block ×3, first 2 shown]
	v_and_b32_e32 v27, 0xf8, v27
	v_and_b32_e32 v28, 0x1f8, v28
	v_and_b32_e32 v30, 0x1f8, v30
	v_and_b32_e32 v32, 0x3f8, v32
	v_add_nc_u32_e32 v29, v29, v31
	v_and_b32_e32 v33, 0x3f8, v33
	v_and_b32_e32 v34, 0x3f8, v34
	;; [unrolled: 1-line block ×3, first 2 shown]
	v_add_nc_u32_e32 v27, v27, v31
	v_add_nc_u32_e32 v28, v28, v31
	;; [unrolled: 1-line block ×7, first 2 shown]
	s_waitcnt vmcnt(0) lgkmcnt(0)
	ds_store_b64 v29, v[1:2]
	ds_store_b64 v27, v[3:4] offset:4096
	ds_store_b64 v28, v[5:6] offset:8192
	;; [unrolled: 1-line block ×7, first 2 shown]
	s_waitcnt lgkmcnt(0)
	s_barrier
.LBB1075_24:
	v_add_nc_u32_e32 v26, v26, v31
	s_waitcnt vmcnt(0)
	buffer_gl0_inv
	s_lshl_b64 s[22:23], s[6:7], 2
	v_lshrrev_b32_e32 v28, 3, v0
	s_add_u32 s0, s8, s22
	v_lshlrev_b32_e32 v27, 3, v26
	s_addc_u32 s8, s9, s23
	s_lshl_b64 s[4:5], s[4:5], 2
	ds_load_2addr_b64 v[13:16], v27 offset1:1
	ds_load_2addr_b64 v[9:12], v27 offset0:2 offset1:3
	ds_load_2addr_b64 v[5:8], v27 offset0:4 offset1:5
	;; [unrolled: 1-line block ×3, first 2 shown]
	s_add_u32 s0, s0, s4
	s_addc_u32 s4, s8, s5
	s_and_b32 vcc_lo, exec_lo, s15
	s_mov_b32 s5, -1
	s_waitcnt lgkmcnt(0)
	s_barrier
	buffer_gl0_inv
	s_cbranch_vccz .LBB1075_26
; %bb.25:
	v_lshlrev_b32_e32 v38, 2, v0
	v_lshrrev_b32_e32 v40, 3, v25
	v_lshrrev_b32_e32 v41, 3, v24
	;; [unrolled: 1-line block ×4, first 2 shown]
	v_add_co_u32 v29, s5, s0, v38
	s_delay_alu instid0(VALU_DEP_1) | instskip(SKIP_1) | instid1(VALU_DEP_3)
	v_add_co_ci_u32_e64 v30, null, s4, 0, s5
	v_lshrrev_b32_e32 v44, 3, v21
	v_add_co_u32 v32, vcc_lo, 0x1000, v29
	s_delay_alu instid0(VALU_DEP_3)
	v_add_co_ci_u32_e32 v33, vcc_lo, 0, v30, vcc_lo
	v_add_co_u32 v34, vcc_lo, 0x2000, v29
	v_add_co_ci_u32_e32 v35, vcc_lo, 0, v30, vcc_lo
	v_add_co_u32 v36, vcc_lo, 0x3000, v29
	v_add_co_ci_u32_e32 v37, vcc_lo, 0, v30, vcc_lo
	s_clause 0x7
	flat_load_b32 v39, v[29:30]
	flat_load_b32 v29, v[29:30] offset:2048
	flat_load_b32 v30, v[32:33]
	flat_load_b32 v32, v[32:33] offset:2048
	;; [unrolled: 2-line block ×4, first 2 shown]
	v_and_b32_e32 v37, 60, v28
	v_lshrrev_b32_e32 v45, 3, v20
	v_lshrrev_b32_e32 v46, 3, v19
	v_and_b32_e32 v40, 0x7c, v40
	v_and_b32_e32 v41, 0xbc, v41
	v_and_b32_e32 v42, 0xfc, v42
	v_and_b32_e32 v43, 0x13c, v43
	v_add_nc_u32_e32 v37, v37, v38
	v_and_b32_e32 v44, 0x17c, v44
	v_and_b32_e32 v45, 0x1bc, v45
	;; [unrolled: 1-line block ×3, first 2 shown]
	v_add_nc_u32_e32 v40, v40, v38
	v_add_nc_u32_e32 v41, v41, v38
	;; [unrolled: 1-line block ×4, first 2 shown]
	s_mov_b32 s5, 0
	v_add_nc_u32_e32 v44, v44, v38
	v_add_nc_u32_e32 v45, v45, v38
	;; [unrolled: 1-line block ×3, first 2 shown]
	s_waitcnt vmcnt(7) lgkmcnt(7)
	ds_store_b32 v37, v39
	s_waitcnt vmcnt(6) lgkmcnt(7)
	ds_store_b32 v40, v29 offset:2048
	s_waitcnt vmcnt(5) lgkmcnt(7)
	ds_store_b32 v41, v30 offset:4096
	;; [unrolled: 2-line block ×7, first 2 shown]
	s_waitcnt lgkmcnt(0)
	s_barrier
.LBB1075_26:
	s_and_not1_b32 vcc_lo, exec_lo, s5
	s_cbranch_vccnz .LBB1075_44
; %bb.27:
	s_mov_b32 s5, exec_lo
                                        ; implicit-def: $vgpr29
	v_cmpx_gt_u32_e64 s21, v0
	s_cbranch_execz .LBB1075_29
; %bb.28:
	v_lshlrev_b32_e32 v29, 2, v0
	s_delay_alu instid0(VALU_DEP_1) | instskip(NEXT) | instid1(VALU_DEP_1)
	v_add_co_u32 v29, s8, s0, v29
	v_add_co_ci_u32_e64 v30, null, s4, 0, s8
	flat_load_b32 v29, v[29:30]
.LBB1075_29:
	s_or_b32 exec_lo, exec_lo, s5
	s_delay_alu instid0(SALU_CYCLE_1)
	s_mov_b32 s5, exec_lo
                                        ; implicit-def: $vgpr30
	v_cmpx_gt_u32_e64 s21, v25
	s_cbranch_execz .LBB1075_31
; %bb.30:
	v_lshlrev_b32_e32 v30, 2, v0
	s_delay_alu instid0(VALU_DEP_1) | instskip(NEXT) | instid1(VALU_DEP_1)
	v_add_co_u32 v32, s8, s0, v30
	v_add_co_ci_u32_e64 v33, null, s4, 0, s8
	flat_load_b32 v30, v[32:33] offset:2048
.LBB1075_31:
	s_or_b32 exec_lo, exec_lo, s5
	s_delay_alu instid0(SALU_CYCLE_1)
	s_mov_b32 s5, exec_lo
                                        ; implicit-def: $vgpr32
	v_cmpx_gt_u32_e64 s21, v24
	s_cbranch_execz .LBB1075_33
; %bb.32:
	v_lshlrev_b32_e32 v32, 2, v24
	s_delay_alu instid0(VALU_DEP_1) | instskip(NEXT) | instid1(VALU_DEP_1)
	v_add_co_u32 v32, s8, s0, v32
	v_add_co_ci_u32_e64 v33, null, s4, 0, s8
	flat_load_b32 v32, v[32:33]
.LBB1075_33:
	s_or_b32 exec_lo, exec_lo, s5
	s_delay_alu instid0(SALU_CYCLE_1)
	s_mov_b32 s5, exec_lo
                                        ; implicit-def: $vgpr33
	v_cmpx_gt_u32_e64 s21, v23
	s_cbranch_execz .LBB1075_35
; %bb.34:
	v_lshlrev_b32_e32 v33, 2, v23
	s_delay_alu instid0(VALU_DEP_1) | instskip(NEXT) | instid1(VALU_DEP_1)
	v_add_co_u32 v33, s8, s0, v33
	v_add_co_ci_u32_e64 v34, null, s4, 0, s8
	flat_load_b32 v33, v[33:34]
.LBB1075_35:
	s_or_b32 exec_lo, exec_lo, s5
	s_delay_alu instid0(SALU_CYCLE_1)
	s_mov_b32 s5, exec_lo
                                        ; implicit-def: $vgpr34
	v_cmpx_gt_u32_e64 s21, v22
	s_cbranch_execz .LBB1075_37
; %bb.36:
	v_lshlrev_b32_e32 v34, 2, v22
	s_delay_alu instid0(VALU_DEP_1) | instskip(NEXT) | instid1(VALU_DEP_1)
	v_add_co_u32 v34, s8, s0, v34
	v_add_co_ci_u32_e64 v35, null, s4, 0, s8
	flat_load_b32 v34, v[34:35]
.LBB1075_37:
	s_or_b32 exec_lo, exec_lo, s5
	s_delay_alu instid0(SALU_CYCLE_1)
	s_mov_b32 s5, exec_lo
                                        ; implicit-def: $vgpr35
	v_cmpx_gt_u32_e64 s21, v21
	s_cbranch_execz .LBB1075_39
; %bb.38:
	v_lshlrev_b32_e32 v35, 2, v21
	s_delay_alu instid0(VALU_DEP_1) | instskip(NEXT) | instid1(VALU_DEP_1)
	v_add_co_u32 v35, s8, s0, v35
	v_add_co_ci_u32_e64 v36, null, s4, 0, s8
	flat_load_b32 v35, v[35:36]
.LBB1075_39:
	s_or_b32 exec_lo, exec_lo, s5
	s_delay_alu instid0(SALU_CYCLE_1)
	s_mov_b32 s5, exec_lo
                                        ; implicit-def: $vgpr36
	v_cmpx_gt_u32_e64 s21, v20
	s_cbranch_execz .LBB1075_41
; %bb.40:
	v_lshlrev_b32_e32 v36, 2, v20
	s_delay_alu instid0(VALU_DEP_1) | instskip(NEXT) | instid1(VALU_DEP_1)
	v_add_co_u32 v36, s8, s0, v36
	v_add_co_ci_u32_e64 v37, null, s4, 0, s8
	flat_load_b32 v36, v[36:37]
.LBB1075_41:
	s_or_b32 exec_lo, exec_lo, s5
	s_delay_alu instid0(SALU_CYCLE_1)
	s_mov_b32 s5, exec_lo
                                        ; implicit-def: $vgpr37
	v_cmpx_gt_u32_e64 s21, v19
	s_cbranch_execz .LBB1075_43
; %bb.42:
	v_lshlrev_b32_e32 v37, 2, v19
	s_delay_alu instid0(VALU_DEP_1) | instskip(NEXT) | instid1(VALU_DEP_1)
	v_add_co_u32 v37, s0, s0, v37
	v_add_co_ci_u32_e64 v38, null, s4, 0, s0
	flat_load_b32 v37, v[37:38]
.LBB1075_43:
	s_or_b32 exec_lo, exec_lo, s5
	v_lshrrev_b32_e32 v25, 3, v25
	v_lshrrev_b32_e32 v24, 3, v24
	;; [unrolled: 1-line block ×4, first 2 shown]
	v_and_b32_e32 v28, 60, v28
	v_lshlrev_b32_e32 v38, 2, v0
	v_lshrrev_b32_e32 v21, 3, v21
	v_lshrrev_b32_e32 v20, 3, v20
	;; [unrolled: 1-line block ×3, first 2 shown]
	v_and_b32_e32 v25, 0x7c, v25
	v_and_b32_e32 v24, 0xfc, v24
	v_and_b32_e32 v23, 0xfc, v23
	v_and_b32_e32 v22, 0x1fc, v22
	v_add_nc_u32_e32 v28, v28, v38
	v_and_b32_e32 v21, 0x1fc, v21
	v_and_b32_e32 v20, 0x1fc, v20
	;; [unrolled: 1-line block ×3, first 2 shown]
	v_add_nc_u32_e32 v25, v25, v38
	v_add_nc_u32_e32 v24, v24, v38
	;; [unrolled: 1-line block ×7, first 2 shown]
	s_waitcnt vmcnt(0) lgkmcnt(0)
	ds_store_b32 v28, v29
	ds_store_b32 v25, v30 offset:2048
	ds_store_b32 v24, v32 offset:4096
	ds_store_b32 v23, v33 offset:6144
	ds_store_b32 v22, v34 offset:8192
	ds_store_b32 v21, v35 offset:10240
	ds_store_b32 v20, v36 offset:12288
	ds_store_b32 v19, v37 offset:14336
	s_waitcnt lgkmcnt(0)
	s_barrier
.LBB1075_44:
	v_lshlrev_b32_e32 v19, 2, v26
	buffer_gl0_inv
	s_cmp_lg_u32 s20, 0
	s_mov_b32 s22, 0
	s_cselect_b32 s9, -1, 0
	v_sub_nc_u32_e32 v19, v27, v19
	s_cmp_lg_u64 s[6:7], 0
	ds_load_2addr_b32 v[25:26], v19 offset1:1
	ds_load_2addr_b32 v[23:24], v19 offset0:2 offset1:3
	ds_load_2addr_b32 v[21:22], v19 offset0:4 offset1:5
	;; [unrolled: 1-line block ×3, first 2 shown]
	s_cselect_b32 s0, -1, 0
	s_waitcnt lgkmcnt(0)
	s_or_b32 s0, s0, s9
	s_barrier
	s_and_b32 vcc_lo, exec_lo, s0
	buffer_gl0_inv
	s_cbranch_vccz .LBB1075_49
; %bb.45:
	v_add_co_u32 v27, s0, -8, s19
	s_delay_alu instid0(VALU_DEP_1)
	v_add_co_ci_u32_e64 v28, null, -1, s1, s0
	s_mov_b32 s1, -1
	s_and_b32 vcc_lo, exec_lo, s15
	flat_load_b64 v[29:30], v[27:28]
	ds_store_b64 v31, v[3:4]
	s_cbranch_vccz .LBB1075_50
; %bb.46:
	s_waitcnt vmcnt(0) lgkmcnt(1)
	v_dual_mov_b32 v27, v29 :: v_dual_mov_b32 v28, v30
	s_waitcnt lgkmcnt(0)
	s_barrier
	buffer_gl0_inv
	s_and_saveexec_b32 s0, s3
	s_cbranch_execz .LBB1075_48
; %bb.47:
	v_add_nc_u32_e32 v27, -8, v31
	ds_load_b64 v[27:28], v27
.LBB1075_48:
	s_or_b32 exec_lo, exec_lo, s0
	v_cmp_ne_u64_e32 vcc_lo, v[1:2], v[3:4]
	s_waitcnt lgkmcnt(0)
	v_cmp_ne_u64_e64 s0, v[27:28], v[13:14]
	v_cndmask_b32_e64 v32, 0, 1, vcc_lo
	v_cmp_ne_u64_e32 vcc_lo, v[7:8], v[1:2]
	s_delay_alu instid0(VALU_DEP_2) | instskip(SKIP_2) | instid1(VALU_DEP_2)
	v_lshlrev_b16 v32, 8, v32
	v_cndmask_b32_e64 v33, 0, 1, vcc_lo
	v_cmp_ne_u64_e32 vcc_lo, v[5:6], v[7:8]
	v_or_b32_e32 v32, v33, v32
	v_cndmask_b32_e64 v34, 0, 1, vcc_lo
	v_cmp_ne_u64_e32 vcc_lo, v[9:10], v[11:12]
	s_delay_alu instid0(VALU_DEP_3) | instskip(NEXT) | instid1(VALU_DEP_3)
	v_lshlrev_b32_e32 v32, 16, v32
	v_lshlrev_b16 v34, 8, v34
	v_cndmask_b32_e64 v35, 0, 1, vcc_lo
	v_cmp_ne_u64_e32 vcc_lo, v[11:12], v[5:6]
	s_delay_alu instid0(VALU_DEP_2) | instskip(SKIP_2) | instid1(VALU_DEP_2)
	v_lshlrev_b16 v35, 8, v35
	v_cndmask_b32_e64 v36, 0, 1, vcc_lo
	v_cmp_ne_u64_e32 vcc_lo, v[15:16], v[9:10]
	v_or_b32_e32 v34, v36, v34
	v_cndmask_b32_e64 v37, 0, 1, vcc_lo
	v_cmp_ne_u64_e32 vcc_lo, v[13:14], v[15:16]
	s_delay_alu instid0(VALU_DEP_3) | instskip(NEXT) | instid1(VALU_DEP_3)
	v_and_b32_e32 v34, 0xffff, v34
	v_or_b32_e32 v35, v37, v35
	v_cndmask_b32_e64 v38, 0, 1, vcc_lo
	s_delay_alu instid0(VALU_DEP_3) | instskip(NEXT) | instid1(VALU_DEP_3)
	v_or_b32_e32 v28, v34, v32
	v_lshlrev_b32_e32 v33, 16, v35
	s_delay_alu instid0(VALU_DEP_3) | instskip(NEXT) | instid1(VALU_DEP_1)
	v_lshlrev_b16 v37, 8, v38
	v_and_b32_e32 v35, 0xffff, v37
	s_delay_alu instid0(VALU_DEP_1)
	v_or_b32_e32 v27, v35, v33
	s_branch .LBB1075_54
.LBB1075_49:
                                        ; implicit-def: $sgpr0
                                        ; implicit-def: $vgpr28
	s_branch .LBB1075_55
.LBB1075_50:
                                        ; implicit-def: $sgpr0
                                        ; implicit-def: $vgpr28
	s_and_b32 vcc_lo, exec_lo, s1
	s_cbranch_vccz .LBB1075_54
; %bb.51:
	s_waitcnt vmcnt(0) lgkmcnt(0)
	s_barrier
	buffer_gl0_inv
	s_and_saveexec_b32 s0, s3
	s_cbranch_execz .LBB1075_53
; %bb.52:
	v_add_nc_u32_e32 v27, -8, v31
	ds_load_b64 v[29:30], v27
.LBB1075_53:
	s_or_b32 exec_lo, exec_lo, s0
	v_or_b32_e32 v27, 7, v31
	v_or_b32_e32 v28, 6, v31
	v_cmp_ne_u64_e32 vcc_lo, v[1:2], v[3:4]
	v_or_b32_e32 v32, 5, v31
	v_cmp_ne_u64_e64 s1, v[7:8], v[1:2]
	v_cmp_gt_u32_e64 s0, s21, v27
	v_cmp_gt_u32_e64 s4, s21, v28
	v_cmp_ne_u64_e64 s5, v[5:6], v[7:8]
	v_cmp_gt_u32_e64 s6, s21, v32
	v_or_b32_e32 v32, 3, v31
	s_and_b32 s0, s0, vcc_lo
	v_or_b32_e32 v33, 4, v31
	v_cndmask_b32_e64 v27, 0, 1, s0
	s_and_b32 s0, s4, s1
	v_cmp_ne_u64_e32 vcc_lo, v[9:10], v[11:12]
	v_cndmask_b32_e64 v28, 0, 1, s0
	s_and_b32 s0, s6, s5
	v_cmp_gt_u32_e64 s1, s21, v33
	v_cndmask_b32_e64 v34, 0, 1, s0
	v_cmp_gt_u32_e64 s0, s21, v32
	v_or_b32_e32 v32, 2, v31
	v_or_b32_e32 v33, 1, v31
	v_cmp_ne_u64_e64 s4, v[11:12], v[5:6]
	v_cmp_ne_u64_e64 s6, v[13:14], v[15:16]
	s_and_b32 s0, s0, vcc_lo
	v_cmp_ne_u64_e32 vcc_lo, v[15:16], v[9:10]
	v_cndmask_b32_e64 v35, 0, 1, s0
	v_cmp_gt_u32_e64 s0, s21, v32
	v_cmp_gt_u32_e64 s5, s21, v33
	s_and_b32 s1, s1, s4
	v_lshlrev_b16 v34, 8, v34
	v_cndmask_b32_e64 v32, 0, 1, s1
	s_and_b32 s0, s0, vcc_lo
	v_lshlrev_b16 v35, 8, v35
	v_cndmask_b32_e64 v33, 0, 1, s0
	s_and_b32 s0, s5, s6
	v_lshlrev_b16 v27, 8, v27
	v_cndmask_b32_e64 v36, 0, 1, s0
	v_or_b32_e32 v32, v32, v34
	v_or_b32_e32 v33, v33, v35
	s_waitcnt lgkmcnt(0)
	v_cmp_ne_u64_e32 vcc_lo, v[29:30], v[13:14]
	v_or_b32_e32 v27, v28, v27
	v_lshlrev_b16 v35, 8, v36
	v_and_b32_e32 v32, 0xffff, v32
	v_lshlrev_b32_e32 v28, 16, v33
	v_cmp_gt_u32_e64 s0, s21, v31
	v_lshlrev_b32_e32 v34, 16, v27
	v_and_b32_e32 v33, 0xffff, v35
	s_delay_alu instid0(VALU_DEP_3) | instskip(NEXT) | instid1(VALU_DEP_1)
	s_and_b32 s0, s0, vcc_lo
	v_or_b32_e32 v27, v33, v28
	s_delay_alu instid0(VALU_DEP_3)
	v_or_b32_e32 v28, v32, v34
.LBB1075_54:
	s_mov_b32 s22, -1
	s_cbranch_execnz .LBB1075_63
.LBB1075_55:
	v_cmp_ne_u64_e64 s1, v[1:2], v[3:4]
	v_cmp_ne_u64_e64 s4, v[7:8], v[1:2]
	;; [unrolled: 1-line block ×7, first 2 shown]
	s_and_b32 vcc_lo, exec_lo, s15
	ds_store_b64 v31, v[3:4]
	s_cbranch_vccz .LBB1075_59
; %bb.56:
	v_cndmask_b32_e64 v27, 0, 1, s1
	s_waitcnt vmcnt(0) lgkmcnt(2)
	v_cndmask_b32_e64 v29, 0, 1, s5
	v_cndmask_b32_e64 v32, 0, 1, s7
	;; [unrolled: 1-line block ×6, first 2 shown]
	v_lshlrev_b16 v29, 8, v29
	v_lshlrev_b16 v27, 8, v27
	v_lshlrev_b16 v32, 8, v32
	v_lshlrev_b16 v33, 8, v33
	s_waitcnt lgkmcnt(0)
	v_or_b32_e32 v29, v30, v29
	v_or_b32_e32 v27, v28, v27
	;; [unrolled: 1-line block ×4, first 2 shown]
	s_barrier
	v_and_b32_e32 v29, 0xffff, v29
	v_lshlrev_b32_e32 v27, 16, v27
	v_lshlrev_b32_e32 v32, 16, v28
	v_and_b32_e32 v30, 0xffff, v30
	buffer_gl0_inv
                                        ; implicit-def: $sgpr0
	v_or_b32_e32 v28, v29, v27
	v_or_b32_e32 v27, v30, v32
	s_and_saveexec_b32 s1, s3
	s_delay_alu instid0(SALU_CYCLE_1)
	s_xor_b32 s1, exec_lo, s1
	s_cbranch_execz .LBB1075_58
; %bb.57:
	v_add_nc_u32_e32 v29, -8, v31
	s_or_b32 s22, s22, exec_lo
	ds_load_b64 v[29:30], v29
	s_waitcnt lgkmcnt(0)
	v_cmp_ne_u64_e32 vcc_lo, v[29:30], v[13:14]
	s_and_b32 s0, vcc_lo, exec_lo
.LBB1075_58:
	s_or_b32 exec_lo, exec_lo, s1
	s_branch .LBB1075_63
.LBB1075_59:
                                        ; implicit-def: $sgpr0
                                        ; implicit-def: $vgpr28
	s_cbranch_execz .LBB1075_63
; %bb.60:
	v_or_b32_e32 v27, 7, v31
	v_or_b32_e32 v28, 6, v31
	v_cmp_ne_u64_e32 vcc_lo, v[1:2], v[3:4]
	v_cmp_ne_u64_e64 s0, v[7:8], v[1:2]
	s_waitcnt vmcnt(0) lgkmcnt(2)
	v_or_b32_e32 v29, 4, v31
	v_cmp_gt_u32_e64 s1, s21, v27
	v_or_b32_e32 v27, 5, v31
	v_cmp_gt_u32_e64 s5, s21, v28
	v_cmp_ne_u64_e64 s4, v[5:6], v[7:8]
	v_cmp_ne_u64_e64 s6, v[11:12], v[5:6]
	s_and_b32 s1, s1, vcc_lo
	v_cmp_gt_u32_e32 vcc_lo, s21, v27
	v_cndmask_b32_e64 v28, 0, 1, s1
	v_cmp_gt_u32_e64 s1, s21, v29
	s_and_b32 s0, s5, s0
	v_or_b32_e32 v30, 3, v31
	v_cndmask_b32_e64 v27, 0, 1, s0
	s_and_b32 s0, vcc_lo, s4
	v_or_b32_e32 v33, 1, v31
	v_cndmask_b32_e64 v29, 0, 1, s0
	s_and_b32 s0, s1, s6
	v_cmp_ne_u64_e32 vcc_lo, v[9:10], v[11:12]
	v_cndmask_b32_e64 v32, 0, 1, s0
	v_cmp_gt_u32_e64 s0, s21, v30
	v_cmp_ne_u64_e64 s1, v[13:14], v[15:16]
	v_or_b32_e32 v34, 2, v31
	v_cmp_gt_u32_e64 s4, s21, v33
	v_cmp_ne_u64_e64 s5, v[15:16], v[9:10]
	s_and_b32 s0, s0, vcc_lo
	v_lshlrev_b16 v29, 8, v29
	v_cmp_gt_u32_e64 s6, s21, v34
	v_cndmask_b32_e64 v30, 0, 1, s0
	s_and_b32 s0, s4, s1
	v_lshlrev_b16 v28, 8, v28
	v_cndmask_b32_e64 v33, 0, 1, s0
	s_and_b32 s0, s6, s5
	v_lshlrev_b16 v30, 8, v30
	v_cndmask_b32_e64 v34, 0, 1, s0
	v_or_b32_e32 v29, v32, v29
	v_lshlrev_b16 v33, 8, v33
	v_or_b32_e32 v27, v27, v28
	s_waitcnt lgkmcnt(0)
	v_or_b32_e32 v28, v34, v30
	v_and_b32_e32 v29, 0xffff, v29
	v_or_b32_e32 v30, 1, v33
	v_lshlrev_b32_e32 v27, 16, v27
	s_barrier
	v_lshlrev_b32_e32 v32, 16, v28
	buffer_gl0_inv
	v_and_b32_e32 v30, 0xffff, v30
	v_or_b32_e32 v28, v29, v27
                                        ; implicit-def: $sgpr0
	s_delay_alu instid0(VALU_DEP_2)
	v_or_b32_e32 v27, v30, v32
	s_and_saveexec_b32 s1, s3
	s_cbranch_execz .LBB1075_62
; %bb.61:
	v_add_nc_u32_e32 v29, -8, v31
	v_cmp_gt_u32_e64 s0, s21, v31
	s_or_b32 s22, s22, exec_lo
	ds_load_b64 v[29:30], v29
	s_waitcnt lgkmcnt(0)
	v_cmp_ne_u64_e32 vcc_lo, v[29:30], v[13:14]
	s_and_b32 s0, s0, vcc_lo
	s_delay_alu instid0(SALU_CYCLE_1)
	s_and_b32 s0, s0, exec_lo
.LBB1075_62:
	s_or_b32 exec_lo, exec_lo, s1
.LBB1075_63:
	s_and_saveexec_b32 s1, s22
	s_cbranch_execz .LBB1075_65
; %bb.64:
	s_waitcnt vmcnt(0) lgkmcnt(1)
	v_and_b32_e32 v29, 0xffffff00, v27
	v_cndmask_b32_e64 v30, 0, 1, s0
	s_delay_alu instid0(VALU_DEP_1) | instskip(NEXT) | instid1(VALU_DEP_1)
	v_or_b32_e32 v29, v30, v29
	v_and_b32_e32 v29, 0xffff, v29
	s_delay_alu instid0(VALU_DEP_1)
	v_and_or_b32 v27, 0xffff0000, v27, v29
.LBB1075_65:
	s_or_b32 exec_lo, exec_lo, s1
	s_delay_alu instid0(SALU_CYCLE_1)
	s_and_not1_b32 vcc_lo, exec_lo, s18
	s_cbranch_vccnz .LBB1075_67
; %bb.66:
	v_cmp_gt_u32_e32 vcc_lo, s21, v31
	s_waitcnt vmcnt(0) lgkmcnt(1)
	v_or_b32_e32 v30, 1, v31
	v_or_b32_e32 v33, 2, v31
	v_dual_cndmask_b32 v29, 0, v27 :: v_dual_and_b32 v32, 0xffffff00, v28
	s_delay_alu instid0(VALU_DEP_3) | instskip(SKIP_1) | instid1(VALU_DEP_4)
	v_cmp_gt_u32_e32 vcc_lo, s21, v30
	v_or_b32_e32 v30, 4, v31
	v_cmp_gt_u32_e64 s0, s21, v33
	v_or_b32_e32 v33, 3, v31
	v_and_b32_e32 v29, 0xff, v29
	s_delay_alu instid0(VALU_DEP_2) | instskip(NEXT) | instid1(VALU_DEP_2)
	v_cmp_gt_u32_e64 s1, s21, v33
	v_cndmask_b32_e32 v29, v29, v27, vcc_lo
	v_cmp_gt_u32_e32 vcc_lo, s21, v30
	v_cndmask_b32_e32 v30, v32, v28, vcc_lo
	v_or_b32_e32 v32, 5, v31
	s_delay_alu instid0(VALU_DEP_2) | instskip(SKIP_1) | instid1(VALU_DEP_1)
	v_and_b32_e32 v30, 0xffff00ff, v30
	v_and_b32_e32 v29, 0xffff, v29
	v_cndmask_b32_e64 v29, v29, v27, s0
	s_delay_alu instid0(VALU_DEP_4) | instskip(SKIP_2) | instid1(VALU_DEP_4)
	v_cmp_gt_u32_e64 s0, s21, v32
	v_or_b32_e32 v32, 6, v31
	v_or_b32_e32 v31, 7, v31
	v_and_b32_e32 v29, 0xffffff, v29
	s_delay_alu instid0(VALU_DEP_4) | instskip(NEXT) | instid1(VALU_DEP_2)
	v_cndmask_b32_e64 v30, v30, v28, s0
	v_cndmask_b32_e64 v29, v29, v27, s1
	s_delay_alu instid0(VALU_DEP_1) | instskip(SKIP_1) | instid1(VALU_DEP_2)
	v_dual_cndmask_b32 v29, v29, v27 :: v_dual_and_b32 v30, 0xff00ffff, v30
	v_cmp_gt_u32_e32 vcc_lo, s21, v32
	v_cndmask_b32_e64 v29, v29, v27, s0
	s_delay_alu instid0(VALU_DEP_1) | instskip(NEXT) | instid1(VALU_DEP_1)
	v_dual_cndmask_b32 v30, v30, v28 :: v_dual_cndmask_b32 v29, v29, v27
	v_and_b32_e32 v30, 0xffffff, v30
	v_cmp_gt_u32_e32 vcc_lo, s21, v31
	s_delay_alu instid0(VALU_DEP_2)
	v_dual_cndmask_b32 v28, v30, v28 :: v_dual_cndmask_b32 v27, v29, v27
.LBB1075_67:
	s_delay_alu instid0(VALU_DEP_1) | instskip(SKIP_1) | instid1(VALU_DEP_2)
	v_and_b32_e32 v38, 0xff, v27
	s_waitcnt vmcnt(0) lgkmcnt(1)
	v_alignbit_b32 v29, v28, v27, 24
	v_bfe_u32 v40, v27, 8, 8
	v_bfe_u32 v42, v27, 16, 8
	v_and_b32_e32 v46, 0xff, v28
	v_bfe_u32 v48, v28, 8, 8
	v_and_b32_e32 v44, 0xff, v29
	v_add_nc_u32_e32 v29, v40, v38
	v_mbcnt_lo_u32_b32 v51, -1, 0
	v_bfe_u32 v50, v28, 16, 8
	v_lshrrev_b32_e32 v49, 24, v28
	v_lshrrev_b32_e32 v52, 5, v0
	v_add3_u32 v29, v29, v42, v44
	v_and_b32_e32 v30, 15, v51
	v_and_b32_e32 v31, 16, v51
	s_and_b32 vcc_lo, exec_lo, s9
	s_mov_b32 s7, -1
	v_add3_u32 v29, v29, v46, v48
	v_cmp_eq_u32_e64 s3, 0, v30
	v_cmp_lt_u32_e64 s0, 1, v30
	v_cmp_lt_u32_e64 s4, 3, v30
	v_cmp_lt_u32_e64 s1, 7, v30
	v_add3_u32 v53, v29, v50, v49
	v_or_b32_e32 v29, 31, v0
	v_cmp_eq_u32_e64 s6, 0, v31
	s_waitcnt lgkmcnt(0)
	s_barrier
	buffer_gl0_inv
	v_cmp_eq_u32_e64 s5, v29, v0
	s_cbranch_vccz .LBB1075_93
; %bb.68:
	v_mov_b32_dpp v29, v53 row_shr:1 row_mask:0xf bank_mask:0xf
	s_delay_alu instid0(VALU_DEP_1) | instskip(NEXT) | instid1(VALU_DEP_1)
	v_cndmask_b32_e64 v29, v29, 0, s3
	v_add_nc_u32_e32 v29, v29, v53
	s_delay_alu instid0(VALU_DEP_1) | instskip(NEXT) | instid1(VALU_DEP_1)
	v_mov_b32_dpp v30, v29 row_shr:2 row_mask:0xf bank_mask:0xf
	v_cndmask_b32_e64 v30, 0, v30, s0
	s_delay_alu instid0(VALU_DEP_1) | instskip(NEXT) | instid1(VALU_DEP_1)
	v_add_nc_u32_e32 v29, v29, v30
	v_mov_b32_dpp v30, v29 row_shr:4 row_mask:0xf bank_mask:0xf
	s_delay_alu instid0(VALU_DEP_1) | instskip(NEXT) | instid1(VALU_DEP_1)
	v_cndmask_b32_e64 v30, 0, v30, s4
	v_add_nc_u32_e32 v29, v29, v30
	s_delay_alu instid0(VALU_DEP_1) | instskip(NEXT) | instid1(VALU_DEP_1)
	v_mov_b32_dpp v30, v29 row_shr:8 row_mask:0xf bank_mask:0xf
	v_cndmask_b32_e64 v30, 0, v30, s1
	s_delay_alu instid0(VALU_DEP_1) | instskip(SKIP_3) | instid1(VALU_DEP_1)
	v_add_nc_u32_e32 v29, v29, v30
	ds_swizzle_b32 v30, v29 offset:swizzle(BROADCAST,32,15)
	s_waitcnt lgkmcnt(0)
	v_cndmask_b32_e64 v30, v30, 0, s6
	v_add_nc_u32_e32 v29, v29, v30
	s_and_saveexec_b32 s7, s5
	s_cbranch_execz .LBB1075_70
; %bb.69:
	v_lshlrev_b32_e32 v30, 2, v52
	ds_store_b32 v30, v29
.LBB1075_70:
	s_or_b32 exec_lo, exec_lo, s7
	s_delay_alu instid0(SALU_CYCLE_1)
	s_mov_b32 s7, exec_lo
	s_waitcnt lgkmcnt(0)
	s_barrier
	buffer_gl0_inv
	v_cmpx_gt_u32_e32 16, v0
	s_cbranch_execz .LBB1075_72
; %bb.71:
	v_lshlrev_b32_e32 v30, 2, v0
	ds_load_b32 v31, v30
	s_waitcnt lgkmcnt(0)
	v_mov_b32_dpp v32, v31 row_shr:1 row_mask:0xf bank_mask:0xf
	s_delay_alu instid0(VALU_DEP_1) | instskip(NEXT) | instid1(VALU_DEP_1)
	v_cndmask_b32_e64 v32, v32, 0, s3
	v_add_nc_u32_e32 v31, v32, v31
	s_delay_alu instid0(VALU_DEP_1) | instskip(NEXT) | instid1(VALU_DEP_1)
	v_mov_b32_dpp v32, v31 row_shr:2 row_mask:0xf bank_mask:0xf
	v_cndmask_b32_e64 v32, 0, v32, s0
	s_delay_alu instid0(VALU_DEP_1) | instskip(NEXT) | instid1(VALU_DEP_1)
	v_add_nc_u32_e32 v31, v31, v32
	v_mov_b32_dpp v32, v31 row_shr:4 row_mask:0xf bank_mask:0xf
	s_delay_alu instid0(VALU_DEP_1) | instskip(NEXT) | instid1(VALU_DEP_1)
	v_cndmask_b32_e64 v32, 0, v32, s4
	v_add_nc_u32_e32 v31, v31, v32
	s_delay_alu instid0(VALU_DEP_1) | instskip(NEXT) | instid1(VALU_DEP_1)
	v_mov_b32_dpp v32, v31 row_shr:8 row_mask:0xf bank_mask:0xf
	v_cndmask_b32_e64 v32, 0, v32, s1
	s_delay_alu instid0(VALU_DEP_1)
	v_add_nc_u32_e32 v31, v31, v32
	ds_store_b32 v30, v31
.LBB1075_72:
	s_or_b32 exec_lo, exec_lo, s7
	v_cmp_gt_u32_e32 vcc_lo, 32, v0
	s_mov_b32 s8, exec_lo
	s_waitcnt lgkmcnt(0)
	s_barrier
	buffer_gl0_inv
                                        ; implicit-def: $vgpr37
	v_cmpx_lt_u32_e32 31, v0
	s_cbranch_execz .LBB1075_74
; %bb.73:
	v_lshl_add_u32 v30, v52, 2, -4
	ds_load_b32 v37, v30
	s_waitcnt lgkmcnt(0)
	v_add_nc_u32_e32 v29, v37, v29
.LBB1075_74:
	s_or_b32 exec_lo, exec_lo, s8
	v_add_nc_u32_e32 v30, -1, v51
	s_delay_alu instid0(VALU_DEP_1) | instskip(NEXT) | instid1(VALU_DEP_1)
	v_cmp_gt_i32_e64 s7, 0, v30
	v_cndmask_b32_e64 v30, v30, v51, s7
	v_cmp_eq_u32_e64 s7, 0, v51
	s_delay_alu instid0(VALU_DEP_2)
	v_lshlrev_b32_e32 v30, 2, v30
	ds_bpermute_b32 v39, v30, v29
	s_and_saveexec_b32 s8, vcc_lo
	s_cbranch_execz .LBB1075_92
; %bb.75:
	v_mov_b32_e32 v33, 0
	ds_load_b32 v29, v33 offset:60
	s_and_saveexec_b32 s9, s7
	s_cbranch_execz .LBB1075_77
; %bb.76:
	s_add_i32 s18, s20, 32
	s_mov_b32 s19, 0
	v_mov_b32_e32 v30, 1
	s_lshl_b64 s[18:19], s[18:19], 3
	s_delay_alu instid0(SALU_CYCLE_1)
	s_add_u32 s18, s16, s18
	s_addc_u32 s19, s17, s19
	s_waitcnt lgkmcnt(0)
	global_store_b64 v33, v[29:30], s[18:19]
.LBB1075_77:
	s_or_b32 exec_lo, exec_lo, s9
	v_xad_u32 v31, v51, -1, s20
	s_mov_b32 s18, 0
	s_mov_b32 s9, exec_lo
	s_delay_alu instid0(VALU_DEP_1) | instskip(NEXT) | instid1(VALU_DEP_1)
	v_add_nc_u32_e32 v32, 32, v31
	v_lshlrev_b64 v[32:33], 3, v[32:33]
	s_delay_alu instid0(VALU_DEP_1) | instskip(NEXT) | instid1(VALU_DEP_2)
	v_add_co_u32 v35, vcc_lo, s16, v32
	v_add_co_ci_u32_e32 v36, vcc_lo, s17, v33, vcc_lo
	global_load_b64 v[33:34], v[35:36], off glc
	s_waitcnt vmcnt(0)
	v_and_b32_e32 v30, 0xff, v34
	s_delay_alu instid0(VALU_DEP_1)
	v_cmpx_eq_u16_e32 0, v30
	s_cbranch_execz .LBB1075_80
.LBB1075_78:                            ; =>This Inner Loop Header: Depth=1
	global_load_b64 v[33:34], v[35:36], off glc
	s_waitcnt vmcnt(0)
	v_and_b32_e32 v30, 0xff, v34
	s_delay_alu instid0(VALU_DEP_1) | instskip(SKIP_1) | instid1(SALU_CYCLE_1)
	v_cmp_ne_u16_e32 vcc_lo, 0, v30
	s_or_b32 s18, vcc_lo, s18
	s_and_not1_b32 exec_lo, exec_lo, s18
	s_cbranch_execnz .LBB1075_78
; %bb.79:
	s_or_b32 exec_lo, exec_lo, s18
.LBB1075_80:
	s_delay_alu instid0(SALU_CYCLE_1)
	s_or_b32 exec_lo, exec_lo, s9
	v_cmp_ne_u32_e32 vcc_lo, 31, v51
	v_lshlrev_b32_e64 v43, v51, -1
	v_add_nc_u32_e32 v47, 2, v51
	v_add_nc_u32_e32 v55, 4, v51
	;; [unrolled: 1-line block ×3, first 2 shown]
	v_add_co_ci_u32_e32 v30, vcc_lo, 0, v51, vcc_lo
	v_add_nc_u32_e32 v59, 16, v51
	s_delay_alu instid0(VALU_DEP_2)
	v_lshlrev_b32_e32 v41, 2, v30
	v_and_b32_e32 v30, 0xff, v34
	ds_bpermute_b32 v32, v41, v33
	v_cmp_eq_u16_e32 vcc_lo, 2, v30
	v_and_or_b32 v30, vcc_lo, v43, 0x80000000
	v_cmp_gt_u32_e32 vcc_lo, 30, v51
	s_delay_alu instid0(VALU_DEP_2) | instskip(SKIP_1) | instid1(VALU_DEP_2)
	v_ctz_i32_b32_e32 v30, v30
	v_cndmask_b32_e64 v35, 0, 1, vcc_lo
	v_cmp_lt_u32_e32 vcc_lo, v51, v30
	s_waitcnt lgkmcnt(0)
	s_delay_alu instid0(VALU_DEP_2) | instskip(NEXT) | instid1(VALU_DEP_1)
	v_dual_cndmask_b32 v32, 0, v32 :: v_dual_lshlrev_b32 v35, 1, v35
	v_add_lshl_u32 v45, v35, v51, 2
	v_cmp_gt_u32_e32 vcc_lo, 28, v51
	s_delay_alu instid0(VALU_DEP_3) | instskip(SKIP_4) | instid1(VALU_DEP_1)
	v_add_nc_u32_e32 v32, v32, v33
	v_cndmask_b32_e64 v35, 0, 1, vcc_lo
	v_cmp_le_u32_e32 vcc_lo, v47, v30
	ds_bpermute_b32 v33, v45, v32
	v_lshlrev_b32_e32 v35, 2, v35
	v_add_lshl_u32 v54, v35, v51, 2
	s_waitcnt lgkmcnt(0)
	v_cndmask_b32_e32 v33, 0, v33, vcc_lo
	v_cmp_gt_u32_e32 vcc_lo, 24, v51
	s_delay_alu instid0(VALU_DEP_2) | instskip(SKIP_4) | instid1(VALU_DEP_1)
	v_add_nc_u32_e32 v32, v32, v33
	v_cndmask_b32_e64 v35, 0, 1, vcc_lo
	v_cmp_le_u32_e32 vcc_lo, v55, v30
	ds_bpermute_b32 v33, v54, v32
	v_lshlrev_b32_e32 v35, 3, v35
	v_add_lshl_u32 v56, v35, v51, 2
	s_waitcnt lgkmcnt(0)
	v_cndmask_b32_e32 v33, 0, v33, vcc_lo
	v_cmp_gt_u32_e32 vcc_lo, 16, v51
	s_delay_alu instid0(VALU_DEP_2) | instskip(SKIP_4) | instid1(VALU_DEP_1)
	v_add_nc_u32_e32 v32, v32, v33
	v_cndmask_b32_e64 v35, 0, 1, vcc_lo
	v_cmp_le_u32_e32 vcc_lo, v57, v30
	ds_bpermute_b32 v33, v56, v32
	v_lshlrev_b32_e32 v35, 4, v35
	v_add_lshl_u32 v58, v35, v51, 2
	s_waitcnt lgkmcnt(0)
	v_cndmask_b32_e32 v33, 0, v33, vcc_lo
	v_cmp_le_u32_e32 vcc_lo, v59, v30
	s_delay_alu instid0(VALU_DEP_2) | instskip(SKIP_3) | instid1(VALU_DEP_1)
	v_add_nc_u32_e32 v32, v32, v33
	ds_bpermute_b32 v33, v58, v32
	s_waitcnt lgkmcnt(0)
	v_cndmask_b32_e32 v30, 0, v33, vcc_lo
	v_dual_mov_b32 v32, 0 :: v_dual_add_nc_u32 v33, v32, v30
	s_branch .LBB1075_82
.LBB1075_81:                            ;   in Loop: Header=BB1075_82 Depth=1
	s_or_b32 exec_lo, exec_lo, s9
	ds_bpermute_b32 v36, v41, v33
	v_and_b32_e32 v35, 0xff, v34
	v_subrev_nc_u32_e32 v31, 32, v31
	s_delay_alu instid0(VALU_DEP_2) | instskip(SKIP_1) | instid1(VALU_DEP_1)
	v_cmp_eq_u16_e32 vcc_lo, 2, v35
	v_and_or_b32 v35, vcc_lo, v43, 0x80000000
	v_ctz_i32_b32_e32 v35, v35
	s_delay_alu instid0(VALU_DEP_1) | instskip(SKIP_3) | instid1(VALU_DEP_2)
	v_cmp_lt_u32_e32 vcc_lo, v51, v35
	s_waitcnt lgkmcnt(0)
	v_cndmask_b32_e32 v36, 0, v36, vcc_lo
	v_cmp_le_u32_e32 vcc_lo, v47, v35
	v_add_nc_u32_e32 v33, v36, v33
	ds_bpermute_b32 v36, v45, v33
	s_waitcnt lgkmcnt(0)
	v_cndmask_b32_e32 v36, 0, v36, vcc_lo
	v_cmp_le_u32_e32 vcc_lo, v55, v35
	s_delay_alu instid0(VALU_DEP_2) | instskip(SKIP_4) | instid1(VALU_DEP_2)
	v_add_nc_u32_e32 v33, v33, v36
	ds_bpermute_b32 v36, v54, v33
	s_waitcnt lgkmcnt(0)
	v_cndmask_b32_e32 v36, 0, v36, vcc_lo
	v_cmp_le_u32_e32 vcc_lo, v57, v35
	v_add_nc_u32_e32 v33, v33, v36
	ds_bpermute_b32 v36, v56, v33
	s_waitcnt lgkmcnt(0)
	v_cndmask_b32_e32 v36, 0, v36, vcc_lo
	v_cmp_le_u32_e32 vcc_lo, v59, v35
	s_delay_alu instid0(VALU_DEP_2) | instskip(SKIP_3) | instid1(VALU_DEP_1)
	v_add_nc_u32_e32 v33, v33, v36
	ds_bpermute_b32 v36, v58, v33
	s_waitcnt lgkmcnt(0)
	v_cndmask_b32_e32 v35, 0, v36, vcc_lo
	v_add3_u32 v33, v35, v30, v33
.LBB1075_82:                            ; =>This Loop Header: Depth=1
                                        ;     Child Loop BB1075_85 Depth 2
	v_and_b32_e32 v30, 0xff, v34
	s_delay_alu instid0(VALU_DEP_1) | instskip(SKIP_2) | instid1(VALU_DEP_1)
	v_cmp_ne_u16_e32 vcc_lo, 2, v30
	v_cndmask_b32_e64 v30, 0, 1, vcc_lo
	;;#ASMSTART
	;;#ASMEND
	v_cmp_ne_u32_e32 vcc_lo, 0, v30
	v_mov_b32_e32 v30, v33
	s_cmp_lg_u32 vcc_lo, exec_lo
	s_cbranch_scc1 .LBB1075_87
; %bb.83:                               ;   in Loop: Header=BB1075_82 Depth=1
	v_lshlrev_b64 v[33:34], 3, v[31:32]
	s_mov_b32 s9, exec_lo
	s_delay_alu instid0(VALU_DEP_1) | instskip(NEXT) | instid1(VALU_DEP_2)
	v_add_co_u32 v35, vcc_lo, s16, v33
	v_add_co_ci_u32_e32 v36, vcc_lo, s17, v34, vcc_lo
	global_load_b64 v[33:34], v[35:36], off glc
	s_waitcnt vmcnt(0)
	v_and_b32_e32 v60, 0xff, v34
	s_delay_alu instid0(VALU_DEP_1)
	v_cmpx_eq_u16_e32 0, v60
	s_cbranch_execz .LBB1075_81
; %bb.84:                               ;   in Loop: Header=BB1075_82 Depth=1
	s_mov_b32 s18, 0
.LBB1075_85:                            ;   Parent Loop BB1075_82 Depth=1
                                        ; =>  This Inner Loop Header: Depth=2
	global_load_b64 v[33:34], v[35:36], off glc
	s_waitcnt vmcnt(0)
	v_and_b32_e32 v60, 0xff, v34
	s_delay_alu instid0(VALU_DEP_1) | instskip(SKIP_1) | instid1(SALU_CYCLE_1)
	v_cmp_ne_u16_e32 vcc_lo, 0, v60
	s_or_b32 s18, vcc_lo, s18
	s_and_not1_b32 exec_lo, exec_lo, s18
	s_cbranch_execnz .LBB1075_85
; %bb.86:                               ;   in Loop: Header=BB1075_82 Depth=1
	s_or_b32 exec_lo, exec_lo, s18
	s_branch .LBB1075_81
.LBB1075_87:                            ;   in Loop: Header=BB1075_82 Depth=1
                                        ; implicit-def: $vgpr33
                                        ; implicit-def: $vgpr34
	s_cbranch_execz .LBB1075_82
; %bb.88:
	s_and_saveexec_b32 s9, s7
	s_cbranch_execz .LBB1075_90
; %bb.89:
	s_add_i32 s18, s20, 32
	s_mov_b32 s19, 0
	v_dual_mov_b32 v32, 2 :: v_dual_add_nc_u32 v31, v30, v29
	s_lshl_b64 s[18:19], s[18:19], 3
	v_mov_b32_e32 v33, 0
	s_add_u32 s18, s16, s18
	s_addc_u32 s19, s17, s19
	global_store_b64 v33, v[31:32], s[18:19]
	ds_store_b64 v33, v[29:30] offset:33792
.LBB1075_90:
	s_or_b32 exec_lo, exec_lo, s9
	s_delay_alu instid0(SALU_CYCLE_1)
	s_and_b32 exec_lo, exec_lo, s2
	s_cbranch_execz .LBB1075_92
; %bb.91:
	v_mov_b32_e32 v29, 0
	ds_store_b32 v29, v30 offset:60
.LBB1075_92:
	s_or_b32 exec_lo, exec_lo, s8
	v_mov_b32_e32 v29, 0
	s_waitcnt lgkmcnt(0)
	s_waitcnt_vscnt null, 0x0
	s_barrier
	buffer_gl0_inv
	v_cndmask_b32_e64 v31, v39, v37, s7
	ds_load_b32 v30, v29 offset:60
	s_waitcnt lgkmcnt(0)
	s_barrier
	buffer_gl0_inv
	v_cndmask_b32_e64 v31, v31, 0, s2
	s_delay_alu instid0(VALU_DEP_1) | instskip(SKIP_2) | instid1(VALU_DEP_1)
	v_add_nc_u32_e32 v47, v30, v31
	ds_load_b64 v[29:30], v29 offset:33792
	v_add_nc_u32_e32 v45, v47, v38
	v_add_nc_u32_e32 v43, v45, v40
	s_delay_alu instid0(VALU_DEP_1) | instskip(NEXT) | instid1(VALU_DEP_1)
	v_add_nc_u32_e32 v41, v43, v42
	v_add_nc_u32_e32 v39, v41, v44
	s_delay_alu instid0(VALU_DEP_1) | instskip(NEXT) | instid1(VALU_DEP_1)
	v_add_nc_u32_e32 v37, v39, v46
	v_add_nc_u32_e32 v35, v37, v48
	s_delay_alu instid0(VALU_DEP_1)
	v_add_nc_u32_e32 v33, v35, v50
	v_lshrrev_b64 v[31:32], 24, v[27:28]
	s_branch .LBB1075_103
.LBB1075_93:
                                        ; implicit-def: $vgpr33
                                        ; implicit-def: $vgpr35
                                        ; implicit-def: $vgpr37
                                        ; implicit-def: $vgpr39
                                        ; implicit-def: $vgpr41
                                        ; implicit-def: $vgpr43
                                        ; implicit-def: $vgpr45
                                        ; implicit-def: $vgpr47
                                        ; implicit-def: $vgpr30
	v_lshrrev_b64 v[31:32], 24, v[27:28]
	s_and_b32 vcc_lo, exec_lo, s7
	s_cbranch_vccz .LBB1075_103
; %bb.94:
	s_waitcnt lgkmcnt(0)
	v_mov_b32_dpp v29, v53 row_shr:1 row_mask:0xf bank_mask:0xf
	s_delay_alu instid0(VALU_DEP_1) | instskip(NEXT) | instid1(VALU_DEP_1)
	v_cndmask_b32_e64 v29, v29, 0, s3
	v_add_nc_u32_e32 v29, v29, v53
	s_delay_alu instid0(VALU_DEP_1) | instskip(NEXT) | instid1(VALU_DEP_1)
	v_mov_b32_dpp v30, v29 row_shr:2 row_mask:0xf bank_mask:0xf
	v_cndmask_b32_e64 v30, 0, v30, s0
	s_delay_alu instid0(VALU_DEP_1) | instskip(NEXT) | instid1(VALU_DEP_1)
	v_add_nc_u32_e32 v29, v29, v30
	v_mov_b32_dpp v30, v29 row_shr:4 row_mask:0xf bank_mask:0xf
	s_delay_alu instid0(VALU_DEP_1) | instskip(NEXT) | instid1(VALU_DEP_1)
	v_cndmask_b32_e64 v30, 0, v30, s4
	v_add_nc_u32_e32 v29, v29, v30
	s_delay_alu instid0(VALU_DEP_1) | instskip(NEXT) | instid1(VALU_DEP_1)
	v_mov_b32_dpp v30, v29 row_shr:8 row_mask:0xf bank_mask:0xf
	v_cndmask_b32_e64 v30, 0, v30, s1
	s_delay_alu instid0(VALU_DEP_1) | instskip(SKIP_3) | instid1(VALU_DEP_1)
	v_add_nc_u32_e32 v29, v29, v30
	ds_swizzle_b32 v30, v29 offset:swizzle(BROADCAST,32,15)
	s_waitcnt lgkmcnt(0)
	v_cndmask_b32_e64 v30, v30, 0, s6
	v_add_nc_u32_e32 v29, v29, v30
	s_and_saveexec_b32 s6, s5
	s_cbranch_execz .LBB1075_96
; %bb.95:
	v_lshlrev_b32_e32 v30, 2, v52
	ds_store_b32 v30, v29
.LBB1075_96:
	s_or_b32 exec_lo, exec_lo, s6
	s_delay_alu instid0(SALU_CYCLE_1)
	s_mov_b32 s5, exec_lo
	s_waitcnt lgkmcnt(0)
	s_barrier
	buffer_gl0_inv
	v_cmpx_gt_u32_e32 16, v0
	s_cbranch_execz .LBB1075_98
; %bb.97:
	v_lshlrev_b32_e32 v30, 2, v0
	ds_load_b32 v32, v30
	s_waitcnt lgkmcnt(0)
	v_mov_b32_dpp v33, v32 row_shr:1 row_mask:0xf bank_mask:0xf
	s_delay_alu instid0(VALU_DEP_1) | instskip(NEXT) | instid1(VALU_DEP_1)
	v_cndmask_b32_e64 v33, v33, 0, s3
	v_add_nc_u32_e32 v32, v33, v32
	s_delay_alu instid0(VALU_DEP_1) | instskip(NEXT) | instid1(VALU_DEP_1)
	v_mov_b32_dpp v33, v32 row_shr:2 row_mask:0xf bank_mask:0xf
	v_cndmask_b32_e64 v33, 0, v33, s0
	s_delay_alu instid0(VALU_DEP_1) | instskip(NEXT) | instid1(VALU_DEP_1)
	v_add_nc_u32_e32 v32, v32, v33
	v_mov_b32_dpp v33, v32 row_shr:4 row_mask:0xf bank_mask:0xf
	s_delay_alu instid0(VALU_DEP_1) | instskip(NEXT) | instid1(VALU_DEP_1)
	v_cndmask_b32_e64 v33, 0, v33, s4
	v_add_nc_u32_e32 v32, v32, v33
	s_delay_alu instid0(VALU_DEP_1) | instskip(NEXT) | instid1(VALU_DEP_1)
	v_mov_b32_dpp v33, v32 row_shr:8 row_mask:0xf bank_mask:0xf
	v_cndmask_b32_e64 v33, 0, v33, s1
	s_delay_alu instid0(VALU_DEP_1)
	v_add_nc_u32_e32 v32, v32, v33
	ds_store_b32 v30, v32
.LBB1075_98:
	s_or_b32 exec_lo, exec_lo, s5
	v_mov_b32_e32 v30, 0
	v_mov_b32_e32 v32, 0
	s_mov_b32 s0, exec_lo
	s_waitcnt lgkmcnt(0)
	s_barrier
	buffer_gl0_inv
	v_cmpx_lt_u32_e32 31, v0
	s_cbranch_execz .LBB1075_100
; %bb.99:
	v_lshl_add_u32 v32, v52, 2, -4
	ds_load_b32 v32, v32
.LBB1075_100:
	s_or_b32 exec_lo, exec_lo, s0
	v_add_nc_u32_e32 v33, -1, v51
	s_waitcnt lgkmcnt(0)
	v_add_nc_u32_e32 v29, v32, v29
	s_delay_alu instid0(VALU_DEP_2) | instskip(SKIP_1) | instid1(VALU_DEP_1)
	v_cmp_gt_i32_e32 vcc_lo, 0, v33
	v_cndmask_b32_e32 v33, v33, v51, vcc_lo
	v_lshlrev_b32_e32 v33, 2, v33
	ds_bpermute_b32 v33, v33, v29
	ds_load_b32 v29, v30 offset:60
	s_and_saveexec_b32 s0, s2
	s_cbranch_execz .LBB1075_102
; %bb.101:
	v_mov_b32_e32 v34, 0
	v_mov_b32_e32 v30, 2
	s_waitcnt lgkmcnt(0)
	global_store_b64 v34, v[29:30], s[16:17] offset:256
.LBB1075_102:
	s_or_b32 exec_lo, exec_lo, s0
	v_cmp_eq_u32_e32 vcc_lo, 0, v51
	s_waitcnt lgkmcnt(0)
	s_waitcnt_vscnt null, 0x0
	s_barrier
	buffer_gl0_inv
	v_cndmask_b32_e32 v30, v33, v32, vcc_lo
	s_delay_alu instid0(VALU_DEP_1) | instskip(NEXT) | instid1(VALU_DEP_1)
	v_cndmask_b32_e64 v47, v30, 0, s2
	v_dual_mov_b32 v30, 0 :: v_dual_add_nc_u32 v45, v47, v38
	s_delay_alu instid0(VALU_DEP_1) | instskip(NEXT) | instid1(VALU_DEP_1)
	v_add_nc_u32_e32 v43, v45, v40
	v_add_nc_u32_e32 v41, v43, v42
	s_delay_alu instid0(VALU_DEP_1) | instskip(NEXT) | instid1(VALU_DEP_1)
	v_add_nc_u32_e32 v39, v41, v44
	v_add_nc_u32_e32 v37, v39, v46
	;; [unrolled: 3-line block ×3, first 2 shown]
.LBB1075_103:
	v_lshrrev_b32_e32 v52, 8, v27
	v_lshrrev_b32_e32 v51, 16, v27
	v_and_b32_e32 v27, 1, v27
	s_waitcnt lgkmcnt(0)
	v_cmp_gt_u32_e64 s0, 0x201, v29
	v_lshrrev_b32_e32 v50, 8, v28
	v_lshrrev_b32_e32 v32, 16, v28
	v_cmp_eq_u32_e64 s1, 1, v27
	s_delay_alu instid0(VALU_DEP_4)
	s_and_b32 vcc_lo, exec_lo, s0
	s_cbranch_vccnz .LBB1075_121
; %bb.104:
	s_delay_alu instid0(VALU_DEP_1)
	s_and_saveexec_b32 s3, s1
	s_cbranch_execz .LBB1075_106
; %bb.105:
	v_sub_nc_u32_e32 v34, v47, v30
	s_delay_alu instid0(VALU_DEP_1)
	v_lshlrev_b32_e32 v34, 3, v34
	ds_store_b64 v34, v[13:14]
.LBB1075_106:
	s_or_b32 exec_lo, exec_lo, s3
	v_and_b32_e32 v13, 1, v52
	s_mov_b32 s1, exec_lo
	s_delay_alu instid0(VALU_DEP_1)
	v_cmpx_eq_u32_e32 1, v13
	s_cbranch_execz .LBB1075_108
; %bb.107:
	v_sub_nc_u32_e32 v13, v45, v30
	s_delay_alu instid0(VALU_DEP_1)
	v_lshlrev_b32_e32 v13, 3, v13
	ds_store_b64 v13, v[15:16]
.LBB1075_108:
	s_or_b32 exec_lo, exec_lo, s1
	v_and_b32_e32 v13, 1, v51
	s_mov_b32 s1, exec_lo
	s_delay_alu instid0(VALU_DEP_1)
	v_cmpx_eq_u32_e32 1, v13
	;; [unrolled: 12-line block ×7, first 2 shown]
	s_cbranch_execz .LBB1075_120
; %bb.119:
	v_sub_nc_u32_e32 v1, v33, v30
	s_delay_alu instid0(VALU_DEP_1)
	v_lshlrev_b32_e32 v1, 3, v1
	ds_store_b64 v1, v[3:4]
.LBB1075_120:
	s_or_b32 exec_lo, exec_lo, s1
	s_waitcnt lgkmcnt(0)
	s_barrier
	buffer_gl0_inv
.LBB1075_121:
	s_and_b32 vcc_lo, exec_lo, s0
	s_mov_b32 s0, -1
	s_barrier
	buffer_gl0_inv
	s_cbranch_vccz .LBB1075_149
; %bb.122:
	v_lshlrev_b64 v[1:2], 2, v[17:18]
	v_add_nc_u32_e32 v3, v30, v29
	s_delay_alu instid0(VALU_DEP_1) | instskip(NEXT) | instid1(VALU_DEP_3)
	v_cmp_lt_u32_e32 vcc_lo, v47, v3
	v_add_co_u32 v1, s0, s10, v1
	s_delay_alu instid0(VALU_DEP_1) | instskip(SKIP_1) | instid1(SALU_CYCLE_1)
	v_add_co_ci_u32_e64 v2, s0, s11, v2, s0
	s_or_b32 s1, s15, vcc_lo
	s_and_saveexec_b32 s0, s1
	s_cbranch_execz .LBB1075_125
; %bb.123:
	v_cmp_eq_u32_e32 vcc_lo, 1, v27
	s_and_b32 exec_lo, exec_lo, vcc_lo
	s_cbranch_execz .LBB1075_125
; %bb.124:
	v_mov_b32_e32 v48, 0
	s_delay_alu instid0(VALU_DEP_1) | instskip(NEXT) | instid1(VALU_DEP_1)
	v_lshlrev_b64 v[4:5], 2, v[47:48]
	v_add_co_u32 v4, vcc_lo, v1, v4
	s_delay_alu instid0(VALU_DEP_2)
	v_add_co_ci_u32_e32 v5, vcc_lo, v2, v5, vcc_lo
	global_store_b32 v[4:5], v25, off
.LBB1075_125:
	s_or_b32 exec_lo, exec_lo, s0
	v_cmp_lt_u32_e32 vcc_lo, v45, v3
	s_or_b32 s1, s15, vcc_lo
	s_delay_alu instid0(SALU_CYCLE_1)
	s_and_saveexec_b32 s0, s1
	s_cbranch_execz .LBB1075_128
; %bb.126:
	v_and_b32_e32 v4, 1, v52
	s_delay_alu instid0(VALU_DEP_1)
	v_cmp_eq_u32_e32 vcc_lo, 1, v4
	s_and_b32 exec_lo, exec_lo, vcc_lo
	s_cbranch_execz .LBB1075_128
; %bb.127:
	v_mov_b32_e32 v46, 0
	s_delay_alu instid0(VALU_DEP_1) | instskip(NEXT) | instid1(VALU_DEP_1)
	v_lshlrev_b64 v[4:5], 2, v[45:46]
	v_add_co_u32 v4, vcc_lo, v1, v4
	s_delay_alu instid0(VALU_DEP_2)
	v_add_co_ci_u32_e32 v5, vcc_lo, v2, v5, vcc_lo
	global_store_b32 v[4:5], v26, off
.LBB1075_128:
	s_or_b32 exec_lo, exec_lo, s0
	v_cmp_lt_u32_e32 vcc_lo, v43, v3
	s_or_b32 s1, s15, vcc_lo
	s_delay_alu instid0(SALU_CYCLE_1)
	s_and_saveexec_b32 s0, s1
	s_cbranch_execz .LBB1075_131
; %bb.129:
	v_and_b32_e32 v4, 1, v51
	s_delay_alu instid0(VALU_DEP_1)
	v_cmp_eq_u32_e32 vcc_lo, 1, v4
	s_and_b32 exec_lo, exec_lo, vcc_lo
	s_cbranch_execz .LBB1075_131
; %bb.130:
	v_mov_b32_e32 v44, 0
	s_delay_alu instid0(VALU_DEP_1) | instskip(NEXT) | instid1(VALU_DEP_1)
	v_lshlrev_b64 v[4:5], 2, v[43:44]
	v_add_co_u32 v4, vcc_lo, v1, v4
	s_delay_alu instid0(VALU_DEP_2)
	v_add_co_ci_u32_e32 v5, vcc_lo, v2, v5, vcc_lo
	global_store_b32 v[4:5], v23, off
.LBB1075_131:
	;; [unrolled: 21-line block ×7, first 2 shown]
	s_or_b32 exec_lo, exec_lo, s0
.LBB1075_147:
	s_and_b32 s0, s2, s14
	s_delay_alu instid0(SALU_CYCLE_1)
	s_and_saveexec_b32 s1, s0
	s_cbranch_execz .LBB1075_170
.LBB1075_148:
	v_add_co_u32 v0, vcc_lo, v17, v29
	v_add_co_ci_u32_e32 v1, vcc_lo, 0, v18, vcc_lo
	v_mov_b32_e32 v2, 0
	s_delay_alu instid0(VALU_DEP_3) | instskip(NEXT) | instid1(VALU_DEP_3)
	v_add_co_u32 v0, vcc_lo, v0, v30
	v_add_co_ci_u32_e32 v1, vcc_lo, 0, v1, vcc_lo
	global_store_b64 v2, v[0:1], s[12:13]
	s_nop 0
	s_sendmsg sendmsg(MSG_DEALLOC_VGPRS)
	s_endpgm
.LBB1075_149:
	s_and_b32 vcc_lo, exec_lo, s0
	s_cbranch_vccz .LBB1075_147
; %bb.150:
	s_mov_b32 s0, exec_lo
	v_cmpx_eq_u32_e32 1, v27
	s_cbranch_execz .LBB1075_152
; %bb.151:
	v_sub_nc_u32_e32 v1, v47, v30
	s_delay_alu instid0(VALU_DEP_1)
	v_lshlrev_b32_e32 v1, 2, v1
	ds_store_b32 v1, v25
.LBB1075_152:
	s_or_b32 exec_lo, exec_lo, s0
	v_and_b32_e32 v1, 1, v52
	s_mov_b32 s0, exec_lo
	s_delay_alu instid0(VALU_DEP_1)
	v_cmpx_eq_u32_e32 1, v1
	s_cbranch_execz .LBB1075_154
; %bb.153:
	v_sub_nc_u32_e32 v1, v45, v30
	s_delay_alu instid0(VALU_DEP_1)
	v_lshlrev_b32_e32 v1, 2, v1
	ds_store_b32 v1, v26
.LBB1075_154:
	s_or_b32 exec_lo, exec_lo, s0
	v_and_b32_e32 v1, 1, v51
	s_mov_b32 s0, exec_lo
	s_delay_alu instid0(VALU_DEP_1)
	;; [unrolled: 12-line block ×7, first 2 shown]
	v_cmpx_eq_u32_e32 1, v1
	s_cbranch_execz .LBB1075_166
; %bb.165:
	v_sub_nc_u32_e32 v1, v33, v30
	s_delay_alu instid0(VALU_DEP_1)
	v_lshlrev_b32_e32 v1, 2, v1
	ds_store_b32 v1, v20
.LBB1075_166:
	s_or_b32 exec_lo, exec_lo, s0
	s_delay_alu instid0(SALU_CYCLE_1)
	s_mov_b32 s1, exec_lo
	s_waitcnt lgkmcnt(0)
	s_waitcnt_vscnt null, 0x0
	s_barrier
	buffer_gl0_inv
	v_cmpx_lt_u32_e64 v0, v29
	s_cbranch_execz .LBB1075_169
; %bb.167:
	v_dual_mov_b32 v2, 0 :: v_dual_mov_b32 v1, v30
	v_lshlrev_b64 v[3:4], 2, v[17:18]
	s_mov_b32 s3, 0
	s_delay_alu instid0(VALU_DEP_2) | instskip(NEXT) | instid1(VALU_DEP_1)
	v_lshlrev_b64 v[1:2], 2, v[1:2]
	v_add_co_u32 v1, vcc_lo, v3, v1
	s_delay_alu instid0(VALU_DEP_2) | instskip(SKIP_1) | instid1(VALU_DEP_3)
	v_add_co_ci_u32_e32 v2, vcc_lo, v4, v2, vcc_lo
	v_lshlrev_b32_e32 v3, 2, v0
	v_add_co_u32 v1, vcc_lo, s10, v1
	s_delay_alu instid0(VALU_DEP_3) | instskip(NEXT) | instid1(VALU_DEP_2)
	v_add_co_ci_u32_e32 v2, vcc_lo, s11, v2, vcc_lo
	v_add_co_u32 v1, vcc_lo, v1, v3
	s_delay_alu instid0(VALU_DEP_2)
	v_add_co_ci_u32_e32 v2, vcc_lo, 0, v2, vcc_lo
	.p2align	6
.LBB1075_168:                           ; =>This Inner Loop Header: Depth=1
	ds_load_b32 v4, v3
	v_add_nc_u32_e32 v0, 0x200, v0
	v_add_nc_u32_e32 v3, 0x800, v3
	s_delay_alu instid0(VALU_DEP_2) | instskip(SKIP_4) | instid1(VALU_DEP_1)
	v_cmp_ge_u32_e32 vcc_lo, v0, v29
	s_or_b32 s3, vcc_lo, s3
	s_waitcnt lgkmcnt(0)
	global_store_b32 v[1:2], v4, off
	v_add_co_u32 v1, s0, 0x800, v1
	v_add_co_ci_u32_e64 v2, s0, 0, v2, s0
	s_and_not1_b32 exec_lo, exec_lo, s3
	s_cbranch_execnz .LBB1075_168
.LBB1075_169:
	s_or_b32 exec_lo, exec_lo, s1
	s_and_b32 s0, s2, s14
	s_delay_alu instid0(SALU_CYCLE_1)
	s_and_saveexec_b32 s1, s0
	s_cbranch_execnz .LBB1075_148
.LBB1075_170:
	s_nop 0
	s_sendmsg sendmsg(MSG_DEALLOC_VGPRS)
	s_endpgm
	.section	.rodata,"a",@progbits
	.p2align	6, 0x0
	.amdhsa_kernel _ZN7rocprim17ROCPRIM_400000_NS6detail17trampoline_kernelINS0_14default_configENS1_25partition_config_selectorILNS1_17partition_subalgoE9ExjbEEZZNS1_14partition_implILS5_9ELb0ES3_jN6thrust23THRUST_200600_302600_NS6detail15normal_iteratorINS9_10device_ptrIxEEEENSB_INSC_IjEEEEPNS0_10empty_typeENS0_5tupleIJNS9_16discard_iteratorINS9_11use_defaultEEESH_EEENSJ_IJSG_SI_EEENS0_18inequality_wrapperINS9_8equal_toIxEEEEPmJSH_EEE10hipError_tPvRmT3_T4_T5_T6_T7_T9_mT8_P12ihipStream_tbDpT10_ENKUlT_T0_E_clISt17integral_constantIbLb0EES1C_IbLb1EEEEDaS18_S19_EUlS18_E_NS1_11comp_targetILNS1_3genE9ELNS1_11target_archE1100ELNS1_3gpuE3ELNS1_3repE0EEENS1_30default_config_static_selectorELNS0_4arch9wavefront6targetE0EEEvT1_
		.amdhsa_group_segment_fixed_size 33800
		.amdhsa_private_segment_fixed_size 0
		.amdhsa_kernarg_size 136
		.amdhsa_user_sgpr_count 15
		.amdhsa_user_sgpr_dispatch_ptr 0
		.amdhsa_user_sgpr_queue_ptr 0
		.amdhsa_user_sgpr_kernarg_segment_ptr 1
		.amdhsa_user_sgpr_dispatch_id 0
		.amdhsa_user_sgpr_private_segment_size 0
		.amdhsa_wavefront_size32 1
		.amdhsa_uses_dynamic_stack 0
		.amdhsa_enable_private_segment 0
		.amdhsa_system_sgpr_workgroup_id_x 1
		.amdhsa_system_sgpr_workgroup_id_y 0
		.amdhsa_system_sgpr_workgroup_id_z 0
		.amdhsa_system_sgpr_workgroup_info 0
		.amdhsa_system_vgpr_workitem_id 0
		.amdhsa_next_free_vgpr 61
		.amdhsa_next_free_sgpr 26
		.amdhsa_reserve_vcc 1
		.amdhsa_float_round_mode_32 0
		.amdhsa_float_round_mode_16_64 0
		.amdhsa_float_denorm_mode_32 3
		.amdhsa_float_denorm_mode_16_64 3
		.amdhsa_dx10_clamp 1
		.amdhsa_ieee_mode 1
		.amdhsa_fp16_overflow 0
		.amdhsa_workgroup_processor_mode 1
		.amdhsa_memory_ordered 1
		.amdhsa_forward_progress 0
		.amdhsa_shared_vgpr_count 0
		.amdhsa_exception_fp_ieee_invalid_op 0
		.amdhsa_exception_fp_denorm_src 0
		.amdhsa_exception_fp_ieee_div_zero 0
		.amdhsa_exception_fp_ieee_overflow 0
		.amdhsa_exception_fp_ieee_underflow 0
		.amdhsa_exception_fp_ieee_inexact 0
		.amdhsa_exception_int_div_zero 0
	.end_amdhsa_kernel
	.section	.text._ZN7rocprim17ROCPRIM_400000_NS6detail17trampoline_kernelINS0_14default_configENS1_25partition_config_selectorILNS1_17partition_subalgoE9ExjbEEZZNS1_14partition_implILS5_9ELb0ES3_jN6thrust23THRUST_200600_302600_NS6detail15normal_iteratorINS9_10device_ptrIxEEEENSB_INSC_IjEEEEPNS0_10empty_typeENS0_5tupleIJNS9_16discard_iteratorINS9_11use_defaultEEESH_EEENSJ_IJSG_SI_EEENS0_18inequality_wrapperINS9_8equal_toIxEEEEPmJSH_EEE10hipError_tPvRmT3_T4_T5_T6_T7_T9_mT8_P12ihipStream_tbDpT10_ENKUlT_T0_E_clISt17integral_constantIbLb0EES1C_IbLb1EEEEDaS18_S19_EUlS18_E_NS1_11comp_targetILNS1_3genE9ELNS1_11target_archE1100ELNS1_3gpuE3ELNS1_3repE0EEENS1_30default_config_static_selectorELNS0_4arch9wavefront6targetE0EEEvT1_,"axG",@progbits,_ZN7rocprim17ROCPRIM_400000_NS6detail17trampoline_kernelINS0_14default_configENS1_25partition_config_selectorILNS1_17partition_subalgoE9ExjbEEZZNS1_14partition_implILS5_9ELb0ES3_jN6thrust23THRUST_200600_302600_NS6detail15normal_iteratorINS9_10device_ptrIxEEEENSB_INSC_IjEEEEPNS0_10empty_typeENS0_5tupleIJNS9_16discard_iteratorINS9_11use_defaultEEESH_EEENSJ_IJSG_SI_EEENS0_18inequality_wrapperINS9_8equal_toIxEEEEPmJSH_EEE10hipError_tPvRmT3_T4_T5_T6_T7_T9_mT8_P12ihipStream_tbDpT10_ENKUlT_T0_E_clISt17integral_constantIbLb0EES1C_IbLb1EEEEDaS18_S19_EUlS18_E_NS1_11comp_targetILNS1_3genE9ELNS1_11target_archE1100ELNS1_3gpuE3ELNS1_3repE0EEENS1_30default_config_static_selectorELNS0_4arch9wavefront6targetE0EEEvT1_,comdat
.Lfunc_end1075:
	.size	_ZN7rocprim17ROCPRIM_400000_NS6detail17trampoline_kernelINS0_14default_configENS1_25partition_config_selectorILNS1_17partition_subalgoE9ExjbEEZZNS1_14partition_implILS5_9ELb0ES3_jN6thrust23THRUST_200600_302600_NS6detail15normal_iteratorINS9_10device_ptrIxEEEENSB_INSC_IjEEEEPNS0_10empty_typeENS0_5tupleIJNS9_16discard_iteratorINS9_11use_defaultEEESH_EEENSJ_IJSG_SI_EEENS0_18inequality_wrapperINS9_8equal_toIxEEEEPmJSH_EEE10hipError_tPvRmT3_T4_T5_T6_T7_T9_mT8_P12ihipStream_tbDpT10_ENKUlT_T0_E_clISt17integral_constantIbLb0EES1C_IbLb1EEEEDaS18_S19_EUlS18_E_NS1_11comp_targetILNS1_3genE9ELNS1_11target_archE1100ELNS1_3gpuE3ELNS1_3repE0EEENS1_30default_config_static_selectorELNS0_4arch9wavefront6targetE0EEEvT1_, .Lfunc_end1075-_ZN7rocprim17ROCPRIM_400000_NS6detail17trampoline_kernelINS0_14default_configENS1_25partition_config_selectorILNS1_17partition_subalgoE9ExjbEEZZNS1_14partition_implILS5_9ELb0ES3_jN6thrust23THRUST_200600_302600_NS6detail15normal_iteratorINS9_10device_ptrIxEEEENSB_INSC_IjEEEEPNS0_10empty_typeENS0_5tupleIJNS9_16discard_iteratorINS9_11use_defaultEEESH_EEENSJ_IJSG_SI_EEENS0_18inequality_wrapperINS9_8equal_toIxEEEEPmJSH_EEE10hipError_tPvRmT3_T4_T5_T6_T7_T9_mT8_P12ihipStream_tbDpT10_ENKUlT_T0_E_clISt17integral_constantIbLb0EES1C_IbLb1EEEEDaS18_S19_EUlS18_E_NS1_11comp_targetILNS1_3genE9ELNS1_11target_archE1100ELNS1_3gpuE3ELNS1_3repE0EEENS1_30default_config_static_selectorELNS0_4arch9wavefront6targetE0EEEvT1_
                                        ; -- End function
	.section	.AMDGPU.csdata,"",@progbits
; Kernel info:
; codeLenInByte = 8576
; NumSgprs: 28
; NumVgprs: 61
; ScratchSize: 0
; MemoryBound: 0
; FloatMode: 240
; IeeeMode: 1
; LDSByteSize: 33800 bytes/workgroup (compile time only)
; SGPRBlocks: 3
; VGPRBlocks: 7
; NumSGPRsForWavesPerEU: 28
; NumVGPRsForWavesPerEU: 61
; Occupancy: 12
; WaveLimiterHint : 1
; COMPUTE_PGM_RSRC2:SCRATCH_EN: 0
; COMPUTE_PGM_RSRC2:USER_SGPR: 15
; COMPUTE_PGM_RSRC2:TRAP_HANDLER: 0
; COMPUTE_PGM_RSRC2:TGID_X_EN: 1
; COMPUTE_PGM_RSRC2:TGID_Y_EN: 0
; COMPUTE_PGM_RSRC2:TGID_Z_EN: 0
; COMPUTE_PGM_RSRC2:TIDIG_COMP_CNT: 0
	.section	.text._ZN7rocprim17ROCPRIM_400000_NS6detail17trampoline_kernelINS0_14default_configENS1_25partition_config_selectorILNS1_17partition_subalgoE9ExjbEEZZNS1_14partition_implILS5_9ELb0ES3_jN6thrust23THRUST_200600_302600_NS6detail15normal_iteratorINS9_10device_ptrIxEEEENSB_INSC_IjEEEEPNS0_10empty_typeENS0_5tupleIJNS9_16discard_iteratorINS9_11use_defaultEEESH_EEENSJ_IJSG_SI_EEENS0_18inequality_wrapperINS9_8equal_toIxEEEEPmJSH_EEE10hipError_tPvRmT3_T4_T5_T6_T7_T9_mT8_P12ihipStream_tbDpT10_ENKUlT_T0_E_clISt17integral_constantIbLb0EES1C_IbLb1EEEEDaS18_S19_EUlS18_E_NS1_11comp_targetILNS1_3genE8ELNS1_11target_archE1030ELNS1_3gpuE2ELNS1_3repE0EEENS1_30default_config_static_selectorELNS0_4arch9wavefront6targetE0EEEvT1_,"axG",@progbits,_ZN7rocprim17ROCPRIM_400000_NS6detail17trampoline_kernelINS0_14default_configENS1_25partition_config_selectorILNS1_17partition_subalgoE9ExjbEEZZNS1_14partition_implILS5_9ELb0ES3_jN6thrust23THRUST_200600_302600_NS6detail15normal_iteratorINS9_10device_ptrIxEEEENSB_INSC_IjEEEEPNS0_10empty_typeENS0_5tupleIJNS9_16discard_iteratorINS9_11use_defaultEEESH_EEENSJ_IJSG_SI_EEENS0_18inequality_wrapperINS9_8equal_toIxEEEEPmJSH_EEE10hipError_tPvRmT3_T4_T5_T6_T7_T9_mT8_P12ihipStream_tbDpT10_ENKUlT_T0_E_clISt17integral_constantIbLb0EES1C_IbLb1EEEEDaS18_S19_EUlS18_E_NS1_11comp_targetILNS1_3genE8ELNS1_11target_archE1030ELNS1_3gpuE2ELNS1_3repE0EEENS1_30default_config_static_selectorELNS0_4arch9wavefront6targetE0EEEvT1_,comdat
	.protected	_ZN7rocprim17ROCPRIM_400000_NS6detail17trampoline_kernelINS0_14default_configENS1_25partition_config_selectorILNS1_17partition_subalgoE9ExjbEEZZNS1_14partition_implILS5_9ELb0ES3_jN6thrust23THRUST_200600_302600_NS6detail15normal_iteratorINS9_10device_ptrIxEEEENSB_INSC_IjEEEEPNS0_10empty_typeENS0_5tupleIJNS9_16discard_iteratorINS9_11use_defaultEEESH_EEENSJ_IJSG_SI_EEENS0_18inequality_wrapperINS9_8equal_toIxEEEEPmJSH_EEE10hipError_tPvRmT3_T4_T5_T6_T7_T9_mT8_P12ihipStream_tbDpT10_ENKUlT_T0_E_clISt17integral_constantIbLb0EES1C_IbLb1EEEEDaS18_S19_EUlS18_E_NS1_11comp_targetILNS1_3genE8ELNS1_11target_archE1030ELNS1_3gpuE2ELNS1_3repE0EEENS1_30default_config_static_selectorELNS0_4arch9wavefront6targetE0EEEvT1_ ; -- Begin function _ZN7rocprim17ROCPRIM_400000_NS6detail17trampoline_kernelINS0_14default_configENS1_25partition_config_selectorILNS1_17partition_subalgoE9ExjbEEZZNS1_14partition_implILS5_9ELb0ES3_jN6thrust23THRUST_200600_302600_NS6detail15normal_iteratorINS9_10device_ptrIxEEEENSB_INSC_IjEEEEPNS0_10empty_typeENS0_5tupleIJNS9_16discard_iteratorINS9_11use_defaultEEESH_EEENSJ_IJSG_SI_EEENS0_18inequality_wrapperINS9_8equal_toIxEEEEPmJSH_EEE10hipError_tPvRmT3_T4_T5_T6_T7_T9_mT8_P12ihipStream_tbDpT10_ENKUlT_T0_E_clISt17integral_constantIbLb0EES1C_IbLb1EEEEDaS18_S19_EUlS18_E_NS1_11comp_targetILNS1_3genE8ELNS1_11target_archE1030ELNS1_3gpuE2ELNS1_3repE0EEENS1_30default_config_static_selectorELNS0_4arch9wavefront6targetE0EEEvT1_
	.globl	_ZN7rocprim17ROCPRIM_400000_NS6detail17trampoline_kernelINS0_14default_configENS1_25partition_config_selectorILNS1_17partition_subalgoE9ExjbEEZZNS1_14partition_implILS5_9ELb0ES3_jN6thrust23THRUST_200600_302600_NS6detail15normal_iteratorINS9_10device_ptrIxEEEENSB_INSC_IjEEEEPNS0_10empty_typeENS0_5tupleIJNS9_16discard_iteratorINS9_11use_defaultEEESH_EEENSJ_IJSG_SI_EEENS0_18inequality_wrapperINS9_8equal_toIxEEEEPmJSH_EEE10hipError_tPvRmT3_T4_T5_T6_T7_T9_mT8_P12ihipStream_tbDpT10_ENKUlT_T0_E_clISt17integral_constantIbLb0EES1C_IbLb1EEEEDaS18_S19_EUlS18_E_NS1_11comp_targetILNS1_3genE8ELNS1_11target_archE1030ELNS1_3gpuE2ELNS1_3repE0EEENS1_30default_config_static_selectorELNS0_4arch9wavefront6targetE0EEEvT1_
	.p2align	8
	.type	_ZN7rocprim17ROCPRIM_400000_NS6detail17trampoline_kernelINS0_14default_configENS1_25partition_config_selectorILNS1_17partition_subalgoE9ExjbEEZZNS1_14partition_implILS5_9ELb0ES3_jN6thrust23THRUST_200600_302600_NS6detail15normal_iteratorINS9_10device_ptrIxEEEENSB_INSC_IjEEEEPNS0_10empty_typeENS0_5tupleIJNS9_16discard_iteratorINS9_11use_defaultEEESH_EEENSJ_IJSG_SI_EEENS0_18inequality_wrapperINS9_8equal_toIxEEEEPmJSH_EEE10hipError_tPvRmT3_T4_T5_T6_T7_T9_mT8_P12ihipStream_tbDpT10_ENKUlT_T0_E_clISt17integral_constantIbLb0EES1C_IbLb1EEEEDaS18_S19_EUlS18_E_NS1_11comp_targetILNS1_3genE8ELNS1_11target_archE1030ELNS1_3gpuE2ELNS1_3repE0EEENS1_30default_config_static_selectorELNS0_4arch9wavefront6targetE0EEEvT1_,@function
_ZN7rocprim17ROCPRIM_400000_NS6detail17trampoline_kernelINS0_14default_configENS1_25partition_config_selectorILNS1_17partition_subalgoE9ExjbEEZZNS1_14partition_implILS5_9ELb0ES3_jN6thrust23THRUST_200600_302600_NS6detail15normal_iteratorINS9_10device_ptrIxEEEENSB_INSC_IjEEEEPNS0_10empty_typeENS0_5tupleIJNS9_16discard_iteratorINS9_11use_defaultEEESH_EEENSJ_IJSG_SI_EEENS0_18inequality_wrapperINS9_8equal_toIxEEEEPmJSH_EEE10hipError_tPvRmT3_T4_T5_T6_T7_T9_mT8_P12ihipStream_tbDpT10_ENKUlT_T0_E_clISt17integral_constantIbLb0EES1C_IbLb1EEEEDaS18_S19_EUlS18_E_NS1_11comp_targetILNS1_3genE8ELNS1_11target_archE1030ELNS1_3gpuE2ELNS1_3repE0EEENS1_30default_config_static_selectorELNS0_4arch9wavefront6targetE0EEEvT1_: ; @_ZN7rocprim17ROCPRIM_400000_NS6detail17trampoline_kernelINS0_14default_configENS1_25partition_config_selectorILNS1_17partition_subalgoE9ExjbEEZZNS1_14partition_implILS5_9ELb0ES3_jN6thrust23THRUST_200600_302600_NS6detail15normal_iteratorINS9_10device_ptrIxEEEENSB_INSC_IjEEEEPNS0_10empty_typeENS0_5tupleIJNS9_16discard_iteratorINS9_11use_defaultEEESH_EEENSJ_IJSG_SI_EEENS0_18inequality_wrapperINS9_8equal_toIxEEEEPmJSH_EEE10hipError_tPvRmT3_T4_T5_T6_T7_T9_mT8_P12ihipStream_tbDpT10_ENKUlT_T0_E_clISt17integral_constantIbLb0EES1C_IbLb1EEEEDaS18_S19_EUlS18_E_NS1_11comp_targetILNS1_3genE8ELNS1_11target_archE1030ELNS1_3gpuE2ELNS1_3repE0EEENS1_30default_config_static_selectorELNS0_4arch9wavefront6targetE0EEEvT1_
; %bb.0:
	.section	.rodata,"a",@progbits
	.p2align	6, 0x0
	.amdhsa_kernel _ZN7rocprim17ROCPRIM_400000_NS6detail17trampoline_kernelINS0_14default_configENS1_25partition_config_selectorILNS1_17partition_subalgoE9ExjbEEZZNS1_14partition_implILS5_9ELb0ES3_jN6thrust23THRUST_200600_302600_NS6detail15normal_iteratorINS9_10device_ptrIxEEEENSB_INSC_IjEEEEPNS0_10empty_typeENS0_5tupleIJNS9_16discard_iteratorINS9_11use_defaultEEESH_EEENSJ_IJSG_SI_EEENS0_18inequality_wrapperINS9_8equal_toIxEEEEPmJSH_EEE10hipError_tPvRmT3_T4_T5_T6_T7_T9_mT8_P12ihipStream_tbDpT10_ENKUlT_T0_E_clISt17integral_constantIbLb0EES1C_IbLb1EEEEDaS18_S19_EUlS18_E_NS1_11comp_targetILNS1_3genE8ELNS1_11target_archE1030ELNS1_3gpuE2ELNS1_3repE0EEENS1_30default_config_static_selectorELNS0_4arch9wavefront6targetE0EEEvT1_
		.amdhsa_group_segment_fixed_size 0
		.amdhsa_private_segment_fixed_size 0
		.amdhsa_kernarg_size 136
		.amdhsa_user_sgpr_count 15
		.amdhsa_user_sgpr_dispatch_ptr 0
		.amdhsa_user_sgpr_queue_ptr 0
		.amdhsa_user_sgpr_kernarg_segment_ptr 1
		.amdhsa_user_sgpr_dispatch_id 0
		.amdhsa_user_sgpr_private_segment_size 0
		.amdhsa_wavefront_size32 1
		.amdhsa_uses_dynamic_stack 0
		.amdhsa_enable_private_segment 0
		.amdhsa_system_sgpr_workgroup_id_x 1
		.amdhsa_system_sgpr_workgroup_id_y 0
		.amdhsa_system_sgpr_workgroup_id_z 0
		.amdhsa_system_sgpr_workgroup_info 0
		.amdhsa_system_vgpr_workitem_id 0
		.amdhsa_next_free_vgpr 1
		.amdhsa_next_free_sgpr 1
		.amdhsa_reserve_vcc 0
		.amdhsa_float_round_mode_32 0
		.amdhsa_float_round_mode_16_64 0
		.amdhsa_float_denorm_mode_32 3
		.amdhsa_float_denorm_mode_16_64 3
		.amdhsa_dx10_clamp 1
		.amdhsa_ieee_mode 1
		.amdhsa_fp16_overflow 0
		.amdhsa_workgroup_processor_mode 1
		.amdhsa_memory_ordered 1
		.amdhsa_forward_progress 0
		.amdhsa_shared_vgpr_count 0
		.amdhsa_exception_fp_ieee_invalid_op 0
		.amdhsa_exception_fp_denorm_src 0
		.amdhsa_exception_fp_ieee_div_zero 0
		.amdhsa_exception_fp_ieee_overflow 0
		.amdhsa_exception_fp_ieee_underflow 0
		.amdhsa_exception_fp_ieee_inexact 0
		.amdhsa_exception_int_div_zero 0
	.end_amdhsa_kernel
	.section	.text._ZN7rocprim17ROCPRIM_400000_NS6detail17trampoline_kernelINS0_14default_configENS1_25partition_config_selectorILNS1_17partition_subalgoE9ExjbEEZZNS1_14partition_implILS5_9ELb0ES3_jN6thrust23THRUST_200600_302600_NS6detail15normal_iteratorINS9_10device_ptrIxEEEENSB_INSC_IjEEEEPNS0_10empty_typeENS0_5tupleIJNS9_16discard_iteratorINS9_11use_defaultEEESH_EEENSJ_IJSG_SI_EEENS0_18inequality_wrapperINS9_8equal_toIxEEEEPmJSH_EEE10hipError_tPvRmT3_T4_T5_T6_T7_T9_mT8_P12ihipStream_tbDpT10_ENKUlT_T0_E_clISt17integral_constantIbLb0EES1C_IbLb1EEEEDaS18_S19_EUlS18_E_NS1_11comp_targetILNS1_3genE8ELNS1_11target_archE1030ELNS1_3gpuE2ELNS1_3repE0EEENS1_30default_config_static_selectorELNS0_4arch9wavefront6targetE0EEEvT1_,"axG",@progbits,_ZN7rocprim17ROCPRIM_400000_NS6detail17trampoline_kernelINS0_14default_configENS1_25partition_config_selectorILNS1_17partition_subalgoE9ExjbEEZZNS1_14partition_implILS5_9ELb0ES3_jN6thrust23THRUST_200600_302600_NS6detail15normal_iteratorINS9_10device_ptrIxEEEENSB_INSC_IjEEEEPNS0_10empty_typeENS0_5tupleIJNS9_16discard_iteratorINS9_11use_defaultEEESH_EEENSJ_IJSG_SI_EEENS0_18inequality_wrapperINS9_8equal_toIxEEEEPmJSH_EEE10hipError_tPvRmT3_T4_T5_T6_T7_T9_mT8_P12ihipStream_tbDpT10_ENKUlT_T0_E_clISt17integral_constantIbLb0EES1C_IbLb1EEEEDaS18_S19_EUlS18_E_NS1_11comp_targetILNS1_3genE8ELNS1_11target_archE1030ELNS1_3gpuE2ELNS1_3repE0EEENS1_30default_config_static_selectorELNS0_4arch9wavefront6targetE0EEEvT1_,comdat
.Lfunc_end1076:
	.size	_ZN7rocprim17ROCPRIM_400000_NS6detail17trampoline_kernelINS0_14default_configENS1_25partition_config_selectorILNS1_17partition_subalgoE9ExjbEEZZNS1_14partition_implILS5_9ELb0ES3_jN6thrust23THRUST_200600_302600_NS6detail15normal_iteratorINS9_10device_ptrIxEEEENSB_INSC_IjEEEEPNS0_10empty_typeENS0_5tupleIJNS9_16discard_iteratorINS9_11use_defaultEEESH_EEENSJ_IJSG_SI_EEENS0_18inequality_wrapperINS9_8equal_toIxEEEEPmJSH_EEE10hipError_tPvRmT3_T4_T5_T6_T7_T9_mT8_P12ihipStream_tbDpT10_ENKUlT_T0_E_clISt17integral_constantIbLb0EES1C_IbLb1EEEEDaS18_S19_EUlS18_E_NS1_11comp_targetILNS1_3genE8ELNS1_11target_archE1030ELNS1_3gpuE2ELNS1_3repE0EEENS1_30default_config_static_selectorELNS0_4arch9wavefront6targetE0EEEvT1_, .Lfunc_end1076-_ZN7rocprim17ROCPRIM_400000_NS6detail17trampoline_kernelINS0_14default_configENS1_25partition_config_selectorILNS1_17partition_subalgoE9ExjbEEZZNS1_14partition_implILS5_9ELb0ES3_jN6thrust23THRUST_200600_302600_NS6detail15normal_iteratorINS9_10device_ptrIxEEEENSB_INSC_IjEEEEPNS0_10empty_typeENS0_5tupleIJNS9_16discard_iteratorINS9_11use_defaultEEESH_EEENSJ_IJSG_SI_EEENS0_18inequality_wrapperINS9_8equal_toIxEEEEPmJSH_EEE10hipError_tPvRmT3_T4_T5_T6_T7_T9_mT8_P12ihipStream_tbDpT10_ENKUlT_T0_E_clISt17integral_constantIbLb0EES1C_IbLb1EEEEDaS18_S19_EUlS18_E_NS1_11comp_targetILNS1_3genE8ELNS1_11target_archE1030ELNS1_3gpuE2ELNS1_3repE0EEENS1_30default_config_static_selectorELNS0_4arch9wavefront6targetE0EEEvT1_
                                        ; -- End function
	.section	.AMDGPU.csdata,"",@progbits
; Kernel info:
; codeLenInByte = 0
; NumSgprs: 0
; NumVgprs: 0
; ScratchSize: 0
; MemoryBound: 0
; FloatMode: 240
; IeeeMode: 1
; LDSByteSize: 0 bytes/workgroup (compile time only)
; SGPRBlocks: 0
; VGPRBlocks: 0
; NumSGPRsForWavesPerEU: 1
; NumVGPRsForWavesPerEU: 1
; Occupancy: 16
; WaveLimiterHint : 0
; COMPUTE_PGM_RSRC2:SCRATCH_EN: 0
; COMPUTE_PGM_RSRC2:USER_SGPR: 15
; COMPUTE_PGM_RSRC2:TRAP_HANDLER: 0
; COMPUTE_PGM_RSRC2:TGID_X_EN: 1
; COMPUTE_PGM_RSRC2:TGID_Y_EN: 0
; COMPUTE_PGM_RSRC2:TGID_Z_EN: 0
; COMPUTE_PGM_RSRC2:TIDIG_COMP_CNT: 0
	.section	.text._ZN7rocprim17ROCPRIM_400000_NS6detail17trampoline_kernelINS0_14default_configENS1_25partition_config_selectorILNS1_17partition_subalgoE9EijbEEZZNS1_14partition_implILS5_9ELb0ES3_jN6thrust23THRUST_200600_302600_NS6detail15normal_iteratorINS9_10device_ptrIiEEEENSB_INSC_IjEEEEPNS0_10empty_typeENS0_5tupleIJNS9_16discard_iteratorINS9_11use_defaultEEESH_EEENSJ_IJSM_SI_EEENS0_18inequality_wrapperINS9_8equal_toIiEEEEPmJSH_EEE10hipError_tPvRmT3_T4_T5_T6_T7_T9_mT8_P12ihipStream_tbDpT10_ENKUlT_T0_E_clISt17integral_constantIbLb0EES1D_EEDaS18_S19_EUlS18_E_NS1_11comp_targetILNS1_3genE0ELNS1_11target_archE4294967295ELNS1_3gpuE0ELNS1_3repE0EEENS1_30default_config_static_selectorELNS0_4arch9wavefront6targetE0EEEvT1_,"axG",@progbits,_ZN7rocprim17ROCPRIM_400000_NS6detail17trampoline_kernelINS0_14default_configENS1_25partition_config_selectorILNS1_17partition_subalgoE9EijbEEZZNS1_14partition_implILS5_9ELb0ES3_jN6thrust23THRUST_200600_302600_NS6detail15normal_iteratorINS9_10device_ptrIiEEEENSB_INSC_IjEEEEPNS0_10empty_typeENS0_5tupleIJNS9_16discard_iteratorINS9_11use_defaultEEESH_EEENSJ_IJSM_SI_EEENS0_18inequality_wrapperINS9_8equal_toIiEEEEPmJSH_EEE10hipError_tPvRmT3_T4_T5_T6_T7_T9_mT8_P12ihipStream_tbDpT10_ENKUlT_T0_E_clISt17integral_constantIbLb0EES1D_EEDaS18_S19_EUlS18_E_NS1_11comp_targetILNS1_3genE0ELNS1_11target_archE4294967295ELNS1_3gpuE0ELNS1_3repE0EEENS1_30default_config_static_selectorELNS0_4arch9wavefront6targetE0EEEvT1_,comdat
	.protected	_ZN7rocprim17ROCPRIM_400000_NS6detail17trampoline_kernelINS0_14default_configENS1_25partition_config_selectorILNS1_17partition_subalgoE9EijbEEZZNS1_14partition_implILS5_9ELb0ES3_jN6thrust23THRUST_200600_302600_NS6detail15normal_iteratorINS9_10device_ptrIiEEEENSB_INSC_IjEEEEPNS0_10empty_typeENS0_5tupleIJNS9_16discard_iteratorINS9_11use_defaultEEESH_EEENSJ_IJSM_SI_EEENS0_18inequality_wrapperINS9_8equal_toIiEEEEPmJSH_EEE10hipError_tPvRmT3_T4_T5_T6_T7_T9_mT8_P12ihipStream_tbDpT10_ENKUlT_T0_E_clISt17integral_constantIbLb0EES1D_EEDaS18_S19_EUlS18_E_NS1_11comp_targetILNS1_3genE0ELNS1_11target_archE4294967295ELNS1_3gpuE0ELNS1_3repE0EEENS1_30default_config_static_selectorELNS0_4arch9wavefront6targetE0EEEvT1_ ; -- Begin function _ZN7rocprim17ROCPRIM_400000_NS6detail17trampoline_kernelINS0_14default_configENS1_25partition_config_selectorILNS1_17partition_subalgoE9EijbEEZZNS1_14partition_implILS5_9ELb0ES3_jN6thrust23THRUST_200600_302600_NS6detail15normal_iteratorINS9_10device_ptrIiEEEENSB_INSC_IjEEEEPNS0_10empty_typeENS0_5tupleIJNS9_16discard_iteratorINS9_11use_defaultEEESH_EEENSJ_IJSM_SI_EEENS0_18inequality_wrapperINS9_8equal_toIiEEEEPmJSH_EEE10hipError_tPvRmT3_T4_T5_T6_T7_T9_mT8_P12ihipStream_tbDpT10_ENKUlT_T0_E_clISt17integral_constantIbLb0EES1D_EEDaS18_S19_EUlS18_E_NS1_11comp_targetILNS1_3genE0ELNS1_11target_archE4294967295ELNS1_3gpuE0ELNS1_3repE0EEENS1_30default_config_static_selectorELNS0_4arch9wavefront6targetE0EEEvT1_
	.globl	_ZN7rocprim17ROCPRIM_400000_NS6detail17trampoline_kernelINS0_14default_configENS1_25partition_config_selectorILNS1_17partition_subalgoE9EijbEEZZNS1_14partition_implILS5_9ELb0ES3_jN6thrust23THRUST_200600_302600_NS6detail15normal_iteratorINS9_10device_ptrIiEEEENSB_INSC_IjEEEEPNS0_10empty_typeENS0_5tupleIJNS9_16discard_iteratorINS9_11use_defaultEEESH_EEENSJ_IJSM_SI_EEENS0_18inequality_wrapperINS9_8equal_toIiEEEEPmJSH_EEE10hipError_tPvRmT3_T4_T5_T6_T7_T9_mT8_P12ihipStream_tbDpT10_ENKUlT_T0_E_clISt17integral_constantIbLb0EES1D_EEDaS18_S19_EUlS18_E_NS1_11comp_targetILNS1_3genE0ELNS1_11target_archE4294967295ELNS1_3gpuE0ELNS1_3repE0EEENS1_30default_config_static_selectorELNS0_4arch9wavefront6targetE0EEEvT1_
	.p2align	8
	.type	_ZN7rocprim17ROCPRIM_400000_NS6detail17trampoline_kernelINS0_14default_configENS1_25partition_config_selectorILNS1_17partition_subalgoE9EijbEEZZNS1_14partition_implILS5_9ELb0ES3_jN6thrust23THRUST_200600_302600_NS6detail15normal_iteratorINS9_10device_ptrIiEEEENSB_INSC_IjEEEEPNS0_10empty_typeENS0_5tupleIJNS9_16discard_iteratorINS9_11use_defaultEEESH_EEENSJ_IJSM_SI_EEENS0_18inequality_wrapperINS9_8equal_toIiEEEEPmJSH_EEE10hipError_tPvRmT3_T4_T5_T6_T7_T9_mT8_P12ihipStream_tbDpT10_ENKUlT_T0_E_clISt17integral_constantIbLb0EES1D_EEDaS18_S19_EUlS18_E_NS1_11comp_targetILNS1_3genE0ELNS1_11target_archE4294967295ELNS1_3gpuE0ELNS1_3repE0EEENS1_30default_config_static_selectorELNS0_4arch9wavefront6targetE0EEEvT1_,@function
_ZN7rocprim17ROCPRIM_400000_NS6detail17trampoline_kernelINS0_14default_configENS1_25partition_config_selectorILNS1_17partition_subalgoE9EijbEEZZNS1_14partition_implILS5_9ELb0ES3_jN6thrust23THRUST_200600_302600_NS6detail15normal_iteratorINS9_10device_ptrIiEEEENSB_INSC_IjEEEEPNS0_10empty_typeENS0_5tupleIJNS9_16discard_iteratorINS9_11use_defaultEEESH_EEENSJ_IJSM_SI_EEENS0_18inequality_wrapperINS9_8equal_toIiEEEEPmJSH_EEE10hipError_tPvRmT3_T4_T5_T6_T7_T9_mT8_P12ihipStream_tbDpT10_ENKUlT_T0_E_clISt17integral_constantIbLb0EES1D_EEDaS18_S19_EUlS18_E_NS1_11comp_targetILNS1_3genE0ELNS1_11target_archE4294967295ELNS1_3gpuE0ELNS1_3repE0EEENS1_30default_config_static_selectorELNS0_4arch9wavefront6targetE0EEEvT1_: ; @_ZN7rocprim17ROCPRIM_400000_NS6detail17trampoline_kernelINS0_14default_configENS1_25partition_config_selectorILNS1_17partition_subalgoE9EijbEEZZNS1_14partition_implILS5_9ELb0ES3_jN6thrust23THRUST_200600_302600_NS6detail15normal_iteratorINS9_10device_ptrIiEEEENSB_INSC_IjEEEEPNS0_10empty_typeENS0_5tupleIJNS9_16discard_iteratorINS9_11use_defaultEEESH_EEENSJ_IJSM_SI_EEENS0_18inequality_wrapperINS9_8equal_toIiEEEEPmJSH_EEE10hipError_tPvRmT3_T4_T5_T6_T7_T9_mT8_P12ihipStream_tbDpT10_ENKUlT_T0_E_clISt17integral_constantIbLb0EES1D_EEDaS18_S19_EUlS18_E_NS1_11comp_targetILNS1_3genE0ELNS1_11target_archE4294967295ELNS1_3gpuE0ELNS1_3repE0EEENS1_30default_config_static_selectorELNS0_4arch9wavefront6targetE0EEEvT1_
; %bb.0:
	.section	.rodata,"a",@progbits
	.p2align	6, 0x0
	.amdhsa_kernel _ZN7rocprim17ROCPRIM_400000_NS6detail17trampoline_kernelINS0_14default_configENS1_25partition_config_selectorILNS1_17partition_subalgoE9EijbEEZZNS1_14partition_implILS5_9ELb0ES3_jN6thrust23THRUST_200600_302600_NS6detail15normal_iteratorINS9_10device_ptrIiEEEENSB_INSC_IjEEEEPNS0_10empty_typeENS0_5tupleIJNS9_16discard_iteratorINS9_11use_defaultEEESH_EEENSJ_IJSM_SI_EEENS0_18inequality_wrapperINS9_8equal_toIiEEEEPmJSH_EEE10hipError_tPvRmT3_T4_T5_T6_T7_T9_mT8_P12ihipStream_tbDpT10_ENKUlT_T0_E_clISt17integral_constantIbLb0EES1D_EEDaS18_S19_EUlS18_E_NS1_11comp_targetILNS1_3genE0ELNS1_11target_archE4294967295ELNS1_3gpuE0ELNS1_3repE0EEENS1_30default_config_static_selectorELNS0_4arch9wavefront6targetE0EEEvT1_
		.amdhsa_group_segment_fixed_size 0
		.amdhsa_private_segment_fixed_size 0
		.amdhsa_kernarg_size 128
		.amdhsa_user_sgpr_count 15
		.amdhsa_user_sgpr_dispatch_ptr 0
		.amdhsa_user_sgpr_queue_ptr 0
		.amdhsa_user_sgpr_kernarg_segment_ptr 1
		.amdhsa_user_sgpr_dispatch_id 0
		.amdhsa_user_sgpr_private_segment_size 0
		.amdhsa_wavefront_size32 1
		.amdhsa_uses_dynamic_stack 0
		.amdhsa_enable_private_segment 0
		.amdhsa_system_sgpr_workgroup_id_x 1
		.amdhsa_system_sgpr_workgroup_id_y 0
		.amdhsa_system_sgpr_workgroup_id_z 0
		.amdhsa_system_sgpr_workgroup_info 0
		.amdhsa_system_vgpr_workitem_id 0
		.amdhsa_next_free_vgpr 1
		.amdhsa_next_free_sgpr 1
		.amdhsa_reserve_vcc 0
		.amdhsa_float_round_mode_32 0
		.amdhsa_float_round_mode_16_64 0
		.amdhsa_float_denorm_mode_32 3
		.amdhsa_float_denorm_mode_16_64 3
		.amdhsa_dx10_clamp 1
		.amdhsa_ieee_mode 1
		.amdhsa_fp16_overflow 0
		.amdhsa_workgroup_processor_mode 1
		.amdhsa_memory_ordered 1
		.amdhsa_forward_progress 0
		.amdhsa_shared_vgpr_count 0
		.amdhsa_exception_fp_ieee_invalid_op 0
		.amdhsa_exception_fp_denorm_src 0
		.amdhsa_exception_fp_ieee_div_zero 0
		.amdhsa_exception_fp_ieee_overflow 0
		.amdhsa_exception_fp_ieee_underflow 0
		.amdhsa_exception_fp_ieee_inexact 0
		.amdhsa_exception_int_div_zero 0
	.end_amdhsa_kernel
	.section	.text._ZN7rocprim17ROCPRIM_400000_NS6detail17trampoline_kernelINS0_14default_configENS1_25partition_config_selectorILNS1_17partition_subalgoE9EijbEEZZNS1_14partition_implILS5_9ELb0ES3_jN6thrust23THRUST_200600_302600_NS6detail15normal_iteratorINS9_10device_ptrIiEEEENSB_INSC_IjEEEEPNS0_10empty_typeENS0_5tupleIJNS9_16discard_iteratorINS9_11use_defaultEEESH_EEENSJ_IJSM_SI_EEENS0_18inequality_wrapperINS9_8equal_toIiEEEEPmJSH_EEE10hipError_tPvRmT3_T4_T5_T6_T7_T9_mT8_P12ihipStream_tbDpT10_ENKUlT_T0_E_clISt17integral_constantIbLb0EES1D_EEDaS18_S19_EUlS18_E_NS1_11comp_targetILNS1_3genE0ELNS1_11target_archE4294967295ELNS1_3gpuE0ELNS1_3repE0EEENS1_30default_config_static_selectorELNS0_4arch9wavefront6targetE0EEEvT1_,"axG",@progbits,_ZN7rocprim17ROCPRIM_400000_NS6detail17trampoline_kernelINS0_14default_configENS1_25partition_config_selectorILNS1_17partition_subalgoE9EijbEEZZNS1_14partition_implILS5_9ELb0ES3_jN6thrust23THRUST_200600_302600_NS6detail15normal_iteratorINS9_10device_ptrIiEEEENSB_INSC_IjEEEEPNS0_10empty_typeENS0_5tupleIJNS9_16discard_iteratorINS9_11use_defaultEEESH_EEENSJ_IJSM_SI_EEENS0_18inequality_wrapperINS9_8equal_toIiEEEEPmJSH_EEE10hipError_tPvRmT3_T4_T5_T6_T7_T9_mT8_P12ihipStream_tbDpT10_ENKUlT_T0_E_clISt17integral_constantIbLb0EES1D_EEDaS18_S19_EUlS18_E_NS1_11comp_targetILNS1_3genE0ELNS1_11target_archE4294967295ELNS1_3gpuE0ELNS1_3repE0EEENS1_30default_config_static_selectorELNS0_4arch9wavefront6targetE0EEEvT1_,comdat
.Lfunc_end1077:
	.size	_ZN7rocprim17ROCPRIM_400000_NS6detail17trampoline_kernelINS0_14default_configENS1_25partition_config_selectorILNS1_17partition_subalgoE9EijbEEZZNS1_14partition_implILS5_9ELb0ES3_jN6thrust23THRUST_200600_302600_NS6detail15normal_iteratorINS9_10device_ptrIiEEEENSB_INSC_IjEEEEPNS0_10empty_typeENS0_5tupleIJNS9_16discard_iteratorINS9_11use_defaultEEESH_EEENSJ_IJSM_SI_EEENS0_18inequality_wrapperINS9_8equal_toIiEEEEPmJSH_EEE10hipError_tPvRmT3_T4_T5_T6_T7_T9_mT8_P12ihipStream_tbDpT10_ENKUlT_T0_E_clISt17integral_constantIbLb0EES1D_EEDaS18_S19_EUlS18_E_NS1_11comp_targetILNS1_3genE0ELNS1_11target_archE4294967295ELNS1_3gpuE0ELNS1_3repE0EEENS1_30default_config_static_selectorELNS0_4arch9wavefront6targetE0EEEvT1_, .Lfunc_end1077-_ZN7rocprim17ROCPRIM_400000_NS6detail17trampoline_kernelINS0_14default_configENS1_25partition_config_selectorILNS1_17partition_subalgoE9EijbEEZZNS1_14partition_implILS5_9ELb0ES3_jN6thrust23THRUST_200600_302600_NS6detail15normal_iteratorINS9_10device_ptrIiEEEENSB_INSC_IjEEEEPNS0_10empty_typeENS0_5tupleIJNS9_16discard_iteratorINS9_11use_defaultEEESH_EEENSJ_IJSM_SI_EEENS0_18inequality_wrapperINS9_8equal_toIiEEEEPmJSH_EEE10hipError_tPvRmT3_T4_T5_T6_T7_T9_mT8_P12ihipStream_tbDpT10_ENKUlT_T0_E_clISt17integral_constantIbLb0EES1D_EEDaS18_S19_EUlS18_E_NS1_11comp_targetILNS1_3genE0ELNS1_11target_archE4294967295ELNS1_3gpuE0ELNS1_3repE0EEENS1_30default_config_static_selectorELNS0_4arch9wavefront6targetE0EEEvT1_
                                        ; -- End function
	.section	.AMDGPU.csdata,"",@progbits
; Kernel info:
; codeLenInByte = 0
; NumSgprs: 0
; NumVgprs: 0
; ScratchSize: 0
; MemoryBound: 0
; FloatMode: 240
; IeeeMode: 1
; LDSByteSize: 0 bytes/workgroup (compile time only)
; SGPRBlocks: 0
; VGPRBlocks: 0
; NumSGPRsForWavesPerEU: 1
; NumVGPRsForWavesPerEU: 1
; Occupancy: 16
; WaveLimiterHint : 0
; COMPUTE_PGM_RSRC2:SCRATCH_EN: 0
; COMPUTE_PGM_RSRC2:USER_SGPR: 15
; COMPUTE_PGM_RSRC2:TRAP_HANDLER: 0
; COMPUTE_PGM_RSRC2:TGID_X_EN: 1
; COMPUTE_PGM_RSRC2:TGID_Y_EN: 0
; COMPUTE_PGM_RSRC2:TGID_Z_EN: 0
; COMPUTE_PGM_RSRC2:TIDIG_COMP_CNT: 0
	.section	.text._ZN7rocprim17ROCPRIM_400000_NS6detail17trampoline_kernelINS0_14default_configENS1_25partition_config_selectorILNS1_17partition_subalgoE9EijbEEZZNS1_14partition_implILS5_9ELb0ES3_jN6thrust23THRUST_200600_302600_NS6detail15normal_iteratorINS9_10device_ptrIiEEEENSB_INSC_IjEEEEPNS0_10empty_typeENS0_5tupleIJNS9_16discard_iteratorINS9_11use_defaultEEESH_EEENSJ_IJSM_SI_EEENS0_18inequality_wrapperINS9_8equal_toIiEEEEPmJSH_EEE10hipError_tPvRmT3_T4_T5_T6_T7_T9_mT8_P12ihipStream_tbDpT10_ENKUlT_T0_E_clISt17integral_constantIbLb0EES1D_EEDaS18_S19_EUlS18_E_NS1_11comp_targetILNS1_3genE5ELNS1_11target_archE942ELNS1_3gpuE9ELNS1_3repE0EEENS1_30default_config_static_selectorELNS0_4arch9wavefront6targetE0EEEvT1_,"axG",@progbits,_ZN7rocprim17ROCPRIM_400000_NS6detail17trampoline_kernelINS0_14default_configENS1_25partition_config_selectorILNS1_17partition_subalgoE9EijbEEZZNS1_14partition_implILS5_9ELb0ES3_jN6thrust23THRUST_200600_302600_NS6detail15normal_iteratorINS9_10device_ptrIiEEEENSB_INSC_IjEEEEPNS0_10empty_typeENS0_5tupleIJNS9_16discard_iteratorINS9_11use_defaultEEESH_EEENSJ_IJSM_SI_EEENS0_18inequality_wrapperINS9_8equal_toIiEEEEPmJSH_EEE10hipError_tPvRmT3_T4_T5_T6_T7_T9_mT8_P12ihipStream_tbDpT10_ENKUlT_T0_E_clISt17integral_constantIbLb0EES1D_EEDaS18_S19_EUlS18_E_NS1_11comp_targetILNS1_3genE5ELNS1_11target_archE942ELNS1_3gpuE9ELNS1_3repE0EEENS1_30default_config_static_selectorELNS0_4arch9wavefront6targetE0EEEvT1_,comdat
	.protected	_ZN7rocprim17ROCPRIM_400000_NS6detail17trampoline_kernelINS0_14default_configENS1_25partition_config_selectorILNS1_17partition_subalgoE9EijbEEZZNS1_14partition_implILS5_9ELb0ES3_jN6thrust23THRUST_200600_302600_NS6detail15normal_iteratorINS9_10device_ptrIiEEEENSB_INSC_IjEEEEPNS0_10empty_typeENS0_5tupleIJNS9_16discard_iteratorINS9_11use_defaultEEESH_EEENSJ_IJSM_SI_EEENS0_18inequality_wrapperINS9_8equal_toIiEEEEPmJSH_EEE10hipError_tPvRmT3_T4_T5_T6_T7_T9_mT8_P12ihipStream_tbDpT10_ENKUlT_T0_E_clISt17integral_constantIbLb0EES1D_EEDaS18_S19_EUlS18_E_NS1_11comp_targetILNS1_3genE5ELNS1_11target_archE942ELNS1_3gpuE9ELNS1_3repE0EEENS1_30default_config_static_selectorELNS0_4arch9wavefront6targetE0EEEvT1_ ; -- Begin function _ZN7rocprim17ROCPRIM_400000_NS6detail17trampoline_kernelINS0_14default_configENS1_25partition_config_selectorILNS1_17partition_subalgoE9EijbEEZZNS1_14partition_implILS5_9ELb0ES3_jN6thrust23THRUST_200600_302600_NS6detail15normal_iteratorINS9_10device_ptrIiEEEENSB_INSC_IjEEEEPNS0_10empty_typeENS0_5tupleIJNS9_16discard_iteratorINS9_11use_defaultEEESH_EEENSJ_IJSM_SI_EEENS0_18inequality_wrapperINS9_8equal_toIiEEEEPmJSH_EEE10hipError_tPvRmT3_T4_T5_T6_T7_T9_mT8_P12ihipStream_tbDpT10_ENKUlT_T0_E_clISt17integral_constantIbLb0EES1D_EEDaS18_S19_EUlS18_E_NS1_11comp_targetILNS1_3genE5ELNS1_11target_archE942ELNS1_3gpuE9ELNS1_3repE0EEENS1_30default_config_static_selectorELNS0_4arch9wavefront6targetE0EEEvT1_
	.globl	_ZN7rocprim17ROCPRIM_400000_NS6detail17trampoline_kernelINS0_14default_configENS1_25partition_config_selectorILNS1_17partition_subalgoE9EijbEEZZNS1_14partition_implILS5_9ELb0ES3_jN6thrust23THRUST_200600_302600_NS6detail15normal_iteratorINS9_10device_ptrIiEEEENSB_INSC_IjEEEEPNS0_10empty_typeENS0_5tupleIJNS9_16discard_iteratorINS9_11use_defaultEEESH_EEENSJ_IJSM_SI_EEENS0_18inequality_wrapperINS9_8equal_toIiEEEEPmJSH_EEE10hipError_tPvRmT3_T4_T5_T6_T7_T9_mT8_P12ihipStream_tbDpT10_ENKUlT_T0_E_clISt17integral_constantIbLb0EES1D_EEDaS18_S19_EUlS18_E_NS1_11comp_targetILNS1_3genE5ELNS1_11target_archE942ELNS1_3gpuE9ELNS1_3repE0EEENS1_30default_config_static_selectorELNS0_4arch9wavefront6targetE0EEEvT1_
	.p2align	8
	.type	_ZN7rocprim17ROCPRIM_400000_NS6detail17trampoline_kernelINS0_14default_configENS1_25partition_config_selectorILNS1_17partition_subalgoE9EijbEEZZNS1_14partition_implILS5_9ELb0ES3_jN6thrust23THRUST_200600_302600_NS6detail15normal_iteratorINS9_10device_ptrIiEEEENSB_INSC_IjEEEEPNS0_10empty_typeENS0_5tupleIJNS9_16discard_iteratorINS9_11use_defaultEEESH_EEENSJ_IJSM_SI_EEENS0_18inequality_wrapperINS9_8equal_toIiEEEEPmJSH_EEE10hipError_tPvRmT3_T4_T5_T6_T7_T9_mT8_P12ihipStream_tbDpT10_ENKUlT_T0_E_clISt17integral_constantIbLb0EES1D_EEDaS18_S19_EUlS18_E_NS1_11comp_targetILNS1_3genE5ELNS1_11target_archE942ELNS1_3gpuE9ELNS1_3repE0EEENS1_30default_config_static_selectorELNS0_4arch9wavefront6targetE0EEEvT1_,@function
_ZN7rocprim17ROCPRIM_400000_NS6detail17trampoline_kernelINS0_14default_configENS1_25partition_config_selectorILNS1_17partition_subalgoE9EijbEEZZNS1_14partition_implILS5_9ELb0ES3_jN6thrust23THRUST_200600_302600_NS6detail15normal_iteratorINS9_10device_ptrIiEEEENSB_INSC_IjEEEEPNS0_10empty_typeENS0_5tupleIJNS9_16discard_iteratorINS9_11use_defaultEEESH_EEENSJ_IJSM_SI_EEENS0_18inequality_wrapperINS9_8equal_toIiEEEEPmJSH_EEE10hipError_tPvRmT3_T4_T5_T6_T7_T9_mT8_P12ihipStream_tbDpT10_ENKUlT_T0_E_clISt17integral_constantIbLb0EES1D_EEDaS18_S19_EUlS18_E_NS1_11comp_targetILNS1_3genE5ELNS1_11target_archE942ELNS1_3gpuE9ELNS1_3repE0EEENS1_30default_config_static_selectorELNS0_4arch9wavefront6targetE0EEEvT1_: ; @_ZN7rocprim17ROCPRIM_400000_NS6detail17trampoline_kernelINS0_14default_configENS1_25partition_config_selectorILNS1_17partition_subalgoE9EijbEEZZNS1_14partition_implILS5_9ELb0ES3_jN6thrust23THRUST_200600_302600_NS6detail15normal_iteratorINS9_10device_ptrIiEEEENSB_INSC_IjEEEEPNS0_10empty_typeENS0_5tupleIJNS9_16discard_iteratorINS9_11use_defaultEEESH_EEENSJ_IJSM_SI_EEENS0_18inequality_wrapperINS9_8equal_toIiEEEEPmJSH_EEE10hipError_tPvRmT3_T4_T5_T6_T7_T9_mT8_P12ihipStream_tbDpT10_ENKUlT_T0_E_clISt17integral_constantIbLb0EES1D_EEDaS18_S19_EUlS18_E_NS1_11comp_targetILNS1_3genE5ELNS1_11target_archE942ELNS1_3gpuE9ELNS1_3repE0EEENS1_30default_config_static_selectorELNS0_4arch9wavefront6targetE0EEEvT1_
; %bb.0:
	.section	.rodata,"a",@progbits
	.p2align	6, 0x0
	.amdhsa_kernel _ZN7rocprim17ROCPRIM_400000_NS6detail17trampoline_kernelINS0_14default_configENS1_25partition_config_selectorILNS1_17partition_subalgoE9EijbEEZZNS1_14partition_implILS5_9ELb0ES3_jN6thrust23THRUST_200600_302600_NS6detail15normal_iteratorINS9_10device_ptrIiEEEENSB_INSC_IjEEEEPNS0_10empty_typeENS0_5tupleIJNS9_16discard_iteratorINS9_11use_defaultEEESH_EEENSJ_IJSM_SI_EEENS0_18inequality_wrapperINS9_8equal_toIiEEEEPmJSH_EEE10hipError_tPvRmT3_T4_T5_T6_T7_T9_mT8_P12ihipStream_tbDpT10_ENKUlT_T0_E_clISt17integral_constantIbLb0EES1D_EEDaS18_S19_EUlS18_E_NS1_11comp_targetILNS1_3genE5ELNS1_11target_archE942ELNS1_3gpuE9ELNS1_3repE0EEENS1_30default_config_static_selectorELNS0_4arch9wavefront6targetE0EEEvT1_
		.amdhsa_group_segment_fixed_size 0
		.amdhsa_private_segment_fixed_size 0
		.amdhsa_kernarg_size 128
		.amdhsa_user_sgpr_count 15
		.amdhsa_user_sgpr_dispatch_ptr 0
		.amdhsa_user_sgpr_queue_ptr 0
		.amdhsa_user_sgpr_kernarg_segment_ptr 1
		.amdhsa_user_sgpr_dispatch_id 0
		.amdhsa_user_sgpr_private_segment_size 0
		.amdhsa_wavefront_size32 1
		.amdhsa_uses_dynamic_stack 0
		.amdhsa_enable_private_segment 0
		.amdhsa_system_sgpr_workgroup_id_x 1
		.amdhsa_system_sgpr_workgroup_id_y 0
		.amdhsa_system_sgpr_workgroup_id_z 0
		.amdhsa_system_sgpr_workgroup_info 0
		.amdhsa_system_vgpr_workitem_id 0
		.amdhsa_next_free_vgpr 1
		.amdhsa_next_free_sgpr 1
		.amdhsa_reserve_vcc 0
		.amdhsa_float_round_mode_32 0
		.amdhsa_float_round_mode_16_64 0
		.amdhsa_float_denorm_mode_32 3
		.amdhsa_float_denorm_mode_16_64 3
		.amdhsa_dx10_clamp 1
		.amdhsa_ieee_mode 1
		.amdhsa_fp16_overflow 0
		.amdhsa_workgroup_processor_mode 1
		.amdhsa_memory_ordered 1
		.amdhsa_forward_progress 0
		.amdhsa_shared_vgpr_count 0
		.amdhsa_exception_fp_ieee_invalid_op 0
		.amdhsa_exception_fp_denorm_src 0
		.amdhsa_exception_fp_ieee_div_zero 0
		.amdhsa_exception_fp_ieee_overflow 0
		.amdhsa_exception_fp_ieee_underflow 0
		.amdhsa_exception_fp_ieee_inexact 0
		.amdhsa_exception_int_div_zero 0
	.end_amdhsa_kernel
	.section	.text._ZN7rocprim17ROCPRIM_400000_NS6detail17trampoline_kernelINS0_14default_configENS1_25partition_config_selectorILNS1_17partition_subalgoE9EijbEEZZNS1_14partition_implILS5_9ELb0ES3_jN6thrust23THRUST_200600_302600_NS6detail15normal_iteratorINS9_10device_ptrIiEEEENSB_INSC_IjEEEEPNS0_10empty_typeENS0_5tupleIJNS9_16discard_iteratorINS9_11use_defaultEEESH_EEENSJ_IJSM_SI_EEENS0_18inequality_wrapperINS9_8equal_toIiEEEEPmJSH_EEE10hipError_tPvRmT3_T4_T5_T6_T7_T9_mT8_P12ihipStream_tbDpT10_ENKUlT_T0_E_clISt17integral_constantIbLb0EES1D_EEDaS18_S19_EUlS18_E_NS1_11comp_targetILNS1_3genE5ELNS1_11target_archE942ELNS1_3gpuE9ELNS1_3repE0EEENS1_30default_config_static_selectorELNS0_4arch9wavefront6targetE0EEEvT1_,"axG",@progbits,_ZN7rocprim17ROCPRIM_400000_NS6detail17trampoline_kernelINS0_14default_configENS1_25partition_config_selectorILNS1_17partition_subalgoE9EijbEEZZNS1_14partition_implILS5_9ELb0ES3_jN6thrust23THRUST_200600_302600_NS6detail15normal_iteratorINS9_10device_ptrIiEEEENSB_INSC_IjEEEEPNS0_10empty_typeENS0_5tupleIJNS9_16discard_iteratorINS9_11use_defaultEEESH_EEENSJ_IJSM_SI_EEENS0_18inequality_wrapperINS9_8equal_toIiEEEEPmJSH_EEE10hipError_tPvRmT3_T4_T5_T6_T7_T9_mT8_P12ihipStream_tbDpT10_ENKUlT_T0_E_clISt17integral_constantIbLb0EES1D_EEDaS18_S19_EUlS18_E_NS1_11comp_targetILNS1_3genE5ELNS1_11target_archE942ELNS1_3gpuE9ELNS1_3repE0EEENS1_30default_config_static_selectorELNS0_4arch9wavefront6targetE0EEEvT1_,comdat
.Lfunc_end1078:
	.size	_ZN7rocprim17ROCPRIM_400000_NS6detail17trampoline_kernelINS0_14default_configENS1_25partition_config_selectorILNS1_17partition_subalgoE9EijbEEZZNS1_14partition_implILS5_9ELb0ES3_jN6thrust23THRUST_200600_302600_NS6detail15normal_iteratorINS9_10device_ptrIiEEEENSB_INSC_IjEEEEPNS0_10empty_typeENS0_5tupleIJNS9_16discard_iteratorINS9_11use_defaultEEESH_EEENSJ_IJSM_SI_EEENS0_18inequality_wrapperINS9_8equal_toIiEEEEPmJSH_EEE10hipError_tPvRmT3_T4_T5_T6_T7_T9_mT8_P12ihipStream_tbDpT10_ENKUlT_T0_E_clISt17integral_constantIbLb0EES1D_EEDaS18_S19_EUlS18_E_NS1_11comp_targetILNS1_3genE5ELNS1_11target_archE942ELNS1_3gpuE9ELNS1_3repE0EEENS1_30default_config_static_selectorELNS0_4arch9wavefront6targetE0EEEvT1_, .Lfunc_end1078-_ZN7rocprim17ROCPRIM_400000_NS6detail17trampoline_kernelINS0_14default_configENS1_25partition_config_selectorILNS1_17partition_subalgoE9EijbEEZZNS1_14partition_implILS5_9ELb0ES3_jN6thrust23THRUST_200600_302600_NS6detail15normal_iteratorINS9_10device_ptrIiEEEENSB_INSC_IjEEEEPNS0_10empty_typeENS0_5tupleIJNS9_16discard_iteratorINS9_11use_defaultEEESH_EEENSJ_IJSM_SI_EEENS0_18inequality_wrapperINS9_8equal_toIiEEEEPmJSH_EEE10hipError_tPvRmT3_T4_T5_T6_T7_T9_mT8_P12ihipStream_tbDpT10_ENKUlT_T0_E_clISt17integral_constantIbLb0EES1D_EEDaS18_S19_EUlS18_E_NS1_11comp_targetILNS1_3genE5ELNS1_11target_archE942ELNS1_3gpuE9ELNS1_3repE0EEENS1_30default_config_static_selectorELNS0_4arch9wavefront6targetE0EEEvT1_
                                        ; -- End function
	.section	.AMDGPU.csdata,"",@progbits
; Kernel info:
; codeLenInByte = 0
; NumSgprs: 0
; NumVgprs: 0
; ScratchSize: 0
; MemoryBound: 0
; FloatMode: 240
; IeeeMode: 1
; LDSByteSize: 0 bytes/workgroup (compile time only)
; SGPRBlocks: 0
; VGPRBlocks: 0
; NumSGPRsForWavesPerEU: 1
; NumVGPRsForWavesPerEU: 1
; Occupancy: 16
; WaveLimiterHint : 0
; COMPUTE_PGM_RSRC2:SCRATCH_EN: 0
; COMPUTE_PGM_RSRC2:USER_SGPR: 15
; COMPUTE_PGM_RSRC2:TRAP_HANDLER: 0
; COMPUTE_PGM_RSRC2:TGID_X_EN: 1
; COMPUTE_PGM_RSRC2:TGID_Y_EN: 0
; COMPUTE_PGM_RSRC2:TGID_Z_EN: 0
; COMPUTE_PGM_RSRC2:TIDIG_COMP_CNT: 0
	.section	.text._ZN7rocprim17ROCPRIM_400000_NS6detail17trampoline_kernelINS0_14default_configENS1_25partition_config_selectorILNS1_17partition_subalgoE9EijbEEZZNS1_14partition_implILS5_9ELb0ES3_jN6thrust23THRUST_200600_302600_NS6detail15normal_iteratorINS9_10device_ptrIiEEEENSB_INSC_IjEEEEPNS0_10empty_typeENS0_5tupleIJNS9_16discard_iteratorINS9_11use_defaultEEESH_EEENSJ_IJSM_SI_EEENS0_18inequality_wrapperINS9_8equal_toIiEEEEPmJSH_EEE10hipError_tPvRmT3_T4_T5_T6_T7_T9_mT8_P12ihipStream_tbDpT10_ENKUlT_T0_E_clISt17integral_constantIbLb0EES1D_EEDaS18_S19_EUlS18_E_NS1_11comp_targetILNS1_3genE4ELNS1_11target_archE910ELNS1_3gpuE8ELNS1_3repE0EEENS1_30default_config_static_selectorELNS0_4arch9wavefront6targetE0EEEvT1_,"axG",@progbits,_ZN7rocprim17ROCPRIM_400000_NS6detail17trampoline_kernelINS0_14default_configENS1_25partition_config_selectorILNS1_17partition_subalgoE9EijbEEZZNS1_14partition_implILS5_9ELb0ES3_jN6thrust23THRUST_200600_302600_NS6detail15normal_iteratorINS9_10device_ptrIiEEEENSB_INSC_IjEEEEPNS0_10empty_typeENS0_5tupleIJNS9_16discard_iteratorINS9_11use_defaultEEESH_EEENSJ_IJSM_SI_EEENS0_18inequality_wrapperINS9_8equal_toIiEEEEPmJSH_EEE10hipError_tPvRmT3_T4_T5_T6_T7_T9_mT8_P12ihipStream_tbDpT10_ENKUlT_T0_E_clISt17integral_constantIbLb0EES1D_EEDaS18_S19_EUlS18_E_NS1_11comp_targetILNS1_3genE4ELNS1_11target_archE910ELNS1_3gpuE8ELNS1_3repE0EEENS1_30default_config_static_selectorELNS0_4arch9wavefront6targetE0EEEvT1_,comdat
	.protected	_ZN7rocprim17ROCPRIM_400000_NS6detail17trampoline_kernelINS0_14default_configENS1_25partition_config_selectorILNS1_17partition_subalgoE9EijbEEZZNS1_14partition_implILS5_9ELb0ES3_jN6thrust23THRUST_200600_302600_NS6detail15normal_iteratorINS9_10device_ptrIiEEEENSB_INSC_IjEEEEPNS0_10empty_typeENS0_5tupleIJNS9_16discard_iteratorINS9_11use_defaultEEESH_EEENSJ_IJSM_SI_EEENS0_18inequality_wrapperINS9_8equal_toIiEEEEPmJSH_EEE10hipError_tPvRmT3_T4_T5_T6_T7_T9_mT8_P12ihipStream_tbDpT10_ENKUlT_T0_E_clISt17integral_constantIbLb0EES1D_EEDaS18_S19_EUlS18_E_NS1_11comp_targetILNS1_3genE4ELNS1_11target_archE910ELNS1_3gpuE8ELNS1_3repE0EEENS1_30default_config_static_selectorELNS0_4arch9wavefront6targetE0EEEvT1_ ; -- Begin function _ZN7rocprim17ROCPRIM_400000_NS6detail17trampoline_kernelINS0_14default_configENS1_25partition_config_selectorILNS1_17partition_subalgoE9EijbEEZZNS1_14partition_implILS5_9ELb0ES3_jN6thrust23THRUST_200600_302600_NS6detail15normal_iteratorINS9_10device_ptrIiEEEENSB_INSC_IjEEEEPNS0_10empty_typeENS0_5tupleIJNS9_16discard_iteratorINS9_11use_defaultEEESH_EEENSJ_IJSM_SI_EEENS0_18inequality_wrapperINS9_8equal_toIiEEEEPmJSH_EEE10hipError_tPvRmT3_T4_T5_T6_T7_T9_mT8_P12ihipStream_tbDpT10_ENKUlT_T0_E_clISt17integral_constantIbLb0EES1D_EEDaS18_S19_EUlS18_E_NS1_11comp_targetILNS1_3genE4ELNS1_11target_archE910ELNS1_3gpuE8ELNS1_3repE0EEENS1_30default_config_static_selectorELNS0_4arch9wavefront6targetE0EEEvT1_
	.globl	_ZN7rocprim17ROCPRIM_400000_NS6detail17trampoline_kernelINS0_14default_configENS1_25partition_config_selectorILNS1_17partition_subalgoE9EijbEEZZNS1_14partition_implILS5_9ELb0ES3_jN6thrust23THRUST_200600_302600_NS6detail15normal_iteratorINS9_10device_ptrIiEEEENSB_INSC_IjEEEEPNS0_10empty_typeENS0_5tupleIJNS9_16discard_iteratorINS9_11use_defaultEEESH_EEENSJ_IJSM_SI_EEENS0_18inequality_wrapperINS9_8equal_toIiEEEEPmJSH_EEE10hipError_tPvRmT3_T4_T5_T6_T7_T9_mT8_P12ihipStream_tbDpT10_ENKUlT_T0_E_clISt17integral_constantIbLb0EES1D_EEDaS18_S19_EUlS18_E_NS1_11comp_targetILNS1_3genE4ELNS1_11target_archE910ELNS1_3gpuE8ELNS1_3repE0EEENS1_30default_config_static_selectorELNS0_4arch9wavefront6targetE0EEEvT1_
	.p2align	8
	.type	_ZN7rocprim17ROCPRIM_400000_NS6detail17trampoline_kernelINS0_14default_configENS1_25partition_config_selectorILNS1_17partition_subalgoE9EijbEEZZNS1_14partition_implILS5_9ELb0ES3_jN6thrust23THRUST_200600_302600_NS6detail15normal_iteratorINS9_10device_ptrIiEEEENSB_INSC_IjEEEEPNS0_10empty_typeENS0_5tupleIJNS9_16discard_iteratorINS9_11use_defaultEEESH_EEENSJ_IJSM_SI_EEENS0_18inequality_wrapperINS9_8equal_toIiEEEEPmJSH_EEE10hipError_tPvRmT3_T4_T5_T6_T7_T9_mT8_P12ihipStream_tbDpT10_ENKUlT_T0_E_clISt17integral_constantIbLb0EES1D_EEDaS18_S19_EUlS18_E_NS1_11comp_targetILNS1_3genE4ELNS1_11target_archE910ELNS1_3gpuE8ELNS1_3repE0EEENS1_30default_config_static_selectorELNS0_4arch9wavefront6targetE0EEEvT1_,@function
_ZN7rocprim17ROCPRIM_400000_NS6detail17trampoline_kernelINS0_14default_configENS1_25partition_config_selectorILNS1_17partition_subalgoE9EijbEEZZNS1_14partition_implILS5_9ELb0ES3_jN6thrust23THRUST_200600_302600_NS6detail15normal_iteratorINS9_10device_ptrIiEEEENSB_INSC_IjEEEEPNS0_10empty_typeENS0_5tupleIJNS9_16discard_iteratorINS9_11use_defaultEEESH_EEENSJ_IJSM_SI_EEENS0_18inequality_wrapperINS9_8equal_toIiEEEEPmJSH_EEE10hipError_tPvRmT3_T4_T5_T6_T7_T9_mT8_P12ihipStream_tbDpT10_ENKUlT_T0_E_clISt17integral_constantIbLb0EES1D_EEDaS18_S19_EUlS18_E_NS1_11comp_targetILNS1_3genE4ELNS1_11target_archE910ELNS1_3gpuE8ELNS1_3repE0EEENS1_30default_config_static_selectorELNS0_4arch9wavefront6targetE0EEEvT1_: ; @_ZN7rocprim17ROCPRIM_400000_NS6detail17trampoline_kernelINS0_14default_configENS1_25partition_config_selectorILNS1_17partition_subalgoE9EijbEEZZNS1_14partition_implILS5_9ELb0ES3_jN6thrust23THRUST_200600_302600_NS6detail15normal_iteratorINS9_10device_ptrIiEEEENSB_INSC_IjEEEEPNS0_10empty_typeENS0_5tupleIJNS9_16discard_iteratorINS9_11use_defaultEEESH_EEENSJ_IJSM_SI_EEENS0_18inequality_wrapperINS9_8equal_toIiEEEEPmJSH_EEE10hipError_tPvRmT3_T4_T5_T6_T7_T9_mT8_P12ihipStream_tbDpT10_ENKUlT_T0_E_clISt17integral_constantIbLb0EES1D_EEDaS18_S19_EUlS18_E_NS1_11comp_targetILNS1_3genE4ELNS1_11target_archE910ELNS1_3gpuE8ELNS1_3repE0EEENS1_30default_config_static_selectorELNS0_4arch9wavefront6targetE0EEEvT1_
; %bb.0:
	.section	.rodata,"a",@progbits
	.p2align	6, 0x0
	.amdhsa_kernel _ZN7rocprim17ROCPRIM_400000_NS6detail17trampoline_kernelINS0_14default_configENS1_25partition_config_selectorILNS1_17partition_subalgoE9EijbEEZZNS1_14partition_implILS5_9ELb0ES3_jN6thrust23THRUST_200600_302600_NS6detail15normal_iteratorINS9_10device_ptrIiEEEENSB_INSC_IjEEEEPNS0_10empty_typeENS0_5tupleIJNS9_16discard_iteratorINS9_11use_defaultEEESH_EEENSJ_IJSM_SI_EEENS0_18inequality_wrapperINS9_8equal_toIiEEEEPmJSH_EEE10hipError_tPvRmT3_T4_T5_T6_T7_T9_mT8_P12ihipStream_tbDpT10_ENKUlT_T0_E_clISt17integral_constantIbLb0EES1D_EEDaS18_S19_EUlS18_E_NS1_11comp_targetILNS1_3genE4ELNS1_11target_archE910ELNS1_3gpuE8ELNS1_3repE0EEENS1_30default_config_static_selectorELNS0_4arch9wavefront6targetE0EEEvT1_
		.amdhsa_group_segment_fixed_size 0
		.amdhsa_private_segment_fixed_size 0
		.amdhsa_kernarg_size 128
		.amdhsa_user_sgpr_count 15
		.amdhsa_user_sgpr_dispatch_ptr 0
		.amdhsa_user_sgpr_queue_ptr 0
		.amdhsa_user_sgpr_kernarg_segment_ptr 1
		.amdhsa_user_sgpr_dispatch_id 0
		.amdhsa_user_sgpr_private_segment_size 0
		.amdhsa_wavefront_size32 1
		.amdhsa_uses_dynamic_stack 0
		.amdhsa_enable_private_segment 0
		.amdhsa_system_sgpr_workgroup_id_x 1
		.amdhsa_system_sgpr_workgroup_id_y 0
		.amdhsa_system_sgpr_workgroup_id_z 0
		.amdhsa_system_sgpr_workgroup_info 0
		.amdhsa_system_vgpr_workitem_id 0
		.amdhsa_next_free_vgpr 1
		.amdhsa_next_free_sgpr 1
		.amdhsa_reserve_vcc 0
		.amdhsa_float_round_mode_32 0
		.amdhsa_float_round_mode_16_64 0
		.amdhsa_float_denorm_mode_32 3
		.amdhsa_float_denorm_mode_16_64 3
		.amdhsa_dx10_clamp 1
		.amdhsa_ieee_mode 1
		.amdhsa_fp16_overflow 0
		.amdhsa_workgroup_processor_mode 1
		.amdhsa_memory_ordered 1
		.amdhsa_forward_progress 0
		.amdhsa_shared_vgpr_count 0
		.amdhsa_exception_fp_ieee_invalid_op 0
		.amdhsa_exception_fp_denorm_src 0
		.amdhsa_exception_fp_ieee_div_zero 0
		.amdhsa_exception_fp_ieee_overflow 0
		.amdhsa_exception_fp_ieee_underflow 0
		.amdhsa_exception_fp_ieee_inexact 0
		.amdhsa_exception_int_div_zero 0
	.end_amdhsa_kernel
	.section	.text._ZN7rocprim17ROCPRIM_400000_NS6detail17trampoline_kernelINS0_14default_configENS1_25partition_config_selectorILNS1_17partition_subalgoE9EijbEEZZNS1_14partition_implILS5_9ELb0ES3_jN6thrust23THRUST_200600_302600_NS6detail15normal_iteratorINS9_10device_ptrIiEEEENSB_INSC_IjEEEEPNS0_10empty_typeENS0_5tupleIJNS9_16discard_iteratorINS9_11use_defaultEEESH_EEENSJ_IJSM_SI_EEENS0_18inequality_wrapperINS9_8equal_toIiEEEEPmJSH_EEE10hipError_tPvRmT3_T4_T5_T6_T7_T9_mT8_P12ihipStream_tbDpT10_ENKUlT_T0_E_clISt17integral_constantIbLb0EES1D_EEDaS18_S19_EUlS18_E_NS1_11comp_targetILNS1_3genE4ELNS1_11target_archE910ELNS1_3gpuE8ELNS1_3repE0EEENS1_30default_config_static_selectorELNS0_4arch9wavefront6targetE0EEEvT1_,"axG",@progbits,_ZN7rocprim17ROCPRIM_400000_NS6detail17trampoline_kernelINS0_14default_configENS1_25partition_config_selectorILNS1_17partition_subalgoE9EijbEEZZNS1_14partition_implILS5_9ELb0ES3_jN6thrust23THRUST_200600_302600_NS6detail15normal_iteratorINS9_10device_ptrIiEEEENSB_INSC_IjEEEEPNS0_10empty_typeENS0_5tupleIJNS9_16discard_iteratorINS9_11use_defaultEEESH_EEENSJ_IJSM_SI_EEENS0_18inequality_wrapperINS9_8equal_toIiEEEEPmJSH_EEE10hipError_tPvRmT3_T4_T5_T6_T7_T9_mT8_P12ihipStream_tbDpT10_ENKUlT_T0_E_clISt17integral_constantIbLb0EES1D_EEDaS18_S19_EUlS18_E_NS1_11comp_targetILNS1_3genE4ELNS1_11target_archE910ELNS1_3gpuE8ELNS1_3repE0EEENS1_30default_config_static_selectorELNS0_4arch9wavefront6targetE0EEEvT1_,comdat
.Lfunc_end1079:
	.size	_ZN7rocprim17ROCPRIM_400000_NS6detail17trampoline_kernelINS0_14default_configENS1_25partition_config_selectorILNS1_17partition_subalgoE9EijbEEZZNS1_14partition_implILS5_9ELb0ES3_jN6thrust23THRUST_200600_302600_NS6detail15normal_iteratorINS9_10device_ptrIiEEEENSB_INSC_IjEEEEPNS0_10empty_typeENS0_5tupleIJNS9_16discard_iteratorINS9_11use_defaultEEESH_EEENSJ_IJSM_SI_EEENS0_18inequality_wrapperINS9_8equal_toIiEEEEPmJSH_EEE10hipError_tPvRmT3_T4_T5_T6_T7_T9_mT8_P12ihipStream_tbDpT10_ENKUlT_T0_E_clISt17integral_constantIbLb0EES1D_EEDaS18_S19_EUlS18_E_NS1_11comp_targetILNS1_3genE4ELNS1_11target_archE910ELNS1_3gpuE8ELNS1_3repE0EEENS1_30default_config_static_selectorELNS0_4arch9wavefront6targetE0EEEvT1_, .Lfunc_end1079-_ZN7rocprim17ROCPRIM_400000_NS6detail17trampoline_kernelINS0_14default_configENS1_25partition_config_selectorILNS1_17partition_subalgoE9EijbEEZZNS1_14partition_implILS5_9ELb0ES3_jN6thrust23THRUST_200600_302600_NS6detail15normal_iteratorINS9_10device_ptrIiEEEENSB_INSC_IjEEEEPNS0_10empty_typeENS0_5tupleIJNS9_16discard_iteratorINS9_11use_defaultEEESH_EEENSJ_IJSM_SI_EEENS0_18inequality_wrapperINS9_8equal_toIiEEEEPmJSH_EEE10hipError_tPvRmT3_T4_T5_T6_T7_T9_mT8_P12ihipStream_tbDpT10_ENKUlT_T0_E_clISt17integral_constantIbLb0EES1D_EEDaS18_S19_EUlS18_E_NS1_11comp_targetILNS1_3genE4ELNS1_11target_archE910ELNS1_3gpuE8ELNS1_3repE0EEENS1_30default_config_static_selectorELNS0_4arch9wavefront6targetE0EEEvT1_
                                        ; -- End function
	.section	.AMDGPU.csdata,"",@progbits
; Kernel info:
; codeLenInByte = 0
; NumSgprs: 0
; NumVgprs: 0
; ScratchSize: 0
; MemoryBound: 0
; FloatMode: 240
; IeeeMode: 1
; LDSByteSize: 0 bytes/workgroup (compile time only)
; SGPRBlocks: 0
; VGPRBlocks: 0
; NumSGPRsForWavesPerEU: 1
; NumVGPRsForWavesPerEU: 1
; Occupancy: 15
; WaveLimiterHint : 0
; COMPUTE_PGM_RSRC2:SCRATCH_EN: 0
; COMPUTE_PGM_RSRC2:USER_SGPR: 15
; COMPUTE_PGM_RSRC2:TRAP_HANDLER: 0
; COMPUTE_PGM_RSRC2:TGID_X_EN: 1
; COMPUTE_PGM_RSRC2:TGID_Y_EN: 0
; COMPUTE_PGM_RSRC2:TGID_Z_EN: 0
; COMPUTE_PGM_RSRC2:TIDIG_COMP_CNT: 0
	.section	.text._ZN7rocprim17ROCPRIM_400000_NS6detail17trampoline_kernelINS0_14default_configENS1_25partition_config_selectorILNS1_17partition_subalgoE9EijbEEZZNS1_14partition_implILS5_9ELb0ES3_jN6thrust23THRUST_200600_302600_NS6detail15normal_iteratorINS9_10device_ptrIiEEEENSB_INSC_IjEEEEPNS0_10empty_typeENS0_5tupleIJNS9_16discard_iteratorINS9_11use_defaultEEESH_EEENSJ_IJSM_SI_EEENS0_18inequality_wrapperINS9_8equal_toIiEEEEPmJSH_EEE10hipError_tPvRmT3_T4_T5_T6_T7_T9_mT8_P12ihipStream_tbDpT10_ENKUlT_T0_E_clISt17integral_constantIbLb0EES1D_EEDaS18_S19_EUlS18_E_NS1_11comp_targetILNS1_3genE3ELNS1_11target_archE908ELNS1_3gpuE7ELNS1_3repE0EEENS1_30default_config_static_selectorELNS0_4arch9wavefront6targetE0EEEvT1_,"axG",@progbits,_ZN7rocprim17ROCPRIM_400000_NS6detail17trampoline_kernelINS0_14default_configENS1_25partition_config_selectorILNS1_17partition_subalgoE9EijbEEZZNS1_14partition_implILS5_9ELb0ES3_jN6thrust23THRUST_200600_302600_NS6detail15normal_iteratorINS9_10device_ptrIiEEEENSB_INSC_IjEEEEPNS0_10empty_typeENS0_5tupleIJNS9_16discard_iteratorINS9_11use_defaultEEESH_EEENSJ_IJSM_SI_EEENS0_18inequality_wrapperINS9_8equal_toIiEEEEPmJSH_EEE10hipError_tPvRmT3_T4_T5_T6_T7_T9_mT8_P12ihipStream_tbDpT10_ENKUlT_T0_E_clISt17integral_constantIbLb0EES1D_EEDaS18_S19_EUlS18_E_NS1_11comp_targetILNS1_3genE3ELNS1_11target_archE908ELNS1_3gpuE7ELNS1_3repE0EEENS1_30default_config_static_selectorELNS0_4arch9wavefront6targetE0EEEvT1_,comdat
	.protected	_ZN7rocprim17ROCPRIM_400000_NS6detail17trampoline_kernelINS0_14default_configENS1_25partition_config_selectorILNS1_17partition_subalgoE9EijbEEZZNS1_14partition_implILS5_9ELb0ES3_jN6thrust23THRUST_200600_302600_NS6detail15normal_iteratorINS9_10device_ptrIiEEEENSB_INSC_IjEEEEPNS0_10empty_typeENS0_5tupleIJNS9_16discard_iteratorINS9_11use_defaultEEESH_EEENSJ_IJSM_SI_EEENS0_18inequality_wrapperINS9_8equal_toIiEEEEPmJSH_EEE10hipError_tPvRmT3_T4_T5_T6_T7_T9_mT8_P12ihipStream_tbDpT10_ENKUlT_T0_E_clISt17integral_constantIbLb0EES1D_EEDaS18_S19_EUlS18_E_NS1_11comp_targetILNS1_3genE3ELNS1_11target_archE908ELNS1_3gpuE7ELNS1_3repE0EEENS1_30default_config_static_selectorELNS0_4arch9wavefront6targetE0EEEvT1_ ; -- Begin function _ZN7rocprim17ROCPRIM_400000_NS6detail17trampoline_kernelINS0_14default_configENS1_25partition_config_selectorILNS1_17partition_subalgoE9EijbEEZZNS1_14partition_implILS5_9ELb0ES3_jN6thrust23THRUST_200600_302600_NS6detail15normal_iteratorINS9_10device_ptrIiEEEENSB_INSC_IjEEEEPNS0_10empty_typeENS0_5tupleIJNS9_16discard_iteratorINS9_11use_defaultEEESH_EEENSJ_IJSM_SI_EEENS0_18inequality_wrapperINS9_8equal_toIiEEEEPmJSH_EEE10hipError_tPvRmT3_T4_T5_T6_T7_T9_mT8_P12ihipStream_tbDpT10_ENKUlT_T0_E_clISt17integral_constantIbLb0EES1D_EEDaS18_S19_EUlS18_E_NS1_11comp_targetILNS1_3genE3ELNS1_11target_archE908ELNS1_3gpuE7ELNS1_3repE0EEENS1_30default_config_static_selectorELNS0_4arch9wavefront6targetE0EEEvT1_
	.globl	_ZN7rocprim17ROCPRIM_400000_NS6detail17trampoline_kernelINS0_14default_configENS1_25partition_config_selectorILNS1_17partition_subalgoE9EijbEEZZNS1_14partition_implILS5_9ELb0ES3_jN6thrust23THRUST_200600_302600_NS6detail15normal_iteratorINS9_10device_ptrIiEEEENSB_INSC_IjEEEEPNS0_10empty_typeENS0_5tupleIJNS9_16discard_iteratorINS9_11use_defaultEEESH_EEENSJ_IJSM_SI_EEENS0_18inequality_wrapperINS9_8equal_toIiEEEEPmJSH_EEE10hipError_tPvRmT3_T4_T5_T6_T7_T9_mT8_P12ihipStream_tbDpT10_ENKUlT_T0_E_clISt17integral_constantIbLb0EES1D_EEDaS18_S19_EUlS18_E_NS1_11comp_targetILNS1_3genE3ELNS1_11target_archE908ELNS1_3gpuE7ELNS1_3repE0EEENS1_30default_config_static_selectorELNS0_4arch9wavefront6targetE0EEEvT1_
	.p2align	8
	.type	_ZN7rocprim17ROCPRIM_400000_NS6detail17trampoline_kernelINS0_14default_configENS1_25partition_config_selectorILNS1_17partition_subalgoE9EijbEEZZNS1_14partition_implILS5_9ELb0ES3_jN6thrust23THRUST_200600_302600_NS6detail15normal_iteratorINS9_10device_ptrIiEEEENSB_INSC_IjEEEEPNS0_10empty_typeENS0_5tupleIJNS9_16discard_iteratorINS9_11use_defaultEEESH_EEENSJ_IJSM_SI_EEENS0_18inequality_wrapperINS9_8equal_toIiEEEEPmJSH_EEE10hipError_tPvRmT3_T4_T5_T6_T7_T9_mT8_P12ihipStream_tbDpT10_ENKUlT_T0_E_clISt17integral_constantIbLb0EES1D_EEDaS18_S19_EUlS18_E_NS1_11comp_targetILNS1_3genE3ELNS1_11target_archE908ELNS1_3gpuE7ELNS1_3repE0EEENS1_30default_config_static_selectorELNS0_4arch9wavefront6targetE0EEEvT1_,@function
_ZN7rocprim17ROCPRIM_400000_NS6detail17trampoline_kernelINS0_14default_configENS1_25partition_config_selectorILNS1_17partition_subalgoE9EijbEEZZNS1_14partition_implILS5_9ELb0ES3_jN6thrust23THRUST_200600_302600_NS6detail15normal_iteratorINS9_10device_ptrIiEEEENSB_INSC_IjEEEEPNS0_10empty_typeENS0_5tupleIJNS9_16discard_iteratorINS9_11use_defaultEEESH_EEENSJ_IJSM_SI_EEENS0_18inequality_wrapperINS9_8equal_toIiEEEEPmJSH_EEE10hipError_tPvRmT3_T4_T5_T6_T7_T9_mT8_P12ihipStream_tbDpT10_ENKUlT_T0_E_clISt17integral_constantIbLb0EES1D_EEDaS18_S19_EUlS18_E_NS1_11comp_targetILNS1_3genE3ELNS1_11target_archE908ELNS1_3gpuE7ELNS1_3repE0EEENS1_30default_config_static_selectorELNS0_4arch9wavefront6targetE0EEEvT1_: ; @_ZN7rocprim17ROCPRIM_400000_NS6detail17trampoline_kernelINS0_14default_configENS1_25partition_config_selectorILNS1_17partition_subalgoE9EijbEEZZNS1_14partition_implILS5_9ELb0ES3_jN6thrust23THRUST_200600_302600_NS6detail15normal_iteratorINS9_10device_ptrIiEEEENSB_INSC_IjEEEEPNS0_10empty_typeENS0_5tupleIJNS9_16discard_iteratorINS9_11use_defaultEEESH_EEENSJ_IJSM_SI_EEENS0_18inequality_wrapperINS9_8equal_toIiEEEEPmJSH_EEE10hipError_tPvRmT3_T4_T5_T6_T7_T9_mT8_P12ihipStream_tbDpT10_ENKUlT_T0_E_clISt17integral_constantIbLb0EES1D_EEDaS18_S19_EUlS18_E_NS1_11comp_targetILNS1_3genE3ELNS1_11target_archE908ELNS1_3gpuE7ELNS1_3repE0EEENS1_30default_config_static_selectorELNS0_4arch9wavefront6targetE0EEEvT1_
; %bb.0:
	.section	.rodata,"a",@progbits
	.p2align	6, 0x0
	.amdhsa_kernel _ZN7rocprim17ROCPRIM_400000_NS6detail17trampoline_kernelINS0_14default_configENS1_25partition_config_selectorILNS1_17partition_subalgoE9EijbEEZZNS1_14partition_implILS5_9ELb0ES3_jN6thrust23THRUST_200600_302600_NS6detail15normal_iteratorINS9_10device_ptrIiEEEENSB_INSC_IjEEEEPNS0_10empty_typeENS0_5tupleIJNS9_16discard_iteratorINS9_11use_defaultEEESH_EEENSJ_IJSM_SI_EEENS0_18inequality_wrapperINS9_8equal_toIiEEEEPmJSH_EEE10hipError_tPvRmT3_T4_T5_T6_T7_T9_mT8_P12ihipStream_tbDpT10_ENKUlT_T0_E_clISt17integral_constantIbLb0EES1D_EEDaS18_S19_EUlS18_E_NS1_11comp_targetILNS1_3genE3ELNS1_11target_archE908ELNS1_3gpuE7ELNS1_3repE0EEENS1_30default_config_static_selectorELNS0_4arch9wavefront6targetE0EEEvT1_
		.amdhsa_group_segment_fixed_size 0
		.amdhsa_private_segment_fixed_size 0
		.amdhsa_kernarg_size 128
		.amdhsa_user_sgpr_count 15
		.amdhsa_user_sgpr_dispatch_ptr 0
		.amdhsa_user_sgpr_queue_ptr 0
		.amdhsa_user_sgpr_kernarg_segment_ptr 1
		.amdhsa_user_sgpr_dispatch_id 0
		.amdhsa_user_sgpr_private_segment_size 0
		.amdhsa_wavefront_size32 1
		.amdhsa_uses_dynamic_stack 0
		.amdhsa_enable_private_segment 0
		.amdhsa_system_sgpr_workgroup_id_x 1
		.amdhsa_system_sgpr_workgroup_id_y 0
		.amdhsa_system_sgpr_workgroup_id_z 0
		.amdhsa_system_sgpr_workgroup_info 0
		.amdhsa_system_vgpr_workitem_id 0
		.amdhsa_next_free_vgpr 1
		.amdhsa_next_free_sgpr 1
		.amdhsa_reserve_vcc 0
		.amdhsa_float_round_mode_32 0
		.amdhsa_float_round_mode_16_64 0
		.amdhsa_float_denorm_mode_32 3
		.amdhsa_float_denorm_mode_16_64 3
		.amdhsa_dx10_clamp 1
		.amdhsa_ieee_mode 1
		.amdhsa_fp16_overflow 0
		.amdhsa_workgroup_processor_mode 1
		.amdhsa_memory_ordered 1
		.amdhsa_forward_progress 0
		.amdhsa_shared_vgpr_count 0
		.amdhsa_exception_fp_ieee_invalid_op 0
		.amdhsa_exception_fp_denorm_src 0
		.amdhsa_exception_fp_ieee_div_zero 0
		.amdhsa_exception_fp_ieee_overflow 0
		.amdhsa_exception_fp_ieee_underflow 0
		.amdhsa_exception_fp_ieee_inexact 0
		.amdhsa_exception_int_div_zero 0
	.end_amdhsa_kernel
	.section	.text._ZN7rocprim17ROCPRIM_400000_NS6detail17trampoline_kernelINS0_14default_configENS1_25partition_config_selectorILNS1_17partition_subalgoE9EijbEEZZNS1_14partition_implILS5_9ELb0ES3_jN6thrust23THRUST_200600_302600_NS6detail15normal_iteratorINS9_10device_ptrIiEEEENSB_INSC_IjEEEEPNS0_10empty_typeENS0_5tupleIJNS9_16discard_iteratorINS9_11use_defaultEEESH_EEENSJ_IJSM_SI_EEENS0_18inequality_wrapperINS9_8equal_toIiEEEEPmJSH_EEE10hipError_tPvRmT3_T4_T5_T6_T7_T9_mT8_P12ihipStream_tbDpT10_ENKUlT_T0_E_clISt17integral_constantIbLb0EES1D_EEDaS18_S19_EUlS18_E_NS1_11comp_targetILNS1_3genE3ELNS1_11target_archE908ELNS1_3gpuE7ELNS1_3repE0EEENS1_30default_config_static_selectorELNS0_4arch9wavefront6targetE0EEEvT1_,"axG",@progbits,_ZN7rocprim17ROCPRIM_400000_NS6detail17trampoline_kernelINS0_14default_configENS1_25partition_config_selectorILNS1_17partition_subalgoE9EijbEEZZNS1_14partition_implILS5_9ELb0ES3_jN6thrust23THRUST_200600_302600_NS6detail15normal_iteratorINS9_10device_ptrIiEEEENSB_INSC_IjEEEEPNS0_10empty_typeENS0_5tupleIJNS9_16discard_iteratorINS9_11use_defaultEEESH_EEENSJ_IJSM_SI_EEENS0_18inequality_wrapperINS9_8equal_toIiEEEEPmJSH_EEE10hipError_tPvRmT3_T4_T5_T6_T7_T9_mT8_P12ihipStream_tbDpT10_ENKUlT_T0_E_clISt17integral_constantIbLb0EES1D_EEDaS18_S19_EUlS18_E_NS1_11comp_targetILNS1_3genE3ELNS1_11target_archE908ELNS1_3gpuE7ELNS1_3repE0EEENS1_30default_config_static_selectorELNS0_4arch9wavefront6targetE0EEEvT1_,comdat
.Lfunc_end1080:
	.size	_ZN7rocprim17ROCPRIM_400000_NS6detail17trampoline_kernelINS0_14default_configENS1_25partition_config_selectorILNS1_17partition_subalgoE9EijbEEZZNS1_14partition_implILS5_9ELb0ES3_jN6thrust23THRUST_200600_302600_NS6detail15normal_iteratorINS9_10device_ptrIiEEEENSB_INSC_IjEEEEPNS0_10empty_typeENS0_5tupleIJNS9_16discard_iteratorINS9_11use_defaultEEESH_EEENSJ_IJSM_SI_EEENS0_18inequality_wrapperINS9_8equal_toIiEEEEPmJSH_EEE10hipError_tPvRmT3_T4_T5_T6_T7_T9_mT8_P12ihipStream_tbDpT10_ENKUlT_T0_E_clISt17integral_constantIbLb0EES1D_EEDaS18_S19_EUlS18_E_NS1_11comp_targetILNS1_3genE3ELNS1_11target_archE908ELNS1_3gpuE7ELNS1_3repE0EEENS1_30default_config_static_selectorELNS0_4arch9wavefront6targetE0EEEvT1_, .Lfunc_end1080-_ZN7rocprim17ROCPRIM_400000_NS6detail17trampoline_kernelINS0_14default_configENS1_25partition_config_selectorILNS1_17partition_subalgoE9EijbEEZZNS1_14partition_implILS5_9ELb0ES3_jN6thrust23THRUST_200600_302600_NS6detail15normal_iteratorINS9_10device_ptrIiEEEENSB_INSC_IjEEEEPNS0_10empty_typeENS0_5tupleIJNS9_16discard_iteratorINS9_11use_defaultEEESH_EEENSJ_IJSM_SI_EEENS0_18inequality_wrapperINS9_8equal_toIiEEEEPmJSH_EEE10hipError_tPvRmT3_T4_T5_T6_T7_T9_mT8_P12ihipStream_tbDpT10_ENKUlT_T0_E_clISt17integral_constantIbLb0EES1D_EEDaS18_S19_EUlS18_E_NS1_11comp_targetILNS1_3genE3ELNS1_11target_archE908ELNS1_3gpuE7ELNS1_3repE0EEENS1_30default_config_static_selectorELNS0_4arch9wavefront6targetE0EEEvT1_
                                        ; -- End function
	.section	.AMDGPU.csdata,"",@progbits
; Kernel info:
; codeLenInByte = 0
; NumSgprs: 0
; NumVgprs: 0
; ScratchSize: 0
; MemoryBound: 0
; FloatMode: 240
; IeeeMode: 1
; LDSByteSize: 0 bytes/workgroup (compile time only)
; SGPRBlocks: 0
; VGPRBlocks: 0
; NumSGPRsForWavesPerEU: 1
; NumVGPRsForWavesPerEU: 1
; Occupancy: 16
; WaveLimiterHint : 0
; COMPUTE_PGM_RSRC2:SCRATCH_EN: 0
; COMPUTE_PGM_RSRC2:USER_SGPR: 15
; COMPUTE_PGM_RSRC2:TRAP_HANDLER: 0
; COMPUTE_PGM_RSRC2:TGID_X_EN: 1
; COMPUTE_PGM_RSRC2:TGID_Y_EN: 0
; COMPUTE_PGM_RSRC2:TGID_Z_EN: 0
; COMPUTE_PGM_RSRC2:TIDIG_COMP_CNT: 0
	.section	.text._ZN7rocprim17ROCPRIM_400000_NS6detail17trampoline_kernelINS0_14default_configENS1_25partition_config_selectorILNS1_17partition_subalgoE9EijbEEZZNS1_14partition_implILS5_9ELb0ES3_jN6thrust23THRUST_200600_302600_NS6detail15normal_iteratorINS9_10device_ptrIiEEEENSB_INSC_IjEEEEPNS0_10empty_typeENS0_5tupleIJNS9_16discard_iteratorINS9_11use_defaultEEESH_EEENSJ_IJSM_SI_EEENS0_18inequality_wrapperINS9_8equal_toIiEEEEPmJSH_EEE10hipError_tPvRmT3_T4_T5_T6_T7_T9_mT8_P12ihipStream_tbDpT10_ENKUlT_T0_E_clISt17integral_constantIbLb0EES1D_EEDaS18_S19_EUlS18_E_NS1_11comp_targetILNS1_3genE2ELNS1_11target_archE906ELNS1_3gpuE6ELNS1_3repE0EEENS1_30default_config_static_selectorELNS0_4arch9wavefront6targetE0EEEvT1_,"axG",@progbits,_ZN7rocprim17ROCPRIM_400000_NS6detail17trampoline_kernelINS0_14default_configENS1_25partition_config_selectorILNS1_17partition_subalgoE9EijbEEZZNS1_14partition_implILS5_9ELb0ES3_jN6thrust23THRUST_200600_302600_NS6detail15normal_iteratorINS9_10device_ptrIiEEEENSB_INSC_IjEEEEPNS0_10empty_typeENS0_5tupleIJNS9_16discard_iteratorINS9_11use_defaultEEESH_EEENSJ_IJSM_SI_EEENS0_18inequality_wrapperINS9_8equal_toIiEEEEPmJSH_EEE10hipError_tPvRmT3_T4_T5_T6_T7_T9_mT8_P12ihipStream_tbDpT10_ENKUlT_T0_E_clISt17integral_constantIbLb0EES1D_EEDaS18_S19_EUlS18_E_NS1_11comp_targetILNS1_3genE2ELNS1_11target_archE906ELNS1_3gpuE6ELNS1_3repE0EEENS1_30default_config_static_selectorELNS0_4arch9wavefront6targetE0EEEvT1_,comdat
	.protected	_ZN7rocprim17ROCPRIM_400000_NS6detail17trampoline_kernelINS0_14default_configENS1_25partition_config_selectorILNS1_17partition_subalgoE9EijbEEZZNS1_14partition_implILS5_9ELb0ES3_jN6thrust23THRUST_200600_302600_NS6detail15normal_iteratorINS9_10device_ptrIiEEEENSB_INSC_IjEEEEPNS0_10empty_typeENS0_5tupleIJNS9_16discard_iteratorINS9_11use_defaultEEESH_EEENSJ_IJSM_SI_EEENS0_18inequality_wrapperINS9_8equal_toIiEEEEPmJSH_EEE10hipError_tPvRmT3_T4_T5_T6_T7_T9_mT8_P12ihipStream_tbDpT10_ENKUlT_T0_E_clISt17integral_constantIbLb0EES1D_EEDaS18_S19_EUlS18_E_NS1_11comp_targetILNS1_3genE2ELNS1_11target_archE906ELNS1_3gpuE6ELNS1_3repE0EEENS1_30default_config_static_selectorELNS0_4arch9wavefront6targetE0EEEvT1_ ; -- Begin function _ZN7rocprim17ROCPRIM_400000_NS6detail17trampoline_kernelINS0_14default_configENS1_25partition_config_selectorILNS1_17partition_subalgoE9EijbEEZZNS1_14partition_implILS5_9ELb0ES3_jN6thrust23THRUST_200600_302600_NS6detail15normal_iteratorINS9_10device_ptrIiEEEENSB_INSC_IjEEEEPNS0_10empty_typeENS0_5tupleIJNS9_16discard_iteratorINS9_11use_defaultEEESH_EEENSJ_IJSM_SI_EEENS0_18inequality_wrapperINS9_8equal_toIiEEEEPmJSH_EEE10hipError_tPvRmT3_T4_T5_T6_T7_T9_mT8_P12ihipStream_tbDpT10_ENKUlT_T0_E_clISt17integral_constantIbLb0EES1D_EEDaS18_S19_EUlS18_E_NS1_11comp_targetILNS1_3genE2ELNS1_11target_archE906ELNS1_3gpuE6ELNS1_3repE0EEENS1_30default_config_static_selectorELNS0_4arch9wavefront6targetE0EEEvT1_
	.globl	_ZN7rocprim17ROCPRIM_400000_NS6detail17trampoline_kernelINS0_14default_configENS1_25partition_config_selectorILNS1_17partition_subalgoE9EijbEEZZNS1_14partition_implILS5_9ELb0ES3_jN6thrust23THRUST_200600_302600_NS6detail15normal_iteratorINS9_10device_ptrIiEEEENSB_INSC_IjEEEEPNS0_10empty_typeENS0_5tupleIJNS9_16discard_iteratorINS9_11use_defaultEEESH_EEENSJ_IJSM_SI_EEENS0_18inequality_wrapperINS9_8equal_toIiEEEEPmJSH_EEE10hipError_tPvRmT3_T4_T5_T6_T7_T9_mT8_P12ihipStream_tbDpT10_ENKUlT_T0_E_clISt17integral_constantIbLb0EES1D_EEDaS18_S19_EUlS18_E_NS1_11comp_targetILNS1_3genE2ELNS1_11target_archE906ELNS1_3gpuE6ELNS1_3repE0EEENS1_30default_config_static_selectorELNS0_4arch9wavefront6targetE0EEEvT1_
	.p2align	8
	.type	_ZN7rocprim17ROCPRIM_400000_NS6detail17trampoline_kernelINS0_14default_configENS1_25partition_config_selectorILNS1_17partition_subalgoE9EijbEEZZNS1_14partition_implILS5_9ELb0ES3_jN6thrust23THRUST_200600_302600_NS6detail15normal_iteratorINS9_10device_ptrIiEEEENSB_INSC_IjEEEEPNS0_10empty_typeENS0_5tupleIJNS9_16discard_iteratorINS9_11use_defaultEEESH_EEENSJ_IJSM_SI_EEENS0_18inequality_wrapperINS9_8equal_toIiEEEEPmJSH_EEE10hipError_tPvRmT3_T4_T5_T6_T7_T9_mT8_P12ihipStream_tbDpT10_ENKUlT_T0_E_clISt17integral_constantIbLb0EES1D_EEDaS18_S19_EUlS18_E_NS1_11comp_targetILNS1_3genE2ELNS1_11target_archE906ELNS1_3gpuE6ELNS1_3repE0EEENS1_30default_config_static_selectorELNS0_4arch9wavefront6targetE0EEEvT1_,@function
_ZN7rocprim17ROCPRIM_400000_NS6detail17trampoline_kernelINS0_14default_configENS1_25partition_config_selectorILNS1_17partition_subalgoE9EijbEEZZNS1_14partition_implILS5_9ELb0ES3_jN6thrust23THRUST_200600_302600_NS6detail15normal_iteratorINS9_10device_ptrIiEEEENSB_INSC_IjEEEEPNS0_10empty_typeENS0_5tupleIJNS9_16discard_iteratorINS9_11use_defaultEEESH_EEENSJ_IJSM_SI_EEENS0_18inequality_wrapperINS9_8equal_toIiEEEEPmJSH_EEE10hipError_tPvRmT3_T4_T5_T6_T7_T9_mT8_P12ihipStream_tbDpT10_ENKUlT_T0_E_clISt17integral_constantIbLb0EES1D_EEDaS18_S19_EUlS18_E_NS1_11comp_targetILNS1_3genE2ELNS1_11target_archE906ELNS1_3gpuE6ELNS1_3repE0EEENS1_30default_config_static_selectorELNS0_4arch9wavefront6targetE0EEEvT1_: ; @_ZN7rocprim17ROCPRIM_400000_NS6detail17trampoline_kernelINS0_14default_configENS1_25partition_config_selectorILNS1_17partition_subalgoE9EijbEEZZNS1_14partition_implILS5_9ELb0ES3_jN6thrust23THRUST_200600_302600_NS6detail15normal_iteratorINS9_10device_ptrIiEEEENSB_INSC_IjEEEEPNS0_10empty_typeENS0_5tupleIJNS9_16discard_iteratorINS9_11use_defaultEEESH_EEENSJ_IJSM_SI_EEENS0_18inequality_wrapperINS9_8equal_toIiEEEEPmJSH_EEE10hipError_tPvRmT3_T4_T5_T6_T7_T9_mT8_P12ihipStream_tbDpT10_ENKUlT_T0_E_clISt17integral_constantIbLb0EES1D_EEDaS18_S19_EUlS18_E_NS1_11comp_targetILNS1_3genE2ELNS1_11target_archE906ELNS1_3gpuE6ELNS1_3repE0EEENS1_30default_config_static_selectorELNS0_4arch9wavefront6targetE0EEEvT1_
; %bb.0:
	.section	.rodata,"a",@progbits
	.p2align	6, 0x0
	.amdhsa_kernel _ZN7rocprim17ROCPRIM_400000_NS6detail17trampoline_kernelINS0_14default_configENS1_25partition_config_selectorILNS1_17partition_subalgoE9EijbEEZZNS1_14partition_implILS5_9ELb0ES3_jN6thrust23THRUST_200600_302600_NS6detail15normal_iteratorINS9_10device_ptrIiEEEENSB_INSC_IjEEEEPNS0_10empty_typeENS0_5tupleIJNS9_16discard_iteratorINS9_11use_defaultEEESH_EEENSJ_IJSM_SI_EEENS0_18inequality_wrapperINS9_8equal_toIiEEEEPmJSH_EEE10hipError_tPvRmT3_T4_T5_T6_T7_T9_mT8_P12ihipStream_tbDpT10_ENKUlT_T0_E_clISt17integral_constantIbLb0EES1D_EEDaS18_S19_EUlS18_E_NS1_11comp_targetILNS1_3genE2ELNS1_11target_archE906ELNS1_3gpuE6ELNS1_3repE0EEENS1_30default_config_static_selectorELNS0_4arch9wavefront6targetE0EEEvT1_
		.amdhsa_group_segment_fixed_size 0
		.amdhsa_private_segment_fixed_size 0
		.amdhsa_kernarg_size 128
		.amdhsa_user_sgpr_count 15
		.amdhsa_user_sgpr_dispatch_ptr 0
		.amdhsa_user_sgpr_queue_ptr 0
		.amdhsa_user_sgpr_kernarg_segment_ptr 1
		.amdhsa_user_sgpr_dispatch_id 0
		.amdhsa_user_sgpr_private_segment_size 0
		.amdhsa_wavefront_size32 1
		.amdhsa_uses_dynamic_stack 0
		.amdhsa_enable_private_segment 0
		.amdhsa_system_sgpr_workgroup_id_x 1
		.amdhsa_system_sgpr_workgroup_id_y 0
		.amdhsa_system_sgpr_workgroup_id_z 0
		.amdhsa_system_sgpr_workgroup_info 0
		.amdhsa_system_vgpr_workitem_id 0
		.amdhsa_next_free_vgpr 1
		.amdhsa_next_free_sgpr 1
		.amdhsa_reserve_vcc 0
		.amdhsa_float_round_mode_32 0
		.amdhsa_float_round_mode_16_64 0
		.amdhsa_float_denorm_mode_32 3
		.amdhsa_float_denorm_mode_16_64 3
		.amdhsa_dx10_clamp 1
		.amdhsa_ieee_mode 1
		.amdhsa_fp16_overflow 0
		.amdhsa_workgroup_processor_mode 1
		.amdhsa_memory_ordered 1
		.amdhsa_forward_progress 0
		.amdhsa_shared_vgpr_count 0
		.amdhsa_exception_fp_ieee_invalid_op 0
		.amdhsa_exception_fp_denorm_src 0
		.amdhsa_exception_fp_ieee_div_zero 0
		.amdhsa_exception_fp_ieee_overflow 0
		.amdhsa_exception_fp_ieee_underflow 0
		.amdhsa_exception_fp_ieee_inexact 0
		.amdhsa_exception_int_div_zero 0
	.end_amdhsa_kernel
	.section	.text._ZN7rocprim17ROCPRIM_400000_NS6detail17trampoline_kernelINS0_14default_configENS1_25partition_config_selectorILNS1_17partition_subalgoE9EijbEEZZNS1_14partition_implILS5_9ELb0ES3_jN6thrust23THRUST_200600_302600_NS6detail15normal_iteratorINS9_10device_ptrIiEEEENSB_INSC_IjEEEEPNS0_10empty_typeENS0_5tupleIJNS9_16discard_iteratorINS9_11use_defaultEEESH_EEENSJ_IJSM_SI_EEENS0_18inequality_wrapperINS9_8equal_toIiEEEEPmJSH_EEE10hipError_tPvRmT3_T4_T5_T6_T7_T9_mT8_P12ihipStream_tbDpT10_ENKUlT_T0_E_clISt17integral_constantIbLb0EES1D_EEDaS18_S19_EUlS18_E_NS1_11comp_targetILNS1_3genE2ELNS1_11target_archE906ELNS1_3gpuE6ELNS1_3repE0EEENS1_30default_config_static_selectorELNS0_4arch9wavefront6targetE0EEEvT1_,"axG",@progbits,_ZN7rocprim17ROCPRIM_400000_NS6detail17trampoline_kernelINS0_14default_configENS1_25partition_config_selectorILNS1_17partition_subalgoE9EijbEEZZNS1_14partition_implILS5_9ELb0ES3_jN6thrust23THRUST_200600_302600_NS6detail15normal_iteratorINS9_10device_ptrIiEEEENSB_INSC_IjEEEEPNS0_10empty_typeENS0_5tupleIJNS9_16discard_iteratorINS9_11use_defaultEEESH_EEENSJ_IJSM_SI_EEENS0_18inequality_wrapperINS9_8equal_toIiEEEEPmJSH_EEE10hipError_tPvRmT3_T4_T5_T6_T7_T9_mT8_P12ihipStream_tbDpT10_ENKUlT_T0_E_clISt17integral_constantIbLb0EES1D_EEDaS18_S19_EUlS18_E_NS1_11comp_targetILNS1_3genE2ELNS1_11target_archE906ELNS1_3gpuE6ELNS1_3repE0EEENS1_30default_config_static_selectorELNS0_4arch9wavefront6targetE0EEEvT1_,comdat
.Lfunc_end1081:
	.size	_ZN7rocprim17ROCPRIM_400000_NS6detail17trampoline_kernelINS0_14default_configENS1_25partition_config_selectorILNS1_17partition_subalgoE9EijbEEZZNS1_14partition_implILS5_9ELb0ES3_jN6thrust23THRUST_200600_302600_NS6detail15normal_iteratorINS9_10device_ptrIiEEEENSB_INSC_IjEEEEPNS0_10empty_typeENS0_5tupleIJNS9_16discard_iteratorINS9_11use_defaultEEESH_EEENSJ_IJSM_SI_EEENS0_18inequality_wrapperINS9_8equal_toIiEEEEPmJSH_EEE10hipError_tPvRmT3_T4_T5_T6_T7_T9_mT8_P12ihipStream_tbDpT10_ENKUlT_T0_E_clISt17integral_constantIbLb0EES1D_EEDaS18_S19_EUlS18_E_NS1_11comp_targetILNS1_3genE2ELNS1_11target_archE906ELNS1_3gpuE6ELNS1_3repE0EEENS1_30default_config_static_selectorELNS0_4arch9wavefront6targetE0EEEvT1_, .Lfunc_end1081-_ZN7rocprim17ROCPRIM_400000_NS6detail17trampoline_kernelINS0_14default_configENS1_25partition_config_selectorILNS1_17partition_subalgoE9EijbEEZZNS1_14partition_implILS5_9ELb0ES3_jN6thrust23THRUST_200600_302600_NS6detail15normal_iteratorINS9_10device_ptrIiEEEENSB_INSC_IjEEEEPNS0_10empty_typeENS0_5tupleIJNS9_16discard_iteratorINS9_11use_defaultEEESH_EEENSJ_IJSM_SI_EEENS0_18inequality_wrapperINS9_8equal_toIiEEEEPmJSH_EEE10hipError_tPvRmT3_T4_T5_T6_T7_T9_mT8_P12ihipStream_tbDpT10_ENKUlT_T0_E_clISt17integral_constantIbLb0EES1D_EEDaS18_S19_EUlS18_E_NS1_11comp_targetILNS1_3genE2ELNS1_11target_archE906ELNS1_3gpuE6ELNS1_3repE0EEENS1_30default_config_static_selectorELNS0_4arch9wavefront6targetE0EEEvT1_
                                        ; -- End function
	.section	.AMDGPU.csdata,"",@progbits
; Kernel info:
; codeLenInByte = 0
; NumSgprs: 0
; NumVgprs: 0
; ScratchSize: 0
; MemoryBound: 0
; FloatMode: 240
; IeeeMode: 1
; LDSByteSize: 0 bytes/workgroup (compile time only)
; SGPRBlocks: 0
; VGPRBlocks: 0
; NumSGPRsForWavesPerEU: 1
; NumVGPRsForWavesPerEU: 1
; Occupancy: 16
; WaveLimiterHint : 0
; COMPUTE_PGM_RSRC2:SCRATCH_EN: 0
; COMPUTE_PGM_RSRC2:USER_SGPR: 15
; COMPUTE_PGM_RSRC2:TRAP_HANDLER: 0
; COMPUTE_PGM_RSRC2:TGID_X_EN: 1
; COMPUTE_PGM_RSRC2:TGID_Y_EN: 0
; COMPUTE_PGM_RSRC2:TGID_Z_EN: 0
; COMPUTE_PGM_RSRC2:TIDIG_COMP_CNT: 0
	.section	.text._ZN7rocprim17ROCPRIM_400000_NS6detail17trampoline_kernelINS0_14default_configENS1_25partition_config_selectorILNS1_17partition_subalgoE9EijbEEZZNS1_14partition_implILS5_9ELb0ES3_jN6thrust23THRUST_200600_302600_NS6detail15normal_iteratorINS9_10device_ptrIiEEEENSB_INSC_IjEEEEPNS0_10empty_typeENS0_5tupleIJNS9_16discard_iteratorINS9_11use_defaultEEESH_EEENSJ_IJSM_SI_EEENS0_18inequality_wrapperINS9_8equal_toIiEEEEPmJSH_EEE10hipError_tPvRmT3_T4_T5_T6_T7_T9_mT8_P12ihipStream_tbDpT10_ENKUlT_T0_E_clISt17integral_constantIbLb0EES1D_EEDaS18_S19_EUlS18_E_NS1_11comp_targetILNS1_3genE10ELNS1_11target_archE1200ELNS1_3gpuE4ELNS1_3repE0EEENS1_30default_config_static_selectorELNS0_4arch9wavefront6targetE0EEEvT1_,"axG",@progbits,_ZN7rocprim17ROCPRIM_400000_NS6detail17trampoline_kernelINS0_14default_configENS1_25partition_config_selectorILNS1_17partition_subalgoE9EijbEEZZNS1_14partition_implILS5_9ELb0ES3_jN6thrust23THRUST_200600_302600_NS6detail15normal_iteratorINS9_10device_ptrIiEEEENSB_INSC_IjEEEEPNS0_10empty_typeENS0_5tupleIJNS9_16discard_iteratorINS9_11use_defaultEEESH_EEENSJ_IJSM_SI_EEENS0_18inequality_wrapperINS9_8equal_toIiEEEEPmJSH_EEE10hipError_tPvRmT3_T4_T5_T6_T7_T9_mT8_P12ihipStream_tbDpT10_ENKUlT_T0_E_clISt17integral_constantIbLb0EES1D_EEDaS18_S19_EUlS18_E_NS1_11comp_targetILNS1_3genE10ELNS1_11target_archE1200ELNS1_3gpuE4ELNS1_3repE0EEENS1_30default_config_static_selectorELNS0_4arch9wavefront6targetE0EEEvT1_,comdat
	.protected	_ZN7rocprim17ROCPRIM_400000_NS6detail17trampoline_kernelINS0_14default_configENS1_25partition_config_selectorILNS1_17partition_subalgoE9EijbEEZZNS1_14partition_implILS5_9ELb0ES3_jN6thrust23THRUST_200600_302600_NS6detail15normal_iteratorINS9_10device_ptrIiEEEENSB_INSC_IjEEEEPNS0_10empty_typeENS0_5tupleIJNS9_16discard_iteratorINS9_11use_defaultEEESH_EEENSJ_IJSM_SI_EEENS0_18inequality_wrapperINS9_8equal_toIiEEEEPmJSH_EEE10hipError_tPvRmT3_T4_T5_T6_T7_T9_mT8_P12ihipStream_tbDpT10_ENKUlT_T0_E_clISt17integral_constantIbLb0EES1D_EEDaS18_S19_EUlS18_E_NS1_11comp_targetILNS1_3genE10ELNS1_11target_archE1200ELNS1_3gpuE4ELNS1_3repE0EEENS1_30default_config_static_selectorELNS0_4arch9wavefront6targetE0EEEvT1_ ; -- Begin function _ZN7rocprim17ROCPRIM_400000_NS6detail17trampoline_kernelINS0_14default_configENS1_25partition_config_selectorILNS1_17partition_subalgoE9EijbEEZZNS1_14partition_implILS5_9ELb0ES3_jN6thrust23THRUST_200600_302600_NS6detail15normal_iteratorINS9_10device_ptrIiEEEENSB_INSC_IjEEEEPNS0_10empty_typeENS0_5tupleIJNS9_16discard_iteratorINS9_11use_defaultEEESH_EEENSJ_IJSM_SI_EEENS0_18inequality_wrapperINS9_8equal_toIiEEEEPmJSH_EEE10hipError_tPvRmT3_T4_T5_T6_T7_T9_mT8_P12ihipStream_tbDpT10_ENKUlT_T0_E_clISt17integral_constantIbLb0EES1D_EEDaS18_S19_EUlS18_E_NS1_11comp_targetILNS1_3genE10ELNS1_11target_archE1200ELNS1_3gpuE4ELNS1_3repE0EEENS1_30default_config_static_selectorELNS0_4arch9wavefront6targetE0EEEvT1_
	.globl	_ZN7rocprim17ROCPRIM_400000_NS6detail17trampoline_kernelINS0_14default_configENS1_25partition_config_selectorILNS1_17partition_subalgoE9EijbEEZZNS1_14partition_implILS5_9ELb0ES3_jN6thrust23THRUST_200600_302600_NS6detail15normal_iteratorINS9_10device_ptrIiEEEENSB_INSC_IjEEEEPNS0_10empty_typeENS0_5tupleIJNS9_16discard_iteratorINS9_11use_defaultEEESH_EEENSJ_IJSM_SI_EEENS0_18inequality_wrapperINS9_8equal_toIiEEEEPmJSH_EEE10hipError_tPvRmT3_T4_T5_T6_T7_T9_mT8_P12ihipStream_tbDpT10_ENKUlT_T0_E_clISt17integral_constantIbLb0EES1D_EEDaS18_S19_EUlS18_E_NS1_11comp_targetILNS1_3genE10ELNS1_11target_archE1200ELNS1_3gpuE4ELNS1_3repE0EEENS1_30default_config_static_selectorELNS0_4arch9wavefront6targetE0EEEvT1_
	.p2align	8
	.type	_ZN7rocprim17ROCPRIM_400000_NS6detail17trampoline_kernelINS0_14default_configENS1_25partition_config_selectorILNS1_17partition_subalgoE9EijbEEZZNS1_14partition_implILS5_9ELb0ES3_jN6thrust23THRUST_200600_302600_NS6detail15normal_iteratorINS9_10device_ptrIiEEEENSB_INSC_IjEEEEPNS0_10empty_typeENS0_5tupleIJNS9_16discard_iteratorINS9_11use_defaultEEESH_EEENSJ_IJSM_SI_EEENS0_18inequality_wrapperINS9_8equal_toIiEEEEPmJSH_EEE10hipError_tPvRmT3_T4_T5_T6_T7_T9_mT8_P12ihipStream_tbDpT10_ENKUlT_T0_E_clISt17integral_constantIbLb0EES1D_EEDaS18_S19_EUlS18_E_NS1_11comp_targetILNS1_3genE10ELNS1_11target_archE1200ELNS1_3gpuE4ELNS1_3repE0EEENS1_30default_config_static_selectorELNS0_4arch9wavefront6targetE0EEEvT1_,@function
_ZN7rocprim17ROCPRIM_400000_NS6detail17trampoline_kernelINS0_14default_configENS1_25partition_config_selectorILNS1_17partition_subalgoE9EijbEEZZNS1_14partition_implILS5_9ELb0ES3_jN6thrust23THRUST_200600_302600_NS6detail15normal_iteratorINS9_10device_ptrIiEEEENSB_INSC_IjEEEEPNS0_10empty_typeENS0_5tupleIJNS9_16discard_iteratorINS9_11use_defaultEEESH_EEENSJ_IJSM_SI_EEENS0_18inequality_wrapperINS9_8equal_toIiEEEEPmJSH_EEE10hipError_tPvRmT3_T4_T5_T6_T7_T9_mT8_P12ihipStream_tbDpT10_ENKUlT_T0_E_clISt17integral_constantIbLb0EES1D_EEDaS18_S19_EUlS18_E_NS1_11comp_targetILNS1_3genE10ELNS1_11target_archE1200ELNS1_3gpuE4ELNS1_3repE0EEENS1_30default_config_static_selectorELNS0_4arch9wavefront6targetE0EEEvT1_: ; @_ZN7rocprim17ROCPRIM_400000_NS6detail17trampoline_kernelINS0_14default_configENS1_25partition_config_selectorILNS1_17partition_subalgoE9EijbEEZZNS1_14partition_implILS5_9ELb0ES3_jN6thrust23THRUST_200600_302600_NS6detail15normal_iteratorINS9_10device_ptrIiEEEENSB_INSC_IjEEEEPNS0_10empty_typeENS0_5tupleIJNS9_16discard_iteratorINS9_11use_defaultEEESH_EEENSJ_IJSM_SI_EEENS0_18inequality_wrapperINS9_8equal_toIiEEEEPmJSH_EEE10hipError_tPvRmT3_T4_T5_T6_T7_T9_mT8_P12ihipStream_tbDpT10_ENKUlT_T0_E_clISt17integral_constantIbLb0EES1D_EEDaS18_S19_EUlS18_E_NS1_11comp_targetILNS1_3genE10ELNS1_11target_archE1200ELNS1_3gpuE4ELNS1_3repE0EEENS1_30default_config_static_selectorELNS0_4arch9wavefront6targetE0EEEvT1_
; %bb.0:
	.section	.rodata,"a",@progbits
	.p2align	6, 0x0
	.amdhsa_kernel _ZN7rocprim17ROCPRIM_400000_NS6detail17trampoline_kernelINS0_14default_configENS1_25partition_config_selectorILNS1_17partition_subalgoE9EijbEEZZNS1_14partition_implILS5_9ELb0ES3_jN6thrust23THRUST_200600_302600_NS6detail15normal_iteratorINS9_10device_ptrIiEEEENSB_INSC_IjEEEEPNS0_10empty_typeENS0_5tupleIJNS9_16discard_iteratorINS9_11use_defaultEEESH_EEENSJ_IJSM_SI_EEENS0_18inequality_wrapperINS9_8equal_toIiEEEEPmJSH_EEE10hipError_tPvRmT3_T4_T5_T6_T7_T9_mT8_P12ihipStream_tbDpT10_ENKUlT_T0_E_clISt17integral_constantIbLb0EES1D_EEDaS18_S19_EUlS18_E_NS1_11comp_targetILNS1_3genE10ELNS1_11target_archE1200ELNS1_3gpuE4ELNS1_3repE0EEENS1_30default_config_static_selectorELNS0_4arch9wavefront6targetE0EEEvT1_
		.amdhsa_group_segment_fixed_size 0
		.amdhsa_private_segment_fixed_size 0
		.amdhsa_kernarg_size 128
		.amdhsa_user_sgpr_count 15
		.amdhsa_user_sgpr_dispatch_ptr 0
		.amdhsa_user_sgpr_queue_ptr 0
		.amdhsa_user_sgpr_kernarg_segment_ptr 1
		.amdhsa_user_sgpr_dispatch_id 0
		.amdhsa_user_sgpr_private_segment_size 0
		.amdhsa_wavefront_size32 1
		.amdhsa_uses_dynamic_stack 0
		.amdhsa_enable_private_segment 0
		.amdhsa_system_sgpr_workgroup_id_x 1
		.amdhsa_system_sgpr_workgroup_id_y 0
		.amdhsa_system_sgpr_workgroup_id_z 0
		.amdhsa_system_sgpr_workgroup_info 0
		.amdhsa_system_vgpr_workitem_id 0
		.amdhsa_next_free_vgpr 1
		.amdhsa_next_free_sgpr 1
		.amdhsa_reserve_vcc 0
		.amdhsa_float_round_mode_32 0
		.amdhsa_float_round_mode_16_64 0
		.amdhsa_float_denorm_mode_32 3
		.amdhsa_float_denorm_mode_16_64 3
		.amdhsa_dx10_clamp 1
		.amdhsa_ieee_mode 1
		.amdhsa_fp16_overflow 0
		.amdhsa_workgroup_processor_mode 1
		.amdhsa_memory_ordered 1
		.amdhsa_forward_progress 0
		.amdhsa_shared_vgpr_count 0
		.amdhsa_exception_fp_ieee_invalid_op 0
		.amdhsa_exception_fp_denorm_src 0
		.amdhsa_exception_fp_ieee_div_zero 0
		.amdhsa_exception_fp_ieee_overflow 0
		.amdhsa_exception_fp_ieee_underflow 0
		.amdhsa_exception_fp_ieee_inexact 0
		.amdhsa_exception_int_div_zero 0
	.end_amdhsa_kernel
	.section	.text._ZN7rocprim17ROCPRIM_400000_NS6detail17trampoline_kernelINS0_14default_configENS1_25partition_config_selectorILNS1_17partition_subalgoE9EijbEEZZNS1_14partition_implILS5_9ELb0ES3_jN6thrust23THRUST_200600_302600_NS6detail15normal_iteratorINS9_10device_ptrIiEEEENSB_INSC_IjEEEEPNS0_10empty_typeENS0_5tupleIJNS9_16discard_iteratorINS9_11use_defaultEEESH_EEENSJ_IJSM_SI_EEENS0_18inequality_wrapperINS9_8equal_toIiEEEEPmJSH_EEE10hipError_tPvRmT3_T4_T5_T6_T7_T9_mT8_P12ihipStream_tbDpT10_ENKUlT_T0_E_clISt17integral_constantIbLb0EES1D_EEDaS18_S19_EUlS18_E_NS1_11comp_targetILNS1_3genE10ELNS1_11target_archE1200ELNS1_3gpuE4ELNS1_3repE0EEENS1_30default_config_static_selectorELNS0_4arch9wavefront6targetE0EEEvT1_,"axG",@progbits,_ZN7rocprim17ROCPRIM_400000_NS6detail17trampoline_kernelINS0_14default_configENS1_25partition_config_selectorILNS1_17partition_subalgoE9EijbEEZZNS1_14partition_implILS5_9ELb0ES3_jN6thrust23THRUST_200600_302600_NS6detail15normal_iteratorINS9_10device_ptrIiEEEENSB_INSC_IjEEEEPNS0_10empty_typeENS0_5tupleIJNS9_16discard_iteratorINS9_11use_defaultEEESH_EEENSJ_IJSM_SI_EEENS0_18inequality_wrapperINS9_8equal_toIiEEEEPmJSH_EEE10hipError_tPvRmT3_T4_T5_T6_T7_T9_mT8_P12ihipStream_tbDpT10_ENKUlT_T0_E_clISt17integral_constantIbLb0EES1D_EEDaS18_S19_EUlS18_E_NS1_11comp_targetILNS1_3genE10ELNS1_11target_archE1200ELNS1_3gpuE4ELNS1_3repE0EEENS1_30default_config_static_selectorELNS0_4arch9wavefront6targetE0EEEvT1_,comdat
.Lfunc_end1082:
	.size	_ZN7rocprim17ROCPRIM_400000_NS6detail17trampoline_kernelINS0_14default_configENS1_25partition_config_selectorILNS1_17partition_subalgoE9EijbEEZZNS1_14partition_implILS5_9ELb0ES3_jN6thrust23THRUST_200600_302600_NS6detail15normal_iteratorINS9_10device_ptrIiEEEENSB_INSC_IjEEEEPNS0_10empty_typeENS0_5tupleIJNS9_16discard_iteratorINS9_11use_defaultEEESH_EEENSJ_IJSM_SI_EEENS0_18inequality_wrapperINS9_8equal_toIiEEEEPmJSH_EEE10hipError_tPvRmT3_T4_T5_T6_T7_T9_mT8_P12ihipStream_tbDpT10_ENKUlT_T0_E_clISt17integral_constantIbLb0EES1D_EEDaS18_S19_EUlS18_E_NS1_11comp_targetILNS1_3genE10ELNS1_11target_archE1200ELNS1_3gpuE4ELNS1_3repE0EEENS1_30default_config_static_selectorELNS0_4arch9wavefront6targetE0EEEvT1_, .Lfunc_end1082-_ZN7rocprim17ROCPRIM_400000_NS6detail17trampoline_kernelINS0_14default_configENS1_25partition_config_selectorILNS1_17partition_subalgoE9EijbEEZZNS1_14partition_implILS5_9ELb0ES3_jN6thrust23THRUST_200600_302600_NS6detail15normal_iteratorINS9_10device_ptrIiEEEENSB_INSC_IjEEEEPNS0_10empty_typeENS0_5tupleIJNS9_16discard_iteratorINS9_11use_defaultEEESH_EEENSJ_IJSM_SI_EEENS0_18inequality_wrapperINS9_8equal_toIiEEEEPmJSH_EEE10hipError_tPvRmT3_T4_T5_T6_T7_T9_mT8_P12ihipStream_tbDpT10_ENKUlT_T0_E_clISt17integral_constantIbLb0EES1D_EEDaS18_S19_EUlS18_E_NS1_11comp_targetILNS1_3genE10ELNS1_11target_archE1200ELNS1_3gpuE4ELNS1_3repE0EEENS1_30default_config_static_selectorELNS0_4arch9wavefront6targetE0EEEvT1_
                                        ; -- End function
	.section	.AMDGPU.csdata,"",@progbits
; Kernel info:
; codeLenInByte = 0
; NumSgprs: 0
; NumVgprs: 0
; ScratchSize: 0
; MemoryBound: 0
; FloatMode: 240
; IeeeMode: 1
; LDSByteSize: 0 bytes/workgroup (compile time only)
; SGPRBlocks: 0
; VGPRBlocks: 0
; NumSGPRsForWavesPerEU: 1
; NumVGPRsForWavesPerEU: 1
; Occupancy: 15
; WaveLimiterHint : 0
; COMPUTE_PGM_RSRC2:SCRATCH_EN: 0
; COMPUTE_PGM_RSRC2:USER_SGPR: 15
; COMPUTE_PGM_RSRC2:TRAP_HANDLER: 0
; COMPUTE_PGM_RSRC2:TGID_X_EN: 1
; COMPUTE_PGM_RSRC2:TGID_Y_EN: 0
; COMPUTE_PGM_RSRC2:TGID_Z_EN: 0
; COMPUTE_PGM_RSRC2:TIDIG_COMP_CNT: 0
	.section	.text._ZN7rocprim17ROCPRIM_400000_NS6detail17trampoline_kernelINS0_14default_configENS1_25partition_config_selectorILNS1_17partition_subalgoE9EijbEEZZNS1_14partition_implILS5_9ELb0ES3_jN6thrust23THRUST_200600_302600_NS6detail15normal_iteratorINS9_10device_ptrIiEEEENSB_INSC_IjEEEEPNS0_10empty_typeENS0_5tupleIJNS9_16discard_iteratorINS9_11use_defaultEEESH_EEENSJ_IJSM_SI_EEENS0_18inequality_wrapperINS9_8equal_toIiEEEEPmJSH_EEE10hipError_tPvRmT3_T4_T5_T6_T7_T9_mT8_P12ihipStream_tbDpT10_ENKUlT_T0_E_clISt17integral_constantIbLb0EES1D_EEDaS18_S19_EUlS18_E_NS1_11comp_targetILNS1_3genE9ELNS1_11target_archE1100ELNS1_3gpuE3ELNS1_3repE0EEENS1_30default_config_static_selectorELNS0_4arch9wavefront6targetE0EEEvT1_,"axG",@progbits,_ZN7rocprim17ROCPRIM_400000_NS6detail17trampoline_kernelINS0_14default_configENS1_25partition_config_selectorILNS1_17partition_subalgoE9EijbEEZZNS1_14partition_implILS5_9ELb0ES3_jN6thrust23THRUST_200600_302600_NS6detail15normal_iteratorINS9_10device_ptrIiEEEENSB_INSC_IjEEEEPNS0_10empty_typeENS0_5tupleIJNS9_16discard_iteratorINS9_11use_defaultEEESH_EEENSJ_IJSM_SI_EEENS0_18inequality_wrapperINS9_8equal_toIiEEEEPmJSH_EEE10hipError_tPvRmT3_T4_T5_T6_T7_T9_mT8_P12ihipStream_tbDpT10_ENKUlT_T0_E_clISt17integral_constantIbLb0EES1D_EEDaS18_S19_EUlS18_E_NS1_11comp_targetILNS1_3genE9ELNS1_11target_archE1100ELNS1_3gpuE3ELNS1_3repE0EEENS1_30default_config_static_selectorELNS0_4arch9wavefront6targetE0EEEvT1_,comdat
	.protected	_ZN7rocprim17ROCPRIM_400000_NS6detail17trampoline_kernelINS0_14default_configENS1_25partition_config_selectorILNS1_17partition_subalgoE9EijbEEZZNS1_14partition_implILS5_9ELb0ES3_jN6thrust23THRUST_200600_302600_NS6detail15normal_iteratorINS9_10device_ptrIiEEEENSB_INSC_IjEEEEPNS0_10empty_typeENS0_5tupleIJNS9_16discard_iteratorINS9_11use_defaultEEESH_EEENSJ_IJSM_SI_EEENS0_18inequality_wrapperINS9_8equal_toIiEEEEPmJSH_EEE10hipError_tPvRmT3_T4_T5_T6_T7_T9_mT8_P12ihipStream_tbDpT10_ENKUlT_T0_E_clISt17integral_constantIbLb0EES1D_EEDaS18_S19_EUlS18_E_NS1_11comp_targetILNS1_3genE9ELNS1_11target_archE1100ELNS1_3gpuE3ELNS1_3repE0EEENS1_30default_config_static_selectorELNS0_4arch9wavefront6targetE0EEEvT1_ ; -- Begin function _ZN7rocprim17ROCPRIM_400000_NS6detail17trampoline_kernelINS0_14default_configENS1_25partition_config_selectorILNS1_17partition_subalgoE9EijbEEZZNS1_14partition_implILS5_9ELb0ES3_jN6thrust23THRUST_200600_302600_NS6detail15normal_iteratorINS9_10device_ptrIiEEEENSB_INSC_IjEEEEPNS0_10empty_typeENS0_5tupleIJNS9_16discard_iteratorINS9_11use_defaultEEESH_EEENSJ_IJSM_SI_EEENS0_18inequality_wrapperINS9_8equal_toIiEEEEPmJSH_EEE10hipError_tPvRmT3_T4_T5_T6_T7_T9_mT8_P12ihipStream_tbDpT10_ENKUlT_T0_E_clISt17integral_constantIbLb0EES1D_EEDaS18_S19_EUlS18_E_NS1_11comp_targetILNS1_3genE9ELNS1_11target_archE1100ELNS1_3gpuE3ELNS1_3repE0EEENS1_30default_config_static_selectorELNS0_4arch9wavefront6targetE0EEEvT1_
	.globl	_ZN7rocprim17ROCPRIM_400000_NS6detail17trampoline_kernelINS0_14default_configENS1_25partition_config_selectorILNS1_17partition_subalgoE9EijbEEZZNS1_14partition_implILS5_9ELb0ES3_jN6thrust23THRUST_200600_302600_NS6detail15normal_iteratorINS9_10device_ptrIiEEEENSB_INSC_IjEEEEPNS0_10empty_typeENS0_5tupleIJNS9_16discard_iteratorINS9_11use_defaultEEESH_EEENSJ_IJSM_SI_EEENS0_18inequality_wrapperINS9_8equal_toIiEEEEPmJSH_EEE10hipError_tPvRmT3_T4_T5_T6_T7_T9_mT8_P12ihipStream_tbDpT10_ENKUlT_T0_E_clISt17integral_constantIbLb0EES1D_EEDaS18_S19_EUlS18_E_NS1_11comp_targetILNS1_3genE9ELNS1_11target_archE1100ELNS1_3gpuE3ELNS1_3repE0EEENS1_30default_config_static_selectorELNS0_4arch9wavefront6targetE0EEEvT1_
	.p2align	8
	.type	_ZN7rocprim17ROCPRIM_400000_NS6detail17trampoline_kernelINS0_14default_configENS1_25partition_config_selectorILNS1_17partition_subalgoE9EijbEEZZNS1_14partition_implILS5_9ELb0ES3_jN6thrust23THRUST_200600_302600_NS6detail15normal_iteratorINS9_10device_ptrIiEEEENSB_INSC_IjEEEEPNS0_10empty_typeENS0_5tupleIJNS9_16discard_iteratorINS9_11use_defaultEEESH_EEENSJ_IJSM_SI_EEENS0_18inequality_wrapperINS9_8equal_toIiEEEEPmJSH_EEE10hipError_tPvRmT3_T4_T5_T6_T7_T9_mT8_P12ihipStream_tbDpT10_ENKUlT_T0_E_clISt17integral_constantIbLb0EES1D_EEDaS18_S19_EUlS18_E_NS1_11comp_targetILNS1_3genE9ELNS1_11target_archE1100ELNS1_3gpuE3ELNS1_3repE0EEENS1_30default_config_static_selectorELNS0_4arch9wavefront6targetE0EEEvT1_,@function
_ZN7rocprim17ROCPRIM_400000_NS6detail17trampoline_kernelINS0_14default_configENS1_25partition_config_selectorILNS1_17partition_subalgoE9EijbEEZZNS1_14partition_implILS5_9ELb0ES3_jN6thrust23THRUST_200600_302600_NS6detail15normal_iteratorINS9_10device_ptrIiEEEENSB_INSC_IjEEEEPNS0_10empty_typeENS0_5tupleIJNS9_16discard_iteratorINS9_11use_defaultEEESH_EEENSJ_IJSM_SI_EEENS0_18inequality_wrapperINS9_8equal_toIiEEEEPmJSH_EEE10hipError_tPvRmT3_T4_T5_T6_T7_T9_mT8_P12ihipStream_tbDpT10_ENKUlT_T0_E_clISt17integral_constantIbLb0EES1D_EEDaS18_S19_EUlS18_E_NS1_11comp_targetILNS1_3genE9ELNS1_11target_archE1100ELNS1_3gpuE3ELNS1_3repE0EEENS1_30default_config_static_selectorELNS0_4arch9wavefront6targetE0EEEvT1_: ; @_ZN7rocprim17ROCPRIM_400000_NS6detail17trampoline_kernelINS0_14default_configENS1_25partition_config_selectorILNS1_17partition_subalgoE9EijbEEZZNS1_14partition_implILS5_9ELb0ES3_jN6thrust23THRUST_200600_302600_NS6detail15normal_iteratorINS9_10device_ptrIiEEEENSB_INSC_IjEEEEPNS0_10empty_typeENS0_5tupleIJNS9_16discard_iteratorINS9_11use_defaultEEESH_EEENSJ_IJSM_SI_EEENS0_18inequality_wrapperINS9_8equal_toIiEEEEPmJSH_EEE10hipError_tPvRmT3_T4_T5_T6_T7_T9_mT8_P12ihipStream_tbDpT10_ENKUlT_T0_E_clISt17integral_constantIbLb0EES1D_EEDaS18_S19_EUlS18_E_NS1_11comp_targetILNS1_3genE9ELNS1_11target_archE1100ELNS1_3gpuE3ELNS1_3repE0EEENS1_30default_config_static_selectorELNS0_4arch9wavefront6targetE0EEEvT1_
; %bb.0:
	s_clause 0x4
	s_load_b128 s[4:7], s[0:1], 0x8
	s_load_b32 s14, s[0:1], 0x78
	s_load_b128 s[16:19], s[0:1], 0x50
	s_load_b64 s[2:3], s[0:1], 0x60
	s_load_b64 s[8:9], s[0:1], 0x18
	s_mov_b32 s21, 0
	s_mul_i32 s20, s15, 0xc00
	v_lshrrev_b32_e32 v10, 3, v0
	v_add_nc_u32_e32 v14, 0x180, v0
	v_add_nc_u32_e32 v13, 0x300, v0
	;; [unrolled: 1-line block ×3, first 2 shown]
	v_or_b32_e32 v15, 0x600, v0
	v_add_nc_u32_e32 v11, 0x780, v0
	v_add_nc_u32_e32 v9, 0x900, v0
	;; [unrolled: 1-line block ×3, first 2 shown]
	s_waitcnt lgkmcnt(0)
	s_lshl_b64 s[12:13], s[6:7], 2
	s_mul_i32 s22, s14, 0xc00
	s_add_u32 s23, s4, s12
	s_addc_u32 s24, s5, s13
	s_add_i32 s4, s22, s6
	s_load_b64 s[10:11], s[18:19], 0x0
	s_sub_i32 s18, s2, s4
	s_add_i32 s14, s14, -1
	s_addk_i32 s18, 0xc00
	s_add_u32 s4, s6, s22
	s_addc_u32 s5, s7, 0
	s_cmp_eq_u32 s15, s14
	v_cmp_ge_u64_e64 s2, s[4:5], s[2:3]
	s_cselect_b32 s14, -1, 0
	s_lshl_b64 s[4:5], s[20:21], 2
	s_mov_b32 s22, -1
	s_delay_alu instid0(VALU_DEP_1) | instskip(NEXT) | instid1(SALU_CYCLE_1)
	s_and_b32 s19, s14, s2
	s_xor_b32 s20, s19, -1
	s_add_u32 s21, s23, s4
	s_addc_u32 s3, s24, s5
	s_and_b32 vcc_lo, exec_lo, s20
	s_cbranch_vccz .LBB1083_2
; %bb.1:
	v_lshlrev_b32_e32 v7, 2, v0
	v_lshrrev_b32_e32 v19, 3, v14
	v_lshrrev_b32_e32 v20, 3, v13
	v_lshrrev_b32_e32 v21, 3, v16
	v_lshrrev_b32_e32 v22, 3, v15
	v_add_co_u32 v1, s2, s21, v7
	s_delay_alu instid0(VALU_DEP_1) | instskip(SKIP_1) | instid1(VALU_DEP_3)
	v_add_co_ci_u32_e64 v2, null, s3, 0, s2
	v_lshrrev_b32_e32 v23, 3, v11
	v_add_co_u32 v3, vcc_lo, 0x1000, v1
	s_delay_alu instid0(VALU_DEP_3)
	v_add_co_ci_u32_e32 v4, vcc_lo, 0, v2, vcc_lo
	v_add_co_u32 v5, vcc_lo, 0x2000, v1
	v_add_co_ci_u32_e32 v6, vcc_lo, 0, v2, vcc_lo
	s_clause 0x7
	flat_load_b32 v8, v[1:2]
	flat_load_b32 v17, v[1:2] offset:1536
	flat_load_b32 v1, v[1:2] offset:3072
	;; [unrolled: 1-line block ×7, first 2 shown]
	v_and_b32_e32 v6, 60, v10
	v_lshrrev_b32_e32 v24, 3, v9
	v_lshrrev_b32_e32 v25, 3, v12
	v_and_b32_e32 v19, 0x7c, v19
	v_and_b32_e32 v20, 0xfc, v20
	;; [unrolled: 1-line block ×4, first 2 shown]
	v_add_nc_u32_e32 v6, v6, v7
	v_and_b32_e32 v23, 0x1fc, v23
	v_and_b32_e32 v24, 0x17c, v24
	;; [unrolled: 1-line block ×3, first 2 shown]
	v_add_nc_u32_e32 v19, v19, v7
	v_add_nc_u32_e32 v20, v20, v7
	;; [unrolled: 1-line block ×4, first 2 shown]
	s_mov_b32 s22, 0
	v_add_nc_u32_e32 v23, v23, v7
	v_add_nc_u32_e32 v24, v24, v7
	;; [unrolled: 1-line block ×3, first 2 shown]
	s_waitcnt vmcnt(7) lgkmcnt(0)
	ds_store_b32 v6, v8
	s_waitcnt vmcnt(6)
	ds_store_b32 v19, v17 offset:1536
	s_waitcnt vmcnt(5)
	ds_store_b32 v20, v1 offset:3072
	;; [unrolled: 2-line block ×7, first 2 shown]
	s_waitcnt lgkmcnt(0)
	s_barrier
.LBB1083_2:
	v_cmp_gt_u32_e64 s2, s18, v0
	s_and_not1_b32 vcc_lo, exec_lo, s22
	s_cbranch_vccnz .LBB1083_20
; %bb.3:
                                        ; implicit-def: $vgpr1_vgpr2_vgpr3_vgpr4_vgpr5_vgpr6_vgpr7_vgpr8
	s_delay_alu instid0(VALU_DEP_1)
	s_and_saveexec_b32 s22, s2
	s_cbranch_execz .LBB1083_11
; %bb.4:
	v_lshlrev_b32_e32 v1, 2, v0
	s_delay_alu instid0(VALU_DEP_1) | instskip(NEXT) | instid1(VALU_DEP_1)
	v_add_co_u32 v1, s2, s21, v1
	v_add_co_ci_u32_e64 v2, null, s3, 0, s2
	flat_load_b32 v1, v[1:2]
	s_or_b32 exec_lo, exec_lo, s22
	s_delay_alu instid0(SALU_CYCLE_1)
	s_mov_b32 s2, exec_lo
	v_cmpx_gt_u32_e64 s18, v14
	s_cbranch_execnz .LBB1083_12
.LBB1083_5:
	s_or_b32 exec_lo, exec_lo, s2
	s_delay_alu instid0(SALU_CYCLE_1)
	s_mov_b32 s2, exec_lo
	v_cmpx_gt_u32_e64 s18, v13
	s_cbranch_execz .LBB1083_13
.LBB1083_6:
	v_lshlrev_b32_e32 v3, 2, v0
	s_delay_alu instid0(VALU_DEP_1) | instskip(NEXT) | instid1(VALU_DEP_1)
	v_add_co_u32 v17, s22, s21, v3
	v_add_co_ci_u32_e64 v18, null, s3, 0, s22
	flat_load_b32 v3, v[17:18] offset:3072
	s_or_b32 exec_lo, exec_lo, s2
	s_delay_alu instid0(SALU_CYCLE_1)
	s_mov_b32 s2, exec_lo
	v_cmpx_gt_u32_e64 s18, v16
	s_cbranch_execnz .LBB1083_14
.LBB1083_7:
	s_or_b32 exec_lo, exec_lo, s2
	s_delay_alu instid0(SALU_CYCLE_1)
	s_mov_b32 s2, exec_lo
	v_cmpx_gt_u32_e64 s18, v15
	s_cbranch_execz .LBB1083_15
.LBB1083_8:
	v_lshlrev_b32_e32 v5, 2, v15
	s_delay_alu instid0(VALU_DEP_1) | instskip(NEXT) | instid1(VALU_DEP_1)
	v_add_co_u32 v17, s22, s21, v5
	v_add_co_ci_u32_e64 v18, null, s3, 0, s22
	flat_load_b32 v5, v[17:18]
	s_or_b32 exec_lo, exec_lo, s2
	s_delay_alu instid0(SALU_CYCLE_1)
	s_mov_b32 s2, exec_lo
	v_cmpx_gt_u32_e64 s18, v11
	s_cbranch_execnz .LBB1083_16
.LBB1083_9:
	s_or_b32 exec_lo, exec_lo, s2
	s_delay_alu instid0(SALU_CYCLE_1)
	s_mov_b32 s2, exec_lo
	v_cmpx_gt_u32_e64 s18, v9
	s_cbranch_execz .LBB1083_17
.LBB1083_10:
	v_lshlrev_b32_e32 v7, 2, v9
	s_delay_alu instid0(VALU_DEP_1) | instskip(NEXT) | instid1(VALU_DEP_1)
	v_add_co_u32 v17, s22, s21, v7
	v_add_co_ci_u32_e64 v18, null, s3, 0, s22
	flat_load_b32 v7, v[17:18]
	s_or_b32 exec_lo, exec_lo, s2
	s_delay_alu instid0(SALU_CYCLE_1)
	s_mov_b32 s2, exec_lo
	v_cmpx_gt_u32_e64 s18, v12
	s_cbranch_execnz .LBB1083_18
	s_branch .LBB1083_19
.LBB1083_11:
	s_or_b32 exec_lo, exec_lo, s22
	s_delay_alu instid0(SALU_CYCLE_1)
	s_mov_b32 s2, exec_lo
	v_cmpx_gt_u32_e64 s18, v14
	s_cbranch_execz .LBB1083_5
.LBB1083_12:
	v_lshlrev_b32_e32 v2, 2, v0
	s_delay_alu instid0(VALU_DEP_1) | instskip(NEXT) | instid1(VALU_DEP_1)
	v_add_co_u32 v17, s22, s21, v2
	v_add_co_ci_u32_e64 v18, null, s3, 0, s22
	flat_load_b32 v2, v[17:18] offset:1536
	s_or_b32 exec_lo, exec_lo, s2
	s_delay_alu instid0(SALU_CYCLE_1)
	s_mov_b32 s2, exec_lo
	v_cmpx_gt_u32_e64 s18, v13
	s_cbranch_execnz .LBB1083_6
.LBB1083_13:
	s_or_b32 exec_lo, exec_lo, s2
	s_delay_alu instid0(SALU_CYCLE_1)
	s_mov_b32 s2, exec_lo
	v_cmpx_gt_u32_e64 s18, v16
	s_cbranch_execz .LBB1083_7
.LBB1083_14:
	v_lshlrev_b32_e32 v4, 2, v16
	s_delay_alu instid0(VALU_DEP_1) | instskip(NEXT) | instid1(VALU_DEP_1)
	v_add_co_u32 v17, s22, s21, v4
	v_add_co_ci_u32_e64 v18, null, s3, 0, s22
	flat_load_b32 v4, v[17:18]
	s_or_b32 exec_lo, exec_lo, s2
	s_delay_alu instid0(SALU_CYCLE_1)
	s_mov_b32 s2, exec_lo
	v_cmpx_gt_u32_e64 s18, v15
	s_cbranch_execnz .LBB1083_8
.LBB1083_15:
	s_or_b32 exec_lo, exec_lo, s2
	s_delay_alu instid0(SALU_CYCLE_1)
	s_mov_b32 s2, exec_lo
	v_cmpx_gt_u32_e64 s18, v11
	s_cbranch_execz .LBB1083_9
.LBB1083_16:
	v_lshlrev_b32_e32 v6, 2, v11
	s_delay_alu instid0(VALU_DEP_1) | instskip(NEXT) | instid1(VALU_DEP_1)
	v_add_co_u32 v17, s22, s21, v6
	v_add_co_ci_u32_e64 v18, null, s3, 0, s22
	flat_load_b32 v6, v[17:18]
	s_or_b32 exec_lo, exec_lo, s2
	s_delay_alu instid0(SALU_CYCLE_1)
	s_mov_b32 s2, exec_lo
	v_cmpx_gt_u32_e64 s18, v9
	s_cbranch_execnz .LBB1083_10
.LBB1083_17:
	s_or_b32 exec_lo, exec_lo, s2
	s_delay_alu instid0(SALU_CYCLE_1)
	s_mov_b32 s2, exec_lo
	v_cmpx_gt_u32_e64 s18, v12
	s_cbranch_execz .LBB1083_19
.LBB1083_18:
	v_lshlrev_b32_e32 v8, 2, v12
	s_delay_alu instid0(VALU_DEP_1) | instskip(NEXT) | instid1(VALU_DEP_1)
	v_add_co_u32 v17, s22, s21, v8
	v_add_co_ci_u32_e64 v18, null, s3, 0, s22
	flat_load_b32 v8, v[17:18]
.LBB1083_19:
	s_or_b32 exec_lo, exec_lo, s2
	v_lshrrev_b32_e32 v17, 3, v14
	v_lshrrev_b32_e32 v18, 3, v13
	;; [unrolled: 1-line block ×4, first 2 shown]
	v_and_b32_e32 v19, 60, v10
	v_lshlrev_b32_e32 v20, 2, v0
	v_lshrrev_b32_e32 v23, 3, v11
	v_lshrrev_b32_e32 v24, 3, v9
	;; [unrolled: 1-line block ×3, first 2 shown]
	v_and_b32_e32 v17, 0x7c, v17
	v_and_b32_e32 v18, 0xfc, v18
	;; [unrolled: 1-line block ×4, first 2 shown]
	v_add_nc_u32_e32 v19, v19, v20
	v_and_b32_e32 v23, 0x1fc, v23
	v_and_b32_e32 v24, 0x1fc, v24
	;; [unrolled: 1-line block ×3, first 2 shown]
	v_add_nc_u32_e32 v17, v17, v20
	v_add_nc_u32_e32 v18, v18, v20
	;; [unrolled: 1-line block ×7, first 2 shown]
	s_waitcnt vmcnt(0) lgkmcnt(0)
	ds_store_b32 v19, v1
	ds_store_b32 v17, v2 offset:1536
	ds_store_b32 v18, v3 offset:3072
	;; [unrolled: 1-line block ×7, first 2 shown]
	s_waitcnt lgkmcnt(0)
	s_barrier
.LBB1083_20:
	v_lshlrev_b32_e32 v19, 3, v0
	v_lshrrev_b32_e32 v1, 2, v0
	s_waitcnt lgkmcnt(0)
	buffer_gl0_inv
	s_add_u32 s2, s8, s12
	s_addc_u32 s8, s9, s13
	s_add_u32 s2, s2, s4
	v_add_lshl_u32 v17, v1, v19, 2
	s_addc_u32 s4, s8, s5
	s_and_b32 vcc_lo, exec_lo, s20
	s_mov_b32 s5, -1
	ds_load_2addr_b32 v[7:8], v17 offset1:1
	ds_load_2addr_b32 v[5:6], v17 offset0:2 offset1:3
	ds_load_2addr_b32 v[3:4], v17 offset0:4 offset1:5
	;; [unrolled: 1-line block ×3, first 2 shown]
	s_waitcnt lgkmcnt(0)
	s_barrier
	buffer_gl0_inv
	s_cbranch_vccz .LBB1083_22
; %bb.21:
	v_lshlrev_b32_e32 v18, 2, v0
	v_lshrrev_b32_e32 v29, 3, v14
	v_lshrrev_b32_e32 v30, 3, v13
	;; [unrolled: 1-line block ×4, first 2 shown]
	v_add_co_u32 v20, s5, s2, v18
	s_delay_alu instid0(VALU_DEP_1) | instskip(SKIP_1) | instid1(VALU_DEP_3)
	v_add_co_ci_u32_e64 v21, null, s4, 0, s5
	v_lshrrev_b32_e32 v33, 3, v11
	v_add_co_u32 v22, vcc_lo, 0x1000, v20
	s_delay_alu instid0(VALU_DEP_3)
	v_add_co_ci_u32_e32 v23, vcc_lo, 0, v21, vcc_lo
	v_add_co_u32 v24, vcc_lo, 0x2000, v20
	v_add_co_ci_u32_e32 v25, vcc_lo, 0, v21, vcc_lo
	s_clause 0x7
	flat_load_b32 v26, v[20:21]
	flat_load_b32 v27, v[20:21] offset:1536
	flat_load_b32 v20, v[20:21] offset:3072
	;; [unrolled: 1-line block ×7, first 2 shown]
	v_and_b32_e32 v25, 60, v10
	v_lshrrev_b32_e32 v34, 3, v9
	v_lshrrev_b32_e32 v35, 3, v12
	v_and_b32_e32 v29, 0x7c, v29
	v_and_b32_e32 v30, 0xfc, v30
	v_and_b32_e32 v31, 0xfc, v31
	v_and_b32_e32 v32, 0xfc, v32
	v_add_nc_u32_e32 v25, v25, v18
	v_and_b32_e32 v33, 0x1fc, v33
	v_and_b32_e32 v34, 0x17c, v34
	v_and_b32_e32 v35, 0x1fc, v35
	v_add_nc_u32_e32 v29, v29, v18
	v_add_nc_u32_e32 v30, v30, v18
	;; [unrolled: 1-line block ×4, first 2 shown]
	s_mov_b32 s5, 0
	v_add_nc_u32_e32 v33, v33, v18
	v_add_nc_u32_e32 v34, v34, v18
	;; [unrolled: 1-line block ×3, first 2 shown]
	s_waitcnt vmcnt(7) lgkmcnt(7)
	ds_store_b32 v25, v26
	s_waitcnt vmcnt(6) lgkmcnt(7)
	ds_store_b32 v29, v27 offset:1536
	s_waitcnt vmcnt(5) lgkmcnt(7)
	ds_store_b32 v30, v20 offset:3072
	;; [unrolled: 2-line block ×7, first 2 shown]
	s_waitcnt lgkmcnt(0)
	s_barrier
.LBB1083_22:
	s_and_not1_b32 vcc_lo, exec_lo, s5
	s_cbranch_vccnz .LBB1083_40
; %bb.23:
	s_mov_b32 s5, exec_lo
                                        ; implicit-def: $vgpr18
	v_cmpx_gt_u32_e64 s18, v0
	s_cbranch_execz .LBB1083_25
; %bb.24:
	v_lshlrev_b32_e32 v18, 2, v0
	s_delay_alu instid0(VALU_DEP_1) | instskip(NEXT) | instid1(VALU_DEP_1)
	v_add_co_u32 v20, s8, s2, v18
	v_add_co_ci_u32_e64 v21, null, s4, 0, s8
	flat_load_b32 v18, v[20:21]
.LBB1083_25:
	s_or_b32 exec_lo, exec_lo, s5
	s_delay_alu instid0(SALU_CYCLE_1)
	s_mov_b32 s5, exec_lo
                                        ; implicit-def: $vgpr20
	v_cmpx_gt_u32_e64 s18, v14
	s_cbranch_execz .LBB1083_27
; %bb.26:
	v_lshlrev_b32_e32 v20, 2, v0
	s_delay_alu instid0(VALU_DEP_1) | instskip(NEXT) | instid1(VALU_DEP_1)
	v_add_co_u32 v20, s8, s2, v20
	v_add_co_ci_u32_e64 v21, null, s4, 0, s8
	flat_load_b32 v20, v[20:21] offset:1536
.LBB1083_27:
	s_or_b32 exec_lo, exec_lo, s5
	s_delay_alu instid0(SALU_CYCLE_1)
	s_mov_b32 s5, exec_lo
                                        ; implicit-def: $vgpr21
	v_cmpx_gt_u32_e64 s18, v13
	s_cbranch_execz .LBB1083_29
; %bb.28:
	v_lshlrev_b32_e32 v21, 2, v0
	s_delay_alu instid0(VALU_DEP_1) | instskip(NEXT) | instid1(VALU_DEP_1)
	v_add_co_u32 v21, s8, s2, v21
	v_add_co_ci_u32_e64 v22, null, s4, 0, s8
	flat_load_b32 v21, v[21:22] offset:3072
.LBB1083_29:
	s_or_b32 exec_lo, exec_lo, s5
	s_delay_alu instid0(SALU_CYCLE_1)
	s_mov_b32 s5, exec_lo
                                        ; implicit-def: $vgpr22
	v_cmpx_gt_u32_e64 s18, v16
	s_cbranch_execz .LBB1083_31
; %bb.30:
	v_lshlrev_b32_e32 v22, 2, v16
	s_delay_alu instid0(VALU_DEP_1) | instskip(NEXT) | instid1(VALU_DEP_1)
	v_add_co_u32 v22, s8, s2, v22
	v_add_co_ci_u32_e64 v23, null, s4, 0, s8
	flat_load_b32 v22, v[22:23]
.LBB1083_31:
	s_or_b32 exec_lo, exec_lo, s5
	s_delay_alu instid0(SALU_CYCLE_1)
	s_mov_b32 s5, exec_lo
                                        ; implicit-def: $vgpr23
	v_cmpx_gt_u32_e64 s18, v15
	s_cbranch_execz .LBB1083_33
; %bb.32:
	v_lshlrev_b32_e32 v23, 2, v15
	s_delay_alu instid0(VALU_DEP_1) | instskip(NEXT) | instid1(VALU_DEP_1)
	v_add_co_u32 v23, s8, s2, v23
	v_add_co_ci_u32_e64 v24, null, s4, 0, s8
	flat_load_b32 v23, v[23:24]
.LBB1083_33:
	s_or_b32 exec_lo, exec_lo, s5
	s_delay_alu instid0(SALU_CYCLE_1)
	s_mov_b32 s5, exec_lo
                                        ; implicit-def: $vgpr24
	v_cmpx_gt_u32_e64 s18, v11
	s_cbranch_execz .LBB1083_35
; %bb.34:
	v_lshlrev_b32_e32 v24, 2, v11
	s_delay_alu instid0(VALU_DEP_1) | instskip(NEXT) | instid1(VALU_DEP_1)
	v_add_co_u32 v24, s8, s2, v24
	v_add_co_ci_u32_e64 v25, null, s4, 0, s8
	flat_load_b32 v24, v[24:25]
.LBB1083_35:
	s_or_b32 exec_lo, exec_lo, s5
	s_delay_alu instid0(SALU_CYCLE_1)
	s_mov_b32 s5, exec_lo
                                        ; implicit-def: $vgpr25
	v_cmpx_gt_u32_e64 s18, v9
	s_cbranch_execz .LBB1083_37
; %bb.36:
	v_lshlrev_b32_e32 v25, 2, v9
	s_delay_alu instid0(VALU_DEP_1) | instskip(NEXT) | instid1(VALU_DEP_1)
	v_add_co_u32 v25, s8, s2, v25
	v_add_co_ci_u32_e64 v26, null, s4, 0, s8
	flat_load_b32 v25, v[25:26]
.LBB1083_37:
	s_or_b32 exec_lo, exec_lo, s5
	s_delay_alu instid0(SALU_CYCLE_1)
	s_mov_b32 s5, exec_lo
                                        ; implicit-def: $vgpr26
	v_cmpx_gt_u32_e64 s18, v12
	s_cbranch_execz .LBB1083_39
; %bb.38:
	v_lshlrev_b32_e32 v26, 2, v12
	s_delay_alu instid0(VALU_DEP_1) | instskip(NEXT) | instid1(VALU_DEP_1)
	v_add_co_u32 v26, s2, s2, v26
	v_add_co_ci_u32_e64 v27, null, s4, 0, s2
	flat_load_b32 v26, v[26:27]
.LBB1083_39:
	s_or_b32 exec_lo, exec_lo, s5
	v_lshrrev_b32_e32 v14, 3, v14
	v_lshrrev_b32_e32 v13, 3, v13
	;; [unrolled: 1-line block ×4, first 2 shown]
	v_and_b32_e32 v10, 60, v10
	v_lshlrev_b32_e32 v27, 2, v0
	v_lshrrev_b32_e32 v11, 3, v11
	v_lshrrev_b32_e32 v9, 3, v9
	;; [unrolled: 1-line block ×3, first 2 shown]
	v_and_b32_e32 v14, 0x7c, v14
	v_and_b32_e32 v13, 0xfc, v13
	;; [unrolled: 1-line block ×4, first 2 shown]
	v_add_nc_u32_e32 v10, v10, v27
	v_and_b32_e32 v11, 0x1fc, v11
	v_and_b32_e32 v9, 0x1fc, v9
	;; [unrolled: 1-line block ×3, first 2 shown]
	v_add_nc_u32_e32 v14, v14, v27
	v_add_nc_u32_e32 v13, v13, v27
	;; [unrolled: 1-line block ×7, first 2 shown]
	s_waitcnt vmcnt(0) lgkmcnt(0)
	ds_store_b32 v10, v18
	ds_store_b32 v14, v20 offset:1536
	ds_store_b32 v13, v21 offset:3072
	;; [unrolled: 1-line block ×7, first 2 shown]
	s_waitcnt lgkmcnt(0)
	s_barrier
.LBB1083_40:
	buffer_gl0_inv
	ds_load_2addr_b32 v[15:16], v17 offset1:1
	ds_load_2addr_b32 v[13:14], v17 offset0:2 offset1:3
	ds_load_2addr_b32 v[11:12], v17 offset0:4 offset1:5
	;; [unrolled: 1-line block ×3, first 2 shown]
	s_cmp_lg_u32 s15, 0
	s_mov_b32 s9, 0
	s_cselect_b32 s12, -1, 0
	s_cmp_lg_u64 s[6:7], 0
	s_waitcnt lgkmcnt(0)
	s_cselect_b32 s2, -1, 0
	s_barrier
	s_or_b32 s2, s12, s2
	buffer_gl0_inv
	s_and_b32 vcc_lo, exec_lo, s2
	s_cbranch_vccz .LBB1083_45
; %bb.41:
	v_add_co_u32 v17, s2, -4, s21
	s_delay_alu instid0(VALU_DEP_1)
	v_add_co_ci_u32_e64 v18, null, -1, s3, s2
	v_lshlrev_b32_e32 v21, 2, v0
	s_mov_b32 s3, -1
	s_and_b32 vcc_lo, exec_lo, s20
	flat_load_b32 v20, v[17:18]
	ds_store_b32 v21, v2
	s_cbranch_vccz .LBB1083_46
; %bb.42:
	s_waitcnt vmcnt(0) lgkmcnt(1)
	v_mov_b32_e32 v17, v20
	s_mov_b32 s3, 0
	s_mov_b32 s2, exec_lo
	s_waitcnt lgkmcnt(0)
	s_barrier
	buffer_gl0_inv
	v_cmpx_ne_u32_e32 0, v0
	s_cbranch_execz .LBB1083_44
; %bb.43:
	v_add_nc_u32_e32 v17, -4, v21
	ds_load_b32 v17, v17
.LBB1083_44:
	s_or_b32 exec_lo, exec_lo, s2
	v_cmp_ne_u32_e32 vcc_lo, v1, v2
	s_waitcnt lgkmcnt(0)
	v_cmp_ne_u32_e64 s2, v17, v7
	v_cndmask_b32_e64 v18, 0, 1, vcc_lo
	v_cmp_ne_u32_e32 vcc_lo, v4, v1
	s_delay_alu instid0(VALU_DEP_2) | instskip(SKIP_2) | instid1(VALU_DEP_2)
	v_lshlrev_b16 v18, 8, v18
	v_cndmask_b32_e64 v22, 0, 1, vcc_lo
	v_cmp_ne_u32_e32 vcc_lo, v3, v4
	v_or_b32_e32 v18, v22, v18
	v_cndmask_b32_e64 v23, 0, 1, vcc_lo
	v_cmp_ne_u32_e32 vcc_lo, v5, v6
	s_delay_alu instid0(VALU_DEP_3) | instskip(NEXT) | instid1(VALU_DEP_3)
	v_lshlrev_b32_e32 v18, 16, v18
	v_lshlrev_b16 v23, 8, v23
	v_cndmask_b32_e64 v24, 0, 1, vcc_lo
	v_cmp_ne_u32_e32 vcc_lo, v6, v3
	s_delay_alu instid0(VALU_DEP_2) | instskip(SKIP_2) | instid1(VALU_DEP_2)
	v_lshlrev_b16 v24, 8, v24
	v_cndmask_b32_e64 v25, 0, 1, vcc_lo
	v_cmp_ne_u32_e32 vcc_lo, v8, v5
	v_or_b32_e32 v23, v25, v23
	v_cndmask_b32_e64 v26, 0, 1, vcc_lo
	v_cmp_ne_u32_e32 vcc_lo, v7, v8
	s_delay_alu instid0(VALU_DEP_3) | instskip(NEXT) | instid1(VALU_DEP_3)
	v_and_b32_e32 v23, 0xffff, v23
	v_or_b32_e32 v24, v26, v24
	v_cndmask_b32_e64 v27, 0, 1, vcc_lo
	s_delay_alu instid0(VALU_DEP_3) | instskip(NEXT) | instid1(VALU_DEP_3)
	v_or_b32_e32 v18, v23, v18
	v_lshlrev_b32_e32 v22, 16, v24
	s_delay_alu instid0(VALU_DEP_3) | instskip(NEXT) | instid1(VALU_DEP_1)
	v_lshlrev_b16 v26, 8, v27
	v_and_b32_e32 v24, 0xffff, v26
	s_delay_alu instid0(VALU_DEP_1)
	v_or_b32_e32 v17, v24, v22
	s_and_b32 vcc_lo, exec_lo, s3
	s_cbranch_vccnz .LBB1083_47
	s_branch .LBB1083_50
.LBB1083_45:
                                        ; implicit-def: $sgpr2
                                        ; implicit-def: $vgpr18
	s_branch .LBB1083_51
.LBB1083_46:
                                        ; implicit-def: $sgpr2
                                        ; implicit-def: $vgpr18
	s_and_b32 vcc_lo, exec_lo, s3
	s_cbranch_vccz .LBB1083_50
.LBB1083_47:
	s_mov_b32 s2, exec_lo
	s_waitcnt vmcnt(0) lgkmcnt(0)
	s_barrier
	buffer_gl0_inv
	v_cmpx_ne_u32_e32 0, v0
	s_cbranch_execz .LBB1083_49
; %bb.48:
	v_add_nc_u32_e32 v17, -4, v21
	ds_load_b32 v20, v17
.LBB1083_49:
	s_or_b32 exec_lo, exec_lo, s2
	v_or_b32_e32 v17, 7, v19
	v_or_b32_e32 v18, 6, v19
	v_or_b32_e32 v21, 5, v19
	v_cmp_ne_u32_e32 vcc_lo, v1, v2
	v_cmp_ne_u32_e64 s3, v4, v1
	v_cmp_gt_u32_e64 s2, s18, v17
	v_cmp_gt_u32_e64 s5, s18, v18
	v_cmp_ne_u32_e64 s4, v3, v4
	v_cmp_gt_u32_e64 s6, s18, v21
	v_or_b32_e32 v18, 3, v19
	s_and_b32 s2, s2, vcc_lo
	v_or_b32_e32 v22, 4, v19
	v_cndmask_b32_e64 v17, 0, 1, s2
	s_and_b32 s2, s5, s3
	v_cmp_gt_u32_e32 vcc_lo, s18, v18
	v_cndmask_b32_e64 v21, 0, 1, s2
	s_and_b32 s2, s6, s4
	v_or_b32_e32 v18, 2, v19
	v_cndmask_b32_e64 v23, 0, 1, s2
	v_cmp_ne_u32_e64 s2, v5, v6
	v_cmp_gt_u32_e64 s3, s18, v22
	v_or_b32_e32 v22, 1, v19
	v_cmp_ne_u32_e64 s4, v6, v3
	v_cmp_ne_u32_e64 s6, v7, v8
	s_and_b32 s2, vcc_lo, s2
	v_cmp_gt_u32_e32 vcc_lo, s18, v18
	v_cndmask_b32_e64 v24, 0, 1, s2
	v_cmp_ne_u32_e64 s2, v8, v5
	v_cmp_gt_u32_e64 s5, s18, v22
	s_and_b32 s3, s3, s4
	v_lshlrev_b16 v23, 8, v23
	v_cndmask_b32_e64 v18, 0, 1, s3
	s_and_b32 s2, vcc_lo, s2
	v_lshlrev_b16 v24, 8, v24
	v_cndmask_b32_e64 v22, 0, 1, s2
	s_and_b32 s2, s5, s6
	v_lshlrev_b16 v17, 8, v17
	v_cndmask_b32_e64 v25, 0, 1, s2
	v_or_b32_e32 v18, v18, v23
	v_or_b32_e32 v22, v22, v24
	v_cmp_gt_u32_e32 vcc_lo, s18, v19
	v_or_b32_e32 v17, v21, v17
	v_lshlrev_b16 v24, 8, v25
	v_and_b32_e32 v18, 0xffff, v18
	v_lshlrev_b32_e32 v21, 16, v22
	s_waitcnt lgkmcnt(0)
	v_cmp_ne_u32_e64 s2, v20, v7
	v_lshlrev_b32_e32 v23, 16, v17
	v_and_b32_e32 v22, 0xffff, v24
	s_delay_alu instid0(VALU_DEP_3) | instskip(NEXT) | instid1(VALU_DEP_2)
	s_and_b32 s2, vcc_lo, s2
	v_or_b32_e32 v18, v18, v23
	s_delay_alu instid0(VALU_DEP_2)
	v_or_b32_e32 v17, v22, v21
.LBB1083_50:
	s_mov_b32 s9, -1
	s_cbranch_execnz .LBB1083_59
.LBB1083_51:
	s_waitcnt vmcnt(0) lgkmcnt(1)
	v_lshlrev_b32_e32 v20, 2, v0
	v_cmp_ne_u32_e64 s3, v1, v2
	v_cmp_ne_u32_e64 s4, v4, v1
	;; [unrolled: 1-line block ×7, first 2 shown]
	s_and_b32 vcc_lo, exec_lo, s20
	ds_store_b32 v20, v2
	s_cbranch_vccz .LBB1083_55
; %bb.52:
	v_cndmask_b32_e64 v17, 0, 1, s3
	v_cndmask_b32_e64 v21, 0, 1, s5
	;; [unrolled: 1-line block ×7, first 2 shown]
	v_lshlrev_b16 v21, 8, v21
	v_lshlrev_b16 v17, 8, v17
	;; [unrolled: 1-line block ×4, first 2 shown]
	s_mov_b32 s3, 0
	v_or_b32_e32 v21, v22, v21
	v_or_b32_e32 v17, v18, v17
	;; [unrolled: 1-line block ×4, first 2 shown]
	s_mov_b32 s4, exec_lo
	v_and_b32_e32 v21, 0xffff, v21
	v_lshlrev_b32_e32 v17, 16, v17
	v_lshlrev_b32_e32 v23, 16, v18
	v_and_b32_e32 v22, 0xffff, v22
	s_waitcnt lgkmcnt(0)
	s_barrier
	v_or_b32_e32 v18, v21, v17
	buffer_gl0_inv
	v_or_b32_e32 v17, v22, v23
                                        ; implicit-def: $sgpr2
	v_cmpx_ne_u32_e32 0, v0
	s_xor_b32 s4, exec_lo, s4
	s_cbranch_execz .LBB1083_54
; %bb.53:
	v_add_nc_u32_e32 v21, -4, v20
	s_or_b32 s9, s9, exec_lo
	ds_load_b32 v21, v21
	s_waitcnt lgkmcnt(0)
	v_cmp_ne_u32_e32 vcc_lo, v21, v7
	s_and_b32 s2, vcc_lo, exec_lo
.LBB1083_54:
	s_or_b32 exec_lo, exec_lo, s4
	s_delay_alu instid0(SALU_CYCLE_1)
	s_and_b32 vcc_lo, exec_lo, s3
	s_cbranch_vccnz .LBB1083_56
	s_branch .LBB1083_59
.LBB1083_55:
                                        ; implicit-def: $sgpr2
                                        ; implicit-def: $vgpr18
	s_cbranch_execz .LBB1083_59
.LBB1083_56:
	v_or_b32_e32 v17, 7, v19
	v_or_b32_e32 v18, 6, v19
	v_cmp_ne_u32_e32 vcc_lo, v1, v2
	v_cmp_ne_u32_e64 s3, v4, v1
	v_or_b32_e32 v21, 5, v19
	v_cmp_gt_u32_e64 s2, s18, v17
	v_cmp_gt_u32_e64 s4, s18, v18
	v_or_b32_e32 v17, 4, v19
	v_or_b32_e32 v22, 3, v19
	v_cmp_gt_u32_e64 s5, s18, v21
	s_and_b32 s2, s2, vcc_lo
	v_cmp_ne_u32_e32 vcc_lo, v3, v4
	v_cndmask_b32_e64 v18, 0, 1, s2
	s_and_b32 s2, s4, s3
	v_cmp_ne_u32_e64 s3, v6, v3
	v_cndmask_b32_e64 v21, 0, 1, s2
	v_cmp_gt_u32_e64 s2, s18, v17
	v_or_b32_e32 v23, 1, v19
	s_and_b32 s4, s5, vcc_lo
	v_cmp_gt_u32_e32 vcc_lo, s18, v22
	v_cndmask_b32_e64 v17, 0, 1, s4
	s_and_b32 s2, s2, s3
	v_or_b32_e32 v25, 2, v19
	v_cndmask_b32_e64 v24, 0, 1, s2
	v_cmp_ne_u32_e64 s2, v5, v6
	v_cmp_gt_u32_e64 s3, s18, v23
	v_cmp_ne_u32_e64 s4, v7, v8
	v_cmp_gt_u32_e64 s5, s18, v25
	v_cmp_ne_u32_e64 s6, v8, v5
	s_and_b32 s2, vcc_lo, s2
	v_lshlrev_b16 v17, 8, v17
	v_cndmask_b32_e64 v22, 0, 1, s2
	s_and_b32 s2, s3, s4
	v_lshlrev_b16 v18, 8, v18
	v_cndmask_b32_e64 v23, 0, 1, s2
	s_and_b32 s2, s5, s6
	v_lshlrev_b16 v22, 8, v22
	v_cndmask_b32_e64 v25, 0, 1, s2
	v_or_b32_e32 v17, v24, v17
	v_lshlrev_b16 v23, 8, v23
	v_or_b32_e32 v18, v21, v18
	s_mov_b32 s3, exec_lo
	v_or_b32_e32 v21, v25, v22
	v_and_b32_e32 v17, 0xffff, v17
	v_or_b32_e32 v22, 1, v23
	v_lshlrev_b32_e32 v18, 16, v18
	s_waitcnt lgkmcnt(0)
	v_lshlrev_b32_e32 v21, 16, v21
	s_barrier
	v_and_b32_e32 v22, 0xffff, v22
	v_or_b32_e32 v18, v17, v18
	buffer_gl0_inv
                                        ; implicit-def: $sgpr2
	v_or_b32_e32 v17, v22, v21
	v_cmpx_ne_u32_e32 0, v0
	s_cbranch_execz .LBB1083_58
; %bb.57:
	v_add_nc_u32_e32 v20, -4, v20
	v_cmp_gt_u32_e32 vcc_lo, s18, v19
	s_or_b32 s9, s9, exec_lo
	ds_load_b32 v20, v20
	s_waitcnt lgkmcnt(0)
	v_cmp_ne_u32_e64 s2, v20, v7
	s_delay_alu instid0(VALU_DEP_1) | instskip(NEXT) | instid1(SALU_CYCLE_1)
	s_and_b32 s2, vcc_lo, s2
	s_and_b32 s2, s2, exec_lo
.LBB1083_58:
	s_or_b32 exec_lo, exec_lo, s3
.LBB1083_59:
	s_and_saveexec_b32 s3, s9
	s_cbranch_execz .LBB1083_61
; %bb.60:
	s_waitcnt vmcnt(0) lgkmcnt(1)
	v_and_b32_e32 v20, 0xffffff00, v17
	v_cndmask_b32_e64 v21, 0, 1, s2
	s_delay_alu instid0(VALU_DEP_1) | instskip(NEXT) | instid1(VALU_DEP_1)
	v_or_b32_e32 v20, v21, v20
	v_and_b32_e32 v20, 0xffff, v20
	s_delay_alu instid0(VALU_DEP_1)
	v_and_or_b32 v17, 0xffff0000, v17, v20
.LBB1083_61:
	s_or_b32 exec_lo, exec_lo, s3
	s_load_b64 s[8:9], s[0:1], 0x70
	s_and_not1_b32 vcc_lo, exec_lo, s19
	s_cbranch_vccnz .LBB1083_63
; %bb.62:
	v_cmp_gt_u32_e32 vcc_lo, s18, v19
	v_or_b32_e32 v21, 1, v19
	v_and_b32_e32 v22, 0xffffff00, v18
	v_or_b32_e32 v23, 2, v19
	s_waitcnt vmcnt(0) lgkmcnt(0)
	v_cndmask_b32_e32 v20, 0, v17, vcc_lo
	v_cmp_gt_u32_e32 vcc_lo, s18, v21
	v_or_b32_e32 v21, 4, v19
	v_cmp_gt_u32_e64 s0, s18, v23
	v_or_b32_e32 v23, 3, v19
	v_and_b32_e32 v20, 0xff, v20
	s_delay_alu instid0(VALU_DEP_2) | instskip(NEXT) | instid1(VALU_DEP_2)
	v_cmp_gt_u32_e64 s1, s18, v23
	v_cndmask_b32_e32 v20, v20, v17, vcc_lo
	v_cmp_gt_u32_e32 vcc_lo, s18, v21
	s_delay_alu instid0(VALU_DEP_2) | instskip(SKIP_1) | instid1(VALU_DEP_2)
	v_dual_cndmask_b32 v21, v22, v18 :: v_dual_and_b32 v20, 0xffff, v20
	v_or_b32_e32 v22, 5, v19
	v_cndmask_b32_e64 v20, v20, v17, s0
	s_delay_alu instid0(VALU_DEP_3) | instskip(NEXT) | instid1(VALU_DEP_3)
	v_and_b32_e32 v21, 0xffff00ff, v21
	v_cmp_gt_u32_e64 s0, s18, v22
	v_or_b32_e32 v22, 6, v19
	v_or_b32_e32 v19, 7, v19
	v_and_b32_e32 v20, 0xffffff, v20
	s_delay_alu instid0(VALU_DEP_4) | instskip(NEXT) | instid1(VALU_DEP_2)
	v_cndmask_b32_e64 v21, v21, v18, s0
	v_cndmask_b32_e64 v20, v20, v17, s1
	s_delay_alu instid0(VALU_DEP_2) | instskip(NEXT) | instid1(VALU_DEP_2)
	v_and_b32_e32 v21, 0xff00ffff, v21
	v_cndmask_b32_e32 v20, v20, v17, vcc_lo
	v_cmp_gt_u32_e32 vcc_lo, s18, v22
	s_delay_alu instid0(VALU_DEP_2) | instskip(NEXT) | instid1(VALU_DEP_1)
	v_cndmask_b32_e64 v20, v20, v17, s0
	v_dual_cndmask_b32 v21, v21, v18 :: v_dual_cndmask_b32 v20, v20, v17
	s_delay_alu instid0(VALU_DEP_1) | instskip(SKIP_1) | instid1(VALU_DEP_2)
	v_and_b32_e32 v21, 0xffffff, v21
	v_cmp_gt_u32_e32 vcc_lo, s18, v19
	v_dual_cndmask_b32 v18, v21, v18 :: v_dual_cndmask_b32 v17, v20, v17
.LBB1083_63:
	s_delay_alu instid0(VALU_DEP_1) | instskip(NEXT) | instid1(VALU_DEP_2)
	v_and_b32_e32 v28, 0xff, v17
	v_alignbit_b32 v19, v18, v17, 24
	v_bfe_u32 v29, v17, 8, 8
	v_bfe_u32 v30, v17, 16, 8
	v_and_b32_e32 v32, 0xff, v18
	v_bfe_u32 v33, v18, 8, 8
	v_and_b32_e32 v31, 0xff, v19
	v_add_nc_u32_e32 v19, v29, v28
	s_waitcnt vmcnt(0) lgkmcnt(0)
	v_and_b32_e32 v20, 0x1e0, v0
	v_mbcnt_lo_u32_b32 v35, -1, 0
	v_bfe_u32 v34, v18, 16, 8
	v_lshrrev_b32_e32 v27, 24, v18
	v_add3_u32 v19, v19, v30, v31
	v_min_u32_e32 v20, 0x160, v20
	v_and_b32_e32 v21, 15, v35
	v_lshrrev_b32_e32 v36, 5, v0
	s_and_b32 vcc_lo, exec_lo, s12
	v_add3_u32 v19, v19, v32, v33
	v_or_b32_e32 v20, 31, v20
	v_cmp_eq_u32_e64 s2, 0, v21
	v_cmp_lt_u32_e64 s3, 1, v21
	v_cmp_lt_u32_e64 s1, 3, v21
	v_add3_u32 v37, v19, v34, v27
	v_and_b32_e32 v19, 16, v35
	v_cmp_lt_u32_e64 s0, 7, v21
	v_cmp_eq_u32_e64 s4, v20, v0
	s_mov_b32 s6, -1
	s_delay_alu instid0(VALU_DEP_3)
	v_cmp_eq_u32_e64 s5, 0, v19
	s_barrier
	buffer_gl0_inv
	s_cbranch_vccz .LBB1083_89
; %bb.64:
	v_mov_b32_dpp v19, v37 row_shr:1 row_mask:0xf bank_mask:0xf
	s_delay_alu instid0(VALU_DEP_1) | instskip(NEXT) | instid1(VALU_DEP_1)
	v_cndmask_b32_e64 v19, v19, 0, s2
	v_add_nc_u32_e32 v19, v19, v37
	s_delay_alu instid0(VALU_DEP_1) | instskip(NEXT) | instid1(VALU_DEP_1)
	v_mov_b32_dpp v20, v19 row_shr:2 row_mask:0xf bank_mask:0xf
	v_cndmask_b32_e64 v20, 0, v20, s3
	s_delay_alu instid0(VALU_DEP_1) | instskip(NEXT) | instid1(VALU_DEP_1)
	v_add_nc_u32_e32 v19, v19, v20
	v_mov_b32_dpp v20, v19 row_shr:4 row_mask:0xf bank_mask:0xf
	s_delay_alu instid0(VALU_DEP_1) | instskip(NEXT) | instid1(VALU_DEP_1)
	v_cndmask_b32_e64 v20, 0, v20, s1
	v_add_nc_u32_e32 v19, v19, v20
	s_delay_alu instid0(VALU_DEP_1) | instskip(NEXT) | instid1(VALU_DEP_1)
	v_mov_b32_dpp v20, v19 row_shr:8 row_mask:0xf bank_mask:0xf
	v_cndmask_b32_e64 v20, 0, v20, s0
	s_delay_alu instid0(VALU_DEP_1) | instskip(SKIP_3) | instid1(VALU_DEP_1)
	v_add_nc_u32_e32 v19, v19, v20
	ds_swizzle_b32 v20, v19 offset:swizzle(BROADCAST,32,15)
	s_waitcnt lgkmcnt(0)
	v_cndmask_b32_e64 v20, v20, 0, s5
	v_add_nc_u32_e32 v19, v19, v20
	s_and_saveexec_b32 s6, s4
	s_cbranch_execz .LBB1083_66
; %bb.65:
	v_lshlrev_b32_e32 v20, 2, v36
	ds_store_b32 v20, v19
.LBB1083_66:
	s_or_b32 exec_lo, exec_lo, s6
	s_delay_alu instid0(SALU_CYCLE_1)
	s_mov_b32 s6, exec_lo
	s_waitcnt lgkmcnt(0)
	s_barrier
	buffer_gl0_inv
	v_cmpx_gt_u32_e32 12, v0
	s_cbranch_execz .LBB1083_68
; %bb.67:
	v_lshlrev_b32_e32 v20, 2, v0
	ds_load_b32 v21, v20
	s_waitcnt lgkmcnt(0)
	v_mov_b32_dpp v22, v21 row_shr:1 row_mask:0xf bank_mask:0xf
	s_delay_alu instid0(VALU_DEP_1) | instskip(NEXT) | instid1(VALU_DEP_1)
	v_cndmask_b32_e64 v22, v22, 0, s2
	v_add_nc_u32_e32 v21, v22, v21
	s_delay_alu instid0(VALU_DEP_1) | instskip(NEXT) | instid1(VALU_DEP_1)
	v_mov_b32_dpp v22, v21 row_shr:2 row_mask:0xf bank_mask:0xf
	v_cndmask_b32_e64 v22, 0, v22, s3
	s_delay_alu instid0(VALU_DEP_1) | instskip(NEXT) | instid1(VALU_DEP_1)
	v_add_nc_u32_e32 v21, v21, v22
	v_mov_b32_dpp v22, v21 row_shr:4 row_mask:0xf bank_mask:0xf
	s_delay_alu instid0(VALU_DEP_1) | instskip(NEXT) | instid1(VALU_DEP_1)
	v_cndmask_b32_e64 v22, 0, v22, s1
	v_add_nc_u32_e32 v21, v21, v22
	s_delay_alu instid0(VALU_DEP_1) | instskip(NEXT) | instid1(VALU_DEP_1)
	v_mov_b32_dpp v22, v21 row_shr:8 row_mask:0xf bank_mask:0xf
	v_cndmask_b32_e64 v22, 0, v22, s0
	s_delay_alu instid0(VALU_DEP_1)
	v_add_nc_u32_e32 v21, v21, v22
	ds_store_b32 v20, v21
.LBB1083_68:
	s_or_b32 exec_lo, exec_lo, s6
	v_cmp_gt_u32_e32 vcc_lo, 32, v0
	s_mov_b32 s7, exec_lo
	s_waitcnt lgkmcnt(0)
	s_barrier
	buffer_gl0_inv
                                        ; implicit-def: $vgpr38
	v_cmpx_lt_u32_e32 31, v0
	s_cbranch_execz .LBB1083_70
; %bb.69:
	v_lshl_add_u32 v20, v36, 2, -4
	ds_load_b32 v38, v20
	s_waitcnt lgkmcnt(0)
	v_add_nc_u32_e32 v19, v38, v19
.LBB1083_70:
	s_or_b32 exec_lo, exec_lo, s7
	v_add_nc_u32_e32 v20, -1, v35
	s_delay_alu instid0(VALU_DEP_1) | instskip(NEXT) | instid1(VALU_DEP_1)
	v_cmp_gt_i32_e64 s6, 0, v20
	v_cndmask_b32_e64 v20, v20, v35, s6
	v_cmp_eq_u32_e64 s6, 0, v35
	s_delay_alu instid0(VALU_DEP_2)
	v_lshlrev_b32_e32 v20, 2, v20
	ds_bpermute_b32 v39, v20, v19
	s_and_saveexec_b32 s7, vcc_lo
	s_cbranch_execz .LBB1083_88
; %bb.71:
	v_mov_b32_e32 v23, 0
	ds_load_b32 v19, v23 offset:44
	s_and_saveexec_b32 s12, s6
	s_cbranch_execz .LBB1083_73
; %bb.72:
	s_add_i32 s18, s15, 32
	s_mov_b32 s19, 0
	v_mov_b32_e32 v20, 1
	s_lshl_b64 s[18:19], s[18:19], 3
	s_delay_alu instid0(SALU_CYCLE_1)
	s_add_u32 s18, s8, s18
	s_addc_u32 s19, s9, s19
	s_waitcnt lgkmcnt(0)
	global_store_b64 v23, v[19:20], s[18:19]
.LBB1083_73:
	s_or_b32 exec_lo, exec_lo, s12
	v_xad_u32 v21, v35, -1, s15
	s_mov_b32 s13, 0
	s_mov_b32 s12, exec_lo
	s_delay_alu instid0(VALU_DEP_1) | instskip(NEXT) | instid1(VALU_DEP_1)
	v_add_nc_u32_e32 v22, 32, v21
	v_lshlrev_b64 v[22:23], 3, v[22:23]
	s_delay_alu instid0(VALU_DEP_1) | instskip(NEXT) | instid1(VALU_DEP_2)
	v_add_co_u32 v25, vcc_lo, s8, v22
	v_add_co_ci_u32_e32 v26, vcc_lo, s9, v23, vcc_lo
	global_load_b64 v[23:24], v[25:26], off glc
	s_waitcnt vmcnt(0)
	v_and_b32_e32 v20, 0xff, v24
	s_delay_alu instid0(VALU_DEP_1)
	v_cmpx_eq_u16_e32 0, v20
	s_cbranch_execz .LBB1083_76
.LBB1083_74:                            ; =>This Inner Loop Header: Depth=1
	global_load_b64 v[23:24], v[25:26], off glc
	s_waitcnt vmcnt(0)
	v_and_b32_e32 v20, 0xff, v24
	s_delay_alu instid0(VALU_DEP_1) | instskip(SKIP_1) | instid1(SALU_CYCLE_1)
	v_cmp_ne_u16_e32 vcc_lo, 0, v20
	s_or_b32 s13, vcc_lo, s13
	s_and_not1_b32 exec_lo, exec_lo, s13
	s_cbranch_execnz .LBB1083_74
; %bb.75:
	s_or_b32 exec_lo, exec_lo, s13
.LBB1083_76:
	s_delay_alu instid0(SALU_CYCLE_1)
	s_or_b32 exec_lo, exec_lo, s12
	v_cmp_ne_u32_e32 vcc_lo, 31, v35
	v_lshlrev_b32_e64 v41, v35, -1
	v_add_nc_u32_e32 v43, 2, v35
	v_add_nc_u32_e32 v45, 4, v35
	;; [unrolled: 1-line block ×3, first 2 shown]
	v_add_co_ci_u32_e32 v20, vcc_lo, 0, v35, vcc_lo
	v_add_nc_u32_e32 v49, 16, v35
	s_delay_alu instid0(VALU_DEP_2)
	v_lshlrev_b32_e32 v40, 2, v20
	v_and_b32_e32 v20, 0xff, v24
	ds_bpermute_b32 v22, v40, v23
	v_cmp_eq_u16_e32 vcc_lo, 2, v20
	v_and_or_b32 v20, vcc_lo, v41, 0x80000000
	v_cmp_gt_u32_e32 vcc_lo, 30, v35
	s_delay_alu instid0(VALU_DEP_2) | instskip(SKIP_1) | instid1(VALU_DEP_2)
	v_ctz_i32_b32_e32 v20, v20
	v_cndmask_b32_e64 v25, 0, 1, vcc_lo
	v_cmp_lt_u32_e32 vcc_lo, v35, v20
	s_waitcnt lgkmcnt(0)
	s_delay_alu instid0(VALU_DEP_2) | instskip(NEXT) | instid1(VALU_DEP_1)
	v_dual_cndmask_b32 v22, 0, v22 :: v_dual_lshlrev_b32 v25, 1, v25
	v_add_lshl_u32 v42, v25, v35, 2
	v_cmp_gt_u32_e32 vcc_lo, 28, v35
	s_delay_alu instid0(VALU_DEP_3) | instskip(SKIP_4) | instid1(VALU_DEP_1)
	v_add_nc_u32_e32 v22, v22, v23
	v_cndmask_b32_e64 v25, 0, 1, vcc_lo
	v_cmp_le_u32_e32 vcc_lo, v43, v20
	ds_bpermute_b32 v23, v42, v22
	v_lshlrev_b32_e32 v25, 2, v25
	v_add_lshl_u32 v44, v25, v35, 2
	s_waitcnt lgkmcnt(0)
	v_cndmask_b32_e32 v23, 0, v23, vcc_lo
	v_cmp_gt_u32_e32 vcc_lo, 24, v35
	s_delay_alu instid0(VALU_DEP_2) | instskip(SKIP_4) | instid1(VALU_DEP_1)
	v_add_nc_u32_e32 v22, v22, v23
	v_cndmask_b32_e64 v25, 0, 1, vcc_lo
	v_cmp_le_u32_e32 vcc_lo, v45, v20
	ds_bpermute_b32 v23, v44, v22
	v_lshlrev_b32_e32 v25, 3, v25
	v_add_lshl_u32 v46, v25, v35, 2
	s_waitcnt lgkmcnt(0)
	v_cndmask_b32_e32 v23, 0, v23, vcc_lo
	v_cmp_gt_u32_e32 vcc_lo, 16, v35
	s_delay_alu instid0(VALU_DEP_2) | instskip(SKIP_4) | instid1(VALU_DEP_1)
	v_add_nc_u32_e32 v22, v22, v23
	v_cndmask_b32_e64 v25, 0, 1, vcc_lo
	v_cmp_le_u32_e32 vcc_lo, v47, v20
	ds_bpermute_b32 v23, v46, v22
	v_lshlrev_b32_e32 v25, 4, v25
	v_add_lshl_u32 v48, v25, v35, 2
	s_waitcnt lgkmcnt(0)
	v_cndmask_b32_e32 v23, 0, v23, vcc_lo
	v_cmp_le_u32_e32 vcc_lo, v49, v20
	s_delay_alu instid0(VALU_DEP_2) | instskip(SKIP_3) | instid1(VALU_DEP_1)
	v_add_nc_u32_e32 v22, v22, v23
	ds_bpermute_b32 v23, v48, v22
	s_waitcnt lgkmcnt(0)
	v_cndmask_b32_e32 v20, 0, v23, vcc_lo
	v_dual_mov_b32 v22, 0 :: v_dual_add_nc_u32 v23, v22, v20
	s_branch .LBB1083_78
.LBB1083_77:                            ;   in Loop: Header=BB1083_78 Depth=1
	s_or_b32 exec_lo, exec_lo, s12
	ds_bpermute_b32 v26, v40, v23
	v_and_b32_e32 v25, 0xff, v24
	v_subrev_nc_u32_e32 v21, 32, v21
	s_delay_alu instid0(VALU_DEP_2) | instskip(SKIP_1) | instid1(VALU_DEP_1)
	v_cmp_eq_u16_e32 vcc_lo, 2, v25
	v_and_or_b32 v25, vcc_lo, v41, 0x80000000
	v_ctz_i32_b32_e32 v25, v25
	s_delay_alu instid0(VALU_DEP_1) | instskip(SKIP_3) | instid1(VALU_DEP_2)
	v_cmp_lt_u32_e32 vcc_lo, v35, v25
	s_waitcnt lgkmcnt(0)
	v_cndmask_b32_e32 v26, 0, v26, vcc_lo
	v_cmp_le_u32_e32 vcc_lo, v43, v25
	v_add_nc_u32_e32 v23, v26, v23
	ds_bpermute_b32 v26, v42, v23
	s_waitcnt lgkmcnt(0)
	v_cndmask_b32_e32 v26, 0, v26, vcc_lo
	v_cmp_le_u32_e32 vcc_lo, v45, v25
	s_delay_alu instid0(VALU_DEP_2) | instskip(SKIP_4) | instid1(VALU_DEP_2)
	v_add_nc_u32_e32 v23, v23, v26
	ds_bpermute_b32 v26, v44, v23
	s_waitcnt lgkmcnt(0)
	v_cndmask_b32_e32 v26, 0, v26, vcc_lo
	v_cmp_le_u32_e32 vcc_lo, v47, v25
	v_add_nc_u32_e32 v23, v23, v26
	ds_bpermute_b32 v26, v46, v23
	s_waitcnt lgkmcnt(0)
	v_cndmask_b32_e32 v26, 0, v26, vcc_lo
	v_cmp_le_u32_e32 vcc_lo, v49, v25
	s_delay_alu instid0(VALU_DEP_2) | instskip(SKIP_3) | instid1(VALU_DEP_1)
	v_add_nc_u32_e32 v23, v23, v26
	ds_bpermute_b32 v26, v48, v23
	s_waitcnt lgkmcnt(0)
	v_cndmask_b32_e32 v25, 0, v26, vcc_lo
	v_add3_u32 v23, v25, v20, v23
.LBB1083_78:                            ; =>This Loop Header: Depth=1
                                        ;     Child Loop BB1083_81 Depth 2
	v_and_b32_e32 v20, 0xff, v24
	s_delay_alu instid0(VALU_DEP_1) | instskip(SKIP_2) | instid1(VALU_DEP_1)
	v_cmp_ne_u16_e32 vcc_lo, 2, v20
	v_cndmask_b32_e64 v20, 0, 1, vcc_lo
	;;#ASMSTART
	;;#ASMEND
	v_cmp_ne_u32_e32 vcc_lo, 0, v20
	v_mov_b32_e32 v20, v23
	s_cmp_lg_u32 vcc_lo, exec_lo
	s_cbranch_scc1 .LBB1083_83
; %bb.79:                               ;   in Loop: Header=BB1083_78 Depth=1
	v_lshlrev_b64 v[23:24], 3, v[21:22]
	s_mov_b32 s12, exec_lo
	s_delay_alu instid0(VALU_DEP_1) | instskip(NEXT) | instid1(VALU_DEP_2)
	v_add_co_u32 v25, vcc_lo, s8, v23
	v_add_co_ci_u32_e32 v26, vcc_lo, s9, v24, vcc_lo
	global_load_b64 v[23:24], v[25:26], off glc
	s_waitcnt vmcnt(0)
	v_and_b32_e32 v50, 0xff, v24
	s_delay_alu instid0(VALU_DEP_1)
	v_cmpx_eq_u16_e32 0, v50
	s_cbranch_execz .LBB1083_77
; %bb.80:                               ;   in Loop: Header=BB1083_78 Depth=1
	s_mov_b32 s13, 0
.LBB1083_81:                            ;   Parent Loop BB1083_78 Depth=1
                                        ; =>  This Inner Loop Header: Depth=2
	global_load_b64 v[23:24], v[25:26], off glc
	s_waitcnt vmcnt(0)
	v_and_b32_e32 v50, 0xff, v24
	s_delay_alu instid0(VALU_DEP_1) | instskip(SKIP_1) | instid1(SALU_CYCLE_1)
	v_cmp_ne_u16_e32 vcc_lo, 0, v50
	s_or_b32 s13, vcc_lo, s13
	s_and_not1_b32 exec_lo, exec_lo, s13
	s_cbranch_execnz .LBB1083_81
; %bb.82:                               ;   in Loop: Header=BB1083_78 Depth=1
	s_or_b32 exec_lo, exec_lo, s13
	s_branch .LBB1083_77
.LBB1083_83:                            ;   in Loop: Header=BB1083_78 Depth=1
                                        ; implicit-def: $vgpr23
                                        ; implicit-def: $vgpr24
	s_cbranch_execz .LBB1083_78
; %bb.84:
	s_and_saveexec_b32 s12, s6
	s_cbranch_execz .LBB1083_86
; %bb.85:
	s_add_i32 s18, s15, 32
	s_mov_b32 s19, 0
	v_dual_mov_b32 v22, 2 :: v_dual_add_nc_u32 v21, v20, v19
	s_lshl_b64 s[18:19], s[18:19], 3
	v_mov_b32_e32 v23, 0
	s_add_u32 s18, s8, s18
	s_addc_u32 s19, s9, s19
	global_store_b64 v23, v[21:22], s[18:19]
	ds_store_b64 v23, v[19:20] offset:12672
.LBB1083_86:
	s_or_b32 exec_lo, exec_lo, s12
	v_cmp_eq_u32_e32 vcc_lo, 0, v0
	s_and_b32 exec_lo, exec_lo, vcc_lo
	s_cbranch_execz .LBB1083_88
; %bb.87:
	v_mov_b32_e32 v19, 0
	ds_store_b32 v19, v20 offset:44
.LBB1083_88:
	s_or_b32 exec_lo, exec_lo, s7
	v_mov_b32_e32 v19, 0
	s_waitcnt lgkmcnt(0)
	s_waitcnt_vscnt null, 0x0
	s_barrier
	buffer_gl0_inv
	v_cndmask_b32_e64 v21, v39, v38, s6
	ds_load_b32 v20, v19 offset:44
	v_cmp_ne_u32_e32 vcc_lo, 0, v0
	s_waitcnt lgkmcnt(0)
	s_barrier
	buffer_gl0_inv
	v_cndmask_b32_e32 v21, 0, v21, vcc_lo
	s_delay_alu instid0(VALU_DEP_1) | instskip(NEXT) | instid1(VALU_DEP_1)
	v_add_nc_u32_e32 v41, v20, v21
	v_add_nc_u32_e32 v40, v41, v28
	ds_load_b64 v[19:20], v19 offset:12672
	v_add_nc_u32_e32 v39, v40, v29
	s_delay_alu instid0(VALU_DEP_1) | instskip(NEXT) | instid1(VALU_DEP_1)
	v_add_nc_u32_e32 v38, v39, v30
	v_add_nc_u32_e32 v26, v38, v31
	s_delay_alu instid0(VALU_DEP_1) | instskip(NEXT) | instid1(VALU_DEP_1)
	v_add_nc_u32_e32 v25, v26, v32
	v_add_nc_u32_e32 v24, v25, v33
	s_delay_alu instid0(VALU_DEP_1)
	v_add_nc_u32_e32 v23, v24, v34
	v_lshrrev_b64 v[21:22], 24, v[17:18]
	s_branch .LBB1083_99
.LBB1083_89:
                                        ; implicit-def: $vgpr23
                                        ; implicit-def: $vgpr24
                                        ; implicit-def: $vgpr25
                                        ; implicit-def: $vgpr26
                                        ; implicit-def: $vgpr38
                                        ; implicit-def: $vgpr39
                                        ; implicit-def: $vgpr40
                                        ; implicit-def: $vgpr41
                                        ; implicit-def: $vgpr20
	v_lshrrev_b64 v[21:22], 24, v[17:18]
	s_and_b32 vcc_lo, exec_lo, s6
	s_cbranch_vccz .LBB1083_99
; %bb.90:
	s_waitcnt lgkmcnt(0)
	v_mov_b32_dpp v19, v37 row_shr:1 row_mask:0xf bank_mask:0xf
	s_delay_alu instid0(VALU_DEP_1) | instskip(NEXT) | instid1(VALU_DEP_1)
	v_cndmask_b32_e64 v19, v19, 0, s2
	v_add_nc_u32_e32 v19, v19, v37
	s_delay_alu instid0(VALU_DEP_1) | instskip(NEXT) | instid1(VALU_DEP_1)
	v_mov_b32_dpp v20, v19 row_shr:2 row_mask:0xf bank_mask:0xf
	v_cndmask_b32_e64 v20, 0, v20, s3
	s_delay_alu instid0(VALU_DEP_1) | instskip(NEXT) | instid1(VALU_DEP_1)
	v_add_nc_u32_e32 v19, v19, v20
	v_mov_b32_dpp v20, v19 row_shr:4 row_mask:0xf bank_mask:0xf
	s_delay_alu instid0(VALU_DEP_1) | instskip(NEXT) | instid1(VALU_DEP_1)
	v_cndmask_b32_e64 v20, 0, v20, s1
	v_add_nc_u32_e32 v19, v19, v20
	s_delay_alu instid0(VALU_DEP_1) | instskip(NEXT) | instid1(VALU_DEP_1)
	v_mov_b32_dpp v20, v19 row_shr:8 row_mask:0xf bank_mask:0xf
	v_cndmask_b32_e64 v20, 0, v20, s0
	s_delay_alu instid0(VALU_DEP_1) | instskip(SKIP_3) | instid1(VALU_DEP_1)
	v_add_nc_u32_e32 v19, v19, v20
	ds_swizzle_b32 v20, v19 offset:swizzle(BROADCAST,32,15)
	s_waitcnt lgkmcnt(0)
	v_cndmask_b32_e64 v20, v20, 0, s5
	v_add_nc_u32_e32 v19, v19, v20
	s_and_saveexec_b32 s5, s4
	s_cbranch_execz .LBB1083_92
; %bb.91:
	v_lshlrev_b32_e32 v20, 2, v36
	ds_store_b32 v20, v19
.LBB1083_92:
	s_or_b32 exec_lo, exec_lo, s5
	s_delay_alu instid0(SALU_CYCLE_1)
	s_mov_b32 s4, exec_lo
	s_waitcnt lgkmcnt(0)
	s_barrier
	buffer_gl0_inv
	v_cmpx_gt_u32_e32 12, v0
	s_cbranch_execz .LBB1083_94
; %bb.93:
	v_lshlrev_b32_e32 v20, 2, v0
	ds_load_b32 v22, v20
	s_waitcnt lgkmcnt(0)
	v_mov_b32_dpp v23, v22 row_shr:1 row_mask:0xf bank_mask:0xf
	s_delay_alu instid0(VALU_DEP_1) | instskip(NEXT) | instid1(VALU_DEP_1)
	v_cndmask_b32_e64 v23, v23, 0, s2
	v_add_nc_u32_e32 v22, v23, v22
	s_delay_alu instid0(VALU_DEP_1) | instskip(NEXT) | instid1(VALU_DEP_1)
	v_mov_b32_dpp v23, v22 row_shr:2 row_mask:0xf bank_mask:0xf
	v_cndmask_b32_e64 v23, 0, v23, s3
	s_delay_alu instid0(VALU_DEP_1) | instskip(NEXT) | instid1(VALU_DEP_1)
	v_add_nc_u32_e32 v22, v22, v23
	v_mov_b32_dpp v23, v22 row_shr:4 row_mask:0xf bank_mask:0xf
	s_delay_alu instid0(VALU_DEP_1) | instskip(NEXT) | instid1(VALU_DEP_1)
	v_cndmask_b32_e64 v23, 0, v23, s1
	v_add_nc_u32_e32 v22, v22, v23
	s_delay_alu instid0(VALU_DEP_1) | instskip(NEXT) | instid1(VALU_DEP_1)
	v_mov_b32_dpp v23, v22 row_shr:8 row_mask:0xf bank_mask:0xf
	v_cndmask_b32_e64 v23, 0, v23, s0
	s_delay_alu instid0(VALU_DEP_1)
	v_add_nc_u32_e32 v22, v22, v23
	ds_store_b32 v20, v22
.LBB1083_94:
	s_or_b32 exec_lo, exec_lo, s4
	v_mov_b32_e32 v20, 0
	v_mov_b32_e32 v22, 0
	s_mov_b32 s0, exec_lo
	s_waitcnt lgkmcnt(0)
	s_barrier
	buffer_gl0_inv
	v_cmpx_lt_u32_e32 31, v0
	s_cbranch_execz .LBB1083_96
; %bb.95:
	v_lshl_add_u32 v22, v36, 2, -4
	ds_load_b32 v22, v22
.LBB1083_96:
	s_or_b32 exec_lo, exec_lo, s0
	v_add_nc_u32_e32 v23, -1, v35
	s_waitcnt lgkmcnt(0)
	v_add_nc_u32_e32 v19, v22, v19
	s_delay_alu instid0(VALU_DEP_2) | instskip(SKIP_2) | instid1(VALU_DEP_2)
	v_cmp_gt_i32_e32 vcc_lo, 0, v23
	v_cndmask_b32_e32 v23, v23, v35, vcc_lo
	v_cmp_eq_u32_e32 vcc_lo, 0, v0
	v_lshlrev_b32_e32 v23, 2, v23
	ds_bpermute_b32 v23, v23, v19
	ds_load_b32 v19, v20 offset:44
	s_and_saveexec_b32 s0, vcc_lo
	s_cbranch_execz .LBB1083_98
; %bb.97:
	v_mov_b32_e32 v24, 0
	v_mov_b32_e32 v20, 2
	s_waitcnt lgkmcnt(0)
	global_store_b64 v24, v[19:20], s[8:9] offset:256
.LBB1083_98:
	s_or_b32 exec_lo, exec_lo, s0
	v_cmp_eq_u32_e64 s0, 0, v35
	s_waitcnt lgkmcnt(0)
	s_waitcnt_vscnt null, 0x0
	s_barrier
	buffer_gl0_inv
	v_cndmask_b32_e64 v20, v23, v22, s0
	s_delay_alu instid0(VALU_DEP_1) | instskip(SKIP_1) | instid1(VALU_DEP_2)
	v_cndmask_b32_e64 v41, v20, 0, vcc_lo
	v_mov_b32_e32 v20, 0
	v_add_nc_u32_e32 v40, v41, v28
	s_delay_alu instid0(VALU_DEP_1) | instskip(NEXT) | instid1(VALU_DEP_1)
	v_add_nc_u32_e32 v39, v40, v29
	v_add_nc_u32_e32 v38, v39, v30
	s_delay_alu instid0(VALU_DEP_1) | instskip(NEXT) | instid1(VALU_DEP_1)
	v_add_nc_u32_e32 v26, v38, v31
	;; [unrolled: 3-line block ×3, first 2 shown]
	v_add_nc_u32_e32 v23, v24, v34
.LBB1083_99:
	v_lshrrev_b32_e32 v30, 8, v17
	v_lshrrev_b32_e32 v29, 16, v17
	v_and_b32_e32 v17, 1, v17
	s_waitcnt lgkmcnt(0)
	v_cmp_gt_u32_e32 vcc_lo, 0x181, v19
	v_lshrrev_b32_e32 v28, 8, v18
	v_lshrrev_b32_e32 v22, 16, v18
	v_cmp_lt_u32_e64 s0, 0x180, v19
	v_cmp_eq_u32_e64 s1, 1, v17
	s_cbranch_vccnz .LBB1083_117
; %bb.100:
	s_delay_alu instid0(VALU_DEP_1)
	s_and_saveexec_b32 s2, s1
	s_cbranch_execz .LBB1083_102
; %bb.101:
	v_sub_nc_u32_e32 v31, v41, v20
	s_delay_alu instid0(VALU_DEP_1)
	v_lshlrev_b32_e32 v31, 2, v31
	ds_store_b32 v31, v7
.LBB1083_102:
	s_or_b32 exec_lo, exec_lo, s2
	v_and_b32_e32 v7, 1, v30
	s_mov_b32 s1, exec_lo
	s_delay_alu instid0(VALU_DEP_1)
	v_cmpx_eq_u32_e32 1, v7
	s_cbranch_execz .LBB1083_104
; %bb.103:
	v_sub_nc_u32_e32 v7, v40, v20
	s_delay_alu instid0(VALU_DEP_1)
	v_lshlrev_b32_e32 v7, 2, v7
	ds_store_b32 v7, v8
.LBB1083_104:
	s_or_b32 exec_lo, exec_lo, s1
	v_and_b32_e32 v7, 1, v29
	s_mov_b32 s1, exec_lo
	s_delay_alu instid0(VALU_DEP_1)
	v_cmpx_eq_u32_e32 1, v7
	;; [unrolled: 12-line block ×7, first 2 shown]
	s_cbranch_execz .LBB1083_116
; %bb.115:
	v_sub_nc_u32_e32 v1, v23, v20
	s_delay_alu instid0(VALU_DEP_1)
	v_lshlrev_b32_e32 v1, 2, v1
	ds_store_b32 v1, v2
.LBB1083_116:
	s_or_b32 exec_lo, exec_lo, s1
	s_waitcnt lgkmcnt(0)
	s_barrier
	buffer_gl0_inv
.LBB1083_117:
	s_delay_alu instid0(VALU_DEP_2)
	s_and_not1_b32 vcc_lo, exec_lo, s0
	s_barrier
	buffer_gl0_inv
	s_cbranch_vccnz .LBB1083_136
; %bb.118:
	s_mov_b32 s0, exec_lo
	v_cmpx_eq_u32_e32 1, v17
	s_cbranch_execz .LBB1083_120
; %bb.119:
	v_sub_nc_u32_e32 v1, v41, v20
	s_delay_alu instid0(VALU_DEP_1)
	v_lshlrev_b32_e32 v1, 2, v1
	ds_store_b32 v1, v15
.LBB1083_120:
	s_or_b32 exec_lo, exec_lo, s0
	v_and_b32_e32 v1, 1, v30
	s_mov_b32 s0, exec_lo
	s_delay_alu instid0(VALU_DEP_1)
	v_cmpx_eq_u32_e32 1, v1
	s_cbranch_execz .LBB1083_122
; %bb.121:
	v_sub_nc_u32_e32 v1, v40, v20
	s_delay_alu instid0(VALU_DEP_1)
	v_lshlrev_b32_e32 v1, 2, v1
	ds_store_b32 v1, v16
.LBB1083_122:
	s_or_b32 exec_lo, exec_lo, s0
	v_and_b32_e32 v1, 1, v29
	s_mov_b32 s0, exec_lo
	s_delay_alu instid0(VALU_DEP_1)
	;; [unrolled: 12-line block ×7, first 2 shown]
	v_cmpx_eq_u32_e32 1, v1
	s_cbranch_execz .LBB1083_134
; %bb.133:
	v_sub_nc_u32_e32 v1, v23, v20
	s_delay_alu instid0(VALU_DEP_1)
	v_lshlrev_b32_e32 v1, 2, v1
	ds_store_b32 v1, v10
.LBB1083_134:
	s_or_b32 exec_lo, exec_lo, s0
	s_waitcnt lgkmcnt(0)
	s_barrier
	buffer_gl0_inv
	v_cmp_eq_u32_e32 vcc_lo, 0, v0
	s_and_b32 s0, vcc_lo, s14
	s_delay_alu instid0(SALU_CYCLE_1)
	s_and_saveexec_b32 s1, s0
	s_cbranch_execnz .LBB1083_137
.LBB1083_135:
	s_endpgm
.LBB1083_136:
	v_cmp_eq_u32_e32 vcc_lo, 0, v0
	s_and_b32 s0, vcc_lo, s14
	s_delay_alu instid0(SALU_CYCLE_1)
	s_and_saveexec_b32 s1, s0
	s_cbranch_execz .LBB1083_135
.LBB1083_137:
	v_add_co_u32 v0, s0, s10, v19
	s_delay_alu instid0(VALU_DEP_1) | instskip(SKIP_1) | instid1(VALU_DEP_3)
	v_add_co_ci_u32_e64 v1, null, s11, 0, s0
	v_mov_b32_e32 v2, 0
	v_add_co_u32 v0, vcc_lo, v0, v20
	s_delay_alu instid0(VALU_DEP_3)
	v_add_co_ci_u32_e32 v1, vcc_lo, 0, v1, vcc_lo
	global_store_b64 v2, v[0:1], s[16:17]
	s_nop 0
	s_sendmsg sendmsg(MSG_DEALLOC_VGPRS)
	s_endpgm
	.section	.rodata,"a",@progbits
	.p2align	6, 0x0
	.amdhsa_kernel _ZN7rocprim17ROCPRIM_400000_NS6detail17trampoline_kernelINS0_14default_configENS1_25partition_config_selectorILNS1_17partition_subalgoE9EijbEEZZNS1_14partition_implILS5_9ELb0ES3_jN6thrust23THRUST_200600_302600_NS6detail15normal_iteratorINS9_10device_ptrIiEEEENSB_INSC_IjEEEEPNS0_10empty_typeENS0_5tupleIJNS9_16discard_iteratorINS9_11use_defaultEEESH_EEENSJ_IJSM_SI_EEENS0_18inequality_wrapperINS9_8equal_toIiEEEEPmJSH_EEE10hipError_tPvRmT3_T4_T5_T6_T7_T9_mT8_P12ihipStream_tbDpT10_ENKUlT_T0_E_clISt17integral_constantIbLb0EES1D_EEDaS18_S19_EUlS18_E_NS1_11comp_targetILNS1_3genE9ELNS1_11target_archE1100ELNS1_3gpuE3ELNS1_3repE0EEENS1_30default_config_static_selectorELNS0_4arch9wavefront6targetE0EEEvT1_
		.amdhsa_group_segment_fixed_size 12680
		.amdhsa_private_segment_fixed_size 0
		.amdhsa_kernarg_size 128
		.amdhsa_user_sgpr_count 15
		.amdhsa_user_sgpr_dispatch_ptr 0
		.amdhsa_user_sgpr_queue_ptr 0
		.amdhsa_user_sgpr_kernarg_segment_ptr 1
		.amdhsa_user_sgpr_dispatch_id 0
		.amdhsa_user_sgpr_private_segment_size 0
		.amdhsa_wavefront_size32 1
		.amdhsa_uses_dynamic_stack 0
		.amdhsa_enable_private_segment 0
		.amdhsa_system_sgpr_workgroup_id_x 1
		.amdhsa_system_sgpr_workgroup_id_y 0
		.amdhsa_system_sgpr_workgroup_id_z 0
		.amdhsa_system_sgpr_workgroup_info 0
		.amdhsa_system_vgpr_workitem_id 0
		.amdhsa_next_free_vgpr 51
		.amdhsa_next_free_sgpr 25
		.amdhsa_reserve_vcc 1
		.amdhsa_float_round_mode_32 0
		.amdhsa_float_round_mode_16_64 0
		.amdhsa_float_denorm_mode_32 3
		.amdhsa_float_denorm_mode_16_64 3
		.amdhsa_dx10_clamp 1
		.amdhsa_ieee_mode 1
		.amdhsa_fp16_overflow 0
		.amdhsa_workgroup_processor_mode 1
		.amdhsa_memory_ordered 1
		.amdhsa_forward_progress 0
		.amdhsa_shared_vgpr_count 0
		.amdhsa_exception_fp_ieee_invalid_op 0
		.amdhsa_exception_fp_denorm_src 0
		.amdhsa_exception_fp_ieee_div_zero 0
		.amdhsa_exception_fp_ieee_overflow 0
		.amdhsa_exception_fp_ieee_underflow 0
		.amdhsa_exception_fp_ieee_inexact 0
		.amdhsa_exception_int_div_zero 0
	.end_amdhsa_kernel
	.section	.text._ZN7rocprim17ROCPRIM_400000_NS6detail17trampoline_kernelINS0_14default_configENS1_25partition_config_selectorILNS1_17partition_subalgoE9EijbEEZZNS1_14partition_implILS5_9ELb0ES3_jN6thrust23THRUST_200600_302600_NS6detail15normal_iteratorINS9_10device_ptrIiEEEENSB_INSC_IjEEEEPNS0_10empty_typeENS0_5tupleIJNS9_16discard_iteratorINS9_11use_defaultEEESH_EEENSJ_IJSM_SI_EEENS0_18inequality_wrapperINS9_8equal_toIiEEEEPmJSH_EEE10hipError_tPvRmT3_T4_T5_T6_T7_T9_mT8_P12ihipStream_tbDpT10_ENKUlT_T0_E_clISt17integral_constantIbLb0EES1D_EEDaS18_S19_EUlS18_E_NS1_11comp_targetILNS1_3genE9ELNS1_11target_archE1100ELNS1_3gpuE3ELNS1_3repE0EEENS1_30default_config_static_selectorELNS0_4arch9wavefront6targetE0EEEvT1_,"axG",@progbits,_ZN7rocprim17ROCPRIM_400000_NS6detail17trampoline_kernelINS0_14default_configENS1_25partition_config_selectorILNS1_17partition_subalgoE9EijbEEZZNS1_14partition_implILS5_9ELb0ES3_jN6thrust23THRUST_200600_302600_NS6detail15normal_iteratorINS9_10device_ptrIiEEEENSB_INSC_IjEEEEPNS0_10empty_typeENS0_5tupleIJNS9_16discard_iteratorINS9_11use_defaultEEESH_EEENSJ_IJSM_SI_EEENS0_18inequality_wrapperINS9_8equal_toIiEEEEPmJSH_EEE10hipError_tPvRmT3_T4_T5_T6_T7_T9_mT8_P12ihipStream_tbDpT10_ENKUlT_T0_E_clISt17integral_constantIbLb0EES1D_EEDaS18_S19_EUlS18_E_NS1_11comp_targetILNS1_3genE9ELNS1_11target_archE1100ELNS1_3gpuE3ELNS1_3repE0EEENS1_30default_config_static_selectorELNS0_4arch9wavefront6targetE0EEEvT1_,comdat
.Lfunc_end1083:
	.size	_ZN7rocprim17ROCPRIM_400000_NS6detail17trampoline_kernelINS0_14default_configENS1_25partition_config_selectorILNS1_17partition_subalgoE9EijbEEZZNS1_14partition_implILS5_9ELb0ES3_jN6thrust23THRUST_200600_302600_NS6detail15normal_iteratorINS9_10device_ptrIiEEEENSB_INSC_IjEEEEPNS0_10empty_typeENS0_5tupleIJNS9_16discard_iteratorINS9_11use_defaultEEESH_EEENSJ_IJSM_SI_EEENS0_18inequality_wrapperINS9_8equal_toIiEEEEPmJSH_EEE10hipError_tPvRmT3_T4_T5_T6_T7_T9_mT8_P12ihipStream_tbDpT10_ENKUlT_T0_E_clISt17integral_constantIbLb0EES1D_EEDaS18_S19_EUlS18_E_NS1_11comp_targetILNS1_3genE9ELNS1_11target_archE1100ELNS1_3gpuE3ELNS1_3repE0EEENS1_30default_config_static_selectorELNS0_4arch9wavefront6targetE0EEEvT1_, .Lfunc_end1083-_ZN7rocprim17ROCPRIM_400000_NS6detail17trampoline_kernelINS0_14default_configENS1_25partition_config_selectorILNS1_17partition_subalgoE9EijbEEZZNS1_14partition_implILS5_9ELb0ES3_jN6thrust23THRUST_200600_302600_NS6detail15normal_iteratorINS9_10device_ptrIiEEEENSB_INSC_IjEEEEPNS0_10empty_typeENS0_5tupleIJNS9_16discard_iteratorINS9_11use_defaultEEESH_EEENSJ_IJSM_SI_EEENS0_18inequality_wrapperINS9_8equal_toIiEEEEPmJSH_EEE10hipError_tPvRmT3_T4_T5_T6_T7_T9_mT8_P12ihipStream_tbDpT10_ENKUlT_T0_E_clISt17integral_constantIbLb0EES1D_EEDaS18_S19_EUlS18_E_NS1_11comp_targetILNS1_3genE9ELNS1_11target_archE1100ELNS1_3gpuE3ELNS1_3repE0EEENS1_30default_config_static_selectorELNS0_4arch9wavefront6targetE0EEEvT1_
                                        ; -- End function
	.section	.AMDGPU.csdata,"",@progbits
; Kernel info:
; codeLenInByte = 7468
; NumSgprs: 27
; NumVgprs: 51
; ScratchSize: 0
; MemoryBound: 0
; FloatMode: 240
; IeeeMode: 1
; LDSByteSize: 12680 bytes/workgroup (compile time only)
; SGPRBlocks: 3
; VGPRBlocks: 6
; NumSGPRsForWavesPerEU: 27
; NumVGPRsForWavesPerEU: 51
; Occupancy: 15
; WaveLimiterHint : 1
; COMPUTE_PGM_RSRC2:SCRATCH_EN: 0
; COMPUTE_PGM_RSRC2:USER_SGPR: 15
; COMPUTE_PGM_RSRC2:TRAP_HANDLER: 0
; COMPUTE_PGM_RSRC2:TGID_X_EN: 1
; COMPUTE_PGM_RSRC2:TGID_Y_EN: 0
; COMPUTE_PGM_RSRC2:TGID_Z_EN: 0
; COMPUTE_PGM_RSRC2:TIDIG_COMP_CNT: 0
	.section	.text._ZN7rocprim17ROCPRIM_400000_NS6detail17trampoline_kernelINS0_14default_configENS1_25partition_config_selectorILNS1_17partition_subalgoE9EijbEEZZNS1_14partition_implILS5_9ELb0ES3_jN6thrust23THRUST_200600_302600_NS6detail15normal_iteratorINS9_10device_ptrIiEEEENSB_INSC_IjEEEEPNS0_10empty_typeENS0_5tupleIJNS9_16discard_iteratorINS9_11use_defaultEEESH_EEENSJ_IJSM_SI_EEENS0_18inequality_wrapperINS9_8equal_toIiEEEEPmJSH_EEE10hipError_tPvRmT3_T4_T5_T6_T7_T9_mT8_P12ihipStream_tbDpT10_ENKUlT_T0_E_clISt17integral_constantIbLb0EES1D_EEDaS18_S19_EUlS18_E_NS1_11comp_targetILNS1_3genE8ELNS1_11target_archE1030ELNS1_3gpuE2ELNS1_3repE0EEENS1_30default_config_static_selectorELNS0_4arch9wavefront6targetE0EEEvT1_,"axG",@progbits,_ZN7rocprim17ROCPRIM_400000_NS6detail17trampoline_kernelINS0_14default_configENS1_25partition_config_selectorILNS1_17partition_subalgoE9EijbEEZZNS1_14partition_implILS5_9ELb0ES3_jN6thrust23THRUST_200600_302600_NS6detail15normal_iteratorINS9_10device_ptrIiEEEENSB_INSC_IjEEEEPNS0_10empty_typeENS0_5tupleIJNS9_16discard_iteratorINS9_11use_defaultEEESH_EEENSJ_IJSM_SI_EEENS0_18inequality_wrapperINS9_8equal_toIiEEEEPmJSH_EEE10hipError_tPvRmT3_T4_T5_T6_T7_T9_mT8_P12ihipStream_tbDpT10_ENKUlT_T0_E_clISt17integral_constantIbLb0EES1D_EEDaS18_S19_EUlS18_E_NS1_11comp_targetILNS1_3genE8ELNS1_11target_archE1030ELNS1_3gpuE2ELNS1_3repE0EEENS1_30default_config_static_selectorELNS0_4arch9wavefront6targetE0EEEvT1_,comdat
	.protected	_ZN7rocprim17ROCPRIM_400000_NS6detail17trampoline_kernelINS0_14default_configENS1_25partition_config_selectorILNS1_17partition_subalgoE9EijbEEZZNS1_14partition_implILS5_9ELb0ES3_jN6thrust23THRUST_200600_302600_NS6detail15normal_iteratorINS9_10device_ptrIiEEEENSB_INSC_IjEEEEPNS0_10empty_typeENS0_5tupleIJNS9_16discard_iteratorINS9_11use_defaultEEESH_EEENSJ_IJSM_SI_EEENS0_18inequality_wrapperINS9_8equal_toIiEEEEPmJSH_EEE10hipError_tPvRmT3_T4_T5_T6_T7_T9_mT8_P12ihipStream_tbDpT10_ENKUlT_T0_E_clISt17integral_constantIbLb0EES1D_EEDaS18_S19_EUlS18_E_NS1_11comp_targetILNS1_3genE8ELNS1_11target_archE1030ELNS1_3gpuE2ELNS1_3repE0EEENS1_30default_config_static_selectorELNS0_4arch9wavefront6targetE0EEEvT1_ ; -- Begin function _ZN7rocprim17ROCPRIM_400000_NS6detail17trampoline_kernelINS0_14default_configENS1_25partition_config_selectorILNS1_17partition_subalgoE9EijbEEZZNS1_14partition_implILS5_9ELb0ES3_jN6thrust23THRUST_200600_302600_NS6detail15normal_iteratorINS9_10device_ptrIiEEEENSB_INSC_IjEEEEPNS0_10empty_typeENS0_5tupleIJNS9_16discard_iteratorINS9_11use_defaultEEESH_EEENSJ_IJSM_SI_EEENS0_18inequality_wrapperINS9_8equal_toIiEEEEPmJSH_EEE10hipError_tPvRmT3_T4_T5_T6_T7_T9_mT8_P12ihipStream_tbDpT10_ENKUlT_T0_E_clISt17integral_constantIbLb0EES1D_EEDaS18_S19_EUlS18_E_NS1_11comp_targetILNS1_3genE8ELNS1_11target_archE1030ELNS1_3gpuE2ELNS1_3repE0EEENS1_30default_config_static_selectorELNS0_4arch9wavefront6targetE0EEEvT1_
	.globl	_ZN7rocprim17ROCPRIM_400000_NS6detail17trampoline_kernelINS0_14default_configENS1_25partition_config_selectorILNS1_17partition_subalgoE9EijbEEZZNS1_14partition_implILS5_9ELb0ES3_jN6thrust23THRUST_200600_302600_NS6detail15normal_iteratorINS9_10device_ptrIiEEEENSB_INSC_IjEEEEPNS0_10empty_typeENS0_5tupleIJNS9_16discard_iteratorINS9_11use_defaultEEESH_EEENSJ_IJSM_SI_EEENS0_18inequality_wrapperINS9_8equal_toIiEEEEPmJSH_EEE10hipError_tPvRmT3_T4_T5_T6_T7_T9_mT8_P12ihipStream_tbDpT10_ENKUlT_T0_E_clISt17integral_constantIbLb0EES1D_EEDaS18_S19_EUlS18_E_NS1_11comp_targetILNS1_3genE8ELNS1_11target_archE1030ELNS1_3gpuE2ELNS1_3repE0EEENS1_30default_config_static_selectorELNS0_4arch9wavefront6targetE0EEEvT1_
	.p2align	8
	.type	_ZN7rocprim17ROCPRIM_400000_NS6detail17trampoline_kernelINS0_14default_configENS1_25partition_config_selectorILNS1_17partition_subalgoE9EijbEEZZNS1_14partition_implILS5_9ELb0ES3_jN6thrust23THRUST_200600_302600_NS6detail15normal_iteratorINS9_10device_ptrIiEEEENSB_INSC_IjEEEEPNS0_10empty_typeENS0_5tupleIJNS9_16discard_iteratorINS9_11use_defaultEEESH_EEENSJ_IJSM_SI_EEENS0_18inequality_wrapperINS9_8equal_toIiEEEEPmJSH_EEE10hipError_tPvRmT3_T4_T5_T6_T7_T9_mT8_P12ihipStream_tbDpT10_ENKUlT_T0_E_clISt17integral_constantIbLb0EES1D_EEDaS18_S19_EUlS18_E_NS1_11comp_targetILNS1_3genE8ELNS1_11target_archE1030ELNS1_3gpuE2ELNS1_3repE0EEENS1_30default_config_static_selectorELNS0_4arch9wavefront6targetE0EEEvT1_,@function
_ZN7rocprim17ROCPRIM_400000_NS6detail17trampoline_kernelINS0_14default_configENS1_25partition_config_selectorILNS1_17partition_subalgoE9EijbEEZZNS1_14partition_implILS5_9ELb0ES3_jN6thrust23THRUST_200600_302600_NS6detail15normal_iteratorINS9_10device_ptrIiEEEENSB_INSC_IjEEEEPNS0_10empty_typeENS0_5tupleIJNS9_16discard_iteratorINS9_11use_defaultEEESH_EEENSJ_IJSM_SI_EEENS0_18inequality_wrapperINS9_8equal_toIiEEEEPmJSH_EEE10hipError_tPvRmT3_T4_T5_T6_T7_T9_mT8_P12ihipStream_tbDpT10_ENKUlT_T0_E_clISt17integral_constantIbLb0EES1D_EEDaS18_S19_EUlS18_E_NS1_11comp_targetILNS1_3genE8ELNS1_11target_archE1030ELNS1_3gpuE2ELNS1_3repE0EEENS1_30default_config_static_selectorELNS0_4arch9wavefront6targetE0EEEvT1_: ; @_ZN7rocprim17ROCPRIM_400000_NS6detail17trampoline_kernelINS0_14default_configENS1_25partition_config_selectorILNS1_17partition_subalgoE9EijbEEZZNS1_14partition_implILS5_9ELb0ES3_jN6thrust23THRUST_200600_302600_NS6detail15normal_iteratorINS9_10device_ptrIiEEEENSB_INSC_IjEEEEPNS0_10empty_typeENS0_5tupleIJNS9_16discard_iteratorINS9_11use_defaultEEESH_EEENSJ_IJSM_SI_EEENS0_18inequality_wrapperINS9_8equal_toIiEEEEPmJSH_EEE10hipError_tPvRmT3_T4_T5_T6_T7_T9_mT8_P12ihipStream_tbDpT10_ENKUlT_T0_E_clISt17integral_constantIbLb0EES1D_EEDaS18_S19_EUlS18_E_NS1_11comp_targetILNS1_3genE8ELNS1_11target_archE1030ELNS1_3gpuE2ELNS1_3repE0EEENS1_30default_config_static_selectorELNS0_4arch9wavefront6targetE0EEEvT1_
; %bb.0:
	.section	.rodata,"a",@progbits
	.p2align	6, 0x0
	.amdhsa_kernel _ZN7rocprim17ROCPRIM_400000_NS6detail17trampoline_kernelINS0_14default_configENS1_25partition_config_selectorILNS1_17partition_subalgoE9EijbEEZZNS1_14partition_implILS5_9ELb0ES3_jN6thrust23THRUST_200600_302600_NS6detail15normal_iteratorINS9_10device_ptrIiEEEENSB_INSC_IjEEEEPNS0_10empty_typeENS0_5tupleIJNS9_16discard_iteratorINS9_11use_defaultEEESH_EEENSJ_IJSM_SI_EEENS0_18inequality_wrapperINS9_8equal_toIiEEEEPmJSH_EEE10hipError_tPvRmT3_T4_T5_T6_T7_T9_mT8_P12ihipStream_tbDpT10_ENKUlT_T0_E_clISt17integral_constantIbLb0EES1D_EEDaS18_S19_EUlS18_E_NS1_11comp_targetILNS1_3genE8ELNS1_11target_archE1030ELNS1_3gpuE2ELNS1_3repE0EEENS1_30default_config_static_selectorELNS0_4arch9wavefront6targetE0EEEvT1_
		.amdhsa_group_segment_fixed_size 0
		.amdhsa_private_segment_fixed_size 0
		.amdhsa_kernarg_size 128
		.amdhsa_user_sgpr_count 15
		.amdhsa_user_sgpr_dispatch_ptr 0
		.amdhsa_user_sgpr_queue_ptr 0
		.amdhsa_user_sgpr_kernarg_segment_ptr 1
		.amdhsa_user_sgpr_dispatch_id 0
		.amdhsa_user_sgpr_private_segment_size 0
		.amdhsa_wavefront_size32 1
		.amdhsa_uses_dynamic_stack 0
		.amdhsa_enable_private_segment 0
		.amdhsa_system_sgpr_workgroup_id_x 1
		.amdhsa_system_sgpr_workgroup_id_y 0
		.amdhsa_system_sgpr_workgroup_id_z 0
		.amdhsa_system_sgpr_workgroup_info 0
		.amdhsa_system_vgpr_workitem_id 0
		.amdhsa_next_free_vgpr 1
		.amdhsa_next_free_sgpr 1
		.amdhsa_reserve_vcc 0
		.amdhsa_float_round_mode_32 0
		.amdhsa_float_round_mode_16_64 0
		.amdhsa_float_denorm_mode_32 3
		.amdhsa_float_denorm_mode_16_64 3
		.amdhsa_dx10_clamp 1
		.amdhsa_ieee_mode 1
		.amdhsa_fp16_overflow 0
		.amdhsa_workgroup_processor_mode 1
		.amdhsa_memory_ordered 1
		.amdhsa_forward_progress 0
		.amdhsa_shared_vgpr_count 0
		.amdhsa_exception_fp_ieee_invalid_op 0
		.amdhsa_exception_fp_denorm_src 0
		.amdhsa_exception_fp_ieee_div_zero 0
		.amdhsa_exception_fp_ieee_overflow 0
		.amdhsa_exception_fp_ieee_underflow 0
		.amdhsa_exception_fp_ieee_inexact 0
		.amdhsa_exception_int_div_zero 0
	.end_amdhsa_kernel
	.section	.text._ZN7rocprim17ROCPRIM_400000_NS6detail17trampoline_kernelINS0_14default_configENS1_25partition_config_selectorILNS1_17partition_subalgoE9EijbEEZZNS1_14partition_implILS5_9ELb0ES3_jN6thrust23THRUST_200600_302600_NS6detail15normal_iteratorINS9_10device_ptrIiEEEENSB_INSC_IjEEEEPNS0_10empty_typeENS0_5tupleIJNS9_16discard_iteratorINS9_11use_defaultEEESH_EEENSJ_IJSM_SI_EEENS0_18inequality_wrapperINS9_8equal_toIiEEEEPmJSH_EEE10hipError_tPvRmT3_T4_T5_T6_T7_T9_mT8_P12ihipStream_tbDpT10_ENKUlT_T0_E_clISt17integral_constantIbLb0EES1D_EEDaS18_S19_EUlS18_E_NS1_11comp_targetILNS1_3genE8ELNS1_11target_archE1030ELNS1_3gpuE2ELNS1_3repE0EEENS1_30default_config_static_selectorELNS0_4arch9wavefront6targetE0EEEvT1_,"axG",@progbits,_ZN7rocprim17ROCPRIM_400000_NS6detail17trampoline_kernelINS0_14default_configENS1_25partition_config_selectorILNS1_17partition_subalgoE9EijbEEZZNS1_14partition_implILS5_9ELb0ES3_jN6thrust23THRUST_200600_302600_NS6detail15normal_iteratorINS9_10device_ptrIiEEEENSB_INSC_IjEEEEPNS0_10empty_typeENS0_5tupleIJNS9_16discard_iteratorINS9_11use_defaultEEESH_EEENSJ_IJSM_SI_EEENS0_18inequality_wrapperINS9_8equal_toIiEEEEPmJSH_EEE10hipError_tPvRmT3_T4_T5_T6_T7_T9_mT8_P12ihipStream_tbDpT10_ENKUlT_T0_E_clISt17integral_constantIbLb0EES1D_EEDaS18_S19_EUlS18_E_NS1_11comp_targetILNS1_3genE8ELNS1_11target_archE1030ELNS1_3gpuE2ELNS1_3repE0EEENS1_30default_config_static_selectorELNS0_4arch9wavefront6targetE0EEEvT1_,comdat
.Lfunc_end1084:
	.size	_ZN7rocprim17ROCPRIM_400000_NS6detail17trampoline_kernelINS0_14default_configENS1_25partition_config_selectorILNS1_17partition_subalgoE9EijbEEZZNS1_14partition_implILS5_9ELb0ES3_jN6thrust23THRUST_200600_302600_NS6detail15normal_iteratorINS9_10device_ptrIiEEEENSB_INSC_IjEEEEPNS0_10empty_typeENS0_5tupleIJNS9_16discard_iteratorINS9_11use_defaultEEESH_EEENSJ_IJSM_SI_EEENS0_18inequality_wrapperINS9_8equal_toIiEEEEPmJSH_EEE10hipError_tPvRmT3_T4_T5_T6_T7_T9_mT8_P12ihipStream_tbDpT10_ENKUlT_T0_E_clISt17integral_constantIbLb0EES1D_EEDaS18_S19_EUlS18_E_NS1_11comp_targetILNS1_3genE8ELNS1_11target_archE1030ELNS1_3gpuE2ELNS1_3repE0EEENS1_30default_config_static_selectorELNS0_4arch9wavefront6targetE0EEEvT1_, .Lfunc_end1084-_ZN7rocprim17ROCPRIM_400000_NS6detail17trampoline_kernelINS0_14default_configENS1_25partition_config_selectorILNS1_17partition_subalgoE9EijbEEZZNS1_14partition_implILS5_9ELb0ES3_jN6thrust23THRUST_200600_302600_NS6detail15normal_iteratorINS9_10device_ptrIiEEEENSB_INSC_IjEEEEPNS0_10empty_typeENS0_5tupleIJNS9_16discard_iteratorINS9_11use_defaultEEESH_EEENSJ_IJSM_SI_EEENS0_18inequality_wrapperINS9_8equal_toIiEEEEPmJSH_EEE10hipError_tPvRmT3_T4_T5_T6_T7_T9_mT8_P12ihipStream_tbDpT10_ENKUlT_T0_E_clISt17integral_constantIbLb0EES1D_EEDaS18_S19_EUlS18_E_NS1_11comp_targetILNS1_3genE8ELNS1_11target_archE1030ELNS1_3gpuE2ELNS1_3repE0EEENS1_30default_config_static_selectorELNS0_4arch9wavefront6targetE0EEEvT1_
                                        ; -- End function
	.section	.AMDGPU.csdata,"",@progbits
; Kernel info:
; codeLenInByte = 0
; NumSgprs: 0
; NumVgprs: 0
; ScratchSize: 0
; MemoryBound: 0
; FloatMode: 240
; IeeeMode: 1
; LDSByteSize: 0 bytes/workgroup (compile time only)
; SGPRBlocks: 0
; VGPRBlocks: 0
; NumSGPRsForWavesPerEU: 1
; NumVGPRsForWavesPerEU: 1
; Occupancy: 16
; WaveLimiterHint : 0
; COMPUTE_PGM_RSRC2:SCRATCH_EN: 0
; COMPUTE_PGM_RSRC2:USER_SGPR: 15
; COMPUTE_PGM_RSRC2:TRAP_HANDLER: 0
; COMPUTE_PGM_RSRC2:TGID_X_EN: 1
; COMPUTE_PGM_RSRC2:TGID_Y_EN: 0
; COMPUTE_PGM_RSRC2:TGID_Z_EN: 0
; COMPUTE_PGM_RSRC2:TIDIG_COMP_CNT: 0
	.section	.text._ZN7rocprim17ROCPRIM_400000_NS6detail17trampoline_kernelINS0_14default_configENS1_25partition_config_selectorILNS1_17partition_subalgoE9EijbEEZZNS1_14partition_implILS5_9ELb0ES3_jN6thrust23THRUST_200600_302600_NS6detail15normal_iteratorINS9_10device_ptrIiEEEENSB_INSC_IjEEEEPNS0_10empty_typeENS0_5tupleIJNS9_16discard_iteratorINS9_11use_defaultEEESH_EEENSJ_IJSM_SI_EEENS0_18inequality_wrapperINS9_8equal_toIiEEEEPmJSH_EEE10hipError_tPvRmT3_T4_T5_T6_T7_T9_mT8_P12ihipStream_tbDpT10_ENKUlT_T0_E_clISt17integral_constantIbLb1EES1D_EEDaS18_S19_EUlS18_E_NS1_11comp_targetILNS1_3genE0ELNS1_11target_archE4294967295ELNS1_3gpuE0ELNS1_3repE0EEENS1_30default_config_static_selectorELNS0_4arch9wavefront6targetE0EEEvT1_,"axG",@progbits,_ZN7rocprim17ROCPRIM_400000_NS6detail17trampoline_kernelINS0_14default_configENS1_25partition_config_selectorILNS1_17partition_subalgoE9EijbEEZZNS1_14partition_implILS5_9ELb0ES3_jN6thrust23THRUST_200600_302600_NS6detail15normal_iteratorINS9_10device_ptrIiEEEENSB_INSC_IjEEEEPNS0_10empty_typeENS0_5tupleIJNS9_16discard_iteratorINS9_11use_defaultEEESH_EEENSJ_IJSM_SI_EEENS0_18inequality_wrapperINS9_8equal_toIiEEEEPmJSH_EEE10hipError_tPvRmT3_T4_T5_T6_T7_T9_mT8_P12ihipStream_tbDpT10_ENKUlT_T0_E_clISt17integral_constantIbLb1EES1D_EEDaS18_S19_EUlS18_E_NS1_11comp_targetILNS1_3genE0ELNS1_11target_archE4294967295ELNS1_3gpuE0ELNS1_3repE0EEENS1_30default_config_static_selectorELNS0_4arch9wavefront6targetE0EEEvT1_,comdat
	.protected	_ZN7rocprim17ROCPRIM_400000_NS6detail17trampoline_kernelINS0_14default_configENS1_25partition_config_selectorILNS1_17partition_subalgoE9EijbEEZZNS1_14partition_implILS5_9ELb0ES3_jN6thrust23THRUST_200600_302600_NS6detail15normal_iteratorINS9_10device_ptrIiEEEENSB_INSC_IjEEEEPNS0_10empty_typeENS0_5tupleIJNS9_16discard_iteratorINS9_11use_defaultEEESH_EEENSJ_IJSM_SI_EEENS0_18inequality_wrapperINS9_8equal_toIiEEEEPmJSH_EEE10hipError_tPvRmT3_T4_T5_T6_T7_T9_mT8_P12ihipStream_tbDpT10_ENKUlT_T0_E_clISt17integral_constantIbLb1EES1D_EEDaS18_S19_EUlS18_E_NS1_11comp_targetILNS1_3genE0ELNS1_11target_archE4294967295ELNS1_3gpuE0ELNS1_3repE0EEENS1_30default_config_static_selectorELNS0_4arch9wavefront6targetE0EEEvT1_ ; -- Begin function _ZN7rocprim17ROCPRIM_400000_NS6detail17trampoline_kernelINS0_14default_configENS1_25partition_config_selectorILNS1_17partition_subalgoE9EijbEEZZNS1_14partition_implILS5_9ELb0ES3_jN6thrust23THRUST_200600_302600_NS6detail15normal_iteratorINS9_10device_ptrIiEEEENSB_INSC_IjEEEEPNS0_10empty_typeENS0_5tupleIJNS9_16discard_iteratorINS9_11use_defaultEEESH_EEENSJ_IJSM_SI_EEENS0_18inequality_wrapperINS9_8equal_toIiEEEEPmJSH_EEE10hipError_tPvRmT3_T4_T5_T6_T7_T9_mT8_P12ihipStream_tbDpT10_ENKUlT_T0_E_clISt17integral_constantIbLb1EES1D_EEDaS18_S19_EUlS18_E_NS1_11comp_targetILNS1_3genE0ELNS1_11target_archE4294967295ELNS1_3gpuE0ELNS1_3repE0EEENS1_30default_config_static_selectorELNS0_4arch9wavefront6targetE0EEEvT1_
	.globl	_ZN7rocprim17ROCPRIM_400000_NS6detail17trampoline_kernelINS0_14default_configENS1_25partition_config_selectorILNS1_17partition_subalgoE9EijbEEZZNS1_14partition_implILS5_9ELb0ES3_jN6thrust23THRUST_200600_302600_NS6detail15normal_iteratorINS9_10device_ptrIiEEEENSB_INSC_IjEEEEPNS0_10empty_typeENS0_5tupleIJNS9_16discard_iteratorINS9_11use_defaultEEESH_EEENSJ_IJSM_SI_EEENS0_18inequality_wrapperINS9_8equal_toIiEEEEPmJSH_EEE10hipError_tPvRmT3_T4_T5_T6_T7_T9_mT8_P12ihipStream_tbDpT10_ENKUlT_T0_E_clISt17integral_constantIbLb1EES1D_EEDaS18_S19_EUlS18_E_NS1_11comp_targetILNS1_3genE0ELNS1_11target_archE4294967295ELNS1_3gpuE0ELNS1_3repE0EEENS1_30default_config_static_selectorELNS0_4arch9wavefront6targetE0EEEvT1_
	.p2align	8
	.type	_ZN7rocprim17ROCPRIM_400000_NS6detail17trampoline_kernelINS0_14default_configENS1_25partition_config_selectorILNS1_17partition_subalgoE9EijbEEZZNS1_14partition_implILS5_9ELb0ES3_jN6thrust23THRUST_200600_302600_NS6detail15normal_iteratorINS9_10device_ptrIiEEEENSB_INSC_IjEEEEPNS0_10empty_typeENS0_5tupleIJNS9_16discard_iteratorINS9_11use_defaultEEESH_EEENSJ_IJSM_SI_EEENS0_18inequality_wrapperINS9_8equal_toIiEEEEPmJSH_EEE10hipError_tPvRmT3_T4_T5_T6_T7_T9_mT8_P12ihipStream_tbDpT10_ENKUlT_T0_E_clISt17integral_constantIbLb1EES1D_EEDaS18_S19_EUlS18_E_NS1_11comp_targetILNS1_3genE0ELNS1_11target_archE4294967295ELNS1_3gpuE0ELNS1_3repE0EEENS1_30default_config_static_selectorELNS0_4arch9wavefront6targetE0EEEvT1_,@function
_ZN7rocprim17ROCPRIM_400000_NS6detail17trampoline_kernelINS0_14default_configENS1_25partition_config_selectorILNS1_17partition_subalgoE9EijbEEZZNS1_14partition_implILS5_9ELb0ES3_jN6thrust23THRUST_200600_302600_NS6detail15normal_iteratorINS9_10device_ptrIiEEEENSB_INSC_IjEEEEPNS0_10empty_typeENS0_5tupleIJNS9_16discard_iteratorINS9_11use_defaultEEESH_EEENSJ_IJSM_SI_EEENS0_18inequality_wrapperINS9_8equal_toIiEEEEPmJSH_EEE10hipError_tPvRmT3_T4_T5_T6_T7_T9_mT8_P12ihipStream_tbDpT10_ENKUlT_T0_E_clISt17integral_constantIbLb1EES1D_EEDaS18_S19_EUlS18_E_NS1_11comp_targetILNS1_3genE0ELNS1_11target_archE4294967295ELNS1_3gpuE0ELNS1_3repE0EEENS1_30default_config_static_selectorELNS0_4arch9wavefront6targetE0EEEvT1_: ; @_ZN7rocprim17ROCPRIM_400000_NS6detail17trampoline_kernelINS0_14default_configENS1_25partition_config_selectorILNS1_17partition_subalgoE9EijbEEZZNS1_14partition_implILS5_9ELb0ES3_jN6thrust23THRUST_200600_302600_NS6detail15normal_iteratorINS9_10device_ptrIiEEEENSB_INSC_IjEEEEPNS0_10empty_typeENS0_5tupleIJNS9_16discard_iteratorINS9_11use_defaultEEESH_EEENSJ_IJSM_SI_EEENS0_18inequality_wrapperINS9_8equal_toIiEEEEPmJSH_EEE10hipError_tPvRmT3_T4_T5_T6_T7_T9_mT8_P12ihipStream_tbDpT10_ENKUlT_T0_E_clISt17integral_constantIbLb1EES1D_EEDaS18_S19_EUlS18_E_NS1_11comp_targetILNS1_3genE0ELNS1_11target_archE4294967295ELNS1_3gpuE0ELNS1_3repE0EEENS1_30default_config_static_selectorELNS0_4arch9wavefront6targetE0EEEvT1_
; %bb.0:
	.section	.rodata,"a",@progbits
	.p2align	6, 0x0
	.amdhsa_kernel _ZN7rocprim17ROCPRIM_400000_NS6detail17trampoline_kernelINS0_14default_configENS1_25partition_config_selectorILNS1_17partition_subalgoE9EijbEEZZNS1_14partition_implILS5_9ELb0ES3_jN6thrust23THRUST_200600_302600_NS6detail15normal_iteratorINS9_10device_ptrIiEEEENSB_INSC_IjEEEEPNS0_10empty_typeENS0_5tupleIJNS9_16discard_iteratorINS9_11use_defaultEEESH_EEENSJ_IJSM_SI_EEENS0_18inequality_wrapperINS9_8equal_toIiEEEEPmJSH_EEE10hipError_tPvRmT3_T4_T5_T6_T7_T9_mT8_P12ihipStream_tbDpT10_ENKUlT_T0_E_clISt17integral_constantIbLb1EES1D_EEDaS18_S19_EUlS18_E_NS1_11comp_targetILNS1_3genE0ELNS1_11target_archE4294967295ELNS1_3gpuE0ELNS1_3repE0EEENS1_30default_config_static_selectorELNS0_4arch9wavefront6targetE0EEEvT1_
		.amdhsa_group_segment_fixed_size 0
		.amdhsa_private_segment_fixed_size 0
		.amdhsa_kernarg_size 144
		.amdhsa_user_sgpr_count 15
		.amdhsa_user_sgpr_dispatch_ptr 0
		.amdhsa_user_sgpr_queue_ptr 0
		.amdhsa_user_sgpr_kernarg_segment_ptr 1
		.amdhsa_user_sgpr_dispatch_id 0
		.amdhsa_user_sgpr_private_segment_size 0
		.amdhsa_wavefront_size32 1
		.amdhsa_uses_dynamic_stack 0
		.amdhsa_enable_private_segment 0
		.amdhsa_system_sgpr_workgroup_id_x 1
		.amdhsa_system_sgpr_workgroup_id_y 0
		.amdhsa_system_sgpr_workgroup_id_z 0
		.amdhsa_system_sgpr_workgroup_info 0
		.amdhsa_system_vgpr_workitem_id 0
		.amdhsa_next_free_vgpr 1
		.amdhsa_next_free_sgpr 1
		.amdhsa_reserve_vcc 0
		.amdhsa_float_round_mode_32 0
		.amdhsa_float_round_mode_16_64 0
		.amdhsa_float_denorm_mode_32 3
		.amdhsa_float_denorm_mode_16_64 3
		.amdhsa_dx10_clamp 1
		.amdhsa_ieee_mode 1
		.amdhsa_fp16_overflow 0
		.amdhsa_workgroup_processor_mode 1
		.amdhsa_memory_ordered 1
		.amdhsa_forward_progress 0
		.amdhsa_shared_vgpr_count 0
		.amdhsa_exception_fp_ieee_invalid_op 0
		.amdhsa_exception_fp_denorm_src 0
		.amdhsa_exception_fp_ieee_div_zero 0
		.amdhsa_exception_fp_ieee_overflow 0
		.amdhsa_exception_fp_ieee_underflow 0
		.amdhsa_exception_fp_ieee_inexact 0
		.amdhsa_exception_int_div_zero 0
	.end_amdhsa_kernel
	.section	.text._ZN7rocprim17ROCPRIM_400000_NS6detail17trampoline_kernelINS0_14default_configENS1_25partition_config_selectorILNS1_17partition_subalgoE9EijbEEZZNS1_14partition_implILS5_9ELb0ES3_jN6thrust23THRUST_200600_302600_NS6detail15normal_iteratorINS9_10device_ptrIiEEEENSB_INSC_IjEEEEPNS0_10empty_typeENS0_5tupleIJNS9_16discard_iteratorINS9_11use_defaultEEESH_EEENSJ_IJSM_SI_EEENS0_18inequality_wrapperINS9_8equal_toIiEEEEPmJSH_EEE10hipError_tPvRmT3_T4_T5_T6_T7_T9_mT8_P12ihipStream_tbDpT10_ENKUlT_T0_E_clISt17integral_constantIbLb1EES1D_EEDaS18_S19_EUlS18_E_NS1_11comp_targetILNS1_3genE0ELNS1_11target_archE4294967295ELNS1_3gpuE0ELNS1_3repE0EEENS1_30default_config_static_selectorELNS0_4arch9wavefront6targetE0EEEvT1_,"axG",@progbits,_ZN7rocprim17ROCPRIM_400000_NS6detail17trampoline_kernelINS0_14default_configENS1_25partition_config_selectorILNS1_17partition_subalgoE9EijbEEZZNS1_14partition_implILS5_9ELb0ES3_jN6thrust23THRUST_200600_302600_NS6detail15normal_iteratorINS9_10device_ptrIiEEEENSB_INSC_IjEEEEPNS0_10empty_typeENS0_5tupleIJNS9_16discard_iteratorINS9_11use_defaultEEESH_EEENSJ_IJSM_SI_EEENS0_18inequality_wrapperINS9_8equal_toIiEEEEPmJSH_EEE10hipError_tPvRmT3_T4_T5_T6_T7_T9_mT8_P12ihipStream_tbDpT10_ENKUlT_T0_E_clISt17integral_constantIbLb1EES1D_EEDaS18_S19_EUlS18_E_NS1_11comp_targetILNS1_3genE0ELNS1_11target_archE4294967295ELNS1_3gpuE0ELNS1_3repE0EEENS1_30default_config_static_selectorELNS0_4arch9wavefront6targetE0EEEvT1_,comdat
.Lfunc_end1085:
	.size	_ZN7rocprim17ROCPRIM_400000_NS6detail17trampoline_kernelINS0_14default_configENS1_25partition_config_selectorILNS1_17partition_subalgoE9EijbEEZZNS1_14partition_implILS5_9ELb0ES3_jN6thrust23THRUST_200600_302600_NS6detail15normal_iteratorINS9_10device_ptrIiEEEENSB_INSC_IjEEEEPNS0_10empty_typeENS0_5tupleIJNS9_16discard_iteratorINS9_11use_defaultEEESH_EEENSJ_IJSM_SI_EEENS0_18inequality_wrapperINS9_8equal_toIiEEEEPmJSH_EEE10hipError_tPvRmT3_T4_T5_T6_T7_T9_mT8_P12ihipStream_tbDpT10_ENKUlT_T0_E_clISt17integral_constantIbLb1EES1D_EEDaS18_S19_EUlS18_E_NS1_11comp_targetILNS1_3genE0ELNS1_11target_archE4294967295ELNS1_3gpuE0ELNS1_3repE0EEENS1_30default_config_static_selectorELNS0_4arch9wavefront6targetE0EEEvT1_, .Lfunc_end1085-_ZN7rocprim17ROCPRIM_400000_NS6detail17trampoline_kernelINS0_14default_configENS1_25partition_config_selectorILNS1_17partition_subalgoE9EijbEEZZNS1_14partition_implILS5_9ELb0ES3_jN6thrust23THRUST_200600_302600_NS6detail15normal_iteratorINS9_10device_ptrIiEEEENSB_INSC_IjEEEEPNS0_10empty_typeENS0_5tupleIJNS9_16discard_iteratorINS9_11use_defaultEEESH_EEENSJ_IJSM_SI_EEENS0_18inequality_wrapperINS9_8equal_toIiEEEEPmJSH_EEE10hipError_tPvRmT3_T4_T5_T6_T7_T9_mT8_P12ihipStream_tbDpT10_ENKUlT_T0_E_clISt17integral_constantIbLb1EES1D_EEDaS18_S19_EUlS18_E_NS1_11comp_targetILNS1_3genE0ELNS1_11target_archE4294967295ELNS1_3gpuE0ELNS1_3repE0EEENS1_30default_config_static_selectorELNS0_4arch9wavefront6targetE0EEEvT1_
                                        ; -- End function
	.section	.AMDGPU.csdata,"",@progbits
; Kernel info:
; codeLenInByte = 0
; NumSgprs: 0
; NumVgprs: 0
; ScratchSize: 0
; MemoryBound: 0
; FloatMode: 240
; IeeeMode: 1
; LDSByteSize: 0 bytes/workgroup (compile time only)
; SGPRBlocks: 0
; VGPRBlocks: 0
; NumSGPRsForWavesPerEU: 1
; NumVGPRsForWavesPerEU: 1
; Occupancy: 16
; WaveLimiterHint : 0
; COMPUTE_PGM_RSRC2:SCRATCH_EN: 0
; COMPUTE_PGM_RSRC2:USER_SGPR: 15
; COMPUTE_PGM_RSRC2:TRAP_HANDLER: 0
; COMPUTE_PGM_RSRC2:TGID_X_EN: 1
; COMPUTE_PGM_RSRC2:TGID_Y_EN: 0
; COMPUTE_PGM_RSRC2:TGID_Z_EN: 0
; COMPUTE_PGM_RSRC2:TIDIG_COMP_CNT: 0
	.section	.text._ZN7rocprim17ROCPRIM_400000_NS6detail17trampoline_kernelINS0_14default_configENS1_25partition_config_selectorILNS1_17partition_subalgoE9EijbEEZZNS1_14partition_implILS5_9ELb0ES3_jN6thrust23THRUST_200600_302600_NS6detail15normal_iteratorINS9_10device_ptrIiEEEENSB_INSC_IjEEEEPNS0_10empty_typeENS0_5tupleIJNS9_16discard_iteratorINS9_11use_defaultEEESH_EEENSJ_IJSM_SI_EEENS0_18inequality_wrapperINS9_8equal_toIiEEEEPmJSH_EEE10hipError_tPvRmT3_T4_T5_T6_T7_T9_mT8_P12ihipStream_tbDpT10_ENKUlT_T0_E_clISt17integral_constantIbLb1EES1D_EEDaS18_S19_EUlS18_E_NS1_11comp_targetILNS1_3genE5ELNS1_11target_archE942ELNS1_3gpuE9ELNS1_3repE0EEENS1_30default_config_static_selectorELNS0_4arch9wavefront6targetE0EEEvT1_,"axG",@progbits,_ZN7rocprim17ROCPRIM_400000_NS6detail17trampoline_kernelINS0_14default_configENS1_25partition_config_selectorILNS1_17partition_subalgoE9EijbEEZZNS1_14partition_implILS5_9ELb0ES3_jN6thrust23THRUST_200600_302600_NS6detail15normal_iteratorINS9_10device_ptrIiEEEENSB_INSC_IjEEEEPNS0_10empty_typeENS0_5tupleIJNS9_16discard_iteratorINS9_11use_defaultEEESH_EEENSJ_IJSM_SI_EEENS0_18inequality_wrapperINS9_8equal_toIiEEEEPmJSH_EEE10hipError_tPvRmT3_T4_T5_T6_T7_T9_mT8_P12ihipStream_tbDpT10_ENKUlT_T0_E_clISt17integral_constantIbLb1EES1D_EEDaS18_S19_EUlS18_E_NS1_11comp_targetILNS1_3genE5ELNS1_11target_archE942ELNS1_3gpuE9ELNS1_3repE0EEENS1_30default_config_static_selectorELNS0_4arch9wavefront6targetE0EEEvT1_,comdat
	.protected	_ZN7rocprim17ROCPRIM_400000_NS6detail17trampoline_kernelINS0_14default_configENS1_25partition_config_selectorILNS1_17partition_subalgoE9EijbEEZZNS1_14partition_implILS5_9ELb0ES3_jN6thrust23THRUST_200600_302600_NS6detail15normal_iteratorINS9_10device_ptrIiEEEENSB_INSC_IjEEEEPNS0_10empty_typeENS0_5tupleIJNS9_16discard_iteratorINS9_11use_defaultEEESH_EEENSJ_IJSM_SI_EEENS0_18inequality_wrapperINS9_8equal_toIiEEEEPmJSH_EEE10hipError_tPvRmT3_T4_T5_T6_T7_T9_mT8_P12ihipStream_tbDpT10_ENKUlT_T0_E_clISt17integral_constantIbLb1EES1D_EEDaS18_S19_EUlS18_E_NS1_11comp_targetILNS1_3genE5ELNS1_11target_archE942ELNS1_3gpuE9ELNS1_3repE0EEENS1_30default_config_static_selectorELNS0_4arch9wavefront6targetE0EEEvT1_ ; -- Begin function _ZN7rocprim17ROCPRIM_400000_NS6detail17trampoline_kernelINS0_14default_configENS1_25partition_config_selectorILNS1_17partition_subalgoE9EijbEEZZNS1_14partition_implILS5_9ELb0ES3_jN6thrust23THRUST_200600_302600_NS6detail15normal_iteratorINS9_10device_ptrIiEEEENSB_INSC_IjEEEEPNS0_10empty_typeENS0_5tupleIJNS9_16discard_iteratorINS9_11use_defaultEEESH_EEENSJ_IJSM_SI_EEENS0_18inequality_wrapperINS9_8equal_toIiEEEEPmJSH_EEE10hipError_tPvRmT3_T4_T5_T6_T7_T9_mT8_P12ihipStream_tbDpT10_ENKUlT_T0_E_clISt17integral_constantIbLb1EES1D_EEDaS18_S19_EUlS18_E_NS1_11comp_targetILNS1_3genE5ELNS1_11target_archE942ELNS1_3gpuE9ELNS1_3repE0EEENS1_30default_config_static_selectorELNS0_4arch9wavefront6targetE0EEEvT1_
	.globl	_ZN7rocprim17ROCPRIM_400000_NS6detail17trampoline_kernelINS0_14default_configENS1_25partition_config_selectorILNS1_17partition_subalgoE9EijbEEZZNS1_14partition_implILS5_9ELb0ES3_jN6thrust23THRUST_200600_302600_NS6detail15normal_iteratorINS9_10device_ptrIiEEEENSB_INSC_IjEEEEPNS0_10empty_typeENS0_5tupleIJNS9_16discard_iteratorINS9_11use_defaultEEESH_EEENSJ_IJSM_SI_EEENS0_18inequality_wrapperINS9_8equal_toIiEEEEPmJSH_EEE10hipError_tPvRmT3_T4_T5_T6_T7_T9_mT8_P12ihipStream_tbDpT10_ENKUlT_T0_E_clISt17integral_constantIbLb1EES1D_EEDaS18_S19_EUlS18_E_NS1_11comp_targetILNS1_3genE5ELNS1_11target_archE942ELNS1_3gpuE9ELNS1_3repE0EEENS1_30default_config_static_selectorELNS0_4arch9wavefront6targetE0EEEvT1_
	.p2align	8
	.type	_ZN7rocprim17ROCPRIM_400000_NS6detail17trampoline_kernelINS0_14default_configENS1_25partition_config_selectorILNS1_17partition_subalgoE9EijbEEZZNS1_14partition_implILS5_9ELb0ES3_jN6thrust23THRUST_200600_302600_NS6detail15normal_iteratorINS9_10device_ptrIiEEEENSB_INSC_IjEEEEPNS0_10empty_typeENS0_5tupleIJNS9_16discard_iteratorINS9_11use_defaultEEESH_EEENSJ_IJSM_SI_EEENS0_18inequality_wrapperINS9_8equal_toIiEEEEPmJSH_EEE10hipError_tPvRmT3_T4_T5_T6_T7_T9_mT8_P12ihipStream_tbDpT10_ENKUlT_T0_E_clISt17integral_constantIbLb1EES1D_EEDaS18_S19_EUlS18_E_NS1_11comp_targetILNS1_3genE5ELNS1_11target_archE942ELNS1_3gpuE9ELNS1_3repE0EEENS1_30default_config_static_selectorELNS0_4arch9wavefront6targetE0EEEvT1_,@function
_ZN7rocprim17ROCPRIM_400000_NS6detail17trampoline_kernelINS0_14default_configENS1_25partition_config_selectorILNS1_17partition_subalgoE9EijbEEZZNS1_14partition_implILS5_9ELb0ES3_jN6thrust23THRUST_200600_302600_NS6detail15normal_iteratorINS9_10device_ptrIiEEEENSB_INSC_IjEEEEPNS0_10empty_typeENS0_5tupleIJNS9_16discard_iteratorINS9_11use_defaultEEESH_EEENSJ_IJSM_SI_EEENS0_18inequality_wrapperINS9_8equal_toIiEEEEPmJSH_EEE10hipError_tPvRmT3_T4_T5_T6_T7_T9_mT8_P12ihipStream_tbDpT10_ENKUlT_T0_E_clISt17integral_constantIbLb1EES1D_EEDaS18_S19_EUlS18_E_NS1_11comp_targetILNS1_3genE5ELNS1_11target_archE942ELNS1_3gpuE9ELNS1_3repE0EEENS1_30default_config_static_selectorELNS0_4arch9wavefront6targetE0EEEvT1_: ; @_ZN7rocprim17ROCPRIM_400000_NS6detail17trampoline_kernelINS0_14default_configENS1_25partition_config_selectorILNS1_17partition_subalgoE9EijbEEZZNS1_14partition_implILS5_9ELb0ES3_jN6thrust23THRUST_200600_302600_NS6detail15normal_iteratorINS9_10device_ptrIiEEEENSB_INSC_IjEEEEPNS0_10empty_typeENS0_5tupleIJNS9_16discard_iteratorINS9_11use_defaultEEESH_EEENSJ_IJSM_SI_EEENS0_18inequality_wrapperINS9_8equal_toIiEEEEPmJSH_EEE10hipError_tPvRmT3_T4_T5_T6_T7_T9_mT8_P12ihipStream_tbDpT10_ENKUlT_T0_E_clISt17integral_constantIbLb1EES1D_EEDaS18_S19_EUlS18_E_NS1_11comp_targetILNS1_3genE5ELNS1_11target_archE942ELNS1_3gpuE9ELNS1_3repE0EEENS1_30default_config_static_selectorELNS0_4arch9wavefront6targetE0EEEvT1_
; %bb.0:
	.section	.rodata,"a",@progbits
	.p2align	6, 0x0
	.amdhsa_kernel _ZN7rocprim17ROCPRIM_400000_NS6detail17trampoline_kernelINS0_14default_configENS1_25partition_config_selectorILNS1_17partition_subalgoE9EijbEEZZNS1_14partition_implILS5_9ELb0ES3_jN6thrust23THRUST_200600_302600_NS6detail15normal_iteratorINS9_10device_ptrIiEEEENSB_INSC_IjEEEEPNS0_10empty_typeENS0_5tupleIJNS9_16discard_iteratorINS9_11use_defaultEEESH_EEENSJ_IJSM_SI_EEENS0_18inequality_wrapperINS9_8equal_toIiEEEEPmJSH_EEE10hipError_tPvRmT3_T4_T5_T6_T7_T9_mT8_P12ihipStream_tbDpT10_ENKUlT_T0_E_clISt17integral_constantIbLb1EES1D_EEDaS18_S19_EUlS18_E_NS1_11comp_targetILNS1_3genE5ELNS1_11target_archE942ELNS1_3gpuE9ELNS1_3repE0EEENS1_30default_config_static_selectorELNS0_4arch9wavefront6targetE0EEEvT1_
		.amdhsa_group_segment_fixed_size 0
		.amdhsa_private_segment_fixed_size 0
		.amdhsa_kernarg_size 144
		.amdhsa_user_sgpr_count 15
		.amdhsa_user_sgpr_dispatch_ptr 0
		.amdhsa_user_sgpr_queue_ptr 0
		.amdhsa_user_sgpr_kernarg_segment_ptr 1
		.amdhsa_user_sgpr_dispatch_id 0
		.amdhsa_user_sgpr_private_segment_size 0
		.amdhsa_wavefront_size32 1
		.amdhsa_uses_dynamic_stack 0
		.amdhsa_enable_private_segment 0
		.amdhsa_system_sgpr_workgroup_id_x 1
		.amdhsa_system_sgpr_workgroup_id_y 0
		.amdhsa_system_sgpr_workgroup_id_z 0
		.amdhsa_system_sgpr_workgroup_info 0
		.amdhsa_system_vgpr_workitem_id 0
		.amdhsa_next_free_vgpr 1
		.amdhsa_next_free_sgpr 1
		.amdhsa_reserve_vcc 0
		.amdhsa_float_round_mode_32 0
		.amdhsa_float_round_mode_16_64 0
		.amdhsa_float_denorm_mode_32 3
		.amdhsa_float_denorm_mode_16_64 3
		.amdhsa_dx10_clamp 1
		.amdhsa_ieee_mode 1
		.amdhsa_fp16_overflow 0
		.amdhsa_workgroup_processor_mode 1
		.amdhsa_memory_ordered 1
		.amdhsa_forward_progress 0
		.amdhsa_shared_vgpr_count 0
		.amdhsa_exception_fp_ieee_invalid_op 0
		.amdhsa_exception_fp_denorm_src 0
		.amdhsa_exception_fp_ieee_div_zero 0
		.amdhsa_exception_fp_ieee_overflow 0
		.amdhsa_exception_fp_ieee_underflow 0
		.amdhsa_exception_fp_ieee_inexact 0
		.amdhsa_exception_int_div_zero 0
	.end_amdhsa_kernel
	.section	.text._ZN7rocprim17ROCPRIM_400000_NS6detail17trampoline_kernelINS0_14default_configENS1_25partition_config_selectorILNS1_17partition_subalgoE9EijbEEZZNS1_14partition_implILS5_9ELb0ES3_jN6thrust23THRUST_200600_302600_NS6detail15normal_iteratorINS9_10device_ptrIiEEEENSB_INSC_IjEEEEPNS0_10empty_typeENS0_5tupleIJNS9_16discard_iteratorINS9_11use_defaultEEESH_EEENSJ_IJSM_SI_EEENS0_18inequality_wrapperINS9_8equal_toIiEEEEPmJSH_EEE10hipError_tPvRmT3_T4_T5_T6_T7_T9_mT8_P12ihipStream_tbDpT10_ENKUlT_T0_E_clISt17integral_constantIbLb1EES1D_EEDaS18_S19_EUlS18_E_NS1_11comp_targetILNS1_3genE5ELNS1_11target_archE942ELNS1_3gpuE9ELNS1_3repE0EEENS1_30default_config_static_selectorELNS0_4arch9wavefront6targetE0EEEvT1_,"axG",@progbits,_ZN7rocprim17ROCPRIM_400000_NS6detail17trampoline_kernelINS0_14default_configENS1_25partition_config_selectorILNS1_17partition_subalgoE9EijbEEZZNS1_14partition_implILS5_9ELb0ES3_jN6thrust23THRUST_200600_302600_NS6detail15normal_iteratorINS9_10device_ptrIiEEEENSB_INSC_IjEEEEPNS0_10empty_typeENS0_5tupleIJNS9_16discard_iteratorINS9_11use_defaultEEESH_EEENSJ_IJSM_SI_EEENS0_18inequality_wrapperINS9_8equal_toIiEEEEPmJSH_EEE10hipError_tPvRmT3_T4_T5_T6_T7_T9_mT8_P12ihipStream_tbDpT10_ENKUlT_T0_E_clISt17integral_constantIbLb1EES1D_EEDaS18_S19_EUlS18_E_NS1_11comp_targetILNS1_3genE5ELNS1_11target_archE942ELNS1_3gpuE9ELNS1_3repE0EEENS1_30default_config_static_selectorELNS0_4arch9wavefront6targetE0EEEvT1_,comdat
.Lfunc_end1086:
	.size	_ZN7rocprim17ROCPRIM_400000_NS6detail17trampoline_kernelINS0_14default_configENS1_25partition_config_selectorILNS1_17partition_subalgoE9EijbEEZZNS1_14partition_implILS5_9ELb0ES3_jN6thrust23THRUST_200600_302600_NS6detail15normal_iteratorINS9_10device_ptrIiEEEENSB_INSC_IjEEEEPNS0_10empty_typeENS0_5tupleIJNS9_16discard_iteratorINS9_11use_defaultEEESH_EEENSJ_IJSM_SI_EEENS0_18inequality_wrapperINS9_8equal_toIiEEEEPmJSH_EEE10hipError_tPvRmT3_T4_T5_T6_T7_T9_mT8_P12ihipStream_tbDpT10_ENKUlT_T0_E_clISt17integral_constantIbLb1EES1D_EEDaS18_S19_EUlS18_E_NS1_11comp_targetILNS1_3genE5ELNS1_11target_archE942ELNS1_3gpuE9ELNS1_3repE0EEENS1_30default_config_static_selectorELNS0_4arch9wavefront6targetE0EEEvT1_, .Lfunc_end1086-_ZN7rocprim17ROCPRIM_400000_NS6detail17trampoline_kernelINS0_14default_configENS1_25partition_config_selectorILNS1_17partition_subalgoE9EijbEEZZNS1_14partition_implILS5_9ELb0ES3_jN6thrust23THRUST_200600_302600_NS6detail15normal_iteratorINS9_10device_ptrIiEEEENSB_INSC_IjEEEEPNS0_10empty_typeENS0_5tupleIJNS9_16discard_iteratorINS9_11use_defaultEEESH_EEENSJ_IJSM_SI_EEENS0_18inequality_wrapperINS9_8equal_toIiEEEEPmJSH_EEE10hipError_tPvRmT3_T4_T5_T6_T7_T9_mT8_P12ihipStream_tbDpT10_ENKUlT_T0_E_clISt17integral_constantIbLb1EES1D_EEDaS18_S19_EUlS18_E_NS1_11comp_targetILNS1_3genE5ELNS1_11target_archE942ELNS1_3gpuE9ELNS1_3repE0EEENS1_30default_config_static_selectorELNS0_4arch9wavefront6targetE0EEEvT1_
                                        ; -- End function
	.section	.AMDGPU.csdata,"",@progbits
; Kernel info:
; codeLenInByte = 0
; NumSgprs: 0
; NumVgprs: 0
; ScratchSize: 0
; MemoryBound: 0
; FloatMode: 240
; IeeeMode: 1
; LDSByteSize: 0 bytes/workgroup (compile time only)
; SGPRBlocks: 0
; VGPRBlocks: 0
; NumSGPRsForWavesPerEU: 1
; NumVGPRsForWavesPerEU: 1
; Occupancy: 16
; WaveLimiterHint : 0
; COMPUTE_PGM_RSRC2:SCRATCH_EN: 0
; COMPUTE_PGM_RSRC2:USER_SGPR: 15
; COMPUTE_PGM_RSRC2:TRAP_HANDLER: 0
; COMPUTE_PGM_RSRC2:TGID_X_EN: 1
; COMPUTE_PGM_RSRC2:TGID_Y_EN: 0
; COMPUTE_PGM_RSRC2:TGID_Z_EN: 0
; COMPUTE_PGM_RSRC2:TIDIG_COMP_CNT: 0
	.section	.text._ZN7rocprim17ROCPRIM_400000_NS6detail17trampoline_kernelINS0_14default_configENS1_25partition_config_selectorILNS1_17partition_subalgoE9EijbEEZZNS1_14partition_implILS5_9ELb0ES3_jN6thrust23THRUST_200600_302600_NS6detail15normal_iteratorINS9_10device_ptrIiEEEENSB_INSC_IjEEEEPNS0_10empty_typeENS0_5tupleIJNS9_16discard_iteratorINS9_11use_defaultEEESH_EEENSJ_IJSM_SI_EEENS0_18inequality_wrapperINS9_8equal_toIiEEEEPmJSH_EEE10hipError_tPvRmT3_T4_T5_T6_T7_T9_mT8_P12ihipStream_tbDpT10_ENKUlT_T0_E_clISt17integral_constantIbLb1EES1D_EEDaS18_S19_EUlS18_E_NS1_11comp_targetILNS1_3genE4ELNS1_11target_archE910ELNS1_3gpuE8ELNS1_3repE0EEENS1_30default_config_static_selectorELNS0_4arch9wavefront6targetE0EEEvT1_,"axG",@progbits,_ZN7rocprim17ROCPRIM_400000_NS6detail17trampoline_kernelINS0_14default_configENS1_25partition_config_selectorILNS1_17partition_subalgoE9EijbEEZZNS1_14partition_implILS5_9ELb0ES3_jN6thrust23THRUST_200600_302600_NS6detail15normal_iteratorINS9_10device_ptrIiEEEENSB_INSC_IjEEEEPNS0_10empty_typeENS0_5tupleIJNS9_16discard_iteratorINS9_11use_defaultEEESH_EEENSJ_IJSM_SI_EEENS0_18inequality_wrapperINS9_8equal_toIiEEEEPmJSH_EEE10hipError_tPvRmT3_T4_T5_T6_T7_T9_mT8_P12ihipStream_tbDpT10_ENKUlT_T0_E_clISt17integral_constantIbLb1EES1D_EEDaS18_S19_EUlS18_E_NS1_11comp_targetILNS1_3genE4ELNS1_11target_archE910ELNS1_3gpuE8ELNS1_3repE0EEENS1_30default_config_static_selectorELNS0_4arch9wavefront6targetE0EEEvT1_,comdat
	.protected	_ZN7rocprim17ROCPRIM_400000_NS6detail17trampoline_kernelINS0_14default_configENS1_25partition_config_selectorILNS1_17partition_subalgoE9EijbEEZZNS1_14partition_implILS5_9ELb0ES3_jN6thrust23THRUST_200600_302600_NS6detail15normal_iteratorINS9_10device_ptrIiEEEENSB_INSC_IjEEEEPNS0_10empty_typeENS0_5tupleIJNS9_16discard_iteratorINS9_11use_defaultEEESH_EEENSJ_IJSM_SI_EEENS0_18inequality_wrapperINS9_8equal_toIiEEEEPmJSH_EEE10hipError_tPvRmT3_T4_T5_T6_T7_T9_mT8_P12ihipStream_tbDpT10_ENKUlT_T0_E_clISt17integral_constantIbLb1EES1D_EEDaS18_S19_EUlS18_E_NS1_11comp_targetILNS1_3genE4ELNS1_11target_archE910ELNS1_3gpuE8ELNS1_3repE0EEENS1_30default_config_static_selectorELNS0_4arch9wavefront6targetE0EEEvT1_ ; -- Begin function _ZN7rocprim17ROCPRIM_400000_NS6detail17trampoline_kernelINS0_14default_configENS1_25partition_config_selectorILNS1_17partition_subalgoE9EijbEEZZNS1_14partition_implILS5_9ELb0ES3_jN6thrust23THRUST_200600_302600_NS6detail15normal_iteratorINS9_10device_ptrIiEEEENSB_INSC_IjEEEEPNS0_10empty_typeENS0_5tupleIJNS9_16discard_iteratorINS9_11use_defaultEEESH_EEENSJ_IJSM_SI_EEENS0_18inequality_wrapperINS9_8equal_toIiEEEEPmJSH_EEE10hipError_tPvRmT3_T4_T5_T6_T7_T9_mT8_P12ihipStream_tbDpT10_ENKUlT_T0_E_clISt17integral_constantIbLb1EES1D_EEDaS18_S19_EUlS18_E_NS1_11comp_targetILNS1_3genE4ELNS1_11target_archE910ELNS1_3gpuE8ELNS1_3repE0EEENS1_30default_config_static_selectorELNS0_4arch9wavefront6targetE0EEEvT1_
	.globl	_ZN7rocprim17ROCPRIM_400000_NS6detail17trampoline_kernelINS0_14default_configENS1_25partition_config_selectorILNS1_17partition_subalgoE9EijbEEZZNS1_14partition_implILS5_9ELb0ES3_jN6thrust23THRUST_200600_302600_NS6detail15normal_iteratorINS9_10device_ptrIiEEEENSB_INSC_IjEEEEPNS0_10empty_typeENS0_5tupleIJNS9_16discard_iteratorINS9_11use_defaultEEESH_EEENSJ_IJSM_SI_EEENS0_18inequality_wrapperINS9_8equal_toIiEEEEPmJSH_EEE10hipError_tPvRmT3_T4_T5_T6_T7_T9_mT8_P12ihipStream_tbDpT10_ENKUlT_T0_E_clISt17integral_constantIbLb1EES1D_EEDaS18_S19_EUlS18_E_NS1_11comp_targetILNS1_3genE4ELNS1_11target_archE910ELNS1_3gpuE8ELNS1_3repE0EEENS1_30default_config_static_selectorELNS0_4arch9wavefront6targetE0EEEvT1_
	.p2align	8
	.type	_ZN7rocprim17ROCPRIM_400000_NS6detail17trampoline_kernelINS0_14default_configENS1_25partition_config_selectorILNS1_17partition_subalgoE9EijbEEZZNS1_14partition_implILS5_9ELb0ES3_jN6thrust23THRUST_200600_302600_NS6detail15normal_iteratorINS9_10device_ptrIiEEEENSB_INSC_IjEEEEPNS0_10empty_typeENS0_5tupleIJNS9_16discard_iteratorINS9_11use_defaultEEESH_EEENSJ_IJSM_SI_EEENS0_18inequality_wrapperINS9_8equal_toIiEEEEPmJSH_EEE10hipError_tPvRmT3_T4_T5_T6_T7_T9_mT8_P12ihipStream_tbDpT10_ENKUlT_T0_E_clISt17integral_constantIbLb1EES1D_EEDaS18_S19_EUlS18_E_NS1_11comp_targetILNS1_3genE4ELNS1_11target_archE910ELNS1_3gpuE8ELNS1_3repE0EEENS1_30default_config_static_selectorELNS0_4arch9wavefront6targetE0EEEvT1_,@function
_ZN7rocprim17ROCPRIM_400000_NS6detail17trampoline_kernelINS0_14default_configENS1_25partition_config_selectorILNS1_17partition_subalgoE9EijbEEZZNS1_14partition_implILS5_9ELb0ES3_jN6thrust23THRUST_200600_302600_NS6detail15normal_iteratorINS9_10device_ptrIiEEEENSB_INSC_IjEEEEPNS0_10empty_typeENS0_5tupleIJNS9_16discard_iteratorINS9_11use_defaultEEESH_EEENSJ_IJSM_SI_EEENS0_18inequality_wrapperINS9_8equal_toIiEEEEPmJSH_EEE10hipError_tPvRmT3_T4_T5_T6_T7_T9_mT8_P12ihipStream_tbDpT10_ENKUlT_T0_E_clISt17integral_constantIbLb1EES1D_EEDaS18_S19_EUlS18_E_NS1_11comp_targetILNS1_3genE4ELNS1_11target_archE910ELNS1_3gpuE8ELNS1_3repE0EEENS1_30default_config_static_selectorELNS0_4arch9wavefront6targetE0EEEvT1_: ; @_ZN7rocprim17ROCPRIM_400000_NS6detail17trampoline_kernelINS0_14default_configENS1_25partition_config_selectorILNS1_17partition_subalgoE9EijbEEZZNS1_14partition_implILS5_9ELb0ES3_jN6thrust23THRUST_200600_302600_NS6detail15normal_iteratorINS9_10device_ptrIiEEEENSB_INSC_IjEEEEPNS0_10empty_typeENS0_5tupleIJNS9_16discard_iteratorINS9_11use_defaultEEESH_EEENSJ_IJSM_SI_EEENS0_18inequality_wrapperINS9_8equal_toIiEEEEPmJSH_EEE10hipError_tPvRmT3_T4_T5_T6_T7_T9_mT8_P12ihipStream_tbDpT10_ENKUlT_T0_E_clISt17integral_constantIbLb1EES1D_EEDaS18_S19_EUlS18_E_NS1_11comp_targetILNS1_3genE4ELNS1_11target_archE910ELNS1_3gpuE8ELNS1_3repE0EEENS1_30default_config_static_selectorELNS0_4arch9wavefront6targetE0EEEvT1_
; %bb.0:
	.section	.rodata,"a",@progbits
	.p2align	6, 0x0
	.amdhsa_kernel _ZN7rocprim17ROCPRIM_400000_NS6detail17trampoline_kernelINS0_14default_configENS1_25partition_config_selectorILNS1_17partition_subalgoE9EijbEEZZNS1_14partition_implILS5_9ELb0ES3_jN6thrust23THRUST_200600_302600_NS6detail15normal_iteratorINS9_10device_ptrIiEEEENSB_INSC_IjEEEEPNS0_10empty_typeENS0_5tupleIJNS9_16discard_iteratorINS9_11use_defaultEEESH_EEENSJ_IJSM_SI_EEENS0_18inequality_wrapperINS9_8equal_toIiEEEEPmJSH_EEE10hipError_tPvRmT3_T4_T5_T6_T7_T9_mT8_P12ihipStream_tbDpT10_ENKUlT_T0_E_clISt17integral_constantIbLb1EES1D_EEDaS18_S19_EUlS18_E_NS1_11comp_targetILNS1_3genE4ELNS1_11target_archE910ELNS1_3gpuE8ELNS1_3repE0EEENS1_30default_config_static_selectorELNS0_4arch9wavefront6targetE0EEEvT1_
		.amdhsa_group_segment_fixed_size 0
		.amdhsa_private_segment_fixed_size 0
		.amdhsa_kernarg_size 144
		.amdhsa_user_sgpr_count 15
		.amdhsa_user_sgpr_dispatch_ptr 0
		.amdhsa_user_sgpr_queue_ptr 0
		.amdhsa_user_sgpr_kernarg_segment_ptr 1
		.amdhsa_user_sgpr_dispatch_id 0
		.amdhsa_user_sgpr_private_segment_size 0
		.amdhsa_wavefront_size32 1
		.amdhsa_uses_dynamic_stack 0
		.amdhsa_enable_private_segment 0
		.amdhsa_system_sgpr_workgroup_id_x 1
		.amdhsa_system_sgpr_workgroup_id_y 0
		.amdhsa_system_sgpr_workgroup_id_z 0
		.amdhsa_system_sgpr_workgroup_info 0
		.amdhsa_system_vgpr_workitem_id 0
		.amdhsa_next_free_vgpr 1
		.amdhsa_next_free_sgpr 1
		.amdhsa_reserve_vcc 0
		.amdhsa_float_round_mode_32 0
		.amdhsa_float_round_mode_16_64 0
		.amdhsa_float_denorm_mode_32 3
		.amdhsa_float_denorm_mode_16_64 3
		.amdhsa_dx10_clamp 1
		.amdhsa_ieee_mode 1
		.amdhsa_fp16_overflow 0
		.amdhsa_workgroup_processor_mode 1
		.amdhsa_memory_ordered 1
		.amdhsa_forward_progress 0
		.amdhsa_shared_vgpr_count 0
		.amdhsa_exception_fp_ieee_invalid_op 0
		.amdhsa_exception_fp_denorm_src 0
		.amdhsa_exception_fp_ieee_div_zero 0
		.amdhsa_exception_fp_ieee_overflow 0
		.amdhsa_exception_fp_ieee_underflow 0
		.amdhsa_exception_fp_ieee_inexact 0
		.amdhsa_exception_int_div_zero 0
	.end_amdhsa_kernel
	.section	.text._ZN7rocprim17ROCPRIM_400000_NS6detail17trampoline_kernelINS0_14default_configENS1_25partition_config_selectorILNS1_17partition_subalgoE9EijbEEZZNS1_14partition_implILS5_9ELb0ES3_jN6thrust23THRUST_200600_302600_NS6detail15normal_iteratorINS9_10device_ptrIiEEEENSB_INSC_IjEEEEPNS0_10empty_typeENS0_5tupleIJNS9_16discard_iteratorINS9_11use_defaultEEESH_EEENSJ_IJSM_SI_EEENS0_18inequality_wrapperINS9_8equal_toIiEEEEPmJSH_EEE10hipError_tPvRmT3_T4_T5_T6_T7_T9_mT8_P12ihipStream_tbDpT10_ENKUlT_T0_E_clISt17integral_constantIbLb1EES1D_EEDaS18_S19_EUlS18_E_NS1_11comp_targetILNS1_3genE4ELNS1_11target_archE910ELNS1_3gpuE8ELNS1_3repE0EEENS1_30default_config_static_selectorELNS0_4arch9wavefront6targetE0EEEvT1_,"axG",@progbits,_ZN7rocprim17ROCPRIM_400000_NS6detail17trampoline_kernelINS0_14default_configENS1_25partition_config_selectorILNS1_17partition_subalgoE9EijbEEZZNS1_14partition_implILS5_9ELb0ES3_jN6thrust23THRUST_200600_302600_NS6detail15normal_iteratorINS9_10device_ptrIiEEEENSB_INSC_IjEEEEPNS0_10empty_typeENS0_5tupleIJNS9_16discard_iteratorINS9_11use_defaultEEESH_EEENSJ_IJSM_SI_EEENS0_18inequality_wrapperINS9_8equal_toIiEEEEPmJSH_EEE10hipError_tPvRmT3_T4_T5_T6_T7_T9_mT8_P12ihipStream_tbDpT10_ENKUlT_T0_E_clISt17integral_constantIbLb1EES1D_EEDaS18_S19_EUlS18_E_NS1_11comp_targetILNS1_3genE4ELNS1_11target_archE910ELNS1_3gpuE8ELNS1_3repE0EEENS1_30default_config_static_selectorELNS0_4arch9wavefront6targetE0EEEvT1_,comdat
.Lfunc_end1087:
	.size	_ZN7rocprim17ROCPRIM_400000_NS6detail17trampoline_kernelINS0_14default_configENS1_25partition_config_selectorILNS1_17partition_subalgoE9EijbEEZZNS1_14partition_implILS5_9ELb0ES3_jN6thrust23THRUST_200600_302600_NS6detail15normal_iteratorINS9_10device_ptrIiEEEENSB_INSC_IjEEEEPNS0_10empty_typeENS0_5tupleIJNS9_16discard_iteratorINS9_11use_defaultEEESH_EEENSJ_IJSM_SI_EEENS0_18inequality_wrapperINS9_8equal_toIiEEEEPmJSH_EEE10hipError_tPvRmT3_T4_T5_T6_T7_T9_mT8_P12ihipStream_tbDpT10_ENKUlT_T0_E_clISt17integral_constantIbLb1EES1D_EEDaS18_S19_EUlS18_E_NS1_11comp_targetILNS1_3genE4ELNS1_11target_archE910ELNS1_3gpuE8ELNS1_3repE0EEENS1_30default_config_static_selectorELNS0_4arch9wavefront6targetE0EEEvT1_, .Lfunc_end1087-_ZN7rocprim17ROCPRIM_400000_NS6detail17trampoline_kernelINS0_14default_configENS1_25partition_config_selectorILNS1_17partition_subalgoE9EijbEEZZNS1_14partition_implILS5_9ELb0ES3_jN6thrust23THRUST_200600_302600_NS6detail15normal_iteratorINS9_10device_ptrIiEEEENSB_INSC_IjEEEEPNS0_10empty_typeENS0_5tupleIJNS9_16discard_iteratorINS9_11use_defaultEEESH_EEENSJ_IJSM_SI_EEENS0_18inequality_wrapperINS9_8equal_toIiEEEEPmJSH_EEE10hipError_tPvRmT3_T4_T5_T6_T7_T9_mT8_P12ihipStream_tbDpT10_ENKUlT_T0_E_clISt17integral_constantIbLb1EES1D_EEDaS18_S19_EUlS18_E_NS1_11comp_targetILNS1_3genE4ELNS1_11target_archE910ELNS1_3gpuE8ELNS1_3repE0EEENS1_30default_config_static_selectorELNS0_4arch9wavefront6targetE0EEEvT1_
                                        ; -- End function
	.section	.AMDGPU.csdata,"",@progbits
; Kernel info:
; codeLenInByte = 0
; NumSgprs: 0
; NumVgprs: 0
; ScratchSize: 0
; MemoryBound: 0
; FloatMode: 240
; IeeeMode: 1
; LDSByteSize: 0 bytes/workgroup (compile time only)
; SGPRBlocks: 0
; VGPRBlocks: 0
; NumSGPRsForWavesPerEU: 1
; NumVGPRsForWavesPerEU: 1
; Occupancy: 15
; WaveLimiterHint : 0
; COMPUTE_PGM_RSRC2:SCRATCH_EN: 0
; COMPUTE_PGM_RSRC2:USER_SGPR: 15
; COMPUTE_PGM_RSRC2:TRAP_HANDLER: 0
; COMPUTE_PGM_RSRC2:TGID_X_EN: 1
; COMPUTE_PGM_RSRC2:TGID_Y_EN: 0
; COMPUTE_PGM_RSRC2:TGID_Z_EN: 0
; COMPUTE_PGM_RSRC2:TIDIG_COMP_CNT: 0
	.section	.text._ZN7rocprim17ROCPRIM_400000_NS6detail17trampoline_kernelINS0_14default_configENS1_25partition_config_selectorILNS1_17partition_subalgoE9EijbEEZZNS1_14partition_implILS5_9ELb0ES3_jN6thrust23THRUST_200600_302600_NS6detail15normal_iteratorINS9_10device_ptrIiEEEENSB_INSC_IjEEEEPNS0_10empty_typeENS0_5tupleIJNS9_16discard_iteratorINS9_11use_defaultEEESH_EEENSJ_IJSM_SI_EEENS0_18inequality_wrapperINS9_8equal_toIiEEEEPmJSH_EEE10hipError_tPvRmT3_T4_T5_T6_T7_T9_mT8_P12ihipStream_tbDpT10_ENKUlT_T0_E_clISt17integral_constantIbLb1EES1D_EEDaS18_S19_EUlS18_E_NS1_11comp_targetILNS1_3genE3ELNS1_11target_archE908ELNS1_3gpuE7ELNS1_3repE0EEENS1_30default_config_static_selectorELNS0_4arch9wavefront6targetE0EEEvT1_,"axG",@progbits,_ZN7rocprim17ROCPRIM_400000_NS6detail17trampoline_kernelINS0_14default_configENS1_25partition_config_selectorILNS1_17partition_subalgoE9EijbEEZZNS1_14partition_implILS5_9ELb0ES3_jN6thrust23THRUST_200600_302600_NS6detail15normal_iteratorINS9_10device_ptrIiEEEENSB_INSC_IjEEEEPNS0_10empty_typeENS0_5tupleIJNS9_16discard_iteratorINS9_11use_defaultEEESH_EEENSJ_IJSM_SI_EEENS0_18inequality_wrapperINS9_8equal_toIiEEEEPmJSH_EEE10hipError_tPvRmT3_T4_T5_T6_T7_T9_mT8_P12ihipStream_tbDpT10_ENKUlT_T0_E_clISt17integral_constantIbLb1EES1D_EEDaS18_S19_EUlS18_E_NS1_11comp_targetILNS1_3genE3ELNS1_11target_archE908ELNS1_3gpuE7ELNS1_3repE0EEENS1_30default_config_static_selectorELNS0_4arch9wavefront6targetE0EEEvT1_,comdat
	.protected	_ZN7rocprim17ROCPRIM_400000_NS6detail17trampoline_kernelINS0_14default_configENS1_25partition_config_selectorILNS1_17partition_subalgoE9EijbEEZZNS1_14partition_implILS5_9ELb0ES3_jN6thrust23THRUST_200600_302600_NS6detail15normal_iteratorINS9_10device_ptrIiEEEENSB_INSC_IjEEEEPNS0_10empty_typeENS0_5tupleIJNS9_16discard_iteratorINS9_11use_defaultEEESH_EEENSJ_IJSM_SI_EEENS0_18inequality_wrapperINS9_8equal_toIiEEEEPmJSH_EEE10hipError_tPvRmT3_T4_T5_T6_T7_T9_mT8_P12ihipStream_tbDpT10_ENKUlT_T0_E_clISt17integral_constantIbLb1EES1D_EEDaS18_S19_EUlS18_E_NS1_11comp_targetILNS1_3genE3ELNS1_11target_archE908ELNS1_3gpuE7ELNS1_3repE0EEENS1_30default_config_static_selectorELNS0_4arch9wavefront6targetE0EEEvT1_ ; -- Begin function _ZN7rocprim17ROCPRIM_400000_NS6detail17trampoline_kernelINS0_14default_configENS1_25partition_config_selectorILNS1_17partition_subalgoE9EijbEEZZNS1_14partition_implILS5_9ELb0ES3_jN6thrust23THRUST_200600_302600_NS6detail15normal_iteratorINS9_10device_ptrIiEEEENSB_INSC_IjEEEEPNS0_10empty_typeENS0_5tupleIJNS9_16discard_iteratorINS9_11use_defaultEEESH_EEENSJ_IJSM_SI_EEENS0_18inequality_wrapperINS9_8equal_toIiEEEEPmJSH_EEE10hipError_tPvRmT3_T4_T5_T6_T7_T9_mT8_P12ihipStream_tbDpT10_ENKUlT_T0_E_clISt17integral_constantIbLb1EES1D_EEDaS18_S19_EUlS18_E_NS1_11comp_targetILNS1_3genE3ELNS1_11target_archE908ELNS1_3gpuE7ELNS1_3repE0EEENS1_30default_config_static_selectorELNS0_4arch9wavefront6targetE0EEEvT1_
	.globl	_ZN7rocprim17ROCPRIM_400000_NS6detail17trampoline_kernelINS0_14default_configENS1_25partition_config_selectorILNS1_17partition_subalgoE9EijbEEZZNS1_14partition_implILS5_9ELb0ES3_jN6thrust23THRUST_200600_302600_NS6detail15normal_iteratorINS9_10device_ptrIiEEEENSB_INSC_IjEEEEPNS0_10empty_typeENS0_5tupleIJNS9_16discard_iteratorINS9_11use_defaultEEESH_EEENSJ_IJSM_SI_EEENS0_18inequality_wrapperINS9_8equal_toIiEEEEPmJSH_EEE10hipError_tPvRmT3_T4_T5_T6_T7_T9_mT8_P12ihipStream_tbDpT10_ENKUlT_T0_E_clISt17integral_constantIbLb1EES1D_EEDaS18_S19_EUlS18_E_NS1_11comp_targetILNS1_3genE3ELNS1_11target_archE908ELNS1_3gpuE7ELNS1_3repE0EEENS1_30default_config_static_selectorELNS0_4arch9wavefront6targetE0EEEvT1_
	.p2align	8
	.type	_ZN7rocprim17ROCPRIM_400000_NS6detail17trampoline_kernelINS0_14default_configENS1_25partition_config_selectorILNS1_17partition_subalgoE9EijbEEZZNS1_14partition_implILS5_9ELb0ES3_jN6thrust23THRUST_200600_302600_NS6detail15normal_iteratorINS9_10device_ptrIiEEEENSB_INSC_IjEEEEPNS0_10empty_typeENS0_5tupleIJNS9_16discard_iteratorINS9_11use_defaultEEESH_EEENSJ_IJSM_SI_EEENS0_18inequality_wrapperINS9_8equal_toIiEEEEPmJSH_EEE10hipError_tPvRmT3_T4_T5_T6_T7_T9_mT8_P12ihipStream_tbDpT10_ENKUlT_T0_E_clISt17integral_constantIbLb1EES1D_EEDaS18_S19_EUlS18_E_NS1_11comp_targetILNS1_3genE3ELNS1_11target_archE908ELNS1_3gpuE7ELNS1_3repE0EEENS1_30default_config_static_selectorELNS0_4arch9wavefront6targetE0EEEvT1_,@function
_ZN7rocprim17ROCPRIM_400000_NS6detail17trampoline_kernelINS0_14default_configENS1_25partition_config_selectorILNS1_17partition_subalgoE9EijbEEZZNS1_14partition_implILS5_9ELb0ES3_jN6thrust23THRUST_200600_302600_NS6detail15normal_iteratorINS9_10device_ptrIiEEEENSB_INSC_IjEEEEPNS0_10empty_typeENS0_5tupleIJNS9_16discard_iteratorINS9_11use_defaultEEESH_EEENSJ_IJSM_SI_EEENS0_18inequality_wrapperINS9_8equal_toIiEEEEPmJSH_EEE10hipError_tPvRmT3_T4_T5_T6_T7_T9_mT8_P12ihipStream_tbDpT10_ENKUlT_T0_E_clISt17integral_constantIbLb1EES1D_EEDaS18_S19_EUlS18_E_NS1_11comp_targetILNS1_3genE3ELNS1_11target_archE908ELNS1_3gpuE7ELNS1_3repE0EEENS1_30default_config_static_selectorELNS0_4arch9wavefront6targetE0EEEvT1_: ; @_ZN7rocprim17ROCPRIM_400000_NS6detail17trampoline_kernelINS0_14default_configENS1_25partition_config_selectorILNS1_17partition_subalgoE9EijbEEZZNS1_14partition_implILS5_9ELb0ES3_jN6thrust23THRUST_200600_302600_NS6detail15normal_iteratorINS9_10device_ptrIiEEEENSB_INSC_IjEEEEPNS0_10empty_typeENS0_5tupleIJNS9_16discard_iteratorINS9_11use_defaultEEESH_EEENSJ_IJSM_SI_EEENS0_18inequality_wrapperINS9_8equal_toIiEEEEPmJSH_EEE10hipError_tPvRmT3_T4_T5_T6_T7_T9_mT8_P12ihipStream_tbDpT10_ENKUlT_T0_E_clISt17integral_constantIbLb1EES1D_EEDaS18_S19_EUlS18_E_NS1_11comp_targetILNS1_3genE3ELNS1_11target_archE908ELNS1_3gpuE7ELNS1_3repE0EEENS1_30default_config_static_selectorELNS0_4arch9wavefront6targetE0EEEvT1_
; %bb.0:
	.section	.rodata,"a",@progbits
	.p2align	6, 0x0
	.amdhsa_kernel _ZN7rocprim17ROCPRIM_400000_NS6detail17trampoline_kernelINS0_14default_configENS1_25partition_config_selectorILNS1_17partition_subalgoE9EijbEEZZNS1_14partition_implILS5_9ELb0ES3_jN6thrust23THRUST_200600_302600_NS6detail15normal_iteratorINS9_10device_ptrIiEEEENSB_INSC_IjEEEEPNS0_10empty_typeENS0_5tupleIJNS9_16discard_iteratorINS9_11use_defaultEEESH_EEENSJ_IJSM_SI_EEENS0_18inequality_wrapperINS9_8equal_toIiEEEEPmJSH_EEE10hipError_tPvRmT3_T4_T5_T6_T7_T9_mT8_P12ihipStream_tbDpT10_ENKUlT_T0_E_clISt17integral_constantIbLb1EES1D_EEDaS18_S19_EUlS18_E_NS1_11comp_targetILNS1_3genE3ELNS1_11target_archE908ELNS1_3gpuE7ELNS1_3repE0EEENS1_30default_config_static_selectorELNS0_4arch9wavefront6targetE0EEEvT1_
		.amdhsa_group_segment_fixed_size 0
		.amdhsa_private_segment_fixed_size 0
		.amdhsa_kernarg_size 144
		.amdhsa_user_sgpr_count 15
		.amdhsa_user_sgpr_dispatch_ptr 0
		.amdhsa_user_sgpr_queue_ptr 0
		.amdhsa_user_sgpr_kernarg_segment_ptr 1
		.amdhsa_user_sgpr_dispatch_id 0
		.amdhsa_user_sgpr_private_segment_size 0
		.amdhsa_wavefront_size32 1
		.amdhsa_uses_dynamic_stack 0
		.amdhsa_enable_private_segment 0
		.amdhsa_system_sgpr_workgroup_id_x 1
		.amdhsa_system_sgpr_workgroup_id_y 0
		.amdhsa_system_sgpr_workgroup_id_z 0
		.amdhsa_system_sgpr_workgroup_info 0
		.amdhsa_system_vgpr_workitem_id 0
		.amdhsa_next_free_vgpr 1
		.amdhsa_next_free_sgpr 1
		.amdhsa_reserve_vcc 0
		.amdhsa_float_round_mode_32 0
		.amdhsa_float_round_mode_16_64 0
		.amdhsa_float_denorm_mode_32 3
		.amdhsa_float_denorm_mode_16_64 3
		.amdhsa_dx10_clamp 1
		.amdhsa_ieee_mode 1
		.amdhsa_fp16_overflow 0
		.amdhsa_workgroup_processor_mode 1
		.amdhsa_memory_ordered 1
		.amdhsa_forward_progress 0
		.amdhsa_shared_vgpr_count 0
		.amdhsa_exception_fp_ieee_invalid_op 0
		.amdhsa_exception_fp_denorm_src 0
		.amdhsa_exception_fp_ieee_div_zero 0
		.amdhsa_exception_fp_ieee_overflow 0
		.amdhsa_exception_fp_ieee_underflow 0
		.amdhsa_exception_fp_ieee_inexact 0
		.amdhsa_exception_int_div_zero 0
	.end_amdhsa_kernel
	.section	.text._ZN7rocprim17ROCPRIM_400000_NS6detail17trampoline_kernelINS0_14default_configENS1_25partition_config_selectorILNS1_17partition_subalgoE9EijbEEZZNS1_14partition_implILS5_9ELb0ES3_jN6thrust23THRUST_200600_302600_NS6detail15normal_iteratorINS9_10device_ptrIiEEEENSB_INSC_IjEEEEPNS0_10empty_typeENS0_5tupleIJNS9_16discard_iteratorINS9_11use_defaultEEESH_EEENSJ_IJSM_SI_EEENS0_18inequality_wrapperINS9_8equal_toIiEEEEPmJSH_EEE10hipError_tPvRmT3_T4_T5_T6_T7_T9_mT8_P12ihipStream_tbDpT10_ENKUlT_T0_E_clISt17integral_constantIbLb1EES1D_EEDaS18_S19_EUlS18_E_NS1_11comp_targetILNS1_3genE3ELNS1_11target_archE908ELNS1_3gpuE7ELNS1_3repE0EEENS1_30default_config_static_selectorELNS0_4arch9wavefront6targetE0EEEvT1_,"axG",@progbits,_ZN7rocprim17ROCPRIM_400000_NS6detail17trampoline_kernelINS0_14default_configENS1_25partition_config_selectorILNS1_17partition_subalgoE9EijbEEZZNS1_14partition_implILS5_9ELb0ES3_jN6thrust23THRUST_200600_302600_NS6detail15normal_iteratorINS9_10device_ptrIiEEEENSB_INSC_IjEEEEPNS0_10empty_typeENS0_5tupleIJNS9_16discard_iteratorINS9_11use_defaultEEESH_EEENSJ_IJSM_SI_EEENS0_18inequality_wrapperINS9_8equal_toIiEEEEPmJSH_EEE10hipError_tPvRmT3_T4_T5_T6_T7_T9_mT8_P12ihipStream_tbDpT10_ENKUlT_T0_E_clISt17integral_constantIbLb1EES1D_EEDaS18_S19_EUlS18_E_NS1_11comp_targetILNS1_3genE3ELNS1_11target_archE908ELNS1_3gpuE7ELNS1_3repE0EEENS1_30default_config_static_selectorELNS0_4arch9wavefront6targetE0EEEvT1_,comdat
.Lfunc_end1088:
	.size	_ZN7rocprim17ROCPRIM_400000_NS6detail17trampoline_kernelINS0_14default_configENS1_25partition_config_selectorILNS1_17partition_subalgoE9EijbEEZZNS1_14partition_implILS5_9ELb0ES3_jN6thrust23THRUST_200600_302600_NS6detail15normal_iteratorINS9_10device_ptrIiEEEENSB_INSC_IjEEEEPNS0_10empty_typeENS0_5tupleIJNS9_16discard_iteratorINS9_11use_defaultEEESH_EEENSJ_IJSM_SI_EEENS0_18inequality_wrapperINS9_8equal_toIiEEEEPmJSH_EEE10hipError_tPvRmT3_T4_T5_T6_T7_T9_mT8_P12ihipStream_tbDpT10_ENKUlT_T0_E_clISt17integral_constantIbLb1EES1D_EEDaS18_S19_EUlS18_E_NS1_11comp_targetILNS1_3genE3ELNS1_11target_archE908ELNS1_3gpuE7ELNS1_3repE0EEENS1_30default_config_static_selectorELNS0_4arch9wavefront6targetE0EEEvT1_, .Lfunc_end1088-_ZN7rocprim17ROCPRIM_400000_NS6detail17trampoline_kernelINS0_14default_configENS1_25partition_config_selectorILNS1_17partition_subalgoE9EijbEEZZNS1_14partition_implILS5_9ELb0ES3_jN6thrust23THRUST_200600_302600_NS6detail15normal_iteratorINS9_10device_ptrIiEEEENSB_INSC_IjEEEEPNS0_10empty_typeENS0_5tupleIJNS9_16discard_iteratorINS9_11use_defaultEEESH_EEENSJ_IJSM_SI_EEENS0_18inequality_wrapperINS9_8equal_toIiEEEEPmJSH_EEE10hipError_tPvRmT3_T4_T5_T6_T7_T9_mT8_P12ihipStream_tbDpT10_ENKUlT_T0_E_clISt17integral_constantIbLb1EES1D_EEDaS18_S19_EUlS18_E_NS1_11comp_targetILNS1_3genE3ELNS1_11target_archE908ELNS1_3gpuE7ELNS1_3repE0EEENS1_30default_config_static_selectorELNS0_4arch9wavefront6targetE0EEEvT1_
                                        ; -- End function
	.section	.AMDGPU.csdata,"",@progbits
; Kernel info:
; codeLenInByte = 0
; NumSgprs: 0
; NumVgprs: 0
; ScratchSize: 0
; MemoryBound: 0
; FloatMode: 240
; IeeeMode: 1
; LDSByteSize: 0 bytes/workgroup (compile time only)
; SGPRBlocks: 0
; VGPRBlocks: 0
; NumSGPRsForWavesPerEU: 1
; NumVGPRsForWavesPerEU: 1
; Occupancy: 16
; WaveLimiterHint : 0
; COMPUTE_PGM_RSRC2:SCRATCH_EN: 0
; COMPUTE_PGM_RSRC2:USER_SGPR: 15
; COMPUTE_PGM_RSRC2:TRAP_HANDLER: 0
; COMPUTE_PGM_RSRC2:TGID_X_EN: 1
; COMPUTE_PGM_RSRC2:TGID_Y_EN: 0
; COMPUTE_PGM_RSRC2:TGID_Z_EN: 0
; COMPUTE_PGM_RSRC2:TIDIG_COMP_CNT: 0
	.section	.text._ZN7rocprim17ROCPRIM_400000_NS6detail17trampoline_kernelINS0_14default_configENS1_25partition_config_selectorILNS1_17partition_subalgoE9EijbEEZZNS1_14partition_implILS5_9ELb0ES3_jN6thrust23THRUST_200600_302600_NS6detail15normal_iteratorINS9_10device_ptrIiEEEENSB_INSC_IjEEEEPNS0_10empty_typeENS0_5tupleIJNS9_16discard_iteratorINS9_11use_defaultEEESH_EEENSJ_IJSM_SI_EEENS0_18inequality_wrapperINS9_8equal_toIiEEEEPmJSH_EEE10hipError_tPvRmT3_T4_T5_T6_T7_T9_mT8_P12ihipStream_tbDpT10_ENKUlT_T0_E_clISt17integral_constantIbLb1EES1D_EEDaS18_S19_EUlS18_E_NS1_11comp_targetILNS1_3genE2ELNS1_11target_archE906ELNS1_3gpuE6ELNS1_3repE0EEENS1_30default_config_static_selectorELNS0_4arch9wavefront6targetE0EEEvT1_,"axG",@progbits,_ZN7rocprim17ROCPRIM_400000_NS6detail17trampoline_kernelINS0_14default_configENS1_25partition_config_selectorILNS1_17partition_subalgoE9EijbEEZZNS1_14partition_implILS5_9ELb0ES3_jN6thrust23THRUST_200600_302600_NS6detail15normal_iteratorINS9_10device_ptrIiEEEENSB_INSC_IjEEEEPNS0_10empty_typeENS0_5tupleIJNS9_16discard_iteratorINS9_11use_defaultEEESH_EEENSJ_IJSM_SI_EEENS0_18inequality_wrapperINS9_8equal_toIiEEEEPmJSH_EEE10hipError_tPvRmT3_T4_T5_T6_T7_T9_mT8_P12ihipStream_tbDpT10_ENKUlT_T0_E_clISt17integral_constantIbLb1EES1D_EEDaS18_S19_EUlS18_E_NS1_11comp_targetILNS1_3genE2ELNS1_11target_archE906ELNS1_3gpuE6ELNS1_3repE0EEENS1_30default_config_static_selectorELNS0_4arch9wavefront6targetE0EEEvT1_,comdat
	.protected	_ZN7rocprim17ROCPRIM_400000_NS6detail17trampoline_kernelINS0_14default_configENS1_25partition_config_selectorILNS1_17partition_subalgoE9EijbEEZZNS1_14partition_implILS5_9ELb0ES3_jN6thrust23THRUST_200600_302600_NS6detail15normal_iteratorINS9_10device_ptrIiEEEENSB_INSC_IjEEEEPNS0_10empty_typeENS0_5tupleIJNS9_16discard_iteratorINS9_11use_defaultEEESH_EEENSJ_IJSM_SI_EEENS0_18inequality_wrapperINS9_8equal_toIiEEEEPmJSH_EEE10hipError_tPvRmT3_T4_T5_T6_T7_T9_mT8_P12ihipStream_tbDpT10_ENKUlT_T0_E_clISt17integral_constantIbLb1EES1D_EEDaS18_S19_EUlS18_E_NS1_11comp_targetILNS1_3genE2ELNS1_11target_archE906ELNS1_3gpuE6ELNS1_3repE0EEENS1_30default_config_static_selectorELNS0_4arch9wavefront6targetE0EEEvT1_ ; -- Begin function _ZN7rocprim17ROCPRIM_400000_NS6detail17trampoline_kernelINS0_14default_configENS1_25partition_config_selectorILNS1_17partition_subalgoE9EijbEEZZNS1_14partition_implILS5_9ELb0ES3_jN6thrust23THRUST_200600_302600_NS6detail15normal_iteratorINS9_10device_ptrIiEEEENSB_INSC_IjEEEEPNS0_10empty_typeENS0_5tupleIJNS9_16discard_iteratorINS9_11use_defaultEEESH_EEENSJ_IJSM_SI_EEENS0_18inequality_wrapperINS9_8equal_toIiEEEEPmJSH_EEE10hipError_tPvRmT3_T4_T5_T6_T7_T9_mT8_P12ihipStream_tbDpT10_ENKUlT_T0_E_clISt17integral_constantIbLb1EES1D_EEDaS18_S19_EUlS18_E_NS1_11comp_targetILNS1_3genE2ELNS1_11target_archE906ELNS1_3gpuE6ELNS1_3repE0EEENS1_30default_config_static_selectorELNS0_4arch9wavefront6targetE0EEEvT1_
	.globl	_ZN7rocprim17ROCPRIM_400000_NS6detail17trampoline_kernelINS0_14default_configENS1_25partition_config_selectorILNS1_17partition_subalgoE9EijbEEZZNS1_14partition_implILS5_9ELb0ES3_jN6thrust23THRUST_200600_302600_NS6detail15normal_iteratorINS9_10device_ptrIiEEEENSB_INSC_IjEEEEPNS0_10empty_typeENS0_5tupleIJNS9_16discard_iteratorINS9_11use_defaultEEESH_EEENSJ_IJSM_SI_EEENS0_18inequality_wrapperINS9_8equal_toIiEEEEPmJSH_EEE10hipError_tPvRmT3_T4_T5_T6_T7_T9_mT8_P12ihipStream_tbDpT10_ENKUlT_T0_E_clISt17integral_constantIbLb1EES1D_EEDaS18_S19_EUlS18_E_NS1_11comp_targetILNS1_3genE2ELNS1_11target_archE906ELNS1_3gpuE6ELNS1_3repE0EEENS1_30default_config_static_selectorELNS0_4arch9wavefront6targetE0EEEvT1_
	.p2align	8
	.type	_ZN7rocprim17ROCPRIM_400000_NS6detail17trampoline_kernelINS0_14default_configENS1_25partition_config_selectorILNS1_17partition_subalgoE9EijbEEZZNS1_14partition_implILS5_9ELb0ES3_jN6thrust23THRUST_200600_302600_NS6detail15normal_iteratorINS9_10device_ptrIiEEEENSB_INSC_IjEEEEPNS0_10empty_typeENS0_5tupleIJNS9_16discard_iteratorINS9_11use_defaultEEESH_EEENSJ_IJSM_SI_EEENS0_18inequality_wrapperINS9_8equal_toIiEEEEPmJSH_EEE10hipError_tPvRmT3_T4_T5_T6_T7_T9_mT8_P12ihipStream_tbDpT10_ENKUlT_T0_E_clISt17integral_constantIbLb1EES1D_EEDaS18_S19_EUlS18_E_NS1_11comp_targetILNS1_3genE2ELNS1_11target_archE906ELNS1_3gpuE6ELNS1_3repE0EEENS1_30default_config_static_selectorELNS0_4arch9wavefront6targetE0EEEvT1_,@function
_ZN7rocprim17ROCPRIM_400000_NS6detail17trampoline_kernelINS0_14default_configENS1_25partition_config_selectorILNS1_17partition_subalgoE9EijbEEZZNS1_14partition_implILS5_9ELb0ES3_jN6thrust23THRUST_200600_302600_NS6detail15normal_iteratorINS9_10device_ptrIiEEEENSB_INSC_IjEEEEPNS0_10empty_typeENS0_5tupleIJNS9_16discard_iteratorINS9_11use_defaultEEESH_EEENSJ_IJSM_SI_EEENS0_18inequality_wrapperINS9_8equal_toIiEEEEPmJSH_EEE10hipError_tPvRmT3_T4_T5_T6_T7_T9_mT8_P12ihipStream_tbDpT10_ENKUlT_T0_E_clISt17integral_constantIbLb1EES1D_EEDaS18_S19_EUlS18_E_NS1_11comp_targetILNS1_3genE2ELNS1_11target_archE906ELNS1_3gpuE6ELNS1_3repE0EEENS1_30default_config_static_selectorELNS0_4arch9wavefront6targetE0EEEvT1_: ; @_ZN7rocprim17ROCPRIM_400000_NS6detail17trampoline_kernelINS0_14default_configENS1_25partition_config_selectorILNS1_17partition_subalgoE9EijbEEZZNS1_14partition_implILS5_9ELb0ES3_jN6thrust23THRUST_200600_302600_NS6detail15normal_iteratorINS9_10device_ptrIiEEEENSB_INSC_IjEEEEPNS0_10empty_typeENS0_5tupleIJNS9_16discard_iteratorINS9_11use_defaultEEESH_EEENSJ_IJSM_SI_EEENS0_18inequality_wrapperINS9_8equal_toIiEEEEPmJSH_EEE10hipError_tPvRmT3_T4_T5_T6_T7_T9_mT8_P12ihipStream_tbDpT10_ENKUlT_T0_E_clISt17integral_constantIbLb1EES1D_EEDaS18_S19_EUlS18_E_NS1_11comp_targetILNS1_3genE2ELNS1_11target_archE906ELNS1_3gpuE6ELNS1_3repE0EEENS1_30default_config_static_selectorELNS0_4arch9wavefront6targetE0EEEvT1_
; %bb.0:
	.section	.rodata,"a",@progbits
	.p2align	6, 0x0
	.amdhsa_kernel _ZN7rocprim17ROCPRIM_400000_NS6detail17trampoline_kernelINS0_14default_configENS1_25partition_config_selectorILNS1_17partition_subalgoE9EijbEEZZNS1_14partition_implILS5_9ELb0ES3_jN6thrust23THRUST_200600_302600_NS6detail15normal_iteratorINS9_10device_ptrIiEEEENSB_INSC_IjEEEEPNS0_10empty_typeENS0_5tupleIJNS9_16discard_iteratorINS9_11use_defaultEEESH_EEENSJ_IJSM_SI_EEENS0_18inequality_wrapperINS9_8equal_toIiEEEEPmJSH_EEE10hipError_tPvRmT3_T4_T5_T6_T7_T9_mT8_P12ihipStream_tbDpT10_ENKUlT_T0_E_clISt17integral_constantIbLb1EES1D_EEDaS18_S19_EUlS18_E_NS1_11comp_targetILNS1_3genE2ELNS1_11target_archE906ELNS1_3gpuE6ELNS1_3repE0EEENS1_30default_config_static_selectorELNS0_4arch9wavefront6targetE0EEEvT1_
		.amdhsa_group_segment_fixed_size 0
		.amdhsa_private_segment_fixed_size 0
		.amdhsa_kernarg_size 144
		.amdhsa_user_sgpr_count 15
		.amdhsa_user_sgpr_dispatch_ptr 0
		.amdhsa_user_sgpr_queue_ptr 0
		.amdhsa_user_sgpr_kernarg_segment_ptr 1
		.amdhsa_user_sgpr_dispatch_id 0
		.amdhsa_user_sgpr_private_segment_size 0
		.amdhsa_wavefront_size32 1
		.amdhsa_uses_dynamic_stack 0
		.amdhsa_enable_private_segment 0
		.amdhsa_system_sgpr_workgroup_id_x 1
		.amdhsa_system_sgpr_workgroup_id_y 0
		.amdhsa_system_sgpr_workgroup_id_z 0
		.amdhsa_system_sgpr_workgroup_info 0
		.amdhsa_system_vgpr_workitem_id 0
		.amdhsa_next_free_vgpr 1
		.amdhsa_next_free_sgpr 1
		.amdhsa_reserve_vcc 0
		.amdhsa_float_round_mode_32 0
		.amdhsa_float_round_mode_16_64 0
		.amdhsa_float_denorm_mode_32 3
		.amdhsa_float_denorm_mode_16_64 3
		.amdhsa_dx10_clamp 1
		.amdhsa_ieee_mode 1
		.amdhsa_fp16_overflow 0
		.amdhsa_workgroup_processor_mode 1
		.amdhsa_memory_ordered 1
		.amdhsa_forward_progress 0
		.amdhsa_shared_vgpr_count 0
		.amdhsa_exception_fp_ieee_invalid_op 0
		.amdhsa_exception_fp_denorm_src 0
		.amdhsa_exception_fp_ieee_div_zero 0
		.amdhsa_exception_fp_ieee_overflow 0
		.amdhsa_exception_fp_ieee_underflow 0
		.amdhsa_exception_fp_ieee_inexact 0
		.amdhsa_exception_int_div_zero 0
	.end_amdhsa_kernel
	.section	.text._ZN7rocprim17ROCPRIM_400000_NS6detail17trampoline_kernelINS0_14default_configENS1_25partition_config_selectorILNS1_17partition_subalgoE9EijbEEZZNS1_14partition_implILS5_9ELb0ES3_jN6thrust23THRUST_200600_302600_NS6detail15normal_iteratorINS9_10device_ptrIiEEEENSB_INSC_IjEEEEPNS0_10empty_typeENS0_5tupleIJNS9_16discard_iteratorINS9_11use_defaultEEESH_EEENSJ_IJSM_SI_EEENS0_18inequality_wrapperINS9_8equal_toIiEEEEPmJSH_EEE10hipError_tPvRmT3_T4_T5_T6_T7_T9_mT8_P12ihipStream_tbDpT10_ENKUlT_T0_E_clISt17integral_constantIbLb1EES1D_EEDaS18_S19_EUlS18_E_NS1_11comp_targetILNS1_3genE2ELNS1_11target_archE906ELNS1_3gpuE6ELNS1_3repE0EEENS1_30default_config_static_selectorELNS0_4arch9wavefront6targetE0EEEvT1_,"axG",@progbits,_ZN7rocprim17ROCPRIM_400000_NS6detail17trampoline_kernelINS0_14default_configENS1_25partition_config_selectorILNS1_17partition_subalgoE9EijbEEZZNS1_14partition_implILS5_9ELb0ES3_jN6thrust23THRUST_200600_302600_NS6detail15normal_iteratorINS9_10device_ptrIiEEEENSB_INSC_IjEEEEPNS0_10empty_typeENS0_5tupleIJNS9_16discard_iteratorINS9_11use_defaultEEESH_EEENSJ_IJSM_SI_EEENS0_18inequality_wrapperINS9_8equal_toIiEEEEPmJSH_EEE10hipError_tPvRmT3_T4_T5_T6_T7_T9_mT8_P12ihipStream_tbDpT10_ENKUlT_T0_E_clISt17integral_constantIbLb1EES1D_EEDaS18_S19_EUlS18_E_NS1_11comp_targetILNS1_3genE2ELNS1_11target_archE906ELNS1_3gpuE6ELNS1_3repE0EEENS1_30default_config_static_selectorELNS0_4arch9wavefront6targetE0EEEvT1_,comdat
.Lfunc_end1089:
	.size	_ZN7rocprim17ROCPRIM_400000_NS6detail17trampoline_kernelINS0_14default_configENS1_25partition_config_selectorILNS1_17partition_subalgoE9EijbEEZZNS1_14partition_implILS5_9ELb0ES3_jN6thrust23THRUST_200600_302600_NS6detail15normal_iteratorINS9_10device_ptrIiEEEENSB_INSC_IjEEEEPNS0_10empty_typeENS0_5tupleIJNS9_16discard_iteratorINS9_11use_defaultEEESH_EEENSJ_IJSM_SI_EEENS0_18inequality_wrapperINS9_8equal_toIiEEEEPmJSH_EEE10hipError_tPvRmT3_T4_T5_T6_T7_T9_mT8_P12ihipStream_tbDpT10_ENKUlT_T0_E_clISt17integral_constantIbLb1EES1D_EEDaS18_S19_EUlS18_E_NS1_11comp_targetILNS1_3genE2ELNS1_11target_archE906ELNS1_3gpuE6ELNS1_3repE0EEENS1_30default_config_static_selectorELNS0_4arch9wavefront6targetE0EEEvT1_, .Lfunc_end1089-_ZN7rocprim17ROCPRIM_400000_NS6detail17trampoline_kernelINS0_14default_configENS1_25partition_config_selectorILNS1_17partition_subalgoE9EijbEEZZNS1_14partition_implILS5_9ELb0ES3_jN6thrust23THRUST_200600_302600_NS6detail15normal_iteratorINS9_10device_ptrIiEEEENSB_INSC_IjEEEEPNS0_10empty_typeENS0_5tupleIJNS9_16discard_iteratorINS9_11use_defaultEEESH_EEENSJ_IJSM_SI_EEENS0_18inequality_wrapperINS9_8equal_toIiEEEEPmJSH_EEE10hipError_tPvRmT3_T4_T5_T6_T7_T9_mT8_P12ihipStream_tbDpT10_ENKUlT_T0_E_clISt17integral_constantIbLb1EES1D_EEDaS18_S19_EUlS18_E_NS1_11comp_targetILNS1_3genE2ELNS1_11target_archE906ELNS1_3gpuE6ELNS1_3repE0EEENS1_30default_config_static_selectorELNS0_4arch9wavefront6targetE0EEEvT1_
                                        ; -- End function
	.section	.AMDGPU.csdata,"",@progbits
; Kernel info:
; codeLenInByte = 0
; NumSgprs: 0
; NumVgprs: 0
; ScratchSize: 0
; MemoryBound: 0
; FloatMode: 240
; IeeeMode: 1
; LDSByteSize: 0 bytes/workgroup (compile time only)
; SGPRBlocks: 0
; VGPRBlocks: 0
; NumSGPRsForWavesPerEU: 1
; NumVGPRsForWavesPerEU: 1
; Occupancy: 16
; WaveLimiterHint : 0
; COMPUTE_PGM_RSRC2:SCRATCH_EN: 0
; COMPUTE_PGM_RSRC2:USER_SGPR: 15
; COMPUTE_PGM_RSRC2:TRAP_HANDLER: 0
; COMPUTE_PGM_RSRC2:TGID_X_EN: 1
; COMPUTE_PGM_RSRC2:TGID_Y_EN: 0
; COMPUTE_PGM_RSRC2:TGID_Z_EN: 0
; COMPUTE_PGM_RSRC2:TIDIG_COMP_CNT: 0
	.section	.text._ZN7rocprim17ROCPRIM_400000_NS6detail17trampoline_kernelINS0_14default_configENS1_25partition_config_selectorILNS1_17partition_subalgoE9EijbEEZZNS1_14partition_implILS5_9ELb0ES3_jN6thrust23THRUST_200600_302600_NS6detail15normal_iteratorINS9_10device_ptrIiEEEENSB_INSC_IjEEEEPNS0_10empty_typeENS0_5tupleIJNS9_16discard_iteratorINS9_11use_defaultEEESH_EEENSJ_IJSM_SI_EEENS0_18inequality_wrapperINS9_8equal_toIiEEEEPmJSH_EEE10hipError_tPvRmT3_T4_T5_T6_T7_T9_mT8_P12ihipStream_tbDpT10_ENKUlT_T0_E_clISt17integral_constantIbLb1EES1D_EEDaS18_S19_EUlS18_E_NS1_11comp_targetILNS1_3genE10ELNS1_11target_archE1200ELNS1_3gpuE4ELNS1_3repE0EEENS1_30default_config_static_selectorELNS0_4arch9wavefront6targetE0EEEvT1_,"axG",@progbits,_ZN7rocprim17ROCPRIM_400000_NS6detail17trampoline_kernelINS0_14default_configENS1_25partition_config_selectorILNS1_17partition_subalgoE9EijbEEZZNS1_14partition_implILS5_9ELb0ES3_jN6thrust23THRUST_200600_302600_NS6detail15normal_iteratorINS9_10device_ptrIiEEEENSB_INSC_IjEEEEPNS0_10empty_typeENS0_5tupleIJNS9_16discard_iteratorINS9_11use_defaultEEESH_EEENSJ_IJSM_SI_EEENS0_18inequality_wrapperINS9_8equal_toIiEEEEPmJSH_EEE10hipError_tPvRmT3_T4_T5_T6_T7_T9_mT8_P12ihipStream_tbDpT10_ENKUlT_T0_E_clISt17integral_constantIbLb1EES1D_EEDaS18_S19_EUlS18_E_NS1_11comp_targetILNS1_3genE10ELNS1_11target_archE1200ELNS1_3gpuE4ELNS1_3repE0EEENS1_30default_config_static_selectorELNS0_4arch9wavefront6targetE0EEEvT1_,comdat
	.protected	_ZN7rocprim17ROCPRIM_400000_NS6detail17trampoline_kernelINS0_14default_configENS1_25partition_config_selectorILNS1_17partition_subalgoE9EijbEEZZNS1_14partition_implILS5_9ELb0ES3_jN6thrust23THRUST_200600_302600_NS6detail15normal_iteratorINS9_10device_ptrIiEEEENSB_INSC_IjEEEEPNS0_10empty_typeENS0_5tupleIJNS9_16discard_iteratorINS9_11use_defaultEEESH_EEENSJ_IJSM_SI_EEENS0_18inequality_wrapperINS9_8equal_toIiEEEEPmJSH_EEE10hipError_tPvRmT3_T4_T5_T6_T7_T9_mT8_P12ihipStream_tbDpT10_ENKUlT_T0_E_clISt17integral_constantIbLb1EES1D_EEDaS18_S19_EUlS18_E_NS1_11comp_targetILNS1_3genE10ELNS1_11target_archE1200ELNS1_3gpuE4ELNS1_3repE0EEENS1_30default_config_static_selectorELNS0_4arch9wavefront6targetE0EEEvT1_ ; -- Begin function _ZN7rocprim17ROCPRIM_400000_NS6detail17trampoline_kernelINS0_14default_configENS1_25partition_config_selectorILNS1_17partition_subalgoE9EijbEEZZNS1_14partition_implILS5_9ELb0ES3_jN6thrust23THRUST_200600_302600_NS6detail15normal_iteratorINS9_10device_ptrIiEEEENSB_INSC_IjEEEEPNS0_10empty_typeENS0_5tupleIJNS9_16discard_iteratorINS9_11use_defaultEEESH_EEENSJ_IJSM_SI_EEENS0_18inequality_wrapperINS9_8equal_toIiEEEEPmJSH_EEE10hipError_tPvRmT3_T4_T5_T6_T7_T9_mT8_P12ihipStream_tbDpT10_ENKUlT_T0_E_clISt17integral_constantIbLb1EES1D_EEDaS18_S19_EUlS18_E_NS1_11comp_targetILNS1_3genE10ELNS1_11target_archE1200ELNS1_3gpuE4ELNS1_3repE0EEENS1_30default_config_static_selectorELNS0_4arch9wavefront6targetE0EEEvT1_
	.globl	_ZN7rocprim17ROCPRIM_400000_NS6detail17trampoline_kernelINS0_14default_configENS1_25partition_config_selectorILNS1_17partition_subalgoE9EijbEEZZNS1_14partition_implILS5_9ELb0ES3_jN6thrust23THRUST_200600_302600_NS6detail15normal_iteratorINS9_10device_ptrIiEEEENSB_INSC_IjEEEEPNS0_10empty_typeENS0_5tupleIJNS9_16discard_iteratorINS9_11use_defaultEEESH_EEENSJ_IJSM_SI_EEENS0_18inequality_wrapperINS9_8equal_toIiEEEEPmJSH_EEE10hipError_tPvRmT3_T4_T5_T6_T7_T9_mT8_P12ihipStream_tbDpT10_ENKUlT_T0_E_clISt17integral_constantIbLb1EES1D_EEDaS18_S19_EUlS18_E_NS1_11comp_targetILNS1_3genE10ELNS1_11target_archE1200ELNS1_3gpuE4ELNS1_3repE0EEENS1_30default_config_static_selectorELNS0_4arch9wavefront6targetE0EEEvT1_
	.p2align	8
	.type	_ZN7rocprim17ROCPRIM_400000_NS6detail17trampoline_kernelINS0_14default_configENS1_25partition_config_selectorILNS1_17partition_subalgoE9EijbEEZZNS1_14partition_implILS5_9ELb0ES3_jN6thrust23THRUST_200600_302600_NS6detail15normal_iteratorINS9_10device_ptrIiEEEENSB_INSC_IjEEEEPNS0_10empty_typeENS0_5tupleIJNS9_16discard_iteratorINS9_11use_defaultEEESH_EEENSJ_IJSM_SI_EEENS0_18inequality_wrapperINS9_8equal_toIiEEEEPmJSH_EEE10hipError_tPvRmT3_T4_T5_T6_T7_T9_mT8_P12ihipStream_tbDpT10_ENKUlT_T0_E_clISt17integral_constantIbLb1EES1D_EEDaS18_S19_EUlS18_E_NS1_11comp_targetILNS1_3genE10ELNS1_11target_archE1200ELNS1_3gpuE4ELNS1_3repE0EEENS1_30default_config_static_selectorELNS0_4arch9wavefront6targetE0EEEvT1_,@function
_ZN7rocprim17ROCPRIM_400000_NS6detail17trampoline_kernelINS0_14default_configENS1_25partition_config_selectorILNS1_17partition_subalgoE9EijbEEZZNS1_14partition_implILS5_9ELb0ES3_jN6thrust23THRUST_200600_302600_NS6detail15normal_iteratorINS9_10device_ptrIiEEEENSB_INSC_IjEEEEPNS0_10empty_typeENS0_5tupleIJNS9_16discard_iteratorINS9_11use_defaultEEESH_EEENSJ_IJSM_SI_EEENS0_18inequality_wrapperINS9_8equal_toIiEEEEPmJSH_EEE10hipError_tPvRmT3_T4_T5_T6_T7_T9_mT8_P12ihipStream_tbDpT10_ENKUlT_T0_E_clISt17integral_constantIbLb1EES1D_EEDaS18_S19_EUlS18_E_NS1_11comp_targetILNS1_3genE10ELNS1_11target_archE1200ELNS1_3gpuE4ELNS1_3repE0EEENS1_30default_config_static_selectorELNS0_4arch9wavefront6targetE0EEEvT1_: ; @_ZN7rocprim17ROCPRIM_400000_NS6detail17trampoline_kernelINS0_14default_configENS1_25partition_config_selectorILNS1_17partition_subalgoE9EijbEEZZNS1_14partition_implILS5_9ELb0ES3_jN6thrust23THRUST_200600_302600_NS6detail15normal_iteratorINS9_10device_ptrIiEEEENSB_INSC_IjEEEEPNS0_10empty_typeENS0_5tupleIJNS9_16discard_iteratorINS9_11use_defaultEEESH_EEENSJ_IJSM_SI_EEENS0_18inequality_wrapperINS9_8equal_toIiEEEEPmJSH_EEE10hipError_tPvRmT3_T4_T5_T6_T7_T9_mT8_P12ihipStream_tbDpT10_ENKUlT_T0_E_clISt17integral_constantIbLb1EES1D_EEDaS18_S19_EUlS18_E_NS1_11comp_targetILNS1_3genE10ELNS1_11target_archE1200ELNS1_3gpuE4ELNS1_3repE0EEENS1_30default_config_static_selectorELNS0_4arch9wavefront6targetE0EEEvT1_
; %bb.0:
	.section	.rodata,"a",@progbits
	.p2align	6, 0x0
	.amdhsa_kernel _ZN7rocprim17ROCPRIM_400000_NS6detail17trampoline_kernelINS0_14default_configENS1_25partition_config_selectorILNS1_17partition_subalgoE9EijbEEZZNS1_14partition_implILS5_9ELb0ES3_jN6thrust23THRUST_200600_302600_NS6detail15normal_iteratorINS9_10device_ptrIiEEEENSB_INSC_IjEEEEPNS0_10empty_typeENS0_5tupleIJNS9_16discard_iteratorINS9_11use_defaultEEESH_EEENSJ_IJSM_SI_EEENS0_18inequality_wrapperINS9_8equal_toIiEEEEPmJSH_EEE10hipError_tPvRmT3_T4_T5_T6_T7_T9_mT8_P12ihipStream_tbDpT10_ENKUlT_T0_E_clISt17integral_constantIbLb1EES1D_EEDaS18_S19_EUlS18_E_NS1_11comp_targetILNS1_3genE10ELNS1_11target_archE1200ELNS1_3gpuE4ELNS1_3repE0EEENS1_30default_config_static_selectorELNS0_4arch9wavefront6targetE0EEEvT1_
		.amdhsa_group_segment_fixed_size 0
		.amdhsa_private_segment_fixed_size 0
		.amdhsa_kernarg_size 144
		.amdhsa_user_sgpr_count 15
		.amdhsa_user_sgpr_dispatch_ptr 0
		.amdhsa_user_sgpr_queue_ptr 0
		.amdhsa_user_sgpr_kernarg_segment_ptr 1
		.amdhsa_user_sgpr_dispatch_id 0
		.amdhsa_user_sgpr_private_segment_size 0
		.amdhsa_wavefront_size32 1
		.amdhsa_uses_dynamic_stack 0
		.amdhsa_enable_private_segment 0
		.amdhsa_system_sgpr_workgroup_id_x 1
		.amdhsa_system_sgpr_workgroup_id_y 0
		.amdhsa_system_sgpr_workgroup_id_z 0
		.amdhsa_system_sgpr_workgroup_info 0
		.amdhsa_system_vgpr_workitem_id 0
		.amdhsa_next_free_vgpr 1
		.amdhsa_next_free_sgpr 1
		.amdhsa_reserve_vcc 0
		.amdhsa_float_round_mode_32 0
		.amdhsa_float_round_mode_16_64 0
		.amdhsa_float_denorm_mode_32 3
		.amdhsa_float_denorm_mode_16_64 3
		.amdhsa_dx10_clamp 1
		.amdhsa_ieee_mode 1
		.amdhsa_fp16_overflow 0
		.amdhsa_workgroup_processor_mode 1
		.amdhsa_memory_ordered 1
		.amdhsa_forward_progress 0
		.amdhsa_shared_vgpr_count 0
		.amdhsa_exception_fp_ieee_invalid_op 0
		.amdhsa_exception_fp_denorm_src 0
		.amdhsa_exception_fp_ieee_div_zero 0
		.amdhsa_exception_fp_ieee_overflow 0
		.amdhsa_exception_fp_ieee_underflow 0
		.amdhsa_exception_fp_ieee_inexact 0
		.amdhsa_exception_int_div_zero 0
	.end_amdhsa_kernel
	.section	.text._ZN7rocprim17ROCPRIM_400000_NS6detail17trampoline_kernelINS0_14default_configENS1_25partition_config_selectorILNS1_17partition_subalgoE9EijbEEZZNS1_14partition_implILS5_9ELb0ES3_jN6thrust23THRUST_200600_302600_NS6detail15normal_iteratorINS9_10device_ptrIiEEEENSB_INSC_IjEEEEPNS0_10empty_typeENS0_5tupleIJNS9_16discard_iteratorINS9_11use_defaultEEESH_EEENSJ_IJSM_SI_EEENS0_18inequality_wrapperINS9_8equal_toIiEEEEPmJSH_EEE10hipError_tPvRmT3_T4_T5_T6_T7_T9_mT8_P12ihipStream_tbDpT10_ENKUlT_T0_E_clISt17integral_constantIbLb1EES1D_EEDaS18_S19_EUlS18_E_NS1_11comp_targetILNS1_3genE10ELNS1_11target_archE1200ELNS1_3gpuE4ELNS1_3repE0EEENS1_30default_config_static_selectorELNS0_4arch9wavefront6targetE0EEEvT1_,"axG",@progbits,_ZN7rocprim17ROCPRIM_400000_NS6detail17trampoline_kernelINS0_14default_configENS1_25partition_config_selectorILNS1_17partition_subalgoE9EijbEEZZNS1_14partition_implILS5_9ELb0ES3_jN6thrust23THRUST_200600_302600_NS6detail15normal_iteratorINS9_10device_ptrIiEEEENSB_INSC_IjEEEEPNS0_10empty_typeENS0_5tupleIJNS9_16discard_iteratorINS9_11use_defaultEEESH_EEENSJ_IJSM_SI_EEENS0_18inequality_wrapperINS9_8equal_toIiEEEEPmJSH_EEE10hipError_tPvRmT3_T4_T5_T6_T7_T9_mT8_P12ihipStream_tbDpT10_ENKUlT_T0_E_clISt17integral_constantIbLb1EES1D_EEDaS18_S19_EUlS18_E_NS1_11comp_targetILNS1_3genE10ELNS1_11target_archE1200ELNS1_3gpuE4ELNS1_3repE0EEENS1_30default_config_static_selectorELNS0_4arch9wavefront6targetE0EEEvT1_,comdat
.Lfunc_end1090:
	.size	_ZN7rocprim17ROCPRIM_400000_NS6detail17trampoline_kernelINS0_14default_configENS1_25partition_config_selectorILNS1_17partition_subalgoE9EijbEEZZNS1_14partition_implILS5_9ELb0ES3_jN6thrust23THRUST_200600_302600_NS6detail15normal_iteratorINS9_10device_ptrIiEEEENSB_INSC_IjEEEEPNS0_10empty_typeENS0_5tupleIJNS9_16discard_iteratorINS9_11use_defaultEEESH_EEENSJ_IJSM_SI_EEENS0_18inequality_wrapperINS9_8equal_toIiEEEEPmJSH_EEE10hipError_tPvRmT3_T4_T5_T6_T7_T9_mT8_P12ihipStream_tbDpT10_ENKUlT_T0_E_clISt17integral_constantIbLb1EES1D_EEDaS18_S19_EUlS18_E_NS1_11comp_targetILNS1_3genE10ELNS1_11target_archE1200ELNS1_3gpuE4ELNS1_3repE0EEENS1_30default_config_static_selectorELNS0_4arch9wavefront6targetE0EEEvT1_, .Lfunc_end1090-_ZN7rocprim17ROCPRIM_400000_NS6detail17trampoline_kernelINS0_14default_configENS1_25partition_config_selectorILNS1_17partition_subalgoE9EijbEEZZNS1_14partition_implILS5_9ELb0ES3_jN6thrust23THRUST_200600_302600_NS6detail15normal_iteratorINS9_10device_ptrIiEEEENSB_INSC_IjEEEEPNS0_10empty_typeENS0_5tupleIJNS9_16discard_iteratorINS9_11use_defaultEEESH_EEENSJ_IJSM_SI_EEENS0_18inequality_wrapperINS9_8equal_toIiEEEEPmJSH_EEE10hipError_tPvRmT3_T4_T5_T6_T7_T9_mT8_P12ihipStream_tbDpT10_ENKUlT_T0_E_clISt17integral_constantIbLb1EES1D_EEDaS18_S19_EUlS18_E_NS1_11comp_targetILNS1_3genE10ELNS1_11target_archE1200ELNS1_3gpuE4ELNS1_3repE0EEENS1_30default_config_static_selectorELNS0_4arch9wavefront6targetE0EEEvT1_
                                        ; -- End function
	.section	.AMDGPU.csdata,"",@progbits
; Kernel info:
; codeLenInByte = 0
; NumSgprs: 0
; NumVgprs: 0
; ScratchSize: 0
; MemoryBound: 0
; FloatMode: 240
; IeeeMode: 1
; LDSByteSize: 0 bytes/workgroup (compile time only)
; SGPRBlocks: 0
; VGPRBlocks: 0
; NumSGPRsForWavesPerEU: 1
; NumVGPRsForWavesPerEU: 1
; Occupancy: 15
; WaveLimiterHint : 0
; COMPUTE_PGM_RSRC2:SCRATCH_EN: 0
; COMPUTE_PGM_RSRC2:USER_SGPR: 15
; COMPUTE_PGM_RSRC2:TRAP_HANDLER: 0
; COMPUTE_PGM_RSRC2:TGID_X_EN: 1
; COMPUTE_PGM_RSRC2:TGID_Y_EN: 0
; COMPUTE_PGM_RSRC2:TGID_Z_EN: 0
; COMPUTE_PGM_RSRC2:TIDIG_COMP_CNT: 0
	.section	.text._ZN7rocprim17ROCPRIM_400000_NS6detail17trampoline_kernelINS0_14default_configENS1_25partition_config_selectorILNS1_17partition_subalgoE9EijbEEZZNS1_14partition_implILS5_9ELb0ES3_jN6thrust23THRUST_200600_302600_NS6detail15normal_iteratorINS9_10device_ptrIiEEEENSB_INSC_IjEEEEPNS0_10empty_typeENS0_5tupleIJNS9_16discard_iteratorINS9_11use_defaultEEESH_EEENSJ_IJSM_SI_EEENS0_18inequality_wrapperINS9_8equal_toIiEEEEPmJSH_EEE10hipError_tPvRmT3_T4_T5_T6_T7_T9_mT8_P12ihipStream_tbDpT10_ENKUlT_T0_E_clISt17integral_constantIbLb1EES1D_EEDaS18_S19_EUlS18_E_NS1_11comp_targetILNS1_3genE9ELNS1_11target_archE1100ELNS1_3gpuE3ELNS1_3repE0EEENS1_30default_config_static_selectorELNS0_4arch9wavefront6targetE0EEEvT1_,"axG",@progbits,_ZN7rocprim17ROCPRIM_400000_NS6detail17trampoline_kernelINS0_14default_configENS1_25partition_config_selectorILNS1_17partition_subalgoE9EijbEEZZNS1_14partition_implILS5_9ELb0ES3_jN6thrust23THRUST_200600_302600_NS6detail15normal_iteratorINS9_10device_ptrIiEEEENSB_INSC_IjEEEEPNS0_10empty_typeENS0_5tupleIJNS9_16discard_iteratorINS9_11use_defaultEEESH_EEENSJ_IJSM_SI_EEENS0_18inequality_wrapperINS9_8equal_toIiEEEEPmJSH_EEE10hipError_tPvRmT3_T4_T5_T6_T7_T9_mT8_P12ihipStream_tbDpT10_ENKUlT_T0_E_clISt17integral_constantIbLb1EES1D_EEDaS18_S19_EUlS18_E_NS1_11comp_targetILNS1_3genE9ELNS1_11target_archE1100ELNS1_3gpuE3ELNS1_3repE0EEENS1_30default_config_static_selectorELNS0_4arch9wavefront6targetE0EEEvT1_,comdat
	.protected	_ZN7rocprim17ROCPRIM_400000_NS6detail17trampoline_kernelINS0_14default_configENS1_25partition_config_selectorILNS1_17partition_subalgoE9EijbEEZZNS1_14partition_implILS5_9ELb0ES3_jN6thrust23THRUST_200600_302600_NS6detail15normal_iteratorINS9_10device_ptrIiEEEENSB_INSC_IjEEEEPNS0_10empty_typeENS0_5tupleIJNS9_16discard_iteratorINS9_11use_defaultEEESH_EEENSJ_IJSM_SI_EEENS0_18inequality_wrapperINS9_8equal_toIiEEEEPmJSH_EEE10hipError_tPvRmT3_T4_T5_T6_T7_T9_mT8_P12ihipStream_tbDpT10_ENKUlT_T0_E_clISt17integral_constantIbLb1EES1D_EEDaS18_S19_EUlS18_E_NS1_11comp_targetILNS1_3genE9ELNS1_11target_archE1100ELNS1_3gpuE3ELNS1_3repE0EEENS1_30default_config_static_selectorELNS0_4arch9wavefront6targetE0EEEvT1_ ; -- Begin function _ZN7rocprim17ROCPRIM_400000_NS6detail17trampoline_kernelINS0_14default_configENS1_25partition_config_selectorILNS1_17partition_subalgoE9EijbEEZZNS1_14partition_implILS5_9ELb0ES3_jN6thrust23THRUST_200600_302600_NS6detail15normal_iteratorINS9_10device_ptrIiEEEENSB_INSC_IjEEEEPNS0_10empty_typeENS0_5tupleIJNS9_16discard_iteratorINS9_11use_defaultEEESH_EEENSJ_IJSM_SI_EEENS0_18inequality_wrapperINS9_8equal_toIiEEEEPmJSH_EEE10hipError_tPvRmT3_T4_T5_T6_T7_T9_mT8_P12ihipStream_tbDpT10_ENKUlT_T0_E_clISt17integral_constantIbLb1EES1D_EEDaS18_S19_EUlS18_E_NS1_11comp_targetILNS1_3genE9ELNS1_11target_archE1100ELNS1_3gpuE3ELNS1_3repE0EEENS1_30default_config_static_selectorELNS0_4arch9wavefront6targetE0EEEvT1_
	.globl	_ZN7rocprim17ROCPRIM_400000_NS6detail17trampoline_kernelINS0_14default_configENS1_25partition_config_selectorILNS1_17partition_subalgoE9EijbEEZZNS1_14partition_implILS5_9ELb0ES3_jN6thrust23THRUST_200600_302600_NS6detail15normal_iteratorINS9_10device_ptrIiEEEENSB_INSC_IjEEEEPNS0_10empty_typeENS0_5tupleIJNS9_16discard_iteratorINS9_11use_defaultEEESH_EEENSJ_IJSM_SI_EEENS0_18inequality_wrapperINS9_8equal_toIiEEEEPmJSH_EEE10hipError_tPvRmT3_T4_T5_T6_T7_T9_mT8_P12ihipStream_tbDpT10_ENKUlT_T0_E_clISt17integral_constantIbLb1EES1D_EEDaS18_S19_EUlS18_E_NS1_11comp_targetILNS1_3genE9ELNS1_11target_archE1100ELNS1_3gpuE3ELNS1_3repE0EEENS1_30default_config_static_selectorELNS0_4arch9wavefront6targetE0EEEvT1_
	.p2align	8
	.type	_ZN7rocprim17ROCPRIM_400000_NS6detail17trampoline_kernelINS0_14default_configENS1_25partition_config_selectorILNS1_17partition_subalgoE9EijbEEZZNS1_14partition_implILS5_9ELb0ES3_jN6thrust23THRUST_200600_302600_NS6detail15normal_iteratorINS9_10device_ptrIiEEEENSB_INSC_IjEEEEPNS0_10empty_typeENS0_5tupleIJNS9_16discard_iteratorINS9_11use_defaultEEESH_EEENSJ_IJSM_SI_EEENS0_18inequality_wrapperINS9_8equal_toIiEEEEPmJSH_EEE10hipError_tPvRmT3_T4_T5_T6_T7_T9_mT8_P12ihipStream_tbDpT10_ENKUlT_T0_E_clISt17integral_constantIbLb1EES1D_EEDaS18_S19_EUlS18_E_NS1_11comp_targetILNS1_3genE9ELNS1_11target_archE1100ELNS1_3gpuE3ELNS1_3repE0EEENS1_30default_config_static_selectorELNS0_4arch9wavefront6targetE0EEEvT1_,@function
_ZN7rocprim17ROCPRIM_400000_NS6detail17trampoline_kernelINS0_14default_configENS1_25partition_config_selectorILNS1_17partition_subalgoE9EijbEEZZNS1_14partition_implILS5_9ELb0ES3_jN6thrust23THRUST_200600_302600_NS6detail15normal_iteratorINS9_10device_ptrIiEEEENSB_INSC_IjEEEEPNS0_10empty_typeENS0_5tupleIJNS9_16discard_iteratorINS9_11use_defaultEEESH_EEENSJ_IJSM_SI_EEENS0_18inequality_wrapperINS9_8equal_toIiEEEEPmJSH_EEE10hipError_tPvRmT3_T4_T5_T6_T7_T9_mT8_P12ihipStream_tbDpT10_ENKUlT_T0_E_clISt17integral_constantIbLb1EES1D_EEDaS18_S19_EUlS18_E_NS1_11comp_targetILNS1_3genE9ELNS1_11target_archE1100ELNS1_3gpuE3ELNS1_3repE0EEENS1_30default_config_static_selectorELNS0_4arch9wavefront6targetE0EEEvT1_: ; @_ZN7rocprim17ROCPRIM_400000_NS6detail17trampoline_kernelINS0_14default_configENS1_25partition_config_selectorILNS1_17partition_subalgoE9EijbEEZZNS1_14partition_implILS5_9ELb0ES3_jN6thrust23THRUST_200600_302600_NS6detail15normal_iteratorINS9_10device_ptrIiEEEENSB_INSC_IjEEEEPNS0_10empty_typeENS0_5tupleIJNS9_16discard_iteratorINS9_11use_defaultEEESH_EEENSJ_IJSM_SI_EEENS0_18inequality_wrapperINS9_8equal_toIiEEEEPmJSH_EEE10hipError_tPvRmT3_T4_T5_T6_T7_T9_mT8_P12ihipStream_tbDpT10_ENKUlT_T0_E_clISt17integral_constantIbLb1EES1D_EEDaS18_S19_EUlS18_E_NS1_11comp_targetILNS1_3genE9ELNS1_11target_archE1100ELNS1_3gpuE3ELNS1_3repE0EEENS1_30default_config_static_selectorELNS0_4arch9wavefront6targetE0EEEvT1_
; %bb.0:
	s_clause 0x4
	s_load_b128 s[4:7], s[0:1], 0x8
	s_load_b64 s[8:9], s[0:1], 0x18
	s_load_b64 s[16:17], s[0:1], 0x60
	s_load_b128 s[12:15], s[0:1], 0x50
	s_load_b64 s[10:11], s[0:1], 0x70
	v_cmp_ne_u32_e64 s3, 0, v0
	v_cmp_eq_u32_e64 s2, 0, v0
	s_delay_alu instid0(VALU_DEP_1)
	s_and_saveexec_b32 s18, s2
	s_cbranch_execz .LBB1091_4
; %bb.1:
	s_mov_b32 s20, exec_lo
	s_mov_b32 s19, exec_lo
	v_mbcnt_lo_u32_b32 v1, s20, 0
                                        ; implicit-def: $vgpr2
	s_delay_alu instid0(VALU_DEP_1)
	v_cmpx_eq_u32_e32 0, v1
	s_cbranch_execz .LBB1091_3
; %bb.2:
	s_load_b64 s[22:23], s[0:1], 0x80
	s_bcnt1_i32_b32 s20, s20
	s_delay_alu instid0(SALU_CYCLE_1)
	v_dual_mov_b32 v2, 0 :: v_dual_mov_b32 v3, s20
	s_waitcnt lgkmcnt(0)
	global_atomic_add_u32 v2, v2, v3, s[22:23] glc
.LBB1091_3:
	s_or_b32 exec_lo, exec_lo, s19
	s_waitcnt vmcnt(0)
	v_readfirstlane_b32 s19, v2
	s_delay_alu instid0(VALU_DEP_1)
	v_dual_mov_b32 v2, 0 :: v_dual_add_nc_u32 v1, s19, v1
	ds_store_b32 v2, v1
.LBB1091_4:
	s_or_b32 exec_lo, exec_lo, s18
	v_dual_mov_b32 v1, 0 :: v_dual_add_nc_u32 v18, 0x180, v0
	s_waitcnt lgkmcnt(0)
	s_barrier
	buffer_gl0_inv
	ds_load_b32 v2, v1
	s_waitcnt lgkmcnt(0)
	s_barrier
	buffer_gl0_inv
	global_load_b64 v[9:10], v1, s[14:15]
	s_load_b32 s0, s[0:1], 0x78
	s_lshl_b64 s[14:15], s[6:7], 2
	v_lshrrev_b32_e32 v16, 3, v0
	s_add_u32 s21, s4, s14
	s_addc_u32 s22, s5, s15
	v_add_nc_u32_e32 v17, 0x300, v0
	v_add_nc_u32_e32 v15, 0x480, v0
	v_or_b32_e32 v14, 0x600, v0
	v_add_nc_u32_e32 v13, 0x780, v0
	v_add_nc_u32_e32 v12, 0x900, v0
	v_add_nc_u32_e32 v11, 0xa80, v0
	v_readfirstlane_b32 s18, v2
	s_waitcnt lgkmcnt(0)
	s_mul_i32 s1, s0, 0xc00
	s_delay_alu instid0(SALU_CYCLE_1) | instskip(NEXT) | instid1(SALU_CYCLE_1)
	s_add_i32 s4, s1, s6
	s_sub_i32 s19, s16, s4
	s_add_i32 s4, s0, -1
	s_addk_i32 s19, 0xc00
	s_add_u32 s0, s6, s1
	s_addc_u32 s1, s7, 0
	s_cmp_eq_u32 s18, s4
	v_cmp_ge_u64_e64 s5, s[0:1], s[16:17]
	s_cselect_b32 s16, -1, 0
	s_mul_i32 s0, s18, 0xc00
	s_mov_b32 s1, 0
	s_delay_alu instid0(VALU_DEP_1)
	s_and_b32 s17, s5, s16
	s_lshl_b64 s[4:5], s[0:1], 2
	s_xor_b32 s20, s17, -1
	s_add_u32 s21, s21, s4
	s_addc_u32 s1, s22, s5
	s_and_b32 vcc_lo, exec_lo, s20
	s_mov_b32 s22, -1
	s_cbranch_vccz .LBB1091_6
; %bb.5:
	v_lshlrev_b32_e32 v7, 2, v0
	v_lshrrev_b32_e32 v21, 3, v18
	v_lshrrev_b32_e32 v22, 3, v17
	;; [unrolled: 1-line block ×4, first 2 shown]
	v_add_co_u32 v1, s0, s21, v7
	s_delay_alu instid0(VALU_DEP_1) | instskip(SKIP_1) | instid1(VALU_DEP_3)
	v_add_co_ci_u32_e64 v2, null, s1, 0, s0
	v_lshrrev_b32_e32 v25, 3, v13
	v_add_co_u32 v3, vcc_lo, 0x1000, v1
	s_delay_alu instid0(VALU_DEP_3)
	v_add_co_ci_u32_e32 v4, vcc_lo, 0, v2, vcc_lo
	v_add_co_u32 v5, vcc_lo, 0x2000, v1
	v_add_co_ci_u32_e32 v6, vcc_lo, 0, v2, vcc_lo
	s_clause 0x7
	flat_load_b32 v8, v[1:2]
	flat_load_b32 v19, v[1:2] offset:1536
	flat_load_b32 v1, v[1:2] offset:3072
	;; [unrolled: 1-line block ×7, first 2 shown]
	v_and_b32_e32 v6, 60, v16
	v_lshrrev_b32_e32 v26, 3, v12
	v_lshrrev_b32_e32 v27, 3, v11
	v_and_b32_e32 v21, 0x7c, v21
	v_and_b32_e32 v22, 0xfc, v22
	;; [unrolled: 1-line block ×4, first 2 shown]
	v_add_nc_u32_e32 v6, v6, v7
	v_and_b32_e32 v25, 0x1fc, v25
	v_and_b32_e32 v26, 0x17c, v26
	;; [unrolled: 1-line block ×3, first 2 shown]
	v_add_nc_u32_e32 v21, v21, v7
	v_add_nc_u32_e32 v22, v22, v7
	;; [unrolled: 1-line block ×4, first 2 shown]
	s_mov_b32 s22, 0
	v_add_nc_u32_e32 v25, v25, v7
	v_add_nc_u32_e32 v26, v26, v7
	;; [unrolled: 1-line block ×3, first 2 shown]
	s_waitcnt vmcnt(7) lgkmcnt(7)
	ds_store_b32 v6, v8
	s_waitcnt vmcnt(6) lgkmcnt(7)
	ds_store_b32 v21, v19 offset:1536
	s_waitcnt vmcnt(5) lgkmcnt(7)
	ds_store_b32 v22, v1 offset:3072
	;; [unrolled: 2-line block ×7, first 2 shown]
	s_waitcnt lgkmcnt(0)
	s_barrier
.LBB1091_6:
	v_cmp_gt_u32_e64 s0, s19, v0
	s_and_not1_b32 vcc_lo, exec_lo, s22
	s_cbranch_vccnz .LBB1091_24
; %bb.7:
                                        ; implicit-def: $vgpr1_vgpr2_vgpr3_vgpr4_vgpr5_vgpr6_vgpr7_vgpr8
	s_delay_alu instid0(VALU_DEP_1)
	s_and_saveexec_b32 s22, s0
	s_cbranch_execz .LBB1091_15
; %bb.8:
	v_lshlrev_b32_e32 v1, 2, v0
	s_delay_alu instid0(VALU_DEP_1) | instskip(NEXT) | instid1(VALU_DEP_1)
	v_add_co_u32 v1, s0, s21, v1
	v_add_co_ci_u32_e64 v2, null, s1, 0, s0
	flat_load_b32 v1, v[1:2]
	s_or_b32 exec_lo, exec_lo, s22
	s_delay_alu instid0(SALU_CYCLE_1)
	s_mov_b32 s0, exec_lo
	v_cmpx_gt_u32_e64 s19, v18
	s_cbranch_execnz .LBB1091_16
.LBB1091_9:
	s_or_b32 exec_lo, exec_lo, s0
	s_delay_alu instid0(SALU_CYCLE_1)
	s_mov_b32 s0, exec_lo
	v_cmpx_gt_u32_e64 s19, v17
	s_cbranch_execz .LBB1091_17
.LBB1091_10:
	v_lshlrev_b32_e32 v3, 2, v0
	s_delay_alu instid0(VALU_DEP_1) | instskip(NEXT) | instid1(VALU_DEP_1)
	v_add_co_u32 v19, s22, s21, v3
	v_add_co_ci_u32_e64 v20, null, s1, 0, s22
	flat_load_b32 v3, v[19:20] offset:3072
	s_or_b32 exec_lo, exec_lo, s0
	s_delay_alu instid0(SALU_CYCLE_1)
	s_mov_b32 s0, exec_lo
	v_cmpx_gt_u32_e64 s19, v15
	s_cbranch_execnz .LBB1091_18
.LBB1091_11:
	s_or_b32 exec_lo, exec_lo, s0
	s_delay_alu instid0(SALU_CYCLE_1)
	s_mov_b32 s0, exec_lo
	v_cmpx_gt_u32_e64 s19, v14
	s_cbranch_execz .LBB1091_19
.LBB1091_12:
	v_lshlrev_b32_e32 v5, 2, v14
	s_delay_alu instid0(VALU_DEP_1) | instskip(NEXT) | instid1(VALU_DEP_1)
	v_add_co_u32 v19, s22, s21, v5
	v_add_co_ci_u32_e64 v20, null, s1, 0, s22
	flat_load_b32 v5, v[19:20]
	s_or_b32 exec_lo, exec_lo, s0
	s_delay_alu instid0(SALU_CYCLE_1)
	s_mov_b32 s0, exec_lo
	v_cmpx_gt_u32_e64 s19, v13
	s_cbranch_execnz .LBB1091_20
.LBB1091_13:
	s_or_b32 exec_lo, exec_lo, s0
	s_delay_alu instid0(SALU_CYCLE_1)
	s_mov_b32 s0, exec_lo
	v_cmpx_gt_u32_e64 s19, v12
	s_cbranch_execz .LBB1091_21
.LBB1091_14:
	v_lshlrev_b32_e32 v7, 2, v12
	s_delay_alu instid0(VALU_DEP_1) | instskip(NEXT) | instid1(VALU_DEP_1)
	v_add_co_u32 v19, s22, s21, v7
	v_add_co_ci_u32_e64 v20, null, s1, 0, s22
	flat_load_b32 v7, v[19:20]
	s_or_b32 exec_lo, exec_lo, s0
	s_delay_alu instid0(SALU_CYCLE_1)
	s_mov_b32 s0, exec_lo
	v_cmpx_gt_u32_e64 s19, v11
	s_cbranch_execnz .LBB1091_22
	s_branch .LBB1091_23
.LBB1091_15:
	s_or_b32 exec_lo, exec_lo, s22
	s_delay_alu instid0(SALU_CYCLE_1)
	s_mov_b32 s0, exec_lo
	v_cmpx_gt_u32_e64 s19, v18
	s_cbranch_execz .LBB1091_9
.LBB1091_16:
	v_lshlrev_b32_e32 v2, 2, v0
	s_delay_alu instid0(VALU_DEP_1) | instskip(NEXT) | instid1(VALU_DEP_1)
	v_add_co_u32 v19, s22, s21, v2
	v_add_co_ci_u32_e64 v20, null, s1, 0, s22
	flat_load_b32 v2, v[19:20] offset:1536
	s_or_b32 exec_lo, exec_lo, s0
	s_delay_alu instid0(SALU_CYCLE_1)
	s_mov_b32 s0, exec_lo
	v_cmpx_gt_u32_e64 s19, v17
	s_cbranch_execnz .LBB1091_10
.LBB1091_17:
	s_or_b32 exec_lo, exec_lo, s0
	s_delay_alu instid0(SALU_CYCLE_1)
	s_mov_b32 s0, exec_lo
	v_cmpx_gt_u32_e64 s19, v15
	s_cbranch_execz .LBB1091_11
.LBB1091_18:
	v_lshlrev_b32_e32 v4, 2, v15
	s_delay_alu instid0(VALU_DEP_1) | instskip(NEXT) | instid1(VALU_DEP_1)
	v_add_co_u32 v19, s22, s21, v4
	v_add_co_ci_u32_e64 v20, null, s1, 0, s22
	flat_load_b32 v4, v[19:20]
	s_or_b32 exec_lo, exec_lo, s0
	s_delay_alu instid0(SALU_CYCLE_1)
	s_mov_b32 s0, exec_lo
	v_cmpx_gt_u32_e64 s19, v14
	s_cbranch_execnz .LBB1091_12
.LBB1091_19:
	s_or_b32 exec_lo, exec_lo, s0
	s_delay_alu instid0(SALU_CYCLE_1)
	s_mov_b32 s0, exec_lo
	v_cmpx_gt_u32_e64 s19, v13
	s_cbranch_execz .LBB1091_13
.LBB1091_20:
	v_lshlrev_b32_e32 v6, 2, v13
	s_delay_alu instid0(VALU_DEP_1) | instskip(NEXT) | instid1(VALU_DEP_1)
	v_add_co_u32 v19, s22, s21, v6
	v_add_co_ci_u32_e64 v20, null, s1, 0, s22
	flat_load_b32 v6, v[19:20]
	s_or_b32 exec_lo, exec_lo, s0
	s_delay_alu instid0(SALU_CYCLE_1)
	s_mov_b32 s0, exec_lo
	v_cmpx_gt_u32_e64 s19, v12
	s_cbranch_execnz .LBB1091_14
.LBB1091_21:
	s_or_b32 exec_lo, exec_lo, s0
	s_delay_alu instid0(SALU_CYCLE_1)
	s_mov_b32 s0, exec_lo
	v_cmpx_gt_u32_e64 s19, v11
	s_cbranch_execz .LBB1091_23
.LBB1091_22:
	v_lshlrev_b32_e32 v8, 2, v11
	s_delay_alu instid0(VALU_DEP_1) | instskip(NEXT) | instid1(VALU_DEP_1)
	v_add_co_u32 v19, s22, s21, v8
	v_add_co_ci_u32_e64 v20, null, s1, 0, s22
	flat_load_b32 v8, v[19:20]
.LBB1091_23:
	s_or_b32 exec_lo, exec_lo, s0
	v_lshrrev_b32_e32 v19, 3, v18
	v_lshrrev_b32_e32 v20, 3, v17
	;; [unrolled: 1-line block ×4, first 2 shown]
	v_and_b32_e32 v21, 60, v16
	v_lshlrev_b32_e32 v22, 2, v0
	v_lshrrev_b32_e32 v25, 3, v13
	v_lshrrev_b32_e32 v26, 3, v12
	;; [unrolled: 1-line block ×3, first 2 shown]
	v_and_b32_e32 v19, 0x7c, v19
	v_and_b32_e32 v20, 0xfc, v20
	;; [unrolled: 1-line block ×4, first 2 shown]
	v_add_nc_u32_e32 v21, v21, v22
	v_and_b32_e32 v25, 0x1fc, v25
	v_and_b32_e32 v26, 0x1fc, v26
	;; [unrolled: 1-line block ×3, first 2 shown]
	v_add_nc_u32_e32 v19, v19, v22
	v_add_nc_u32_e32 v20, v20, v22
	;; [unrolled: 1-line block ×7, first 2 shown]
	s_waitcnt vmcnt(0) lgkmcnt(0)
	ds_store_b32 v21, v1
	ds_store_b32 v19, v2 offset:1536
	ds_store_b32 v20, v3 offset:3072
	;; [unrolled: 1-line block ×7, first 2 shown]
	s_waitcnt lgkmcnt(0)
	s_barrier
.LBB1091_24:
	v_lshlrev_b32_e32 v21, 3, v0
	v_lshrrev_b32_e32 v1, 2, v0
	s_waitcnt vmcnt(0)
	buffer_gl0_inv
	s_add_u32 s0, s8, s14
	s_addc_u32 s8, s9, s15
	s_add_u32 s0, s0, s4
	v_add_lshl_u32 v19, v1, v21, 2
	s_addc_u32 s4, s8, s5
	s_and_b32 vcc_lo, exec_lo, s20
	s_mov_b32 s5, -1
	ds_load_2addr_b32 v[7:8], v19 offset1:1
	ds_load_2addr_b32 v[5:6], v19 offset0:2 offset1:3
	ds_load_2addr_b32 v[3:4], v19 offset0:4 offset1:5
	;; [unrolled: 1-line block ×3, first 2 shown]
	s_waitcnt lgkmcnt(0)
	s_barrier
	buffer_gl0_inv
	s_cbranch_vccz .LBB1091_26
; %bb.25:
	v_lshlrev_b32_e32 v20, 2, v0
	v_lshrrev_b32_e32 v31, 3, v18
	v_lshrrev_b32_e32 v32, 3, v17
	v_lshrrev_b32_e32 v33, 3, v15
	v_lshrrev_b32_e32 v34, 3, v14
	v_add_co_u32 v22, s5, s0, v20
	s_delay_alu instid0(VALU_DEP_1) | instskip(SKIP_1) | instid1(VALU_DEP_3)
	v_add_co_ci_u32_e64 v23, null, s4, 0, s5
	v_lshrrev_b32_e32 v35, 3, v13
	v_add_co_u32 v24, vcc_lo, 0x1000, v22
	s_delay_alu instid0(VALU_DEP_3)
	v_add_co_ci_u32_e32 v25, vcc_lo, 0, v23, vcc_lo
	v_add_co_u32 v26, vcc_lo, 0x2000, v22
	v_add_co_ci_u32_e32 v27, vcc_lo, 0, v23, vcc_lo
	s_clause 0x7
	flat_load_b32 v28, v[22:23]
	flat_load_b32 v29, v[22:23] offset:1536
	flat_load_b32 v22, v[22:23] offset:3072
	;; [unrolled: 1-line block ×7, first 2 shown]
	v_and_b32_e32 v27, 60, v16
	v_lshrrev_b32_e32 v36, 3, v12
	v_lshrrev_b32_e32 v37, 3, v11
	v_and_b32_e32 v31, 0x7c, v31
	v_and_b32_e32 v32, 0xfc, v32
	;; [unrolled: 1-line block ×4, first 2 shown]
	v_add_nc_u32_e32 v27, v27, v20
	v_and_b32_e32 v35, 0x1fc, v35
	v_and_b32_e32 v36, 0x17c, v36
	v_and_b32_e32 v37, 0x1fc, v37
	v_add_nc_u32_e32 v31, v31, v20
	v_add_nc_u32_e32 v32, v32, v20
	;; [unrolled: 1-line block ×4, first 2 shown]
	s_mov_b32 s5, 0
	v_add_nc_u32_e32 v35, v35, v20
	v_add_nc_u32_e32 v36, v36, v20
	;; [unrolled: 1-line block ×3, first 2 shown]
	s_waitcnt vmcnt(7) lgkmcnt(7)
	ds_store_b32 v27, v28
	s_waitcnt vmcnt(6) lgkmcnt(7)
	ds_store_b32 v31, v29 offset:1536
	s_waitcnt vmcnt(5) lgkmcnt(7)
	ds_store_b32 v32, v22 offset:3072
	;; [unrolled: 2-line block ×7, first 2 shown]
	s_waitcnt lgkmcnt(0)
	s_barrier
.LBB1091_26:
	s_and_not1_b32 vcc_lo, exec_lo, s5
	s_cbranch_vccnz .LBB1091_44
; %bb.27:
	s_mov_b32 s5, exec_lo
                                        ; implicit-def: $vgpr20
	v_cmpx_gt_u32_e64 s19, v0
	s_cbranch_execz .LBB1091_29
; %bb.28:
	v_lshlrev_b32_e32 v20, 2, v0
	s_delay_alu instid0(VALU_DEP_1) | instskip(NEXT) | instid1(VALU_DEP_1)
	v_add_co_u32 v22, s8, s0, v20
	v_add_co_ci_u32_e64 v23, null, s4, 0, s8
	flat_load_b32 v20, v[22:23]
.LBB1091_29:
	s_or_b32 exec_lo, exec_lo, s5
	s_delay_alu instid0(SALU_CYCLE_1)
	s_mov_b32 s5, exec_lo
                                        ; implicit-def: $vgpr22
	v_cmpx_gt_u32_e64 s19, v18
	s_cbranch_execz .LBB1091_31
; %bb.30:
	v_lshlrev_b32_e32 v22, 2, v0
	s_delay_alu instid0(VALU_DEP_1) | instskip(NEXT) | instid1(VALU_DEP_1)
	v_add_co_u32 v22, s8, s0, v22
	v_add_co_ci_u32_e64 v23, null, s4, 0, s8
	flat_load_b32 v22, v[22:23] offset:1536
.LBB1091_31:
	s_or_b32 exec_lo, exec_lo, s5
	s_delay_alu instid0(SALU_CYCLE_1)
	s_mov_b32 s5, exec_lo
                                        ; implicit-def: $vgpr23
	v_cmpx_gt_u32_e64 s19, v17
	s_cbranch_execz .LBB1091_33
; %bb.32:
	v_lshlrev_b32_e32 v23, 2, v0
	s_delay_alu instid0(VALU_DEP_1) | instskip(NEXT) | instid1(VALU_DEP_1)
	v_add_co_u32 v23, s8, s0, v23
	v_add_co_ci_u32_e64 v24, null, s4, 0, s8
	flat_load_b32 v23, v[23:24] offset:3072
.LBB1091_33:
	s_or_b32 exec_lo, exec_lo, s5
	s_delay_alu instid0(SALU_CYCLE_1)
	s_mov_b32 s5, exec_lo
                                        ; implicit-def: $vgpr24
	v_cmpx_gt_u32_e64 s19, v15
	s_cbranch_execz .LBB1091_35
; %bb.34:
	v_lshlrev_b32_e32 v24, 2, v15
	s_delay_alu instid0(VALU_DEP_1) | instskip(NEXT) | instid1(VALU_DEP_1)
	v_add_co_u32 v24, s8, s0, v24
	v_add_co_ci_u32_e64 v25, null, s4, 0, s8
	flat_load_b32 v24, v[24:25]
.LBB1091_35:
	s_or_b32 exec_lo, exec_lo, s5
	s_delay_alu instid0(SALU_CYCLE_1)
	s_mov_b32 s5, exec_lo
                                        ; implicit-def: $vgpr25
	v_cmpx_gt_u32_e64 s19, v14
	s_cbranch_execz .LBB1091_37
; %bb.36:
	v_lshlrev_b32_e32 v25, 2, v14
	s_delay_alu instid0(VALU_DEP_1) | instskip(NEXT) | instid1(VALU_DEP_1)
	v_add_co_u32 v25, s8, s0, v25
	v_add_co_ci_u32_e64 v26, null, s4, 0, s8
	flat_load_b32 v25, v[25:26]
.LBB1091_37:
	s_or_b32 exec_lo, exec_lo, s5
	s_delay_alu instid0(SALU_CYCLE_1)
	s_mov_b32 s5, exec_lo
                                        ; implicit-def: $vgpr26
	v_cmpx_gt_u32_e64 s19, v13
	s_cbranch_execz .LBB1091_39
; %bb.38:
	v_lshlrev_b32_e32 v26, 2, v13
	s_delay_alu instid0(VALU_DEP_1) | instskip(NEXT) | instid1(VALU_DEP_1)
	v_add_co_u32 v26, s8, s0, v26
	v_add_co_ci_u32_e64 v27, null, s4, 0, s8
	flat_load_b32 v26, v[26:27]
.LBB1091_39:
	s_or_b32 exec_lo, exec_lo, s5
	s_delay_alu instid0(SALU_CYCLE_1)
	s_mov_b32 s5, exec_lo
                                        ; implicit-def: $vgpr27
	v_cmpx_gt_u32_e64 s19, v12
	s_cbranch_execz .LBB1091_41
; %bb.40:
	v_lshlrev_b32_e32 v27, 2, v12
	s_delay_alu instid0(VALU_DEP_1) | instskip(NEXT) | instid1(VALU_DEP_1)
	v_add_co_u32 v27, s8, s0, v27
	v_add_co_ci_u32_e64 v28, null, s4, 0, s8
	flat_load_b32 v27, v[27:28]
.LBB1091_41:
	s_or_b32 exec_lo, exec_lo, s5
	s_delay_alu instid0(SALU_CYCLE_1)
	s_mov_b32 s5, exec_lo
                                        ; implicit-def: $vgpr28
	v_cmpx_gt_u32_e64 s19, v11
	s_cbranch_execz .LBB1091_43
; %bb.42:
	v_lshlrev_b32_e32 v28, 2, v11
	s_delay_alu instid0(VALU_DEP_1) | instskip(NEXT) | instid1(VALU_DEP_1)
	v_add_co_u32 v28, s0, s0, v28
	v_add_co_ci_u32_e64 v29, null, s4, 0, s0
	flat_load_b32 v28, v[28:29]
.LBB1091_43:
	s_or_b32 exec_lo, exec_lo, s5
	v_lshrrev_b32_e32 v18, 3, v18
	v_lshrrev_b32_e32 v17, 3, v17
	;; [unrolled: 1-line block ×4, first 2 shown]
	v_and_b32_e32 v16, 60, v16
	v_lshlrev_b32_e32 v29, 2, v0
	v_lshrrev_b32_e32 v13, 3, v13
	v_lshrrev_b32_e32 v12, 3, v12
	;; [unrolled: 1-line block ×3, first 2 shown]
	v_and_b32_e32 v18, 0x7c, v18
	v_and_b32_e32 v17, 0xfc, v17
	;; [unrolled: 1-line block ×4, first 2 shown]
	v_add_nc_u32_e32 v16, v16, v29
	v_and_b32_e32 v13, 0x1fc, v13
	v_and_b32_e32 v12, 0x1fc, v12
	;; [unrolled: 1-line block ×3, first 2 shown]
	v_add_nc_u32_e32 v18, v18, v29
	v_add_nc_u32_e32 v17, v17, v29
	;; [unrolled: 1-line block ×7, first 2 shown]
	s_waitcnt vmcnt(0) lgkmcnt(0)
	ds_store_b32 v16, v20
	ds_store_b32 v18, v22 offset:1536
	ds_store_b32 v17, v23 offset:3072
	;; [unrolled: 1-line block ×7, first 2 shown]
	s_waitcnt lgkmcnt(0)
	s_barrier
.LBB1091_44:
	buffer_gl0_inv
	ds_load_2addr_b32 v[17:18], v19 offset1:1
	ds_load_2addr_b32 v[15:16], v19 offset0:2 offset1:3
	ds_load_2addr_b32 v[13:14], v19 offset0:4 offset1:5
	;; [unrolled: 1-line block ×3, first 2 shown]
	s_cmp_lg_u32 s18, 0
	s_mov_b32 s14, 0
	s_cselect_b32 s9, -1, 0
	s_cmp_lg_u64 s[6:7], 0
	s_waitcnt lgkmcnt(0)
	s_cselect_b32 s0, -1, 0
	s_barrier
	s_or_b32 s0, s0, s9
	buffer_gl0_inv
	s_and_b32 vcc_lo, exec_lo, s0
	s_cbranch_vccz .LBB1091_49
; %bb.45:
	v_add_co_u32 v19, s0, -4, s21
	s_delay_alu instid0(VALU_DEP_1)
	v_add_co_ci_u32_e64 v20, null, -1, s1, s0
	v_lshlrev_b32_e32 v23, 2, v0
	s_mov_b32 s1, -1
	s_and_b32 vcc_lo, exec_lo, s20
	flat_load_b32 v22, v[19:20]
	ds_store_b32 v23, v2
	s_cbranch_vccz .LBB1091_50
; %bb.46:
	s_waitcnt vmcnt(0) lgkmcnt(1)
	v_mov_b32_e32 v19, v22
	s_waitcnt lgkmcnt(0)
	s_barrier
	buffer_gl0_inv
	s_and_saveexec_b32 s0, s3
	s_cbranch_execz .LBB1091_48
; %bb.47:
	v_add_nc_u32_e32 v19, -4, v23
	ds_load_b32 v19, v19
.LBB1091_48:
	s_or_b32 exec_lo, exec_lo, s0
	v_cmp_ne_u32_e32 vcc_lo, v1, v2
	s_waitcnt lgkmcnt(0)
	v_cmp_ne_u32_e64 s0, v19, v7
	v_cndmask_b32_e64 v20, 0, 1, vcc_lo
	v_cmp_ne_u32_e32 vcc_lo, v4, v1
	s_delay_alu instid0(VALU_DEP_2) | instskip(SKIP_2) | instid1(VALU_DEP_2)
	v_lshlrev_b16 v20, 8, v20
	v_cndmask_b32_e64 v24, 0, 1, vcc_lo
	v_cmp_ne_u32_e32 vcc_lo, v3, v4
	v_or_b32_e32 v20, v24, v20
	v_cndmask_b32_e64 v25, 0, 1, vcc_lo
	v_cmp_ne_u32_e32 vcc_lo, v5, v6
	s_delay_alu instid0(VALU_DEP_3) | instskip(NEXT) | instid1(VALU_DEP_3)
	v_lshlrev_b32_e32 v20, 16, v20
	v_lshlrev_b16 v25, 8, v25
	v_cndmask_b32_e64 v26, 0, 1, vcc_lo
	v_cmp_ne_u32_e32 vcc_lo, v6, v3
	s_delay_alu instid0(VALU_DEP_2) | instskip(SKIP_2) | instid1(VALU_DEP_2)
	v_lshlrev_b16 v26, 8, v26
	v_cndmask_b32_e64 v27, 0, 1, vcc_lo
	v_cmp_ne_u32_e32 vcc_lo, v8, v5
	v_or_b32_e32 v25, v27, v25
	v_cndmask_b32_e64 v28, 0, 1, vcc_lo
	v_cmp_ne_u32_e32 vcc_lo, v7, v8
	s_delay_alu instid0(VALU_DEP_3) | instskip(NEXT) | instid1(VALU_DEP_3)
	v_and_b32_e32 v25, 0xffff, v25
	v_or_b32_e32 v26, v28, v26
	v_cndmask_b32_e64 v29, 0, 1, vcc_lo
	s_delay_alu instid0(VALU_DEP_3) | instskip(NEXT) | instid1(VALU_DEP_3)
	v_or_b32_e32 v20, v25, v20
	v_lshlrev_b32_e32 v24, 16, v26
	s_delay_alu instid0(VALU_DEP_3) | instskip(NEXT) | instid1(VALU_DEP_1)
	v_lshlrev_b16 v28, 8, v29
	v_and_b32_e32 v26, 0xffff, v28
	s_delay_alu instid0(VALU_DEP_1)
	v_or_b32_e32 v19, v26, v24
	s_branch .LBB1091_54
.LBB1091_49:
                                        ; implicit-def: $sgpr0
                                        ; implicit-def: $vgpr20
	s_branch .LBB1091_55
.LBB1091_50:
                                        ; implicit-def: $sgpr0
                                        ; implicit-def: $vgpr20
	s_and_b32 vcc_lo, exec_lo, s1
	s_cbranch_vccz .LBB1091_54
; %bb.51:
	s_waitcnt vmcnt(0) lgkmcnt(0)
	s_barrier
	buffer_gl0_inv
	s_and_saveexec_b32 s0, s3
	s_cbranch_execz .LBB1091_53
; %bb.52:
	v_add_nc_u32_e32 v19, -4, v23
	ds_load_b32 v22, v19
.LBB1091_53:
	s_or_b32 exec_lo, exec_lo, s0
	v_or_b32_e32 v19, 7, v21
	v_or_b32_e32 v20, 6, v21
	;; [unrolled: 1-line block ×3, first 2 shown]
	v_cmp_ne_u32_e32 vcc_lo, v1, v2
	v_cmp_ne_u32_e64 s1, v4, v1
	v_cmp_gt_u32_e64 s0, s19, v19
	v_cmp_gt_u32_e64 s5, s19, v20
	v_cmp_ne_u32_e64 s4, v3, v4
	v_cmp_gt_u32_e64 s6, s19, v23
	v_or_b32_e32 v20, 3, v21
	s_and_b32 s0, s0, vcc_lo
	v_or_b32_e32 v24, 4, v21
	v_cndmask_b32_e64 v19, 0, 1, s0
	s_and_b32 s0, s5, s1
	v_cmp_gt_u32_e32 vcc_lo, s19, v20
	v_cndmask_b32_e64 v23, 0, 1, s0
	s_and_b32 s0, s6, s4
	v_or_b32_e32 v20, 2, v21
	v_cndmask_b32_e64 v25, 0, 1, s0
	v_cmp_ne_u32_e64 s0, v5, v6
	v_cmp_gt_u32_e64 s1, s19, v24
	v_or_b32_e32 v24, 1, v21
	v_cmp_ne_u32_e64 s4, v6, v3
	v_cmp_ne_u32_e64 s6, v7, v8
	s_and_b32 s0, vcc_lo, s0
	v_cmp_gt_u32_e32 vcc_lo, s19, v20
	v_cndmask_b32_e64 v26, 0, 1, s0
	v_cmp_ne_u32_e64 s0, v8, v5
	v_cmp_gt_u32_e64 s5, s19, v24
	s_and_b32 s1, s1, s4
	v_lshlrev_b16 v25, 8, v25
	v_cndmask_b32_e64 v20, 0, 1, s1
	s_and_b32 s0, vcc_lo, s0
	v_lshlrev_b16 v26, 8, v26
	v_cndmask_b32_e64 v24, 0, 1, s0
	s_and_b32 s0, s5, s6
	v_lshlrev_b16 v19, 8, v19
	v_cndmask_b32_e64 v27, 0, 1, s0
	v_or_b32_e32 v20, v20, v25
	v_or_b32_e32 v24, v24, v26
	v_cmp_gt_u32_e32 vcc_lo, s19, v21
	v_or_b32_e32 v19, v23, v19
	v_lshlrev_b16 v26, 8, v27
	v_and_b32_e32 v20, 0xffff, v20
	v_lshlrev_b32_e32 v23, 16, v24
	s_waitcnt lgkmcnt(0)
	v_cmp_ne_u32_e64 s0, v22, v7
	v_lshlrev_b32_e32 v25, 16, v19
	v_and_b32_e32 v24, 0xffff, v26
	s_delay_alu instid0(VALU_DEP_3) | instskip(NEXT) | instid1(VALU_DEP_2)
	s_and_b32 s0, vcc_lo, s0
	v_or_b32_e32 v20, v20, v25
	s_delay_alu instid0(VALU_DEP_2)
	v_or_b32_e32 v19, v24, v23
.LBB1091_54:
	s_mov_b32 s14, -1
	s_cbranch_execnz .LBB1091_63
.LBB1091_55:
	s_waitcnt vmcnt(0) lgkmcnt(1)
	v_lshlrev_b32_e32 v22, 2, v0
	v_cmp_ne_u32_e64 s1, v1, v2
	v_cmp_ne_u32_e64 s4, v4, v1
	;; [unrolled: 1-line block ×7, first 2 shown]
	s_and_b32 vcc_lo, exec_lo, s20
	ds_store_b32 v22, v2
	s_cbranch_vccz .LBB1091_59
; %bb.56:
	v_cndmask_b32_e64 v19, 0, 1, s1
	v_cndmask_b32_e64 v23, 0, 1, s5
	;; [unrolled: 1-line block ×7, first 2 shown]
	v_lshlrev_b16 v23, 8, v23
	v_lshlrev_b16 v19, 8, v19
	;; [unrolled: 1-line block ×4, first 2 shown]
	s_waitcnt lgkmcnt(0)
	v_or_b32_e32 v23, v24, v23
	v_or_b32_e32 v19, v20, v19
	v_or_b32_e32 v20, v27, v25
	v_or_b32_e32 v24, 1, v26
	s_barrier
	v_and_b32_e32 v23, 0xffff, v23
	v_lshlrev_b32_e32 v19, 16, v19
	v_lshlrev_b32_e32 v25, 16, v20
	v_and_b32_e32 v24, 0xffff, v24
	buffer_gl0_inv
                                        ; implicit-def: $sgpr0
	v_or_b32_e32 v20, v23, v19
	v_or_b32_e32 v19, v24, v25
	s_and_saveexec_b32 s1, s3
	s_delay_alu instid0(SALU_CYCLE_1)
	s_xor_b32 s1, exec_lo, s1
	s_cbranch_execz .LBB1091_58
; %bb.57:
	v_add_nc_u32_e32 v23, -4, v22
	s_or_b32 s14, s14, exec_lo
	ds_load_b32 v23, v23
	s_waitcnt lgkmcnt(0)
	v_cmp_ne_u32_e32 vcc_lo, v23, v7
	s_and_b32 s0, vcc_lo, exec_lo
.LBB1091_58:
	s_or_b32 exec_lo, exec_lo, s1
	s_branch .LBB1091_63
.LBB1091_59:
                                        ; implicit-def: $sgpr0
                                        ; implicit-def: $vgpr20
	s_cbranch_execz .LBB1091_63
; %bb.60:
	v_or_b32_e32 v19, 7, v21
	v_or_b32_e32 v20, 6, v21
	v_cmp_ne_u32_e32 vcc_lo, v1, v2
	v_cmp_ne_u32_e64 s1, v4, v1
	v_or_b32_e32 v23, 5, v21
	v_cmp_gt_u32_e64 s0, s19, v19
	v_cmp_gt_u32_e64 s4, s19, v20
	v_or_b32_e32 v19, 4, v21
	v_or_b32_e32 v24, 3, v21
	v_cmp_gt_u32_e64 s5, s19, v23
	s_and_b32 s0, s0, vcc_lo
	v_cmp_ne_u32_e32 vcc_lo, v3, v4
	v_cndmask_b32_e64 v20, 0, 1, s0
	s_and_b32 s0, s4, s1
	v_cmp_ne_u32_e64 s1, v6, v3
	v_cndmask_b32_e64 v23, 0, 1, s0
	v_cmp_gt_u32_e64 s0, s19, v19
	v_or_b32_e32 v25, 1, v21
	s_and_b32 s4, s5, vcc_lo
	v_cmp_gt_u32_e32 vcc_lo, s19, v24
	v_cndmask_b32_e64 v19, 0, 1, s4
	s_and_b32 s0, s0, s1
	v_or_b32_e32 v27, 2, v21
	v_cndmask_b32_e64 v26, 0, 1, s0
	v_cmp_ne_u32_e64 s0, v5, v6
	v_cmp_gt_u32_e64 s1, s19, v25
	v_cmp_ne_u32_e64 s4, v7, v8
	v_cmp_gt_u32_e64 s5, s19, v27
	v_cmp_ne_u32_e64 s6, v8, v5
	s_and_b32 s0, vcc_lo, s0
	v_lshlrev_b16 v19, 8, v19
	v_cndmask_b32_e64 v24, 0, 1, s0
	s_and_b32 s0, s1, s4
	v_lshlrev_b16 v20, 8, v20
	v_cndmask_b32_e64 v25, 0, 1, s0
	s_and_b32 s0, s5, s6
	v_lshlrev_b16 v24, 8, v24
	v_cndmask_b32_e64 v27, 0, 1, s0
	v_or_b32_e32 v19, v26, v19
	v_lshlrev_b16 v25, 8, v25
	v_or_b32_e32 v20, v23, v20
	s_waitcnt lgkmcnt(0)
	v_or_b32_e32 v23, v27, v24
	v_and_b32_e32 v19, 0xffff, v19
	v_or_b32_e32 v24, 1, v25
	v_lshlrev_b32_e32 v20, 16, v20
	s_barrier
	v_lshlrev_b32_e32 v23, 16, v23
	buffer_gl0_inv
	v_and_b32_e32 v24, 0xffff, v24
	v_or_b32_e32 v20, v19, v20
                                        ; implicit-def: $sgpr0
	s_delay_alu instid0(VALU_DEP_2)
	v_or_b32_e32 v19, v24, v23
	s_and_saveexec_b32 s1, s3
	s_cbranch_execz .LBB1091_62
; %bb.61:
	v_add_nc_u32_e32 v22, -4, v22
	v_cmp_gt_u32_e32 vcc_lo, s19, v21
	s_or_b32 s14, s14, exec_lo
	ds_load_b32 v22, v22
	s_waitcnt lgkmcnt(0)
	v_cmp_ne_u32_e64 s0, v22, v7
	s_delay_alu instid0(VALU_DEP_1) | instskip(NEXT) | instid1(SALU_CYCLE_1)
	s_and_b32 s0, vcc_lo, s0
	s_and_b32 s0, s0, exec_lo
.LBB1091_62:
	s_or_b32 exec_lo, exec_lo, s1
.LBB1091_63:
	s_and_saveexec_b32 s1, s14
	s_cbranch_execz .LBB1091_65
; %bb.64:
	s_waitcnt vmcnt(0) lgkmcnt(1)
	v_and_b32_e32 v22, 0xffffff00, v19
	v_cndmask_b32_e64 v23, 0, 1, s0
	s_delay_alu instid0(VALU_DEP_1) | instskip(NEXT) | instid1(VALU_DEP_1)
	v_or_b32_e32 v22, v23, v22
	v_and_b32_e32 v22, 0xffff, v22
	s_delay_alu instid0(VALU_DEP_1)
	v_and_or_b32 v19, 0xffff0000, v19, v22
.LBB1091_65:
	s_or_b32 exec_lo, exec_lo, s1
	s_delay_alu instid0(SALU_CYCLE_1)
	s_and_not1_b32 vcc_lo, exec_lo, s17
	s_cbranch_vccnz .LBB1091_67
; %bb.66:
	v_cmp_gt_u32_e32 vcc_lo, s19, v21
	v_or_b32_e32 v23, 1, v21
	v_and_b32_e32 v24, 0xffffff00, v20
	v_or_b32_e32 v25, 2, v21
	s_waitcnt vmcnt(0) lgkmcnt(1)
	v_cndmask_b32_e32 v22, 0, v19, vcc_lo
	v_cmp_gt_u32_e32 vcc_lo, s19, v23
	v_or_b32_e32 v23, 4, v21
	v_cmp_gt_u32_e64 s0, s19, v25
	v_or_b32_e32 v25, 3, v21
	v_and_b32_e32 v22, 0xff, v22
	s_delay_alu instid0(VALU_DEP_2) | instskip(NEXT) | instid1(VALU_DEP_2)
	v_cmp_gt_u32_e64 s1, s19, v25
	v_cndmask_b32_e32 v22, v22, v19, vcc_lo
	v_cmp_gt_u32_e32 vcc_lo, s19, v23
	s_delay_alu instid0(VALU_DEP_2) | instskip(SKIP_1) | instid1(VALU_DEP_2)
	v_dual_cndmask_b32 v23, v24, v20 :: v_dual_and_b32 v22, 0xffff, v22
	v_or_b32_e32 v24, 5, v21
	v_cndmask_b32_e64 v22, v22, v19, s0
	s_delay_alu instid0(VALU_DEP_3) | instskip(NEXT) | instid1(VALU_DEP_3)
	v_and_b32_e32 v23, 0xffff00ff, v23
	v_cmp_gt_u32_e64 s0, s19, v24
	v_or_b32_e32 v24, 6, v21
	v_or_b32_e32 v21, 7, v21
	v_and_b32_e32 v22, 0xffffff, v22
	s_delay_alu instid0(VALU_DEP_4) | instskip(NEXT) | instid1(VALU_DEP_2)
	v_cndmask_b32_e64 v23, v23, v20, s0
	v_cndmask_b32_e64 v22, v22, v19, s1
	s_delay_alu instid0(VALU_DEP_2) | instskip(NEXT) | instid1(VALU_DEP_2)
	v_and_b32_e32 v23, 0xff00ffff, v23
	v_cndmask_b32_e32 v22, v22, v19, vcc_lo
	v_cmp_gt_u32_e32 vcc_lo, s19, v24
	s_delay_alu instid0(VALU_DEP_2) | instskip(NEXT) | instid1(VALU_DEP_1)
	v_cndmask_b32_e64 v22, v22, v19, s0
	v_dual_cndmask_b32 v23, v23, v20 :: v_dual_cndmask_b32 v22, v22, v19
	s_delay_alu instid0(VALU_DEP_1) | instskip(SKIP_1) | instid1(VALU_DEP_2)
	v_and_b32_e32 v23, 0xffffff, v23
	v_cmp_gt_u32_e32 vcc_lo, s19, v21
	v_dual_cndmask_b32 v20, v23, v20 :: v_dual_cndmask_b32 v19, v22, v19
.LBB1091_67:
	s_delay_alu instid0(VALU_DEP_1) | instskip(NEXT) | instid1(VALU_DEP_2)
	v_and_b32_e32 v30, 0xff, v19
	v_alignbit_b32 v21, v20, v19, 24
	v_bfe_u32 v31, v19, 8, 8
	v_bfe_u32 v32, v19, 16, 8
	v_and_b32_e32 v34, 0xff, v20
	v_bfe_u32 v35, v20, 8, 8
	v_and_b32_e32 v33, 0xff, v21
	v_add_nc_u32_e32 v21, v31, v30
	s_waitcnt vmcnt(0) lgkmcnt(1)
	v_and_b32_e32 v22, 0x1e0, v0
	v_mbcnt_lo_u32_b32 v37, -1, 0
	v_bfe_u32 v36, v20, 16, 8
	v_lshrrev_b32_e32 v29, 24, v20
	v_add3_u32 v21, v21, v32, v33
	v_min_u32_e32 v22, 0x160, v22
	v_and_b32_e32 v23, 15, v37
	v_lshrrev_b32_e32 v38, 5, v0
	s_and_b32 vcc_lo, exec_lo, s9
	v_add3_u32 v21, v21, v34, v35
	v_or_b32_e32 v22, 31, v22
	v_cmp_eq_u32_e64 s3, 0, v23
	v_cmp_lt_u32_e64 s4, 1, v23
	v_cmp_lt_u32_e64 s1, 3, v23
	v_add3_u32 v39, v21, v36, v29
	v_and_b32_e32 v21, 16, v37
	v_cmp_lt_u32_e64 s0, 7, v23
	v_cmp_eq_u32_e64 s5, v22, v0
	s_mov_b32 s7, -1
	s_waitcnt lgkmcnt(0)
	v_cmp_eq_u32_e64 s6, 0, v21
	s_barrier
	buffer_gl0_inv
	s_cbranch_vccz .LBB1091_98
; %bb.68:
	v_mov_b32_dpp v21, v39 row_shr:1 row_mask:0xf bank_mask:0xf
	s_delay_alu instid0(VALU_DEP_1) | instskip(NEXT) | instid1(VALU_DEP_1)
	v_cndmask_b32_e64 v21, v21, 0, s3
	v_add_nc_u32_e32 v21, v21, v39
	s_delay_alu instid0(VALU_DEP_1) | instskip(NEXT) | instid1(VALU_DEP_1)
	v_mov_b32_dpp v22, v21 row_shr:2 row_mask:0xf bank_mask:0xf
	v_cndmask_b32_e64 v22, 0, v22, s4
	s_delay_alu instid0(VALU_DEP_1) | instskip(NEXT) | instid1(VALU_DEP_1)
	v_add_nc_u32_e32 v21, v21, v22
	v_mov_b32_dpp v22, v21 row_shr:4 row_mask:0xf bank_mask:0xf
	s_delay_alu instid0(VALU_DEP_1) | instskip(NEXT) | instid1(VALU_DEP_1)
	v_cndmask_b32_e64 v22, 0, v22, s1
	v_add_nc_u32_e32 v21, v21, v22
	s_delay_alu instid0(VALU_DEP_1) | instskip(NEXT) | instid1(VALU_DEP_1)
	v_mov_b32_dpp v22, v21 row_shr:8 row_mask:0xf bank_mask:0xf
	v_cndmask_b32_e64 v22, 0, v22, s0
	s_delay_alu instid0(VALU_DEP_1) | instskip(SKIP_3) | instid1(VALU_DEP_1)
	v_add_nc_u32_e32 v21, v21, v22
	ds_swizzle_b32 v22, v21 offset:swizzle(BROADCAST,32,15)
	s_waitcnt lgkmcnt(0)
	v_cndmask_b32_e64 v22, v22, 0, s6
	v_add_nc_u32_e32 v21, v21, v22
	s_and_saveexec_b32 s7, s5
	s_cbranch_execz .LBB1091_70
; %bb.69:
	v_lshlrev_b32_e32 v22, 2, v38
	ds_store_b32 v22, v21
.LBB1091_70:
	s_or_b32 exec_lo, exec_lo, s7
	s_delay_alu instid0(SALU_CYCLE_1)
	s_mov_b32 s7, exec_lo
	s_waitcnt lgkmcnt(0)
	s_barrier
	buffer_gl0_inv
	v_cmpx_gt_u32_e32 12, v0
	s_cbranch_execz .LBB1091_72
; %bb.71:
	v_lshlrev_b32_e32 v22, 2, v0
	ds_load_b32 v23, v22
	s_waitcnt lgkmcnt(0)
	v_mov_b32_dpp v24, v23 row_shr:1 row_mask:0xf bank_mask:0xf
	s_delay_alu instid0(VALU_DEP_1) | instskip(NEXT) | instid1(VALU_DEP_1)
	v_cndmask_b32_e64 v24, v24, 0, s3
	v_add_nc_u32_e32 v23, v24, v23
	s_delay_alu instid0(VALU_DEP_1) | instskip(NEXT) | instid1(VALU_DEP_1)
	v_mov_b32_dpp v24, v23 row_shr:2 row_mask:0xf bank_mask:0xf
	v_cndmask_b32_e64 v24, 0, v24, s4
	s_delay_alu instid0(VALU_DEP_1) | instskip(NEXT) | instid1(VALU_DEP_1)
	v_add_nc_u32_e32 v23, v23, v24
	v_mov_b32_dpp v24, v23 row_shr:4 row_mask:0xf bank_mask:0xf
	s_delay_alu instid0(VALU_DEP_1) | instskip(NEXT) | instid1(VALU_DEP_1)
	v_cndmask_b32_e64 v24, 0, v24, s1
	v_add_nc_u32_e32 v23, v23, v24
	s_delay_alu instid0(VALU_DEP_1) | instskip(NEXT) | instid1(VALU_DEP_1)
	v_mov_b32_dpp v24, v23 row_shr:8 row_mask:0xf bank_mask:0xf
	v_cndmask_b32_e64 v24, 0, v24, s0
	s_delay_alu instid0(VALU_DEP_1)
	v_add_nc_u32_e32 v23, v23, v24
	ds_store_b32 v22, v23
.LBB1091_72:
	s_or_b32 exec_lo, exec_lo, s7
	v_cmp_gt_u32_e32 vcc_lo, 32, v0
	s_mov_b32 s8, exec_lo
	s_waitcnt lgkmcnt(0)
	s_barrier
	buffer_gl0_inv
                                        ; implicit-def: $vgpr40
	v_cmpx_lt_u32_e32 31, v0
	s_cbranch_execz .LBB1091_74
; %bb.73:
	v_lshl_add_u32 v22, v38, 2, -4
	ds_load_b32 v40, v22
	s_waitcnt lgkmcnt(0)
	v_add_nc_u32_e32 v21, v40, v21
.LBB1091_74:
	s_or_b32 exec_lo, exec_lo, s8
	v_add_nc_u32_e32 v22, -1, v37
	s_delay_alu instid0(VALU_DEP_1) | instskip(NEXT) | instid1(VALU_DEP_1)
	v_cmp_gt_i32_e64 s7, 0, v22
	v_cndmask_b32_e64 v22, v22, v37, s7
	v_cmp_eq_u32_e64 s7, 0, v37
	s_delay_alu instid0(VALU_DEP_2)
	v_lshlrev_b32_e32 v22, 2, v22
	ds_bpermute_b32 v41, v22, v21
	s_and_saveexec_b32 s8, vcc_lo
	s_cbranch_execz .LBB1091_97
; %bb.75:
	v_mov_b32_e32 v25, 0
	ds_load_b32 v21, v25 offset:44
	s_and_saveexec_b32 s9, s7
	s_cbranch_execz .LBB1091_77
; %bb.76:
	s_add_i32 s14, s18, 32
	s_mov_b32 s15, 0
	v_mov_b32_e32 v22, 1
	s_lshl_b64 s[14:15], s[14:15], 3
	s_delay_alu instid0(SALU_CYCLE_1)
	s_add_u32 s14, s10, s14
	s_addc_u32 s15, s11, s15
	s_waitcnt lgkmcnt(0)
	global_store_b64 v25, v[21:22], s[14:15]
.LBB1091_77:
	s_or_b32 exec_lo, exec_lo, s9
	v_xad_u32 v23, v37, -1, s18
	s_mov_b32 s14, 0
	s_mov_b32 s9, exec_lo
	s_delay_alu instid0(VALU_DEP_1) | instskip(NEXT) | instid1(VALU_DEP_1)
	v_add_nc_u32_e32 v24, 32, v23
	v_lshlrev_b64 v[24:25], 3, v[24:25]
	s_delay_alu instid0(VALU_DEP_1) | instskip(NEXT) | instid1(VALU_DEP_2)
	v_add_co_u32 v27, vcc_lo, s10, v24
	v_add_co_ci_u32_e32 v28, vcc_lo, s11, v25, vcc_lo
	global_load_b64 v[25:26], v[27:28], off glc
	s_waitcnt vmcnt(0)
	v_and_b32_e32 v22, 0xff, v26
	s_delay_alu instid0(VALU_DEP_1)
	v_cmpx_eq_u16_e32 0, v22
	s_cbranch_execz .LBB1091_83
; %bb.78:
	s_mov_b32 s15, 1
	.p2align	6
.LBB1091_79:                            ; =>This Loop Header: Depth=1
                                        ;     Child Loop BB1091_80 Depth 2
	s_delay_alu instid0(SALU_CYCLE_1)
	s_max_u32 s17, s15, 1
.LBB1091_80:                            ;   Parent Loop BB1091_79 Depth=1
                                        ; =>  This Inner Loop Header: Depth=2
	s_delay_alu instid0(SALU_CYCLE_1)
	s_add_i32 s17, s17, -1
	s_sleep 1
	s_cmp_eq_u32 s17, 0
	s_cbranch_scc0 .LBB1091_80
; %bb.81:                               ;   in Loop: Header=BB1091_79 Depth=1
	global_load_b64 v[25:26], v[27:28], off glc
	s_cmp_lt_u32 s15, 32
	s_cselect_b32 s17, -1, 0
	s_delay_alu instid0(SALU_CYCLE_1) | instskip(SKIP_3) | instid1(VALU_DEP_1)
	s_cmp_lg_u32 s17, 0
	s_addc_u32 s15, s15, 0
	s_waitcnt vmcnt(0)
	v_and_b32_e32 v22, 0xff, v26
	v_cmp_ne_u16_e32 vcc_lo, 0, v22
	s_or_b32 s14, vcc_lo, s14
	s_delay_alu instid0(SALU_CYCLE_1)
	s_and_not1_b32 exec_lo, exec_lo, s14
	s_cbranch_execnz .LBB1091_79
; %bb.82:
	s_or_b32 exec_lo, exec_lo, s14
.LBB1091_83:
	s_delay_alu instid0(SALU_CYCLE_1)
	s_or_b32 exec_lo, exec_lo, s9
	v_cmp_ne_u32_e32 vcc_lo, 31, v37
	v_lshlrev_b32_e64 v43, v37, -1
	v_add_nc_u32_e32 v45, 2, v37
	v_add_nc_u32_e32 v47, 4, v37
	;; [unrolled: 1-line block ×3, first 2 shown]
	v_add_co_ci_u32_e32 v22, vcc_lo, 0, v37, vcc_lo
	v_add_nc_u32_e32 v51, 16, v37
	s_delay_alu instid0(VALU_DEP_2)
	v_lshlrev_b32_e32 v42, 2, v22
	v_and_b32_e32 v22, 0xff, v26
	ds_bpermute_b32 v24, v42, v25
	v_cmp_eq_u16_e32 vcc_lo, 2, v22
	v_and_or_b32 v22, vcc_lo, v43, 0x80000000
	v_cmp_gt_u32_e32 vcc_lo, 30, v37
	s_delay_alu instid0(VALU_DEP_2) | instskip(SKIP_1) | instid1(VALU_DEP_2)
	v_ctz_i32_b32_e32 v22, v22
	v_cndmask_b32_e64 v27, 0, 1, vcc_lo
	v_cmp_lt_u32_e32 vcc_lo, v37, v22
	s_waitcnt lgkmcnt(0)
	s_delay_alu instid0(VALU_DEP_2) | instskip(NEXT) | instid1(VALU_DEP_1)
	v_dual_cndmask_b32 v24, 0, v24 :: v_dual_lshlrev_b32 v27, 1, v27
	v_add_lshl_u32 v44, v27, v37, 2
	v_cmp_gt_u32_e32 vcc_lo, 28, v37
	s_delay_alu instid0(VALU_DEP_3) | instskip(SKIP_4) | instid1(VALU_DEP_1)
	v_add_nc_u32_e32 v24, v24, v25
	v_cndmask_b32_e64 v27, 0, 1, vcc_lo
	v_cmp_le_u32_e32 vcc_lo, v45, v22
	ds_bpermute_b32 v25, v44, v24
	v_lshlrev_b32_e32 v27, 2, v27
	v_add_lshl_u32 v46, v27, v37, 2
	s_waitcnt lgkmcnt(0)
	v_cndmask_b32_e32 v25, 0, v25, vcc_lo
	v_cmp_gt_u32_e32 vcc_lo, 24, v37
	s_delay_alu instid0(VALU_DEP_2) | instskip(SKIP_4) | instid1(VALU_DEP_1)
	v_add_nc_u32_e32 v24, v24, v25
	v_cndmask_b32_e64 v27, 0, 1, vcc_lo
	v_cmp_le_u32_e32 vcc_lo, v47, v22
	ds_bpermute_b32 v25, v46, v24
	v_lshlrev_b32_e32 v27, 3, v27
	v_add_lshl_u32 v48, v27, v37, 2
	s_waitcnt lgkmcnt(0)
	v_cndmask_b32_e32 v25, 0, v25, vcc_lo
	v_cmp_gt_u32_e32 vcc_lo, 16, v37
	s_delay_alu instid0(VALU_DEP_2) | instskip(SKIP_4) | instid1(VALU_DEP_1)
	v_add_nc_u32_e32 v24, v24, v25
	v_cndmask_b32_e64 v27, 0, 1, vcc_lo
	v_cmp_le_u32_e32 vcc_lo, v49, v22
	ds_bpermute_b32 v25, v48, v24
	v_lshlrev_b32_e32 v27, 4, v27
	v_add_lshl_u32 v50, v27, v37, 2
	s_waitcnt lgkmcnt(0)
	v_cndmask_b32_e32 v25, 0, v25, vcc_lo
	v_cmp_le_u32_e32 vcc_lo, v51, v22
	s_delay_alu instid0(VALU_DEP_2) | instskip(SKIP_3) | instid1(VALU_DEP_1)
	v_add_nc_u32_e32 v24, v24, v25
	ds_bpermute_b32 v25, v50, v24
	s_waitcnt lgkmcnt(0)
	v_cndmask_b32_e32 v22, 0, v25, vcc_lo
	v_dual_mov_b32 v24, 0 :: v_dual_add_nc_u32 v25, v24, v22
	s_branch .LBB1091_85
.LBB1091_84:                            ;   in Loop: Header=BB1091_85 Depth=1
	s_or_b32 exec_lo, exec_lo, s9
	ds_bpermute_b32 v28, v42, v25
	v_and_b32_e32 v27, 0xff, v26
	v_subrev_nc_u32_e32 v23, 32, v23
	s_delay_alu instid0(VALU_DEP_2) | instskip(SKIP_1) | instid1(VALU_DEP_1)
	v_cmp_eq_u16_e32 vcc_lo, 2, v27
	v_and_or_b32 v27, vcc_lo, v43, 0x80000000
	v_ctz_i32_b32_e32 v27, v27
	s_delay_alu instid0(VALU_DEP_1) | instskip(SKIP_3) | instid1(VALU_DEP_2)
	v_cmp_lt_u32_e32 vcc_lo, v37, v27
	s_waitcnt lgkmcnt(0)
	v_cndmask_b32_e32 v28, 0, v28, vcc_lo
	v_cmp_le_u32_e32 vcc_lo, v45, v27
	v_add_nc_u32_e32 v25, v28, v25
	ds_bpermute_b32 v28, v44, v25
	s_waitcnt lgkmcnt(0)
	v_cndmask_b32_e32 v28, 0, v28, vcc_lo
	v_cmp_le_u32_e32 vcc_lo, v47, v27
	s_delay_alu instid0(VALU_DEP_2) | instskip(SKIP_4) | instid1(VALU_DEP_2)
	v_add_nc_u32_e32 v25, v25, v28
	ds_bpermute_b32 v28, v46, v25
	s_waitcnt lgkmcnt(0)
	v_cndmask_b32_e32 v28, 0, v28, vcc_lo
	v_cmp_le_u32_e32 vcc_lo, v49, v27
	v_add_nc_u32_e32 v25, v25, v28
	ds_bpermute_b32 v28, v48, v25
	s_waitcnt lgkmcnt(0)
	v_cndmask_b32_e32 v28, 0, v28, vcc_lo
	v_cmp_le_u32_e32 vcc_lo, v51, v27
	s_delay_alu instid0(VALU_DEP_2) | instskip(SKIP_3) | instid1(VALU_DEP_1)
	v_add_nc_u32_e32 v25, v25, v28
	ds_bpermute_b32 v28, v50, v25
	s_waitcnt lgkmcnt(0)
	v_cndmask_b32_e32 v27, 0, v28, vcc_lo
	v_add3_u32 v25, v27, v22, v25
.LBB1091_85:                            ; =>This Loop Header: Depth=1
                                        ;     Child Loop BB1091_88 Depth 2
                                        ;       Child Loop BB1091_89 Depth 3
	v_and_b32_e32 v22, 0xff, v26
	s_delay_alu instid0(VALU_DEP_1) | instskip(SKIP_2) | instid1(VALU_DEP_1)
	v_cmp_ne_u16_e32 vcc_lo, 2, v22
	v_cndmask_b32_e64 v22, 0, 1, vcc_lo
	;;#ASMSTART
	;;#ASMEND
	v_cmp_ne_u32_e32 vcc_lo, 0, v22
	v_mov_b32_e32 v22, v25
	s_cmp_lg_u32 vcc_lo, exec_lo
	s_cbranch_scc1 .LBB1091_92
; %bb.86:                               ;   in Loop: Header=BB1091_85 Depth=1
	v_lshlrev_b64 v[25:26], 3, v[23:24]
	s_mov_b32 s9, exec_lo
	s_delay_alu instid0(VALU_DEP_1) | instskip(NEXT) | instid1(VALU_DEP_2)
	v_add_co_u32 v27, vcc_lo, s10, v25
	v_add_co_ci_u32_e32 v28, vcc_lo, s11, v26, vcc_lo
	global_load_b64 v[25:26], v[27:28], off glc
	s_waitcnt vmcnt(0)
	v_and_b32_e32 v52, 0xff, v26
	s_delay_alu instid0(VALU_DEP_1)
	v_cmpx_eq_u16_e32 0, v52
	s_cbranch_execz .LBB1091_84
; %bb.87:                               ;   in Loop: Header=BB1091_85 Depth=1
	s_mov_b32 s15, 1
	s_mov_b32 s14, 0
	.p2align	6
.LBB1091_88:                            ;   Parent Loop BB1091_85 Depth=1
                                        ; =>  This Loop Header: Depth=2
                                        ;       Child Loop BB1091_89 Depth 3
	s_max_u32 s17, s15, 1
.LBB1091_89:                            ;   Parent Loop BB1091_85 Depth=1
                                        ;     Parent Loop BB1091_88 Depth=2
                                        ; =>    This Inner Loop Header: Depth=3
	s_delay_alu instid0(SALU_CYCLE_1)
	s_add_i32 s17, s17, -1
	s_sleep 1
	s_cmp_eq_u32 s17, 0
	s_cbranch_scc0 .LBB1091_89
; %bb.90:                               ;   in Loop: Header=BB1091_88 Depth=2
	global_load_b64 v[25:26], v[27:28], off glc
	s_cmp_lt_u32 s15, 32
	s_cselect_b32 s17, -1, 0
	s_delay_alu instid0(SALU_CYCLE_1) | instskip(SKIP_3) | instid1(VALU_DEP_1)
	s_cmp_lg_u32 s17, 0
	s_addc_u32 s15, s15, 0
	s_waitcnt vmcnt(0)
	v_and_b32_e32 v52, 0xff, v26
	v_cmp_ne_u16_e32 vcc_lo, 0, v52
	s_or_b32 s14, vcc_lo, s14
	s_delay_alu instid0(SALU_CYCLE_1)
	s_and_not1_b32 exec_lo, exec_lo, s14
	s_cbranch_execnz .LBB1091_88
; %bb.91:                               ;   in Loop: Header=BB1091_85 Depth=1
	s_or_b32 exec_lo, exec_lo, s14
	s_branch .LBB1091_84
.LBB1091_92:                            ;   in Loop: Header=BB1091_85 Depth=1
                                        ; implicit-def: $vgpr25
                                        ; implicit-def: $vgpr26
	s_cbranch_execz .LBB1091_85
; %bb.93:
	s_and_saveexec_b32 s9, s7
	s_cbranch_execz .LBB1091_95
; %bb.94:
	s_add_i32 s14, s18, 32
	s_mov_b32 s15, 0
	v_dual_mov_b32 v24, 2 :: v_dual_add_nc_u32 v23, v22, v21
	s_lshl_b64 s[14:15], s[14:15], 3
	v_mov_b32_e32 v25, 0
	s_add_u32 s14, s10, s14
	s_addc_u32 s15, s11, s15
	global_store_b64 v25, v[23:24], s[14:15]
	ds_store_b64 v25, v[21:22] offset:12672
.LBB1091_95:
	s_or_b32 exec_lo, exec_lo, s9
	s_delay_alu instid0(SALU_CYCLE_1)
	s_and_b32 exec_lo, exec_lo, s2
	s_cbranch_execz .LBB1091_97
; %bb.96:
	v_mov_b32_e32 v21, 0
	ds_store_b32 v21, v22 offset:44
.LBB1091_97:
	s_or_b32 exec_lo, exec_lo, s8
	v_mov_b32_e32 v21, 0
	s_waitcnt lgkmcnt(0)
	s_waitcnt_vscnt null, 0x0
	s_barrier
	buffer_gl0_inv
	v_cndmask_b32_e64 v23, v41, v40, s7
	ds_load_b32 v22, v21 offset:44
	s_waitcnt lgkmcnt(0)
	s_barrier
	buffer_gl0_inv
	v_cndmask_b32_e64 v23, v23, 0, s2
	s_delay_alu instid0(VALU_DEP_1) | instskip(NEXT) | instid1(VALU_DEP_1)
	v_add_nc_u32_e32 v43, v22, v23
	v_add_nc_u32_e32 v42, v43, v30
	ds_load_b64 v[21:22], v21 offset:12672
	v_add_nc_u32_e32 v41, v42, v31
	s_delay_alu instid0(VALU_DEP_1) | instskip(NEXT) | instid1(VALU_DEP_1)
	v_add_nc_u32_e32 v40, v41, v32
	v_add_nc_u32_e32 v28, v40, v33
	s_delay_alu instid0(VALU_DEP_1) | instskip(NEXT) | instid1(VALU_DEP_1)
	v_add_nc_u32_e32 v27, v28, v34
	v_add_nc_u32_e32 v26, v27, v35
	s_delay_alu instid0(VALU_DEP_1)
	v_add_nc_u32_e32 v25, v26, v36
	v_lshrrev_b64 v[23:24], 24, v[19:20]
	s_branch .LBB1091_108
.LBB1091_98:
                                        ; implicit-def: $vgpr25
                                        ; implicit-def: $vgpr26
                                        ; implicit-def: $vgpr27
                                        ; implicit-def: $vgpr28
                                        ; implicit-def: $vgpr40
                                        ; implicit-def: $vgpr41
                                        ; implicit-def: $vgpr42
                                        ; implicit-def: $vgpr43
                                        ; implicit-def: $vgpr22
	v_lshrrev_b64 v[23:24], 24, v[19:20]
	s_and_b32 vcc_lo, exec_lo, s7
	s_cbranch_vccz .LBB1091_108
; %bb.99:
	s_waitcnt lgkmcnt(0)
	v_mov_b32_dpp v21, v39 row_shr:1 row_mask:0xf bank_mask:0xf
	s_delay_alu instid0(VALU_DEP_1) | instskip(NEXT) | instid1(VALU_DEP_1)
	v_cndmask_b32_e64 v21, v21, 0, s3
	v_add_nc_u32_e32 v21, v21, v39
	s_delay_alu instid0(VALU_DEP_1) | instskip(NEXT) | instid1(VALU_DEP_1)
	v_mov_b32_dpp v22, v21 row_shr:2 row_mask:0xf bank_mask:0xf
	v_cndmask_b32_e64 v22, 0, v22, s4
	s_delay_alu instid0(VALU_DEP_1) | instskip(NEXT) | instid1(VALU_DEP_1)
	v_add_nc_u32_e32 v21, v21, v22
	v_mov_b32_dpp v22, v21 row_shr:4 row_mask:0xf bank_mask:0xf
	s_delay_alu instid0(VALU_DEP_1) | instskip(NEXT) | instid1(VALU_DEP_1)
	v_cndmask_b32_e64 v22, 0, v22, s1
	v_add_nc_u32_e32 v21, v21, v22
	s_delay_alu instid0(VALU_DEP_1) | instskip(NEXT) | instid1(VALU_DEP_1)
	v_mov_b32_dpp v22, v21 row_shr:8 row_mask:0xf bank_mask:0xf
	v_cndmask_b32_e64 v22, 0, v22, s0
	s_delay_alu instid0(VALU_DEP_1) | instskip(SKIP_3) | instid1(VALU_DEP_1)
	v_add_nc_u32_e32 v21, v21, v22
	ds_swizzle_b32 v22, v21 offset:swizzle(BROADCAST,32,15)
	s_waitcnt lgkmcnt(0)
	v_cndmask_b32_e64 v22, v22, 0, s6
	v_add_nc_u32_e32 v21, v21, v22
	s_and_saveexec_b32 s6, s5
	s_cbranch_execz .LBB1091_101
; %bb.100:
	v_lshlrev_b32_e32 v22, 2, v38
	ds_store_b32 v22, v21
.LBB1091_101:
	s_or_b32 exec_lo, exec_lo, s6
	s_delay_alu instid0(SALU_CYCLE_1)
	s_mov_b32 s5, exec_lo
	s_waitcnt lgkmcnt(0)
	s_barrier
	buffer_gl0_inv
	v_cmpx_gt_u32_e32 12, v0
	s_cbranch_execz .LBB1091_103
; %bb.102:
	v_lshlrev_b32_e32 v22, 2, v0
	ds_load_b32 v24, v22
	s_waitcnt lgkmcnt(0)
	v_mov_b32_dpp v25, v24 row_shr:1 row_mask:0xf bank_mask:0xf
	s_delay_alu instid0(VALU_DEP_1) | instskip(NEXT) | instid1(VALU_DEP_1)
	v_cndmask_b32_e64 v25, v25, 0, s3
	v_add_nc_u32_e32 v24, v25, v24
	s_delay_alu instid0(VALU_DEP_1) | instskip(NEXT) | instid1(VALU_DEP_1)
	v_mov_b32_dpp v25, v24 row_shr:2 row_mask:0xf bank_mask:0xf
	v_cndmask_b32_e64 v25, 0, v25, s4
	s_delay_alu instid0(VALU_DEP_1) | instskip(NEXT) | instid1(VALU_DEP_1)
	v_add_nc_u32_e32 v24, v24, v25
	v_mov_b32_dpp v25, v24 row_shr:4 row_mask:0xf bank_mask:0xf
	s_delay_alu instid0(VALU_DEP_1) | instskip(NEXT) | instid1(VALU_DEP_1)
	v_cndmask_b32_e64 v25, 0, v25, s1
	v_add_nc_u32_e32 v24, v24, v25
	s_delay_alu instid0(VALU_DEP_1) | instskip(NEXT) | instid1(VALU_DEP_1)
	v_mov_b32_dpp v25, v24 row_shr:8 row_mask:0xf bank_mask:0xf
	v_cndmask_b32_e64 v25, 0, v25, s0
	s_delay_alu instid0(VALU_DEP_1)
	v_add_nc_u32_e32 v24, v24, v25
	ds_store_b32 v22, v24
.LBB1091_103:
	s_or_b32 exec_lo, exec_lo, s5
	v_cmp_lt_u32_e32 vcc_lo, 31, v0
	v_mov_b32_e32 v22, 0
	v_mov_b32_e32 v0, 0
	s_waitcnt lgkmcnt(0)
	s_barrier
	buffer_gl0_inv
	s_and_saveexec_b32 s0, vcc_lo
	s_cbranch_execz .LBB1091_105
; %bb.104:
	v_lshl_add_u32 v0, v38, 2, -4
	ds_load_b32 v0, v0
.LBB1091_105:
	s_or_b32 exec_lo, exec_lo, s0
	v_add_nc_u32_e32 v24, -1, v37
	s_waitcnt lgkmcnt(0)
	v_add_nc_u32_e32 v21, v0, v21
	s_delay_alu instid0(VALU_DEP_2) | instskip(SKIP_1) | instid1(VALU_DEP_1)
	v_cmp_gt_i32_e32 vcc_lo, 0, v24
	v_cndmask_b32_e32 v24, v24, v37, vcc_lo
	v_lshlrev_b32_e32 v24, 2, v24
	ds_bpermute_b32 v24, v24, v21
	ds_load_b32 v21, v22 offset:44
	s_and_saveexec_b32 s0, s2
	s_cbranch_execz .LBB1091_107
; %bb.106:
	v_dual_mov_b32 v25, 0 :: v_dual_mov_b32 v22, 2
	s_waitcnt lgkmcnt(0)
	global_store_b64 v25, v[21:22], s[10:11] offset:256
.LBB1091_107:
	s_or_b32 exec_lo, exec_lo, s0
	v_cmp_eq_u32_e32 vcc_lo, 0, v37
	s_waitcnt lgkmcnt(0)
	s_waitcnt_vscnt null, 0x0
	s_barrier
	buffer_gl0_inv
	v_mov_b32_e32 v22, 0
	v_cndmask_b32_e32 v0, v24, v0, vcc_lo
	s_delay_alu instid0(VALU_DEP_1) | instskip(NEXT) | instid1(VALU_DEP_1)
	v_cndmask_b32_e64 v43, v0, 0, s2
	v_add_nc_u32_e32 v42, v43, v30
	s_delay_alu instid0(VALU_DEP_1) | instskip(NEXT) | instid1(VALU_DEP_1)
	v_add_nc_u32_e32 v41, v42, v31
	v_add_nc_u32_e32 v40, v41, v32
	s_delay_alu instid0(VALU_DEP_1) | instskip(NEXT) | instid1(VALU_DEP_1)
	v_add_nc_u32_e32 v28, v40, v33
	;; [unrolled: 3-line block ×3, first 2 shown]
	v_add_nc_u32_e32 v25, v26, v36
.LBB1091_108:
	v_lshrrev_b32_e32 v31, 8, v19
	v_lshrrev_b32_e32 v30, 16, v19
	v_and_b32_e32 v19, 1, v19
	s_waitcnt lgkmcnt(0)
	v_cmp_gt_u32_e32 vcc_lo, 0x181, v21
	v_lshrrev_b32_e32 v24, 8, v20
	v_lshrrev_b32_e32 v0, 16, v20
	v_cmp_lt_u32_e64 s0, 0x180, v21
	v_cmp_eq_u32_e64 s1, 1, v19
	s_cbranch_vccnz .LBB1091_126
; %bb.109:
	s_delay_alu instid0(VALU_DEP_1)
	s_and_saveexec_b32 s3, s1
	s_cbranch_execz .LBB1091_111
; %bb.110:
	v_sub_nc_u32_e32 v32, v43, v22
	s_delay_alu instid0(VALU_DEP_1)
	v_lshlrev_b32_e32 v32, 2, v32
	ds_store_b32 v32, v7
.LBB1091_111:
	s_or_b32 exec_lo, exec_lo, s3
	v_and_b32_e32 v7, 1, v31
	s_mov_b32 s1, exec_lo
	s_delay_alu instid0(VALU_DEP_1)
	v_cmpx_eq_u32_e32 1, v7
	s_cbranch_execz .LBB1091_113
; %bb.112:
	v_sub_nc_u32_e32 v7, v42, v22
	s_delay_alu instid0(VALU_DEP_1)
	v_lshlrev_b32_e32 v7, 2, v7
	ds_store_b32 v7, v8
.LBB1091_113:
	s_or_b32 exec_lo, exec_lo, s1
	v_and_b32_e32 v7, 1, v30
	s_mov_b32 s1, exec_lo
	s_delay_alu instid0(VALU_DEP_1)
	v_cmpx_eq_u32_e32 1, v7
	;; [unrolled: 12-line block ×7, first 2 shown]
	s_cbranch_execz .LBB1091_125
; %bb.124:
	v_sub_nc_u32_e32 v1, v25, v22
	s_delay_alu instid0(VALU_DEP_1)
	v_lshlrev_b32_e32 v1, 2, v1
	ds_store_b32 v1, v2
.LBB1091_125:
	s_or_b32 exec_lo, exec_lo, s1
	s_waitcnt lgkmcnt(0)
	s_barrier
	buffer_gl0_inv
.LBB1091_126:
	s_delay_alu instid0(VALU_DEP_2)
	s_and_not1_b32 vcc_lo, exec_lo, s0
	s_barrier
	buffer_gl0_inv
	s_cbranch_vccnz .LBB1091_145
; %bb.127:
	s_mov_b32 s0, exec_lo
	v_cmpx_eq_u32_e32 1, v19
	s_cbranch_execz .LBB1091_129
; %bb.128:
	v_sub_nc_u32_e32 v1, v43, v22
	s_delay_alu instid0(VALU_DEP_1)
	v_lshlrev_b32_e32 v1, 2, v1
	ds_store_b32 v1, v17
.LBB1091_129:
	s_or_b32 exec_lo, exec_lo, s0
	v_and_b32_e32 v1, 1, v31
	s_mov_b32 s0, exec_lo
	s_delay_alu instid0(VALU_DEP_1)
	v_cmpx_eq_u32_e32 1, v1
	s_cbranch_execz .LBB1091_131
; %bb.130:
	v_sub_nc_u32_e32 v1, v42, v22
	s_delay_alu instid0(VALU_DEP_1)
	v_lshlrev_b32_e32 v1, 2, v1
	ds_store_b32 v1, v18
.LBB1091_131:
	s_or_b32 exec_lo, exec_lo, s0
	v_and_b32_e32 v1, 1, v30
	s_mov_b32 s0, exec_lo
	s_delay_alu instid0(VALU_DEP_1)
	;; [unrolled: 12-line block ×7, first 2 shown]
	v_cmpx_eq_u32_e32 1, v0
	s_cbranch_execz .LBB1091_143
; %bb.142:
	v_sub_nc_u32_e32 v0, v25, v22
	s_delay_alu instid0(VALU_DEP_1)
	v_lshlrev_b32_e32 v0, 2, v0
	ds_store_b32 v0, v12
.LBB1091_143:
	s_or_b32 exec_lo, exec_lo, s0
	s_waitcnt lgkmcnt(0)
	s_barrier
	buffer_gl0_inv
	s_and_b32 s0, s2, s16
	s_delay_alu instid0(SALU_CYCLE_1)
	s_and_saveexec_b32 s1, s0
	s_cbranch_execnz .LBB1091_146
.LBB1091_144:
	s_endpgm
.LBB1091_145:
	s_and_b32 s0, s2, s16
	s_delay_alu instid0(SALU_CYCLE_1)
	s_and_saveexec_b32 s1, s0
	s_cbranch_execz .LBB1091_144
.LBB1091_146:
	v_add_co_u32 v0, vcc_lo, v9, v21
	v_add_co_ci_u32_e32 v1, vcc_lo, 0, v10, vcc_lo
	v_mov_b32_e32 v2, 0
	s_delay_alu instid0(VALU_DEP_3) | instskip(NEXT) | instid1(VALU_DEP_3)
	v_add_co_u32 v0, vcc_lo, v0, v22
	v_add_co_ci_u32_e32 v1, vcc_lo, 0, v1, vcc_lo
	global_store_b64 v2, v[0:1], s[12:13]
	s_nop 0
	s_sendmsg sendmsg(MSG_DEALLOC_VGPRS)
	s_endpgm
	.section	.rodata,"a",@progbits
	.p2align	6, 0x0
	.amdhsa_kernel _ZN7rocprim17ROCPRIM_400000_NS6detail17trampoline_kernelINS0_14default_configENS1_25partition_config_selectorILNS1_17partition_subalgoE9EijbEEZZNS1_14partition_implILS5_9ELb0ES3_jN6thrust23THRUST_200600_302600_NS6detail15normal_iteratorINS9_10device_ptrIiEEEENSB_INSC_IjEEEEPNS0_10empty_typeENS0_5tupleIJNS9_16discard_iteratorINS9_11use_defaultEEESH_EEENSJ_IJSM_SI_EEENS0_18inequality_wrapperINS9_8equal_toIiEEEEPmJSH_EEE10hipError_tPvRmT3_T4_T5_T6_T7_T9_mT8_P12ihipStream_tbDpT10_ENKUlT_T0_E_clISt17integral_constantIbLb1EES1D_EEDaS18_S19_EUlS18_E_NS1_11comp_targetILNS1_3genE9ELNS1_11target_archE1100ELNS1_3gpuE3ELNS1_3repE0EEENS1_30default_config_static_selectorELNS0_4arch9wavefront6targetE0EEEvT1_
		.amdhsa_group_segment_fixed_size 12680
		.amdhsa_private_segment_fixed_size 0
		.amdhsa_kernarg_size 144
		.amdhsa_user_sgpr_count 15
		.amdhsa_user_sgpr_dispatch_ptr 0
		.amdhsa_user_sgpr_queue_ptr 0
		.amdhsa_user_sgpr_kernarg_segment_ptr 1
		.amdhsa_user_sgpr_dispatch_id 0
		.amdhsa_user_sgpr_private_segment_size 0
		.amdhsa_wavefront_size32 1
		.amdhsa_uses_dynamic_stack 0
		.amdhsa_enable_private_segment 0
		.amdhsa_system_sgpr_workgroup_id_x 1
		.amdhsa_system_sgpr_workgroup_id_y 0
		.amdhsa_system_sgpr_workgroup_id_z 0
		.amdhsa_system_sgpr_workgroup_info 0
		.amdhsa_system_vgpr_workitem_id 0
		.amdhsa_next_free_vgpr 53
		.amdhsa_next_free_sgpr 24
		.amdhsa_reserve_vcc 1
		.amdhsa_float_round_mode_32 0
		.amdhsa_float_round_mode_16_64 0
		.amdhsa_float_denorm_mode_32 3
		.amdhsa_float_denorm_mode_16_64 3
		.amdhsa_dx10_clamp 1
		.amdhsa_ieee_mode 1
		.amdhsa_fp16_overflow 0
		.amdhsa_workgroup_processor_mode 1
		.amdhsa_memory_ordered 1
		.amdhsa_forward_progress 0
		.amdhsa_shared_vgpr_count 0
		.amdhsa_exception_fp_ieee_invalid_op 0
		.amdhsa_exception_fp_denorm_src 0
		.amdhsa_exception_fp_ieee_div_zero 0
		.amdhsa_exception_fp_ieee_overflow 0
		.amdhsa_exception_fp_ieee_underflow 0
		.amdhsa_exception_fp_ieee_inexact 0
		.amdhsa_exception_int_div_zero 0
	.end_amdhsa_kernel
	.section	.text._ZN7rocprim17ROCPRIM_400000_NS6detail17trampoline_kernelINS0_14default_configENS1_25partition_config_selectorILNS1_17partition_subalgoE9EijbEEZZNS1_14partition_implILS5_9ELb0ES3_jN6thrust23THRUST_200600_302600_NS6detail15normal_iteratorINS9_10device_ptrIiEEEENSB_INSC_IjEEEEPNS0_10empty_typeENS0_5tupleIJNS9_16discard_iteratorINS9_11use_defaultEEESH_EEENSJ_IJSM_SI_EEENS0_18inequality_wrapperINS9_8equal_toIiEEEEPmJSH_EEE10hipError_tPvRmT3_T4_T5_T6_T7_T9_mT8_P12ihipStream_tbDpT10_ENKUlT_T0_E_clISt17integral_constantIbLb1EES1D_EEDaS18_S19_EUlS18_E_NS1_11comp_targetILNS1_3genE9ELNS1_11target_archE1100ELNS1_3gpuE3ELNS1_3repE0EEENS1_30default_config_static_selectorELNS0_4arch9wavefront6targetE0EEEvT1_,"axG",@progbits,_ZN7rocprim17ROCPRIM_400000_NS6detail17trampoline_kernelINS0_14default_configENS1_25partition_config_selectorILNS1_17partition_subalgoE9EijbEEZZNS1_14partition_implILS5_9ELb0ES3_jN6thrust23THRUST_200600_302600_NS6detail15normal_iteratorINS9_10device_ptrIiEEEENSB_INSC_IjEEEEPNS0_10empty_typeENS0_5tupleIJNS9_16discard_iteratorINS9_11use_defaultEEESH_EEENSJ_IJSM_SI_EEENS0_18inequality_wrapperINS9_8equal_toIiEEEEPmJSH_EEE10hipError_tPvRmT3_T4_T5_T6_T7_T9_mT8_P12ihipStream_tbDpT10_ENKUlT_T0_E_clISt17integral_constantIbLb1EES1D_EEDaS18_S19_EUlS18_E_NS1_11comp_targetILNS1_3genE9ELNS1_11target_archE1100ELNS1_3gpuE3ELNS1_3repE0EEENS1_30default_config_static_selectorELNS0_4arch9wavefront6targetE0EEEvT1_,comdat
.Lfunc_end1091:
	.size	_ZN7rocprim17ROCPRIM_400000_NS6detail17trampoline_kernelINS0_14default_configENS1_25partition_config_selectorILNS1_17partition_subalgoE9EijbEEZZNS1_14partition_implILS5_9ELb0ES3_jN6thrust23THRUST_200600_302600_NS6detail15normal_iteratorINS9_10device_ptrIiEEEENSB_INSC_IjEEEEPNS0_10empty_typeENS0_5tupleIJNS9_16discard_iteratorINS9_11use_defaultEEESH_EEENSJ_IJSM_SI_EEENS0_18inequality_wrapperINS9_8equal_toIiEEEEPmJSH_EEE10hipError_tPvRmT3_T4_T5_T6_T7_T9_mT8_P12ihipStream_tbDpT10_ENKUlT_T0_E_clISt17integral_constantIbLb1EES1D_EEDaS18_S19_EUlS18_E_NS1_11comp_targetILNS1_3genE9ELNS1_11target_archE1100ELNS1_3gpuE3ELNS1_3repE0EEENS1_30default_config_static_selectorELNS0_4arch9wavefront6targetE0EEEvT1_, .Lfunc_end1091-_ZN7rocprim17ROCPRIM_400000_NS6detail17trampoline_kernelINS0_14default_configENS1_25partition_config_selectorILNS1_17partition_subalgoE9EijbEEZZNS1_14partition_implILS5_9ELb0ES3_jN6thrust23THRUST_200600_302600_NS6detail15normal_iteratorINS9_10device_ptrIiEEEENSB_INSC_IjEEEEPNS0_10empty_typeENS0_5tupleIJNS9_16discard_iteratorINS9_11use_defaultEEESH_EEENSJ_IJSM_SI_EEENS0_18inequality_wrapperINS9_8equal_toIiEEEEPmJSH_EEE10hipError_tPvRmT3_T4_T5_T6_T7_T9_mT8_P12ihipStream_tbDpT10_ENKUlT_T0_E_clISt17integral_constantIbLb1EES1D_EEDaS18_S19_EUlS18_E_NS1_11comp_targetILNS1_3genE9ELNS1_11target_archE1100ELNS1_3gpuE3ELNS1_3repE0EEENS1_30default_config_static_selectorELNS0_4arch9wavefront6targetE0EEEvT1_
                                        ; -- End function
	.section	.AMDGPU.csdata,"",@progbits
; Kernel info:
; codeLenInByte = 7688
; NumSgprs: 26
; NumVgprs: 53
; ScratchSize: 0
; MemoryBound: 0
; FloatMode: 240
; IeeeMode: 1
; LDSByteSize: 12680 bytes/workgroup (compile time only)
; SGPRBlocks: 3
; VGPRBlocks: 6
; NumSGPRsForWavesPerEU: 26
; NumVGPRsForWavesPerEU: 53
; Occupancy: 15
; WaveLimiterHint : 1
; COMPUTE_PGM_RSRC2:SCRATCH_EN: 0
; COMPUTE_PGM_RSRC2:USER_SGPR: 15
; COMPUTE_PGM_RSRC2:TRAP_HANDLER: 0
; COMPUTE_PGM_RSRC2:TGID_X_EN: 1
; COMPUTE_PGM_RSRC2:TGID_Y_EN: 0
; COMPUTE_PGM_RSRC2:TGID_Z_EN: 0
; COMPUTE_PGM_RSRC2:TIDIG_COMP_CNT: 0
	.section	.text._ZN7rocprim17ROCPRIM_400000_NS6detail17trampoline_kernelINS0_14default_configENS1_25partition_config_selectorILNS1_17partition_subalgoE9EijbEEZZNS1_14partition_implILS5_9ELb0ES3_jN6thrust23THRUST_200600_302600_NS6detail15normal_iteratorINS9_10device_ptrIiEEEENSB_INSC_IjEEEEPNS0_10empty_typeENS0_5tupleIJNS9_16discard_iteratorINS9_11use_defaultEEESH_EEENSJ_IJSM_SI_EEENS0_18inequality_wrapperINS9_8equal_toIiEEEEPmJSH_EEE10hipError_tPvRmT3_T4_T5_T6_T7_T9_mT8_P12ihipStream_tbDpT10_ENKUlT_T0_E_clISt17integral_constantIbLb1EES1D_EEDaS18_S19_EUlS18_E_NS1_11comp_targetILNS1_3genE8ELNS1_11target_archE1030ELNS1_3gpuE2ELNS1_3repE0EEENS1_30default_config_static_selectorELNS0_4arch9wavefront6targetE0EEEvT1_,"axG",@progbits,_ZN7rocprim17ROCPRIM_400000_NS6detail17trampoline_kernelINS0_14default_configENS1_25partition_config_selectorILNS1_17partition_subalgoE9EijbEEZZNS1_14partition_implILS5_9ELb0ES3_jN6thrust23THRUST_200600_302600_NS6detail15normal_iteratorINS9_10device_ptrIiEEEENSB_INSC_IjEEEEPNS0_10empty_typeENS0_5tupleIJNS9_16discard_iteratorINS9_11use_defaultEEESH_EEENSJ_IJSM_SI_EEENS0_18inequality_wrapperINS9_8equal_toIiEEEEPmJSH_EEE10hipError_tPvRmT3_T4_T5_T6_T7_T9_mT8_P12ihipStream_tbDpT10_ENKUlT_T0_E_clISt17integral_constantIbLb1EES1D_EEDaS18_S19_EUlS18_E_NS1_11comp_targetILNS1_3genE8ELNS1_11target_archE1030ELNS1_3gpuE2ELNS1_3repE0EEENS1_30default_config_static_selectorELNS0_4arch9wavefront6targetE0EEEvT1_,comdat
	.protected	_ZN7rocprim17ROCPRIM_400000_NS6detail17trampoline_kernelINS0_14default_configENS1_25partition_config_selectorILNS1_17partition_subalgoE9EijbEEZZNS1_14partition_implILS5_9ELb0ES3_jN6thrust23THRUST_200600_302600_NS6detail15normal_iteratorINS9_10device_ptrIiEEEENSB_INSC_IjEEEEPNS0_10empty_typeENS0_5tupleIJNS9_16discard_iteratorINS9_11use_defaultEEESH_EEENSJ_IJSM_SI_EEENS0_18inequality_wrapperINS9_8equal_toIiEEEEPmJSH_EEE10hipError_tPvRmT3_T4_T5_T6_T7_T9_mT8_P12ihipStream_tbDpT10_ENKUlT_T0_E_clISt17integral_constantIbLb1EES1D_EEDaS18_S19_EUlS18_E_NS1_11comp_targetILNS1_3genE8ELNS1_11target_archE1030ELNS1_3gpuE2ELNS1_3repE0EEENS1_30default_config_static_selectorELNS0_4arch9wavefront6targetE0EEEvT1_ ; -- Begin function _ZN7rocprim17ROCPRIM_400000_NS6detail17trampoline_kernelINS0_14default_configENS1_25partition_config_selectorILNS1_17partition_subalgoE9EijbEEZZNS1_14partition_implILS5_9ELb0ES3_jN6thrust23THRUST_200600_302600_NS6detail15normal_iteratorINS9_10device_ptrIiEEEENSB_INSC_IjEEEEPNS0_10empty_typeENS0_5tupleIJNS9_16discard_iteratorINS9_11use_defaultEEESH_EEENSJ_IJSM_SI_EEENS0_18inequality_wrapperINS9_8equal_toIiEEEEPmJSH_EEE10hipError_tPvRmT3_T4_T5_T6_T7_T9_mT8_P12ihipStream_tbDpT10_ENKUlT_T0_E_clISt17integral_constantIbLb1EES1D_EEDaS18_S19_EUlS18_E_NS1_11comp_targetILNS1_3genE8ELNS1_11target_archE1030ELNS1_3gpuE2ELNS1_3repE0EEENS1_30default_config_static_selectorELNS0_4arch9wavefront6targetE0EEEvT1_
	.globl	_ZN7rocprim17ROCPRIM_400000_NS6detail17trampoline_kernelINS0_14default_configENS1_25partition_config_selectorILNS1_17partition_subalgoE9EijbEEZZNS1_14partition_implILS5_9ELb0ES3_jN6thrust23THRUST_200600_302600_NS6detail15normal_iteratorINS9_10device_ptrIiEEEENSB_INSC_IjEEEEPNS0_10empty_typeENS0_5tupleIJNS9_16discard_iteratorINS9_11use_defaultEEESH_EEENSJ_IJSM_SI_EEENS0_18inequality_wrapperINS9_8equal_toIiEEEEPmJSH_EEE10hipError_tPvRmT3_T4_T5_T6_T7_T9_mT8_P12ihipStream_tbDpT10_ENKUlT_T0_E_clISt17integral_constantIbLb1EES1D_EEDaS18_S19_EUlS18_E_NS1_11comp_targetILNS1_3genE8ELNS1_11target_archE1030ELNS1_3gpuE2ELNS1_3repE0EEENS1_30default_config_static_selectorELNS0_4arch9wavefront6targetE0EEEvT1_
	.p2align	8
	.type	_ZN7rocprim17ROCPRIM_400000_NS6detail17trampoline_kernelINS0_14default_configENS1_25partition_config_selectorILNS1_17partition_subalgoE9EijbEEZZNS1_14partition_implILS5_9ELb0ES3_jN6thrust23THRUST_200600_302600_NS6detail15normal_iteratorINS9_10device_ptrIiEEEENSB_INSC_IjEEEEPNS0_10empty_typeENS0_5tupleIJNS9_16discard_iteratorINS9_11use_defaultEEESH_EEENSJ_IJSM_SI_EEENS0_18inequality_wrapperINS9_8equal_toIiEEEEPmJSH_EEE10hipError_tPvRmT3_T4_T5_T6_T7_T9_mT8_P12ihipStream_tbDpT10_ENKUlT_T0_E_clISt17integral_constantIbLb1EES1D_EEDaS18_S19_EUlS18_E_NS1_11comp_targetILNS1_3genE8ELNS1_11target_archE1030ELNS1_3gpuE2ELNS1_3repE0EEENS1_30default_config_static_selectorELNS0_4arch9wavefront6targetE0EEEvT1_,@function
_ZN7rocprim17ROCPRIM_400000_NS6detail17trampoline_kernelINS0_14default_configENS1_25partition_config_selectorILNS1_17partition_subalgoE9EijbEEZZNS1_14partition_implILS5_9ELb0ES3_jN6thrust23THRUST_200600_302600_NS6detail15normal_iteratorINS9_10device_ptrIiEEEENSB_INSC_IjEEEEPNS0_10empty_typeENS0_5tupleIJNS9_16discard_iteratorINS9_11use_defaultEEESH_EEENSJ_IJSM_SI_EEENS0_18inequality_wrapperINS9_8equal_toIiEEEEPmJSH_EEE10hipError_tPvRmT3_T4_T5_T6_T7_T9_mT8_P12ihipStream_tbDpT10_ENKUlT_T0_E_clISt17integral_constantIbLb1EES1D_EEDaS18_S19_EUlS18_E_NS1_11comp_targetILNS1_3genE8ELNS1_11target_archE1030ELNS1_3gpuE2ELNS1_3repE0EEENS1_30default_config_static_selectorELNS0_4arch9wavefront6targetE0EEEvT1_: ; @_ZN7rocprim17ROCPRIM_400000_NS6detail17trampoline_kernelINS0_14default_configENS1_25partition_config_selectorILNS1_17partition_subalgoE9EijbEEZZNS1_14partition_implILS5_9ELb0ES3_jN6thrust23THRUST_200600_302600_NS6detail15normal_iteratorINS9_10device_ptrIiEEEENSB_INSC_IjEEEEPNS0_10empty_typeENS0_5tupleIJNS9_16discard_iteratorINS9_11use_defaultEEESH_EEENSJ_IJSM_SI_EEENS0_18inequality_wrapperINS9_8equal_toIiEEEEPmJSH_EEE10hipError_tPvRmT3_T4_T5_T6_T7_T9_mT8_P12ihipStream_tbDpT10_ENKUlT_T0_E_clISt17integral_constantIbLb1EES1D_EEDaS18_S19_EUlS18_E_NS1_11comp_targetILNS1_3genE8ELNS1_11target_archE1030ELNS1_3gpuE2ELNS1_3repE0EEENS1_30default_config_static_selectorELNS0_4arch9wavefront6targetE0EEEvT1_
; %bb.0:
	.section	.rodata,"a",@progbits
	.p2align	6, 0x0
	.amdhsa_kernel _ZN7rocprim17ROCPRIM_400000_NS6detail17trampoline_kernelINS0_14default_configENS1_25partition_config_selectorILNS1_17partition_subalgoE9EijbEEZZNS1_14partition_implILS5_9ELb0ES3_jN6thrust23THRUST_200600_302600_NS6detail15normal_iteratorINS9_10device_ptrIiEEEENSB_INSC_IjEEEEPNS0_10empty_typeENS0_5tupleIJNS9_16discard_iteratorINS9_11use_defaultEEESH_EEENSJ_IJSM_SI_EEENS0_18inequality_wrapperINS9_8equal_toIiEEEEPmJSH_EEE10hipError_tPvRmT3_T4_T5_T6_T7_T9_mT8_P12ihipStream_tbDpT10_ENKUlT_T0_E_clISt17integral_constantIbLb1EES1D_EEDaS18_S19_EUlS18_E_NS1_11comp_targetILNS1_3genE8ELNS1_11target_archE1030ELNS1_3gpuE2ELNS1_3repE0EEENS1_30default_config_static_selectorELNS0_4arch9wavefront6targetE0EEEvT1_
		.amdhsa_group_segment_fixed_size 0
		.amdhsa_private_segment_fixed_size 0
		.amdhsa_kernarg_size 144
		.amdhsa_user_sgpr_count 15
		.amdhsa_user_sgpr_dispatch_ptr 0
		.amdhsa_user_sgpr_queue_ptr 0
		.amdhsa_user_sgpr_kernarg_segment_ptr 1
		.amdhsa_user_sgpr_dispatch_id 0
		.amdhsa_user_sgpr_private_segment_size 0
		.amdhsa_wavefront_size32 1
		.amdhsa_uses_dynamic_stack 0
		.amdhsa_enable_private_segment 0
		.amdhsa_system_sgpr_workgroup_id_x 1
		.amdhsa_system_sgpr_workgroup_id_y 0
		.amdhsa_system_sgpr_workgroup_id_z 0
		.amdhsa_system_sgpr_workgroup_info 0
		.amdhsa_system_vgpr_workitem_id 0
		.amdhsa_next_free_vgpr 1
		.amdhsa_next_free_sgpr 1
		.amdhsa_reserve_vcc 0
		.amdhsa_float_round_mode_32 0
		.amdhsa_float_round_mode_16_64 0
		.amdhsa_float_denorm_mode_32 3
		.amdhsa_float_denorm_mode_16_64 3
		.amdhsa_dx10_clamp 1
		.amdhsa_ieee_mode 1
		.amdhsa_fp16_overflow 0
		.amdhsa_workgroup_processor_mode 1
		.amdhsa_memory_ordered 1
		.amdhsa_forward_progress 0
		.amdhsa_shared_vgpr_count 0
		.amdhsa_exception_fp_ieee_invalid_op 0
		.amdhsa_exception_fp_denorm_src 0
		.amdhsa_exception_fp_ieee_div_zero 0
		.amdhsa_exception_fp_ieee_overflow 0
		.amdhsa_exception_fp_ieee_underflow 0
		.amdhsa_exception_fp_ieee_inexact 0
		.amdhsa_exception_int_div_zero 0
	.end_amdhsa_kernel
	.section	.text._ZN7rocprim17ROCPRIM_400000_NS6detail17trampoline_kernelINS0_14default_configENS1_25partition_config_selectorILNS1_17partition_subalgoE9EijbEEZZNS1_14partition_implILS5_9ELb0ES3_jN6thrust23THRUST_200600_302600_NS6detail15normal_iteratorINS9_10device_ptrIiEEEENSB_INSC_IjEEEEPNS0_10empty_typeENS0_5tupleIJNS9_16discard_iteratorINS9_11use_defaultEEESH_EEENSJ_IJSM_SI_EEENS0_18inequality_wrapperINS9_8equal_toIiEEEEPmJSH_EEE10hipError_tPvRmT3_T4_T5_T6_T7_T9_mT8_P12ihipStream_tbDpT10_ENKUlT_T0_E_clISt17integral_constantIbLb1EES1D_EEDaS18_S19_EUlS18_E_NS1_11comp_targetILNS1_3genE8ELNS1_11target_archE1030ELNS1_3gpuE2ELNS1_3repE0EEENS1_30default_config_static_selectorELNS0_4arch9wavefront6targetE0EEEvT1_,"axG",@progbits,_ZN7rocprim17ROCPRIM_400000_NS6detail17trampoline_kernelINS0_14default_configENS1_25partition_config_selectorILNS1_17partition_subalgoE9EijbEEZZNS1_14partition_implILS5_9ELb0ES3_jN6thrust23THRUST_200600_302600_NS6detail15normal_iteratorINS9_10device_ptrIiEEEENSB_INSC_IjEEEEPNS0_10empty_typeENS0_5tupleIJNS9_16discard_iteratorINS9_11use_defaultEEESH_EEENSJ_IJSM_SI_EEENS0_18inequality_wrapperINS9_8equal_toIiEEEEPmJSH_EEE10hipError_tPvRmT3_T4_T5_T6_T7_T9_mT8_P12ihipStream_tbDpT10_ENKUlT_T0_E_clISt17integral_constantIbLb1EES1D_EEDaS18_S19_EUlS18_E_NS1_11comp_targetILNS1_3genE8ELNS1_11target_archE1030ELNS1_3gpuE2ELNS1_3repE0EEENS1_30default_config_static_selectorELNS0_4arch9wavefront6targetE0EEEvT1_,comdat
.Lfunc_end1092:
	.size	_ZN7rocprim17ROCPRIM_400000_NS6detail17trampoline_kernelINS0_14default_configENS1_25partition_config_selectorILNS1_17partition_subalgoE9EijbEEZZNS1_14partition_implILS5_9ELb0ES3_jN6thrust23THRUST_200600_302600_NS6detail15normal_iteratorINS9_10device_ptrIiEEEENSB_INSC_IjEEEEPNS0_10empty_typeENS0_5tupleIJNS9_16discard_iteratorINS9_11use_defaultEEESH_EEENSJ_IJSM_SI_EEENS0_18inequality_wrapperINS9_8equal_toIiEEEEPmJSH_EEE10hipError_tPvRmT3_T4_T5_T6_T7_T9_mT8_P12ihipStream_tbDpT10_ENKUlT_T0_E_clISt17integral_constantIbLb1EES1D_EEDaS18_S19_EUlS18_E_NS1_11comp_targetILNS1_3genE8ELNS1_11target_archE1030ELNS1_3gpuE2ELNS1_3repE0EEENS1_30default_config_static_selectorELNS0_4arch9wavefront6targetE0EEEvT1_, .Lfunc_end1092-_ZN7rocprim17ROCPRIM_400000_NS6detail17trampoline_kernelINS0_14default_configENS1_25partition_config_selectorILNS1_17partition_subalgoE9EijbEEZZNS1_14partition_implILS5_9ELb0ES3_jN6thrust23THRUST_200600_302600_NS6detail15normal_iteratorINS9_10device_ptrIiEEEENSB_INSC_IjEEEEPNS0_10empty_typeENS0_5tupleIJNS9_16discard_iteratorINS9_11use_defaultEEESH_EEENSJ_IJSM_SI_EEENS0_18inequality_wrapperINS9_8equal_toIiEEEEPmJSH_EEE10hipError_tPvRmT3_T4_T5_T6_T7_T9_mT8_P12ihipStream_tbDpT10_ENKUlT_T0_E_clISt17integral_constantIbLb1EES1D_EEDaS18_S19_EUlS18_E_NS1_11comp_targetILNS1_3genE8ELNS1_11target_archE1030ELNS1_3gpuE2ELNS1_3repE0EEENS1_30default_config_static_selectorELNS0_4arch9wavefront6targetE0EEEvT1_
                                        ; -- End function
	.section	.AMDGPU.csdata,"",@progbits
; Kernel info:
; codeLenInByte = 0
; NumSgprs: 0
; NumVgprs: 0
; ScratchSize: 0
; MemoryBound: 0
; FloatMode: 240
; IeeeMode: 1
; LDSByteSize: 0 bytes/workgroup (compile time only)
; SGPRBlocks: 0
; VGPRBlocks: 0
; NumSGPRsForWavesPerEU: 1
; NumVGPRsForWavesPerEU: 1
; Occupancy: 16
; WaveLimiterHint : 0
; COMPUTE_PGM_RSRC2:SCRATCH_EN: 0
; COMPUTE_PGM_RSRC2:USER_SGPR: 15
; COMPUTE_PGM_RSRC2:TRAP_HANDLER: 0
; COMPUTE_PGM_RSRC2:TGID_X_EN: 1
; COMPUTE_PGM_RSRC2:TGID_Y_EN: 0
; COMPUTE_PGM_RSRC2:TGID_Z_EN: 0
; COMPUTE_PGM_RSRC2:TIDIG_COMP_CNT: 0
	.section	.text._ZN7rocprim17ROCPRIM_400000_NS6detail17trampoline_kernelINS0_14default_configENS1_25partition_config_selectorILNS1_17partition_subalgoE9EijbEEZZNS1_14partition_implILS5_9ELb0ES3_jN6thrust23THRUST_200600_302600_NS6detail15normal_iteratorINS9_10device_ptrIiEEEENSB_INSC_IjEEEEPNS0_10empty_typeENS0_5tupleIJNS9_16discard_iteratorINS9_11use_defaultEEESH_EEENSJ_IJSM_SI_EEENS0_18inequality_wrapperINS9_8equal_toIiEEEEPmJSH_EEE10hipError_tPvRmT3_T4_T5_T6_T7_T9_mT8_P12ihipStream_tbDpT10_ENKUlT_T0_E_clISt17integral_constantIbLb1EES1C_IbLb0EEEEDaS18_S19_EUlS18_E_NS1_11comp_targetILNS1_3genE0ELNS1_11target_archE4294967295ELNS1_3gpuE0ELNS1_3repE0EEENS1_30default_config_static_selectorELNS0_4arch9wavefront6targetE0EEEvT1_,"axG",@progbits,_ZN7rocprim17ROCPRIM_400000_NS6detail17trampoline_kernelINS0_14default_configENS1_25partition_config_selectorILNS1_17partition_subalgoE9EijbEEZZNS1_14partition_implILS5_9ELb0ES3_jN6thrust23THRUST_200600_302600_NS6detail15normal_iteratorINS9_10device_ptrIiEEEENSB_INSC_IjEEEEPNS0_10empty_typeENS0_5tupleIJNS9_16discard_iteratorINS9_11use_defaultEEESH_EEENSJ_IJSM_SI_EEENS0_18inequality_wrapperINS9_8equal_toIiEEEEPmJSH_EEE10hipError_tPvRmT3_T4_T5_T6_T7_T9_mT8_P12ihipStream_tbDpT10_ENKUlT_T0_E_clISt17integral_constantIbLb1EES1C_IbLb0EEEEDaS18_S19_EUlS18_E_NS1_11comp_targetILNS1_3genE0ELNS1_11target_archE4294967295ELNS1_3gpuE0ELNS1_3repE0EEENS1_30default_config_static_selectorELNS0_4arch9wavefront6targetE0EEEvT1_,comdat
	.protected	_ZN7rocprim17ROCPRIM_400000_NS6detail17trampoline_kernelINS0_14default_configENS1_25partition_config_selectorILNS1_17partition_subalgoE9EijbEEZZNS1_14partition_implILS5_9ELb0ES3_jN6thrust23THRUST_200600_302600_NS6detail15normal_iteratorINS9_10device_ptrIiEEEENSB_INSC_IjEEEEPNS0_10empty_typeENS0_5tupleIJNS9_16discard_iteratorINS9_11use_defaultEEESH_EEENSJ_IJSM_SI_EEENS0_18inequality_wrapperINS9_8equal_toIiEEEEPmJSH_EEE10hipError_tPvRmT3_T4_T5_T6_T7_T9_mT8_P12ihipStream_tbDpT10_ENKUlT_T0_E_clISt17integral_constantIbLb1EES1C_IbLb0EEEEDaS18_S19_EUlS18_E_NS1_11comp_targetILNS1_3genE0ELNS1_11target_archE4294967295ELNS1_3gpuE0ELNS1_3repE0EEENS1_30default_config_static_selectorELNS0_4arch9wavefront6targetE0EEEvT1_ ; -- Begin function _ZN7rocprim17ROCPRIM_400000_NS6detail17trampoline_kernelINS0_14default_configENS1_25partition_config_selectorILNS1_17partition_subalgoE9EijbEEZZNS1_14partition_implILS5_9ELb0ES3_jN6thrust23THRUST_200600_302600_NS6detail15normal_iteratorINS9_10device_ptrIiEEEENSB_INSC_IjEEEEPNS0_10empty_typeENS0_5tupleIJNS9_16discard_iteratorINS9_11use_defaultEEESH_EEENSJ_IJSM_SI_EEENS0_18inequality_wrapperINS9_8equal_toIiEEEEPmJSH_EEE10hipError_tPvRmT3_T4_T5_T6_T7_T9_mT8_P12ihipStream_tbDpT10_ENKUlT_T0_E_clISt17integral_constantIbLb1EES1C_IbLb0EEEEDaS18_S19_EUlS18_E_NS1_11comp_targetILNS1_3genE0ELNS1_11target_archE4294967295ELNS1_3gpuE0ELNS1_3repE0EEENS1_30default_config_static_selectorELNS0_4arch9wavefront6targetE0EEEvT1_
	.globl	_ZN7rocprim17ROCPRIM_400000_NS6detail17trampoline_kernelINS0_14default_configENS1_25partition_config_selectorILNS1_17partition_subalgoE9EijbEEZZNS1_14partition_implILS5_9ELb0ES3_jN6thrust23THRUST_200600_302600_NS6detail15normal_iteratorINS9_10device_ptrIiEEEENSB_INSC_IjEEEEPNS0_10empty_typeENS0_5tupleIJNS9_16discard_iteratorINS9_11use_defaultEEESH_EEENSJ_IJSM_SI_EEENS0_18inequality_wrapperINS9_8equal_toIiEEEEPmJSH_EEE10hipError_tPvRmT3_T4_T5_T6_T7_T9_mT8_P12ihipStream_tbDpT10_ENKUlT_T0_E_clISt17integral_constantIbLb1EES1C_IbLb0EEEEDaS18_S19_EUlS18_E_NS1_11comp_targetILNS1_3genE0ELNS1_11target_archE4294967295ELNS1_3gpuE0ELNS1_3repE0EEENS1_30default_config_static_selectorELNS0_4arch9wavefront6targetE0EEEvT1_
	.p2align	8
	.type	_ZN7rocprim17ROCPRIM_400000_NS6detail17trampoline_kernelINS0_14default_configENS1_25partition_config_selectorILNS1_17partition_subalgoE9EijbEEZZNS1_14partition_implILS5_9ELb0ES3_jN6thrust23THRUST_200600_302600_NS6detail15normal_iteratorINS9_10device_ptrIiEEEENSB_INSC_IjEEEEPNS0_10empty_typeENS0_5tupleIJNS9_16discard_iteratorINS9_11use_defaultEEESH_EEENSJ_IJSM_SI_EEENS0_18inequality_wrapperINS9_8equal_toIiEEEEPmJSH_EEE10hipError_tPvRmT3_T4_T5_T6_T7_T9_mT8_P12ihipStream_tbDpT10_ENKUlT_T0_E_clISt17integral_constantIbLb1EES1C_IbLb0EEEEDaS18_S19_EUlS18_E_NS1_11comp_targetILNS1_3genE0ELNS1_11target_archE4294967295ELNS1_3gpuE0ELNS1_3repE0EEENS1_30default_config_static_selectorELNS0_4arch9wavefront6targetE0EEEvT1_,@function
_ZN7rocprim17ROCPRIM_400000_NS6detail17trampoline_kernelINS0_14default_configENS1_25partition_config_selectorILNS1_17partition_subalgoE9EijbEEZZNS1_14partition_implILS5_9ELb0ES3_jN6thrust23THRUST_200600_302600_NS6detail15normal_iteratorINS9_10device_ptrIiEEEENSB_INSC_IjEEEEPNS0_10empty_typeENS0_5tupleIJNS9_16discard_iteratorINS9_11use_defaultEEESH_EEENSJ_IJSM_SI_EEENS0_18inequality_wrapperINS9_8equal_toIiEEEEPmJSH_EEE10hipError_tPvRmT3_T4_T5_T6_T7_T9_mT8_P12ihipStream_tbDpT10_ENKUlT_T0_E_clISt17integral_constantIbLb1EES1C_IbLb0EEEEDaS18_S19_EUlS18_E_NS1_11comp_targetILNS1_3genE0ELNS1_11target_archE4294967295ELNS1_3gpuE0ELNS1_3repE0EEENS1_30default_config_static_selectorELNS0_4arch9wavefront6targetE0EEEvT1_: ; @_ZN7rocprim17ROCPRIM_400000_NS6detail17trampoline_kernelINS0_14default_configENS1_25partition_config_selectorILNS1_17partition_subalgoE9EijbEEZZNS1_14partition_implILS5_9ELb0ES3_jN6thrust23THRUST_200600_302600_NS6detail15normal_iteratorINS9_10device_ptrIiEEEENSB_INSC_IjEEEEPNS0_10empty_typeENS0_5tupleIJNS9_16discard_iteratorINS9_11use_defaultEEESH_EEENSJ_IJSM_SI_EEENS0_18inequality_wrapperINS9_8equal_toIiEEEEPmJSH_EEE10hipError_tPvRmT3_T4_T5_T6_T7_T9_mT8_P12ihipStream_tbDpT10_ENKUlT_T0_E_clISt17integral_constantIbLb1EES1C_IbLb0EEEEDaS18_S19_EUlS18_E_NS1_11comp_targetILNS1_3genE0ELNS1_11target_archE4294967295ELNS1_3gpuE0ELNS1_3repE0EEENS1_30default_config_static_selectorELNS0_4arch9wavefront6targetE0EEEvT1_
; %bb.0:
	.section	.rodata,"a",@progbits
	.p2align	6, 0x0
	.amdhsa_kernel _ZN7rocprim17ROCPRIM_400000_NS6detail17trampoline_kernelINS0_14default_configENS1_25partition_config_selectorILNS1_17partition_subalgoE9EijbEEZZNS1_14partition_implILS5_9ELb0ES3_jN6thrust23THRUST_200600_302600_NS6detail15normal_iteratorINS9_10device_ptrIiEEEENSB_INSC_IjEEEEPNS0_10empty_typeENS0_5tupleIJNS9_16discard_iteratorINS9_11use_defaultEEESH_EEENSJ_IJSM_SI_EEENS0_18inequality_wrapperINS9_8equal_toIiEEEEPmJSH_EEE10hipError_tPvRmT3_T4_T5_T6_T7_T9_mT8_P12ihipStream_tbDpT10_ENKUlT_T0_E_clISt17integral_constantIbLb1EES1C_IbLb0EEEEDaS18_S19_EUlS18_E_NS1_11comp_targetILNS1_3genE0ELNS1_11target_archE4294967295ELNS1_3gpuE0ELNS1_3repE0EEENS1_30default_config_static_selectorELNS0_4arch9wavefront6targetE0EEEvT1_
		.amdhsa_group_segment_fixed_size 0
		.amdhsa_private_segment_fixed_size 0
		.amdhsa_kernarg_size 128
		.amdhsa_user_sgpr_count 15
		.amdhsa_user_sgpr_dispatch_ptr 0
		.amdhsa_user_sgpr_queue_ptr 0
		.amdhsa_user_sgpr_kernarg_segment_ptr 1
		.amdhsa_user_sgpr_dispatch_id 0
		.amdhsa_user_sgpr_private_segment_size 0
		.amdhsa_wavefront_size32 1
		.amdhsa_uses_dynamic_stack 0
		.amdhsa_enable_private_segment 0
		.amdhsa_system_sgpr_workgroup_id_x 1
		.amdhsa_system_sgpr_workgroup_id_y 0
		.amdhsa_system_sgpr_workgroup_id_z 0
		.amdhsa_system_sgpr_workgroup_info 0
		.amdhsa_system_vgpr_workitem_id 0
		.amdhsa_next_free_vgpr 1
		.amdhsa_next_free_sgpr 1
		.amdhsa_reserve_vcc 0
		.amdhsa_float_round_mode_32 0
		.amdhsa_float_round_mode_16_64 0
		.amdhsa_float_denorm_mode_32 3
		.amdhsa_float_denorm_mode_16_64 3
		.amdhsa_dx10_clamp 1
		.amdhsa_ieee_mode 1
		.amdhsa_fp16_overflow 0
		.amdhsa_workgroup_processor_mode 1
		.amdhsa_memory_ordered 1
		.amdhsa_forward_progress 0
		.amdhsa_shared_vgpr_count 0
		.amdhsa_exception_fp_ieee_invalid_op 0
		.amdhsa_exception_fp_denorm_src 0
		.amdhsa_exception_fp_ieee_div_zero 0
		.amdhsa_exception_fp_ieee_overflow 0
		.amdhsa_exception_fp_ieee_underflow 0
		.amdhsa_exception_fp_ieee_inexact 0
		.amdhsa_exception_int_div_zero 0
	.end_amdhsa_kernel
	.section	.text._ZN7rocprim17ROCPRIM_400000_NS6detail17trampoline_kernelINS0_14default_configENS1_25partition_config_selectorILNS1_17partition_subalgoE9EijbEEZZNS1_14partition_implILS5_9ELb0ES3_jN6thrust23THRUST_200600_302600_NS6detail15normal_iteratorINS9_10device_ptrIiEEEENSB_INSC_IjEEEEPNS0_10empty_typeENS0_5tupleIJNS9_16discard_iteratorINS9_11use_defaultEEESH_EEENSJ_IJSM_SI_EEENS0_18inequality_wrapperINS9_8equal_toIiEEEEPmJSH_EEE10hipError_tPvRmT3_T4_T5_T6_T7_T9_mT8_P12ihipStream_tbDpT10_ENKUlT_T0_E_clISt17integral_constantIbLb1EES1C_IbLb0EEEEDaS18_S19_EUlS18_E_NS1_11comp_targetILNS1_3genE0ELNS1_11target_archE4294967295ELNS1_3gpuE0ELNS1_3repE0EEENS1_30default_config_static_selectorELNS0_4arch9wavefront6targetE0EEEvT1_,"axG",@progbits,_ZN7rocprim17ROCPRIM_400000_NS6detail17trampoline_kernelINS0_14default_configENS1_25partition_config_selectorILNS1_17partition_subalgoE9EijbEEZZNS1_14partition_implILS5_9ELb0ES3_jN6thrust23THRUST_200600_302600_NS6detail15normal_iteratorINS9_10device_ptrIiEEEENSB_INSC_IjEEEEPNS0_10empty_typeENS0_5tupleIJNS9_16discard_iteratorINS9_11use_defaultEEESH_EEENSJ_IJSM_SI_EEENS0_18inequality_wrapperINS9_8equal_toIiEEEEPmJSH_EEE10hipError_tPvRmT3_T4_T5_T6_T7_T9_mT8_P12ihipStream_tbDpT10_ENKUlT_T0_E_clISt17integral_constantIbLb1EES1C_IbLb0EEEEDaS18_S19_EUlS18_E_NS1_11comp_targetILNS1_3genE0ELNS1_11target_archE4294967295ELNS1_3gpuE0ELNS1_3repE0EEENS1_30default_config_static_selectorELNS0_4arch9wavefront6targetE0EEEvT1_,comdat
.Lfunc_end1093:
	.size	_ZN7rocprim17ROCPRIM_400000_NS6detail17trampoline_kernelINS0_14default_configENS1_25partition_config_selectorILNS1_17partition_subalgoE9EijbEEZZNS1_14partition_implILS5_9ELb0ES3_jN6thrust23THRUST_200600_302600_NS6detail15normal_iteratorINS9_10device_ptrIiEEEENSB_INSC_IjEEEEPNS0_10empty_typeENS0_5tupleIJNS9_16discard_iteratorINS9_11use_defaultEEESH_EEENSJ_IJSM_SI_EEENS0_18inequality_wrapperINS9_8equal_toIiEEEEPmJSH_EEE10hipError_tPvRmT3_T4_T5_T6_T7_T9_mT8_P12ihipStream_tbDpT10_ENKUlT_T0_E_clISt17integral_constantIbLb1EES1C_IbLb0EEEEDaS18_S19_EUlS18_E_NS1_11comp_targetILNS1_3genE0ELNS1_11target_archE4294967295ELNS1_3gpuE0ELNS1_3repE0EEENS1_30default_config_static_selectorELNS0_4arch9wavefront6targetE0EEEvT1_, .Lfunc_end1093-_ZN7rocprim17ROCPRIM_400000_NS6detail17trampoline_kernelINS0_14default_configENS1_25partition_config_selectorILNS1_17partition_subalgoE9EijbEEZZNS1_14partition_implILS5_9ELb0ES3_jN6thrust23THRUST_200600_302600_NS6detail15normal_iteratorINS9_10device_ptrIiEEEENSB_INSC_IjEEEEPNS0_10empty_typeENS0_5tupleIJNS9_16discard_iteratorINS9_11use_defaultEEESH_EEENSJ_IJSM_SI_EEENS0_18inequality_wrapperINS9_8equal_toIiEEEEPmJSH_EEE10hipError_tPvRmT3_T4_T5_T6_T7_T9_mT8_P12ihipStream_tbDpT10_ENKUlT_T0_E_clISt17integral_constantIbLb1EES1C_IbLb0EEEEDaS18_S19_EUlS18_E_NS1_11comp_targetILNS1_3genE0ELNS1_11target_archE4294967295ELNS1_3gpuE0ELNS1_3repE0EEENS1_30default_config_static_selectorELNS0_4arch9wavefront6targetE0EEEvT1_
                                        ; -- End function
	.section	.AMDGPU.csdata,"",@progbits
; Kernel info:
; codeLenInByte = 0
; NumSgprs: 0
; NumVgprs: 0
; ScratchSize: 0
; MemoryBound: 0
; FloatMode: 240
; IeeeMode: 1
; LDSByteSize: 0 bytes/workgroup (compile time only)
; SGPRBlocks: 0
; VGPRBlocks: 0
; NumSGPRsForWavesPerEU: 1
; NumVGPRsForWavesPerEU: 1
; Occupancy: 16
; WaveLimiterHint : 0
; COMPUTE_PGM_RSRC2:SCRATCH_EN: 0
; COMPUTE_PGM_RSRC2:USER_SGPR: 15
; COMPUTE_PGM_RSRC2:TRAP_HANDLER: 0
; COMPUTE_PGM_RSRC2:TGID_X_EN: 1
; COMPUTE_PGM_RSRC2:TGID_Y_EN: 0
; COMPUTE_PGM_RSRC2:TGID_Z_EN: 0
; COMPUTE_PGM_RSRC2:TIDIG_COMP_CNT: 0
	.section	.text._ZN7rocprim17ROCPRIM_400000_NS6detail17trampoline_kernelINS0_14default_configENS1_25partition_config_selectorILNS1_17partition_subalgoE9EijbEEZZNS1_14partition_implILS5_9ELb0ES3_jN6thrust23THRUST_200600_302600_NS6detail15normal_iteratorINS9_10device_ptrIiEEEENSB_INSC_IjEEEEPNS0_10empty_typeENS0_5tupleIJNS9_16discard_iteratorINS9_11use_defaultEEESH_EEENSJ_IJSM_SI_EEENS0_18inequality_wrapperINS9_8equal_toIiEEEEPmJSH_EEE10hipError_tPvRmT3_T4_T5_T6_T7_T9_mT8_P12ihipStream_tbDpT10_ENKUlT_T0_E_clISt17integral_constantIbLb1EES1C_IbLb0EEEEDaS18_S19_EUlS18_E_NS1_11comp_targetILNS1_3genE5ELNS1_11target_archE942ELNS1_3gpuE9ELNS1_3repE0EEENS1_30default_config_static_selectorELNS0_4arch9wavefront6targetE0EEEvT1_,"axG",@progbits,_ZN7rocprim17ROCPRIM_400000_NS6detail17trampoline_kernelINS0_14default_configENS1_25partition_config_selectorILNS1_17partition_subalgoE9EijbEEZZNS1_14partition_implILS5_9ELb0ES3_jN6thrust23THRUST_200600_302600_NS6detail15normal_iteratorINS9_10device_ptrIiEEEENSB_INSC_IjEEEEPNS0_10empty_typeENS0_5tupleIJNS9_16discard_iteratorINS9_11use_defaultEEESH_EEENSJ_IJSM_SI_EEENS0_18inequality_wrapperINS9_8equal_toIiEEEEPmJSH_EEE10hipError_tPvRmT3_T4_T5_T6_T7_T9_mT8_P12ihipStream_tbDpT10_ENKUlT_T0_E_clISt17integral_constantIbLb1EES1C_IbLb0EEEEDaS18_S19_EUlS18_E_NS1_11comp_targetILNS1_3genE5ELNS1_11target_archE942ELNS1_3gpuE9ELNS1_3repE0EEENS1_30default_config_static_selectorELNS0_4arch9wavefront6targetE0EEEvT1_,comdat
	.protected	_ZN7rocprim17ROCPRIM_400000_NS6detail17trampoline_kernelINS0_14default_configENS1_25partition_config_selectorILNS1_17partition_subalgoE9EijbEEZZNS1_14partition_implILS5_9ELb0ES3_jN6thrust23THRUST_200600_302600_NS6detail15normal_iteratorINS9_10device_ptrIiEEEENSB_INSC_IjEEEEPNS0_10empty_typeENS0_5tupleIJNS9_16discard_iteratorINS9_11use_defaultEEESH_EEENSJ_IJSM_SI_EEENS0_18inequality_wrapperINS9_8equal_toIiEEEEPmJSH_EEE10hipError_tPvRmT3_T4_T5_T6_T7_T9_mT8_P12ihipStream_tbDpT10_ENKUlT_T0_E_clISt17integral_constantIbLb1EES1C_IbLb0EEEEDaS18_S19_EUlS18_E_NS1_11comp_targetILNS1_3genE5ELNS1_11target_archE942ELNS1_3gpuE9ELNS1_3repE0EEENS1_30default_config_static_selectorELNS0_4arch9wavefront6targetE0EEEvT1_ ; -- Begin function _ZN7rocprim17ROCPRIM_400000_NS6detail17trampoline_kernelINS0_14default_configENS1_25partition_config_selectorILNS1_17partition_subalgoE9EijbEEZZNS1_14partition_implILS5_9ELb0ES3_jN6thrust23THRUST_200600_302600_NS6detail15normal_iteratorINS9_10device_ptrIiEEEENSB_INSC_IjEEEEPNS0_10empty_typeENS0_5tupleIJNS9_16discard_iteratorINS9_11use_defaultEEESH_EEENSJ_IJSM_SI_EEENS0_18inequality_wrapperINS9_8equal_toIiEEEEPmJSH_EEE10hipError_tPvRmT3_T4_T5_T6_T7_T9_mT8_P12ihipStream_tbDpT10_ENKUlT_T0_E_clISt17integral_constantIbLb1EES1C_IbLb0EEEEDaS18_S19_EUlS18_E_NS1_11comp_targetILNS1_3genE5ELNS1_11target_archE942ELNS1_3gpuE9ELNS1_3repE0EEENS1_30default_config_static_selectorELNS0_4arch9wavefront6targetE0EEEvT1_
	.globl	_ZN7rocprim17ROCPRIM_400000_NS6detail17trampoline_kernelINS0_14default_configENS1_25partition_config_selectorILNS1_17partition_subalgoE9EijbEEZZNS1_14partition_implILS5_9ELb0ES3_jN6thrust23THRUST_200600_302600_NS6detail15normal_iteratorINS9_10device_ptrIiEEEENSB_INSC_IjEEEEPNS0_10empty_typeENS0_5tupleIJNS9_16discard_iteratorINS9_11use_defaultEEESH_EEENSJ_IJSM_SI_EEENS0_18inequality_wrapperINS9_8equal_toIiEEEEPmJSH_EEE10hipError_tPvRmT3_T4_T5_T6_T7_T9_mT8_P12ihipStream_tbDpT10_ENKUlT_T0_E_clISt17integral_constantIbLb1EES1C_IbLb0EEEEDaS18_S19_EUlS18_E_NS1_11comp_targetILNS1_3genE5ELNS1_11target_archE942ELNS1_3gpuE9ELNS1_3repE0EEENS1_30default_config_static_selectorELNS0_4arch9wavefront6targetE0EEEvT1_
	.p2align	8
	.type	_ZN7rocprim17ROCPRIM_400000_NS6detail17trampoline_kernelINS0_14default_configENS1_25partition_config_selectorILNS1_17partition_subalgoE9EijbEEZZNS1_14partition_implILS5_9ELb0ES3_jN6thrust23THRUST_200600_302600_NS6detail15normal_iteratorINS9_10device_ptrIiEEEENSB_INSC_IjEEEEPNS0_10empty_typeENS0_5tupleIJNS9_16discard_iteratorINS9_11use_defaultEEESH_EEENSJ_IJSM_SI_EEENS0_18inequality_wrapperINS9_8equal_toIiEEEEPmJSH_EEE10hipError_tPvRmT3_T4_T5_T6_T7_T9_mT8_P12ihipStream_tbDpT10_ENKUlT_T0_E_clISt17integral_constantIbLb1EES1C_IbLb0EEEEDaS18_S19_EUlS18_E_NS1_11comp_targetILNS1_3genE5ELNS1_11target_archE942ELNS1_3gpuE9ELNS1_3repE0EEENS1_30default_config_static_selectorELNS0_4arch9wavefront6targetE0EEEvT1_,@function
_ZN7rocprim17ROCPRIM_400000_NS6detail17trampoline_kernelINS0_14default_configENS1_25partition_config_selectorILNS1_17partition_subalgoE9EijbEEZZNS1_14partition_implILS5_9ELb0ES3_jN6thrust23THRUST_200600_302600_NS6detail15normal_iteratorINS9_10device_ptrIiEEEENSB_INSC_IjEEEEPNS0_10empty_typeENS0_5tupleIJNS9_16discard_iteratorINS9_11use_defaultEEESH_EEENSJ_IJSM_SI_EEENS0_18inequality_wrapperINS9_8equal_toIiEEEEPmJSH_EEE10hipError_tPvRmT3_T4_T5_T6_T7_T9_mT8_P12ihipStream_tbDpT10_ENKUlT_T0_E_clISt17integral_constantIbLb1EES1C_IbLb0EEEEDaS18_S19_EUlS18_E_NS1_11comp_targetILNS1_3genE5ELNS1_11target_archE942ELNS1_3gpuE9ELNS1_3repE0EEENS1_30default_config_static_selectorELNS0_4arch9wavefront6targetE0EEEvT1_: ; @_ZN7rocprim17ROCPRIM_400000_NS6detail17trampoline_kernelINS0_14default_configENS1_25partition_config_selectorILNS1_17partition_subalgoE9EijbEEZZNS1_14partition_implILS5_9ELb0ES3_jN6thrust23THRUST_200600_302600_NS6detail15normal_iteratorINS9_10device_ptrIiEEEENSB_INSC_IjEEEEPNS0_10empty_typeENS0_5tupleIJNS9_16discard_iteratorINS9_11use_defaultEEESH_EEENSJ_IJSM_SI_EEENS0_18inequality_wrapperINS9_8equal_toIiEEEEPmJSH_EEE10hipError_tPvRmT3_T4_T5_T6_T7_T9_mT8_P12ihipStream_tbDpT10_ENKUlT_T0_E_clISt17integral_constantIbLb1EES1C_IbLb0EEEEDaS18_S19_EUlS18_E_NS1_11comp_targetILNS1_3genE5ELNS1_11target_archE942ELNS1_3gpuE9ELNS1_3repE0EEENS1_30default_config_static_selectorELNS0_4arch9wavefront6targetE0EEEvT1_
; %bb.0:
	.section	.rodata,"a",@progbits
	.p2align	6, 0x0
	.amdhsa_kernel _ZN7rocprim17ROCPRIM_400000_NS6detail17trampoline_kernelINS0_14default_configENS1_25partition_config_selectorILNS1_17partition_subalgoE9EijbEEZZNS1_14partition_implILS5_9ELb0ES3_jN6thrust23THRUST_200600_302600_NS6detail15normal_iteratorINS9_10device_ptrIiEEEENSB_INSC_IjEEEEPNS0_10empty_typeENS0_5tupleIJNS9_16discard_iteratorINS9_11use_defaultEEESH_EEENSJ_IJSM_SI_EEENS0_18inequality_wrapperINS9_8equal_toIiEEEEPmJSH_EEE10hipError_tPvRmT3_T4_T5_T6_T7_T9_mT8_P12ihipStream_tbDpT10_ENKUlT_T0_E_clISt17integral_constantIbLb1EES1C_IbLb0EEEEDaS18_S19_EUlS18_E_NS1_11comp_targetILNS1_3genE5ELNS1_11target_archE942ELNS1_3gpuE9ELNS1_3repE0EEENS1_30default_config_static_selectorELNS0_4arch9wavefront6targetE0EEEvT1_
		.amdhsa_group_segment_fixed_size 0
		.amdhsa_private_segment_fixed_size 0
		.amdhsa_kernarg_size 128
		.amdhsa_user_sgpr_count 15
		.amdhsa_user_sgpr_dispatch_ptr 0
		.amdhsa_user_sgpr_queue_ptr 0
		.amdhsa_user_sgpr_kernarg_segment_ptr 1
		.amdhsa_user_sgpr_dispatch_id 0
		.amdhsa_user_sgpr_private_segment_size 0
		.amdhsa_wavefront_size32 1
		.amdhsa_uses_dynamic_stack 0
		.amdhsa_enable_private_segment 0
		.amdhsa_system_sgpr_workgroup_id_x 1
		.amdhsa_system_sgpr_workgroup_id_y 0
		.amdhsa_system_sgpr_workgroup_id_z 0
		.amdhsa_system_sgpr_workgroup_info 0
		.amdhsa_system_vgpr_workitem_id 0
		.amdhsa_next_free_vgpr 1
		.amdhsa_next_free_sgpr 1
		.amdhsa_reserve_vcc 0
		.amdhsa_float_round_mode_32 0
		.amdhsa_float_round_mode_16_64 0
		.amdhsa_float_denorm_mode_32 3
		.amdhsa_float_denorm_mode_16_64 3
		.amdhsa_dx10_clamp 1
		.amdhsa_ieee_mode 1
		.amdhsa_fp16_overflow 0
		.amdhsa_workgroup_processor_mode 1
		.amdhsa_memory_ordered 1
		.amdhsa_forward_progress 0
		.amdhsa_shared_vgpr_count 0
		.amdhsa_exception_fp_ieee_invalid_op 0
		.amdhsa_exception_fp_denorm_src 0
		.amdhsa_exception_fp_ieee_div_zero 0
		.amdhsa_exception_fp_ieee_overflow 0
		.amdhsa_exception_fp_ieee_underflow 0
		.amdhsa_exception_fp_ieee_inexact 0
		.amdhsa_exception_int_div_zero 0
	.end_amdhsa_kernel
	.section	.text._ZN7rocprim17ROCPRIM_400000_NS6detail17trampoline_kernelINS0_14default_configENS1_25partition_config_selectorILNS1_17partition_subalgoE9EijbEEZZNS1_14partition_implILS5_9ELb0ES3_jN6thrust23THRUST_200600_302600_NS6detail15normal_iteratorINS9_10device_ptrIiEEEENSB_INSC_IjEEEEPNS0_10empty_typeENS0_5tupleIJNS9_16discard_iteratorINS9_11use_defaultEEESH_EEENSJ_IJSM_SI_EEENS0_18inequality_wrapperINS9_8equal_toIiEEEEPmJSH_EEE10hipError_tPvRmT3_T4_T5_T6_T7_T9_mT8_P12ihipStream_tbDpT10_ENKUlT_T0_E_clISt17integral_constantIbLb1EES1C_IbLb0EEEEDaS18_S19_EUlS18_E_NS1_11comp_targetILNS1_3genE5ELNS1_11target_archE942ELNS1_3gpuE9ELNS1_3repE0EEENS1_30default_config_static_selectorELNS0_4arch9wavefront6targetE0EEEvT1_,"axG",@progbits,_ZN7rocprim17ROCPRIM_400000_NS6detail17trampoline_kernelINS0_14default_configENS1_25partition_config_selectorILNS1_17partition_subalgoE9EijbEEZZNS1_14partition_implILS5_9ELb0ES3_jN6thrust23THRUST_200600_302600_NS6detail15normal_iteratorINS9_10device_ptrIiEEEENSB_INSC_IjEEEEPNS0_10empty_typeENS0_5tupleIJNS9_16discard_iteratorINS9_11use_defaultEEESH_EEENSJ_IJSM_SI_EEENS0_18inequality_wrapperINS9_8equal_toIiEEEEPmJSH_EEE10hipError_tPvRmT3_T4_T5_T6_T7_T9_mT8_P12ihipStream_tbDpT10_ENKUlT_T0_E_clISt17integral_constantIbLb1EES1C_IbLb0EEEEDaS18_S19_EUlS18_E_NS1_11comp_targetILNS1_3genE5ELNS1_11target_archE942ELNS1_3gpuE9ELNS1_3repE0EEENS1_30default_config_static_selectorELNS0_4arch9wavefront6targetE0EEEvT1_,comdat
.Lfunc_end1094:
	.size	_ZN7rocprim17ROCPRIM_400000_NS6detail17trampoline_kernelINS0_14default_configENS1_25partition_config_selectorILNS1_17partition_subalgoE9EijbEEZZNS1_14partition_implILS5_9ELb0ES3_jN6thrust23THRUST_200600_302600_NS6detail15normal_iteratorINS9_10device_ptrIiEEEENSB_INSC_IjEEEEPNS0_10empty_typeENS0_5tupleIJNS9_16discard_iteratorINS9_11use_defaultEEESH_EEENSJ_IJSM_SI_EEENS0_18inequality_wrapperINS9_8equal_toIiEEEEPmJSH_EEE10hipError_tPvRmT3_T4_T5_T6_T7_T9_mT8_P12ihipStream_tbDpT10_ENKUlT_T0_E_clISt17integral_constantIbLb1EES1C_IbLb0EEEEDaS18_S19_EUlS18_E_NS1_11comp_targetILNS1_3genE5ELNS1_11target_archE942ELNS1_3gpuE9ELNS1_3repE0EEENS1_30default_config_static_selectorELNS0_4arch9wavefront6targetE0EEEvT1_, .Lfunc_end1094-_ZN7rocprim17ROCPRIM_400000_NS6detail17trampoline_kernelINS0_14default_configENS1_25partition_config_selectorILNS1_17partition_subalgoE9EijbEEZZNS1_14partition_implILS5_9ELb0ES3_jN6thrust23THRUST_200600_302600_NS6detail15normal_iteratorINS9_10device_ptrIiEEEENSB_INSC_IjEEEEPNS0_10empty_typeENS0_5tupleIJNS9_16discard_iteratorINS9_11use_defaultEEESH_EEENSJ_IJSM_SI_EEENS0_18inequality_wrapperINS9_8equal_toIiEEEEPmJSH_EEE10hipError_tPvRmT3_T4_T5_T6_T7_T9_mT8_P12ihipStream_tbDpT10_ENKUlT_T0_E_clISt17integral_constantIbLb1EES1C_IbLb0EEEEDaS18_S19_EUlS18_E_NS1_11comp_targetILNS1_3genE5ELNS1_11target_archE942ELNS1_3gpuE9ELNS1_3repE0EEENS1_30default_config_static_selectorELNS0_4arch9wavefront6targetE0EEEvT1_
                                        ; -- End function
	.section	.AMDGPU.csdata,"",@progbits
; Kernel info:
; codeLenInByte = 0
; NumSgprs: 0
; NumVgprs: 0
; ScratchSize: 0
; MemoryBound: 0
; FloatMode: 240
; IeeeMode: 1
; LDSByteSize: 0 bytes/workgroup (compile time only)
; SGPRBlocks: 0
; VGPRBlocks: 0
; NumSGPRsForWavesPerEU: 1
; NumVGPRsForWavesPerEU: 1
; Occupancy: 16
; WaveLimiterHint : 0
; COMPUTE_PGM_RSRC2:SCRATCH_EN: 0
; COMPUTE_PGM_RSRC2:USER_SGPR: 15
; COMPUTE_PGM_RSRC2:TRAP_HANDLER: 0
; COMPUTE_PGM_RSRC2:TGID_X_EN: 1
; COMPUTE_PGM_RSRC2:TGID_Y_EN: 0
; COMPUTE_PGM_RSRC2:TGID_Z_EN: 0
; COMPUTE_PGM_RSRC2:TIDIG_COMP_CNT: 0
	.section	.text._ZN7rocprim17ROCPRIM_400000_NS6detail17trampoline_kernelINS0_14default_configENS1_25partition_config_selectorILNS1_17partition_subalgoE9EijbEEZZNS1_14partition_implILS5_9ELb0ES3_jN6thrust23THRUST_200600_302600_NS6detail15normal_iteratorINS9_10device_ptrIiEEEENSB_INSC_IjEEEEPNS0_10empty_typeENS0_5tupleIJNS9_16discard_iteratorINS9_11use_defaultEEESH_EEENSJ_IJSM_SI_EEENS0_18inequality_wrapperINS9_8equal_toIiEEEEPmJSH_EEE10hipError_tPvRmT3_T4_T5_T6_T7_T9_mT8_P12ihipStream_tbDpT10_ENKUlT_T0_E_clISt17integral_constantIbLb1EES1C_IbLb0EEEEDaS18_S19_EUlS18_E_NS1_11comp_targetILNS1_3genE4ELNS1_11target_archE910ELNS1_3gpuE8ELNS1_3repE0EEENS1_30default_config_static_selectorELNS0_4arch9wavefront6targetE0EEEvT1_,"axG",@progbits,_ZN7rocprim17ROCPRIM_400000_NS6detail17trampoline_kernelINS0_14default_configENS1_25partition_config_selectorILNS1_17partition_subalgoE9EijbEEZZNS1_14partition_implILS5_9ELb0ES3_jN6thrust23THRUST_200600_302600_NS6detail15normal_iteratorINS9_10device_ptrIiEEEENSB_INSC_IjEEEEPNS0_10empty_typeENS0_5tupleIJNS9_16discard_iteratorINS9_11use_defaultEEESH_EEENSJ_IJSM_SI_EEENS0_18inequality_wrapperINS9_8equal_toIiEEEEPmJSH_EEE10hipError_tPvRmT3_T4_T5_T6_T7_T9_mT8_P12ihipStream_tbDpT10_ENKUlT_T0_E_clISt17integral_constantIbLb1EES1C_IbLb0EEEEDaS18_S19_EUlS18_E_NS1_11comp_targetILNS1_3genE4ELNS1_11target_archE910ELNS1_3gpuE8ELNS1_3repE0EEENS1_30default_config_static_selectorELNS0_4arch9wavefront6targetE0EEEvT1_,comdat
	.protected	_ZN7rocprim17ROCPRIM_400000_NS6detail17trampoline_kernelINS0_14default_configENS1_25partition_config_selectorILNS1_17partition_subalgoE9EijbEEZZNS1_14partition_implILS5_9ELb0ES3_jN6thrust23THRUST_200600_302600_NS6detail15normal_iteratorINS9_10device_ptrIiEEEENSB_INSC_IjEEEEPNS0_10empty_typeENS0_5tupleIJNS9_16discard_iteratorINS9_11use_defaultEEESH_EEENSJ_IJSM_SI_EEENS0_18inequality_wrapperINS9_8equal_toIiEEEEPmJSH_EEE10hipError_tPvRmT3_T4_T5_T6_T7_T9_mT8_P12ihipStream_tbDpT10_ENKUlT_T0_E_clISt17integral_constantIbLb1EES1C_IbLb0EEEEDaS18_S19_EUlS18_E_NS1_11comp_targetILNS1_3genE4ELNS1_11target_archE910ELNS1_3gpuE8ELNS1_3repE0EEENS1_30default_config_static_selectorELNS0_4arch9wavefront6targetE0EEEvT1_ ; -- Begin function _ZN7rocprim17ROCPRIM_400000_NS6detail17trampoline_kernelINS0_14default_configENS1_25partition_config_selectorILNS1_17partition_subalgoE9EijbEEZZNS1_14partition_implILS5_9ELb0ES3_jN6thrust23THRUST_200600_302600_NS6detail15normal_iteratorINS9_10device_ptrIiEEEENSB_INSC_IjEEEEPNS0_10empty_typeENS0_5tupleIJNS9_16discard_iteratorINS9_11use_defaultEEESH_EEENSJ_IJSM_SI_EEENS0_18inequality_wrapperINS9_8equal_toIiEEEEPmJSH_EEE10hipError_tPvRmT3_T4_T5_T6_T7_T9_mT8_P12ihipStream_tbDpT10_ENKUlT_T0_E_clISt17integral_constantIbLb1EES1C_IbLb0EEEEDaS18_S19_EUlS18_E_NS1_11comp_targetILNS1_3genE4ELNS1_11target_archE910ELNS1_3gpuE8ELNS1_3repE0EEENS1_30default_config_static_selectorELNS0_4arch9wavefront6targetE0EEEvT1_
	.globl	_ZN7rocprim17ROCPRIM_400000_NS6detail17trampoline_kernelINS0_14default_configENS1_25partition_config_selectorILNS1_17partition_subalgoE9EijbEEZZNS1_14partition_implILS5_9ELb0ES3_jN6thrust23THRUST_200600_302600_NS6detail15normal_iteratorINS9_10device_ptrIiEEEENSB_INSC_IjEEEEPNS0_10empty_typeENS0_5tupleIJNS9_16discard_iteratorINS9_11use_defaultEEESH_EEENSJ_IJSM_SI_EEENS0_18inequality_wrapperINS9_8equal_toIiEEEEPmJSH_EEE10hipError_tPvRmT3_T4_T5_T6_T7_T9_mT8_P12ihipStream_tbDpT10_ENKUlT_T0_E_clISt17integral_constantIbLb1EES1C_IbLb0EEEEDaS18_S19_EUlS18_E_NS1_11comp_targetILNS1_3genE4ELNS1_11target_archE910ELNS1_3gpuE8ELNS1_3repE0EEENS1_30default_config_static_selectorELNS0_4arch9wavefront6targetE0EEEvT1_
	.p2align	8
	.type	_ZN7rocprim17ROCPRIM_400000_NS6detail17trampoline_kernelINS0_14default_configENS1_25partition_config_selectorILNS1_17partition_subalgoE9EijbEEZZNS1_14partition_implILS5_9ELb0ES3_jN6thrust23THRUST_200600_302600_NS6detail15normal_iteratorINS9_10device_ptrIiEEEENSB_INSC_IjEEEEPNS0_10empty_typeENS0_5tupleIJNS9_16discard_iteratorINS9_11use_defaultEEESH_EEENSJ_IJSM_SI_EEENS0_18inequality_wrapperINS9_8equal_toIiEEEEPmJSH_EEE10hipError_tPvRmT3_T4_T5_T6_T7_T9_mT8_P12ihipStream_tbDpT10_ENKUlT_T0_E_clISt17integral_constantIbLb1EES1C_IbLb0EEEEDaS18_S19_EUlS18_E_NS1_11comp_targetILNS1_3genE4ELNS1_11target_archE910ELNS1_3gpuE8ELNS1_3repE0EEENS1_30default_config_static_selectorELNS0_4arch9wavefront6targetE0EEEvT1_,@function
_ZN7rocprim17ROCPRIM_400000_NS6detail17trampoline_kernelINS0_14default_configENS1_25partition_config_selectorILNS1_17partition_subalgoE9EijbEEZZNS1_14partition_implILS5_9ELb0ES3_jN6thrust23THRUST_200600_302600_NS6detail15normal_iteratorINS9_10device_ptrIiEEEENSB_INSC_IjEEEEPNS0_10empty_typeENS0_5tupleIJNS9_16discard_iteratorINS9_11use_defaultEEESH_EEENSJ_IJSM_SI_EEENS0_18inequality_wrapperINS9_8equal_toIiEEEEPmJSH_EEE10hipError_tPvRmT3_T4_T5_T6_T7_T9_mT8_P12ihipStream_tbDpT10_ENKUlT_T0_E_clISt17integral_constantIbLb1EES1C_IbLb0EEEEDaS18_S19_EUlS18_E_NS1_11comp_targetILNS1_3genE4ELNS1_11target_archE910ELNS1_3gpuE8ELNS1_3repE0EEENS1_30default_config_static_selectorELNS0_4arch9wavefront6targetE0EEEvT1_: ; @_ZN7rocprim17ROCPRIM_400000_NS6detail17trampoline_kernelINS0_14default_configENS1_25partition_config_selectorILNS1_17partition_subalgoE9EijbEEZZNS1_14partition_implILS5_9ELb0ES3_jN6thrust23THRUST_200600_302600_NS6detail15normal_iteratorINS9_10device_ptrIiEEEENSB_INSC_IjEEEEPNS0_10empty_typeENS0_5tupleIJNS9_16discard_iteratorINS9_11use_defaultEEESH_EEENSJ_IJSM_SI_EEENS0_18inequality_wrapperINS9_8equal_toIiEEEEPmJSH_EEE10hipError_tPvRmT3_T4_T5_T6_T7_T9_mT8_P12ihipStream_tbDpT10_ENKUlT_T0_E_clISt17integral_constantIbLb1EES1C_IbLb0EEEEDaS18_S19_EUlS18_E_NS1_11comp_targetILNS1_3genE4ELNS1_11target_archE910ELNS1_3gpuE8ELNS1_3repE0EEENS1_30default_config_static_selectorELNS0_4arch9wavefront6targetE0EEEvT1_
; %bb.0:
	.section	.rodata,"a",@progbits
	.p2align	6, 0x0
	.amdhsa_kernel _ZN7rocprim17ROCPRIM_400000_NS6detail17trampoline_kernelINS0_14default_configENS1_25partition_config_selectorILNS1_17partition_subalgoE9EijbEEZZNS1_14partition_implILS5_9ELb0ES3_jN6thrust23THRUST_200600_302600_NS6detail15normal_iteratorINS9_10device_ptrIiEEEENSB_INSC_IjEEEEPNS0_10empty_typeENS0_5tupleIJNS9_16discard_iteratorINS9_11use_defaultEEESH_EEENSJ_IJSM_SI_EEENS0_18inequality_wrapperINS9_8equal_toIiEEEEPmJSH_EEE10hipError_tPvRmT3_T4_T5_T6_T7_T9_mT8_P12ihipStream_tbDpT10_ENKUlT_T0_E_clISt17integral_constantIbLb1EES1C_IbLb0EEEEDaS18_S19_EUlS18_E_NS1_11comp_targetILNS1_3genE4ELNS1_11target_archE910ELNS1_3gpuE8ELNS1_3repE0EEENS1_30default_config_static_selectorELNS0_4arch9wavefront6targetE0EEEvT1_
		.amdhsa_group_segment_fixed_size 0
		.amdhsa_private_segment_fixed_size 0
		.amdhsa_kernarg_size 128
		.amdhsa_user_sgpr_count 15
		.amdhsa_user_sgpr_dispatch_ptr 0
		.amdhsa_user_sgpr_queue_ptr 0
		.amdhsa_user_sgpr_kernarg_segment_ptr 1
		.amdhsa_user_sgpr_dispatch_id 0
		.amdhsa_user_sgpr_private_segment_size 0
		.amdhsa_wavefront_size32 1
		.amdhsa_uses_dynamic_stack 0
		.amdhsa_enable_private_segment 0
		.amdhsa_system_sgpr_workgroup_id_x 1
		.amdhsa_system_sgpr_workgroup_id_y 0
		.amdhsa_system_sgpr_workgroup_id_z 0
		.amdhsa_system_sgpr_workgroup_info 0
		.amdhsa_system_vgpr_workitem_id 0
		.amdhsa_next_free_vgpr 1
		.amdhsa_next_free_sgpr 1
		.amdhsa_reserve_vcc 0
		.amdhsa_float_round_mode_32 0
		.amdhsa_float_round_mode_16_64 0
		.amdhsa_float_denorm_mode_32 3
		.amdhsa_float_denorm_mode_16_64 3
		.amdhsa_dx10_clamp 1
		.amdhsa_ieee_mode 1
		.amdhsa_fp16_overflow 0
		.amdhsa_workgroup_processor_mode 1
		.amdhsa_memory_ordered 1
		.amdhsa_forward_progress 0
		.amdhsa_shared_vgpr_count 0
		.amdhsa_exception_fp_ieee_invalid_op 0
		.amdhsa_exception_fp_denorm_src 0
		.amdhsa_exception_fp_ieee_div_zero 0
		.amdhsa_exception_fp_ieee_overflow 0
		.amdhsa_exception_fp_ieee_underflow 0
		.amdhsa_exception_fp_ieee_inexact 0
		.amdhsa_exception_int_div_zero 0
	.end_amdhsa_kernel
	.section	.text._ZN7rocprim17ROCPRIM_400000_NS6detail17trampoline_kernelINS0_14default_configENS1_25partition_config_selectorILNS1_17partition_subalgoE9EijbEEZZNS1_14partition_implILS5_9ELb0ES3_jN6thrust23THRUST_200600_302600_NS6detail15normal_iteratorINS9_10device_ptrIiEEEENSB_INSC_IjEEEEPNS0_10empty_typeENS0_5tupleIJNS9_16discard_iteratorINS9_11use_defaultEEESH_EEENSJ_IJSM_SI_EEENS0_18inequality_wrapperINS9_8equal_toIiEEEEPmJSH_EEE10hipError_tPvRmT3_T4_T5_T6_T7_T9_mT8_P12ihipStream_tbDpT10_ENKUlT_T0_E_clISt17integral_constantIbLb1EES1C_IbLb0EEEEDaS18_S19_EUlS18_E_NS1_11comp_targetILNS1_3genE4ELNS1_11target_archE910ELNS1_3gpuE8ELNS1_3repE0EEENS1_30default_config_static_selectorELNS0_4arch9wavefront6targetE0EEEvT1_,"axG",@progbits,_ZN7rocprim17ROCPRIM_400000_NS6detail17trampoline_kernelINS0_14default_configENS1_25partition_config_selectorILNS1_17partition_subalgoE9EijbEEZZNS1_14partition_implILS5_9ELb0ES3_jN6thrust23THRUST_200600_302600_NS6detail15normal_iteratorINS9_10device_ptrIiEEEENSB_INSC_IjEEEEPNS0_10empty_typeENS0_5tupleIJNS9_16discard_iteratorINS9_11use_defaultEEESH_EEENSJ_IJSM_SI_EEENS0_18inequality_wrapperINS9_8equal_toIiEEEEPmJSH_EEE10hipError_tPvRmT3_T4_T5_T6_T7_T9_mT8_P12ihipStream_tbDpT10_ENKUlT_T0_E_clISt17integral_constantIbLb1EES1C_IbLb0EEEEDaS18_S19_EUlS18_E_NS1_11comp_targetILNS1_3genE4ELNS1_11target_archE910ELNS1_3gpuE8ELNS1_3repE0EEENS1_30default_config_static_selectorELNS0_4arch9wavefront6targetE0EEEvT1_,comdat
.Lfunc_end1095:
	.size	_ZN7rocprim17ROCPRIM_400000_NS6detail17trampoline_kernelINS0_14default_configENS1_25partition_config_selectorILNS1_17partition_subalgoE9EijbEEZZNS1_14partition_implILS5_9ELb0ES3_jN6thrust23THRUST_200600_302600_NS6detail15normal_iteratorINS9_10device_ptrIiEEEENSB_INSC_IjEEEEPNS0_10empty_typeENS0_5tupleIJNS9_16discard_iteratorINS9_11use_defaultEEESH_EEENSJ_IJSM_SI_EEENS0_18inequality_wrapperINS9_8equal_toIiEEEEPmJSH_EEE10hipError_tPvRmT3_T4_T5_T6_T7_T9_mT8_P12ihipStream_tbDpT10_ENKUlT_T0_E_clISt17integral_constantIbLb1EES1C_IbLb0EEEEDaS18_S19_EUlS18_E_NS1_11comp_targetILNS1_3genE4ELNS1_11target_archE910ELNS1_3gpuE8ELNS1_3repE0EEENS1_30default_config_static_selectorELNS0_4arch9wavefront6targetE0EEEvT1_, .Lfunc_end1095-_ZN7rocprim17ROCPRIM_400000_NS6detail17trampoline_kernelINS0_14default_configENS1_25partition_config_selectorILNS1_17partition_subalgoE9EijbEEZZNS1_14partition_implILS5_9ELb0ES3_jN6thrust23THRUST_200600_302600_NS6detail15normal_iteratorINS9_10device_ptrIiEEEENSB_INSC_IjEEEEPNS0_10empty_typeENS0_5tupleIJNS9_16discard_iteratorINS9_11use_defaultEEESH_EEENSJ_IJSM_SI_EEENS0_18inequality_wrapperINS9_8equal_toIiEEEEPmJSH_EEE10hipError_tPvRmT3_T4_T5_T6_T7_T9_mT8_P12ihipStream_tbDpT10_ENKUlT_T0_E_clISt17integral_constantIbLb1EES1C_IbLb0EEEEDaS18_S19_EUlS18_E_NS1_11comp_targetILNS1_3genE4ELNS1_11target_archE910ELNS1_3gpuE8ELNS1_3repE0EEENS1_30default_config_static_selectorELNS0_4arch9wavefront6targetE0EEEvT1_
                                        ; -- End function
	.section	.AMDGPU.csdata,"",@progbits
; Kernel info:
; codeLenInByte = 0
; NumSgprs: 0
; NumVgprs: 0
; ScratchSize: 0
; MemoryBound: 0
; FloatMode: 240
; IeeeMode: 1
; LDSByteSize: 0 bytes/workgroup (compile time only)
; SGPRBlocks: 0
; VGPRBlocks: 0
; NumSGPRsForWavesPerEU: 1
; NumVGPRsForWavesPerEU: 1
; Occupancy: 15
; WaveLimiterHint : 0
; COMPUTE_PGM_RSRC2:SCRATCH_EN: 0
; COMPUTE_PGM_RSRC2:USER_SGPR: 15
; COMPUTE_PGM_RSRC2:TRAP_HANDLER: 0
; COMPUTE_PGM_RSRC2:TGID_X_EN: 1
; COMPUTE_PGM_RSRC2:TGID_Y_EN: 0
; COMPUTE_PGM_RSRC2:TGID_Z_EN: 0
; COMPUTE_PGM_RSRC2:TIDIG_COMP_CNT: 0
	.section	.text._ZN7rocprim17ROCPRIM_400000_NS6detail17trampoline_kernelINS0_14default_configENS1_25partition_config_selectorILNS1_17partition_subalgoE9EijbEEZZNS1_14partition_implILS5_9ELb0ES3_jN6thrust23THRUST_200600_302600_NS6detail15normal_iteratorINS9_10device_ptrIiEEEENSB_INSC_IjEEEEPNS0_10empty_typeENS0_5tupleIJNS9_16discard_iteratorINS9_11use_defaultEEESH_EEENSJ_IJSM_SI_EEENS0_18inequality_wrapperINS9_8equal_toIiEEEEPmJSH_EEE10hipError_tPvRmT3_T4_T5_T6_T7_T9_mT8_P12ihipStream_tbDpT10_ENKUlT_T0_E_clISt17integral_constantIbLb1EES1C_IbLb0EEEEDaS18_S19_EUlS18_E_NS1_11comp_targetILNS1_3genE3ELNS1_11target_archE908ELNS1_3gpuE7ELNS1_3repE0EEENS1_30default_config_static_selectorELNS0_4arch9wavefront6targetE0EEEvT1_,"axG",@progbits,_ZN7rocprim17ROCPRIM_400000_NS6detail17trampoline_kernelINS0_14default_configENS1_25partition_config_selectorILNS1_17partition_subalgoE9EijbEEZZNS1_14partition_implILS5_9ELb0ES3_jN6thrust23THRUST_200600_302600_NS6detail15normal_iteratorINS9_10device_ptrIiEEEENSB_INSC_IjEEEEPNS0_10empty_typeENS0_5tupleIJNS9_16discard_iteratorINS9_11use_defaultEEESH_EEENSJ_IJSM_SI_EEENS0_18inequality_wrapperINS9_8equal_toIiEEEEPmJSH_EEE10hipError_tPvRmT3_T4_T5_T6_T7_T9_mT8_P12ihipStream_tbDpT10_ENKUlT_T0_E_clISt17integral_constantIbLb1EES1C_IbLb0EEEEDaS18_S19_EUlS18_E_NS1_11comp_targetILNS1_3genE3ELNS1_11target_archE908ELNS1_3gpuE7ELNS1_3repE0EEENS1_30default_config_static_selectorELNS0_4arch9wavefront6targetE0EEEvT1_,comdat
	.protected	_ZN7rocprim17ROCPRIM_400000_NS6detail17trampoline_kernelINS0_14default_configENS1_25partition_config_selectorILNS1_17partition_subalgoE9EijbEEZZNS1_14partition_implILS5_9ELb0ES3_jN6thrust23THRUST_200600_302600_NS6detail15normal_iteratorINS9_10device_ptrIiEEEENSB_INSC_IjEEEEPNS0_10empty_typeENS0_5tupleIJNS9_16discard_iteratorINS9_11use_defaultEEESH_EEENSJ_IJSM_SI_EEENS0_18inequality_wrapperINS9_8equal_toIiEEEEPmJSH_EEE10hipError_tPvRmT3_T4_T5_T6_T7_T9_mT8_P12ihipStream_tbDpT10_ENKUlT_T0_E_clISt17integral_constantIbLb1EES1C_IbLb0EEEEDaS18_S19_EUlS18_E_NS1_11comp_targetILNS1_3genE3ELNS1_11target_archE908ELNS1_3gpuE7ELNS1_3repE0EEENS1_30default_config_static_selectorELNS0_4arch9wavefront6targetE0EEEvT1_ ; -- Begin function _ZN7rocprim17ROCPRIM_400000_NS6detail17trampoline_kernelINS0_14default_configENS1_25partition_config_selectorILNS1_17partition_subalgoE9EijbEEZZNS1_14partition_implILS5_9ELb0ES3_jN6thrust23THRUST_200600_302600_NS6detail15normal_iteratorINS9_10device_ptrIiEEEENSB_INSC_IjEEEEPNS0_10empty_typeENS0_5tupleIJNS9_16discard_iteratorINS9_11use_defaultEEESH_EEENSJ_IJSM_SI_EEENS0_18inequality_wrapperINS9_8equal_toIiEEEEPmJSH_EEE10hipError_tPvRmT3_T4_T5_T6_T7_T9_mT8_P12ihipStream_tbDpT10_ENKUlT_T0_E_clISt17integral_constantIbLb1EES1C_IbLb0EEEEDaS18_S19_EUlS18_E_NS1_11comp_targetILNS1_3genE3ELNS1_11target_archE908ELNS1_3gpuE7ELNS1_3repE0EEENS1_30default_config_static_selectorELNS0_4arch9wavefront6targetE0EEEvT1_
	.globl	_ZN7rocprim17ROCPRIM_400000_NS6detail17trampoline_kernelINS0_14default_configENS1_25partition_config_selectorILNS1_17partition_subalgoE9EijbEEZZNS1_14partition_implILS5_9ELb0ES3_jN6thrust23THRUST_200600_302600_NS6detail15normal_iteratorINS9_10device_ptrIiEEEENSB_INSC_IjEEEEPNS0_10empty_typeENS0_5tupleIJNS9_16discard_iteratorINS9_11use_defaultEEESH_EEENSJ_IJSM_SI_EEENS0_18inequality_wrapperINS9_8equal_toIiEEEEPmJSH_EEE10hipError_tPvRmT3_T4_T5_T6_T7_T9_mT8_P12ihipStream_tbDpT10_ENKUlT_T0_E_clISt17integral_constantIbLb1EES1C_IbLb0EEEEDaS18_S19_EUlS18_E_NS1_11comp_targetILNS1_3genE3ELNS1_11target_archE908ELNS1_3gpuE7ELNS1_3repE0EEENS1_30default_config_static_selectorELNS0_4arch9wavefront6targetE0EEEvT1_
	.p2align	8
	.type	_ZN7rocprim17ROCPRIM_400000_NS6detail17trampoline_kernelINS0_14default_configENS1_25partition_config_selectorILNS1_17partition_subalgoE9EijbEEZZNS1_14partition_implILS5_9ELb0ES3_jN6thrust23THRUST_200600_302600_NS6detail15normal_iteratorINS9_10device_ptrIiEEEENSB_INSC_IjEEEEPNS0_10empty_typeENS0_5tupleIJNS9_16discard_iteratorINS9_11use_defaultEEESH_EEENSJ_IJSM_SI_EEENS0_18inequality_wrapperINS9_8equal_toIiEEEEPmJSH_EEE10hipError_tPvRmT3_T4_T5_T6_T7_T9_mT8_P12ihipStream_tbDpT10_ENKUlT_T0_E_clISt17integral_constantIbLb1EES1C_IbLb0EEEEDaS18_S19_EUlS18_E_NS1_11comp_targetILNS1_3genE3ELNS1_11target_archE908ELNS1_3gpuE7ELNS1_3repE0EEENS1_30default_config_static_selectorELNS0_4arch9wavefront6targetE0EEEvT1_,@function
_ZN7rocprim17ROCPRIM_400000_NS6detail17trampoline_kernelINS0_14default_configENS1_25partition_config_selectorILNS1_17partition_subalgoE9EijbEEZZNS1_14partition_implILS5_9ELb0ES3_jN6thrust23THRUST_200600_302600_NS6detail15normal_iteratorINS9_10device_ptrIiEEEENSB_INSC_IjEEEEPNS0_10empty_typeENS0_5tupleIJNS9_16discard_iteratorINS9_11use_defaultEEESH_EEENSJ_IJSM_SI_EEENS0_18inequality_wrapperINS9_8equal_toIiEEEEPmJSH_EEE10hipError_tPvRmT3_T4_T5_T6_T7_T9_mT8_P12ihipStream_tbDpT10_ENKUlT_T0_E_clISt17integral_constantIbLb1EES1C_IbLb0EEEEDaS18_S19_EUlS18_E_NS1_11comp_targetILNS1_3genE3ELNS1_11target_archE908ELNS1_3gpuE7ELNS1_3repE0EEENS1_30default_config_static_selectorELNS0_4arch9wavefront6targetE0EEEvT1_: ; @_ZN7rocprim17ROCPRIM_400000_NS6detail17trampoline_kernelINS0_14default_configENS1_25partition_config_selectorILNS1_17partition_subalgoE9EijbEEZZNS1_14partition_implILS5_9ELb0ES3_jN6thrust23THRUST_200600_302600_NS6detail15normal_iteratorINS9_10device_ptrIiEEEENSB_INSC_IjEEEEPNS0_10empty_typeENS0_5tupleIJNS9_16discard_iteratorINS9_11use_defaultEEESH_EEENSJ_IJSM_SI_EEENS0_18inequality_wrapperINS9_8equal_toIiEEEEPmJSH_EEE10hipError_tPvRmT3_T4_T5_T6_T7_T9_mT8_P12ihipStream_tbDpT10_ENKUlT_T0_E_clISt17integral_constantIbLb1EES1C_IbLb0EEEEDaS18_S19_EUlS18_E_NS1_11comp_targetILNS1_3genE3ELNS1_11target_archE908ELNS1_3gpuE7ELNS1_3repE0EEENS1_30default_config_static_selectorELNS0_4arch9wavefront6targetE0EEEvT1_
; %bb.0:
	.section	.rodata,"a",@progbits
	.p2align	6, 0x0
	.amdhsa_kernel _ZN7rocprim17ROCPRIM_400000_NS6detail17trampoline_kernelINS0_14default_configENS1_25partition_config_selectorILNS1_17partition_subalgoE9EijbEEZZNS1_14partition_implILS5_9ELb0ES3_jN6thrust23THRUST_200600_302600_NS6detail15normal_iteratorINS9_10device_ptrIiEEEENSB_INSC_IjEEEEPNS0_10empty_typeENS0_5tupleIJNS9_16discard_iteratorINS9_11use_defaultEEESH_EEENSJ_IJSM_SI_EEENS0_18inequality_wrapperINS9_8equal_toIiEEEEPmJSH_EEE10hipError_tPvRmT3_T4_T5_T6_T7_T9_mT8_P12ihipStream_tbDpT10_ENKUlT_T0_E_clISt17integral_constantIbLb1EES1C_IbLb0EEEEDaS18_S19_EUlS18_E_NS1_11comp_targetILNS1_3genE3ELNS1_11target_archE908ELNS1_3gpuE7ELNS1_3repE0EEENS1_30default_config_static_selectorELNS0_4arch9wavefront6targetE0EEEvT1_
		.amdhsa_group_segment_fixed_size 0
		.amdhsa_private_segment_fixed_size 0
		.amdhsa_kernarg_size 128
		.amdhsa_user_sgpr_count 15
		.amdhsa_user_sgpr_dispatch_ptr 0
		.amdhsa_user_sgpr_queue_ptr 0
		.amdhsa_user_sgpr_kernarg_segment_ptr 1
		.amdhsa_user_sgpr_dispatch_id 0
		.amdhsa_user_sgpr_private_segment_size 0
		.amdhsa_wavefront_size32 1
		.amdhsa_uses_dynamic_stack 0
		.amdhsa_enable_private_segment 0
		.amdhsa_system_sgpr_workgroup_id_x 1
		.amdhsa_system_sgpr_workgroup_id_y 0
		.amdhsa_system_sgpr_workgroup_id_z 0
		.amdhsa_system_sgpr_workgroup_info 0
		.amdhsa_system_vgpr_workitem_id 0
		.amdhsa_next_free_vgpr 1
		.amdhsa_next_free_sgpr 1
		.amdhsa_reserve_vcc 0
		.amdhsa_float_round_mode_32 0
		.amdhsa_float_round_mode_16_64 0
		.amdhsa_float_denorm_mode_32 3
		.amdhsa_float_denorm_mode_16_64 3
		.amdhsa_dx10_clamp 1
		.amdhsa_ieee_mode 1
		.amdhsa_fp16_overflow 0
		.amdhsa_workgroup_processor_mode 1
		.amdhsa_memory_ordered 1
		.amdhsa_forward_progress 0
		.amdhsa_shared_vgpr_count 0
		.amdhsa_exception_fp_ieee_invalid_op 0
		.amdhsa_exception_fp_denorm_src 0
		.amdhsa_exception_fp_ieee_div_zero 0
		.amdhsa_exception_fp_ieee_overflow 0
		.amdhsa_exception_fp_ieee_underflow 0
		.amdhsa_exception_fp_ieee_inexact 0
		.amdhsa_exception_int_div_zero 0
	.end_amdhsa_kernel
	.section	.text._ZN7rocprim17ROCPRIM_400000_NS6detail17trampoline_kernelINS0_14default_configENS1_25partition_config_selectorILNS1_17partition_subalgoE9EijbEEZZNS1_14partition_implILS5_9ELb0ES3_jN6thrust23THRUST_200600_302600_NS6detail15normal_iteratorINS9_10device_ptrIiEEEENSB_INSC_IjEEEEPNS0_10empty_typeENS0_5tupleIJNS9_16discard_iteratorINS9_11use_defaultEEESH_EEENSJ_IJSM_SI_EEENS0_18inequality_wrapperINS9_8equal_toIiEEEEPmJSH_EEE10hipError_tPvRmT3_T4_T5_T6_T7_T9_mT8_P12ihipStream_tbDpT10_ENKUlT_T0_E_clISt17integral_constantIbLb1EES1C_IbLb0EEEEDaS18_S19_EUlS18_E_NS1_11comp_targetILNS1_3genE3ELNS1_11target_archE908ELNS1_3gpuE7ELNS1_3repE0EEENS1_30default_config_static_selectorELNS0_4arch9wavefront6targetE0EEEvT1_,"axG",@progbits,_ZN7rocprim17ROCPRIM_400000_NS6detail17trampoline_kernelINS0_14default_configENS1_25partition_config_selectorILNS1_17partition_subalgoE9EijbEEZZNS1_14partition_implILS5_9ELb0ES3_jN6thrust23THRUST_200600_302600_NS6detail15normal_iteratorINS9_10device_ptrIiEEEENSB_INSC_IjEEEEPNS0_10empty_typeENS0_5tupleIJNS9_16discard_iteratorINS9_11use_defaultEEESH_EEENSJ_IJSM_SI_EEENS0_18inequality_wrapperINS9_8equal_toIiEEEEPmJSH_EEE10hipError_tPvRmT3_T4_T5_T6_T7_T9_mT8_P12ihipStream_tbDpT10_ENKUlT_T0_E_clISt17integral_constantIbLb1EES1C_IbLb0EEEEDaS18_S19_EUlS18_E_NS1_11comp_targetILNS1_3genE3ELNS1_11target_archE908ELNS1_3gpuE7ELNS1_3repE0EEENS1_30default_config_static_selectorELNS0_4arch9wavefront6targetE0EEEvT1_,comdat
.Lfunc_end1096:
	.size	_ZN7rocprim17ROCPRIM_400000_NS6detail17trampoline_kernelINS0_14default_configENS1_25partition_config_selectorILNS1_17partition_subalgoE9EijbEEZZNS1_14partition_implILS5_9ELb0ES3_jN6thrust23THRUST_200600_302600_NS6detail15normal_iteratorINS9_10device_ptrIiEEEENSB_INSC_IjEEEEPNS0_10empty_typeENS0_5tupleIJNS9_16discard_iteratorINS9_11use_defaultEEESH_EEENSJ_IJSM_SI_EEENS0_18inequality_wrapperINS9_8equal_toIiEEEEPmJSH_EEE10hipError_tPvRmT3_T4_T5_T6_T7_T9_mT8_P12ihipStream_tbDpT10_ENKUlT_T0_E_clISt17integral_constantIbLb1EES1C_IbLb0EEEEDaS18_S19_EUlS18_E_NS1_11comp_targetILNS1_3genE3ELNS1_11target_archE908ELNS1_3gpuE7ELNS1_3repE0EEENS1_30default_config_static_selectorELNS0_4arch9wavefront6targetE0EEEvT1_, .Lfunc_end1096-_ZN7rocprim17ROCPRIM_400000_NS6detail17trampoline_kernelINS0_14default_configENS1_25partition_config_selectorILNS1_17partition_subalgoE9EijbEEZZNS1_14partition_implILS5_9ELb0ES3_jN6thrust23THRUST_200600_302600_NS6detail15normal_iteratorINS9_10device_ptrIiEEEENSB_INSC_IjEEEEPNS0_10empty_typeENS0_5tupleIJNS9_16discard_iteratorINS9_11use_defaultEEESH_EEENSJ_IJSM_SI_EEENS0_18inequality_wrapperINS9_8equal_toIiEEEEPmJSH_EEE10hipError_tPvRmT3_T4_T5_T6_T7_T9_mT8_P12ihipStream_tbDpT10_ENKUlT_T0_E_clISt17integral_constantIbLb1EES1C_IbLb0EEEEDaS18_S19_EUlS18_E_NS1_11comp_targetILNS1_3genE3ELNS1_11target_archE908ELNS1_3gpuE7ELNS1_3repE0EEENS1_30default_config_static_selectorELNS0_4arch9wavefront6targetE0EEEvT1_
                                        ; -- End function
	.section	.AMDGPU.csdata,"",@progbits
; Kernel info:
; codeLenInByte = 0
; NumSgprs: 0
; NumVgprs: 0
; ScratchSize: 0
; MemoryBound: 0
; FloatMode: 240
; IeeeMode: 1
; LDSByteSize: 0 bytes/workgroup (compile time only)
; SGPRBlocks: 0
; VGPRBlocks: 0
; NumSGPRsForWavesPerEU: 1
; NumVGPRsForWavesPerEU: 1
; Occupancy: 16
; WaveLimiterHint : 0
; COMPUTE_PGM_RSRC2:SCRATCH_EN: 0
; COMPUTE_PGM_RSRC2:USER_SGPR: 15
; COMPUTE_PGM_RSRC2:TRAP_HANDLER: 0
; COMPUTE_PGM_RSRC2:TGID_X_EN: 1
; COMPUTE_PGM_RSRC2:TGID_Y_EN: 0
; COMPUTE_PGM_RSRC2:TGID_Z_EN: 0
; COMPUTE_PGM_RSRC2:TIDIG_COMP_CNT: 0
	.section	.text._ZN7rocprim17ROCPRIM_400000_NS6detail17trampoline_kernelINS0_14default_configENS1_25partition_config_selectorILNS1_17partition_subalgoE9EijbEEZZNS1_14partition_implILS5_9ELb0ES3_jN6thrust23THRUST_200600_302600_NS6detail15normal_iteratorINS9_10device_ptrIiEEEENSB_INSC_IjEEEEPNS0_10empty_typeENS0_5tupleIJNS9_16discard_iteratorINS9_11use_defaultEEESH_EEENSJ_IJSM_SI_EEENS0_18inequality_wrapperINS9_8equal_toIiEEEEPmJSH_EEE10hipError_tPvRmT3_T4_T5_T6_T7_T9_mT8_P12ihipStream_tbDpT10_ENKUlT_T0_E_clISt17integral_constantIbLb1EES1C_IbLb0EEEEDaS18_S19_EUlS18_E_NS1_11comp_targetILNS1_3genE2ELNS1_11target_archE906ELNS1_3gpuE6ELNS1_3repE0EEENS1_30default_config_static_selectorELNS0_4arch9wavefront6targetE0EEEvT1_,"axG",@progbits,_ZN7rocprim17ROCPRIM_400000_NS6detail17trampoline_kernelINS0_14default_configENS1_25partition_config_selectorILNS1_17partition_subalgoE9EijbEEZZNS1_14partition_implILS5_9ELb0ES3_jN6thrust23THRUST_200600_302600_NS6detail15normal_iteratorINS9_10device_ptrIiEEEENSB_INSC_IjEEEEPNS0_10empty_typeENS0_5tupleIJNS9_16discard_iteratorINS9_11use_defaultEEESH_EEENSJ_IJSM_SI_EEENS0_18inequality_wrapperINS9_8equal_toIiEEEEPmJSH_EEE10hipError_tPvRmT3_T4_T5_T6_T7_T9_mT8_P12ihipStream_tbDpT10_ENKUlT_T0_E_clISt17integral_constantIbLb1EES1C_IbLb0EEEEDaS18_S19_EUlS18_E_NS1_11comp_targetILNS1_3genE2ELNS1_11target_archE906ELNS1_3gpuE6ELNS1_3repE0EEENS1_30default_config_static_selectorELNS0_4arch9wavefront6targetE0EEEvT1_,comdat
	.protected	_ZN7rocprim17ROCPRIM_400000_NS6detail17trampoline_kernelINS0_14default_configENS1_25partition_config_selectorILNS1_17partition_subalgoE9EijbEEZZNS1_14partition_implILS5_9ELb0ES3_jN6thrust23THRUST_200600_302600_NS6detail15normal_iteratorINS9_10device_ptrIiEEEENSB_INSC_IjEEEEPNS0_10empty_typeENS0_5tupleIJNS9_16discard_iteratorINS9_11use_defaultEEESH_EEENSJ_IJSM_SI_EEENS0_18inequality_wrapperINS9_8equal_toIiEEEEPmJSH_EEE10hipError_tPvRmT3_T4_T5_T6_T7_T9_mT8_P12ihipStream_tbDpT10_ENKUlT_T0_E_clISt17integral_constantIbLb1EES1C_IbLb0EEEEDaS18_S19_EUlS18_E_NS1_11comp_targetILNS1_3genE2ELNS1_11target_archE906ELNS1_3gpuE6ELNS1_3repE0EEENS1_30default_config_static_selectorELNS0_4arch9wavefront6targetE0EEEvT1_ ; -- Begin function _ZN7rocprim17ROCPRIM_400000_NS6detail17trampoline_kernelINS0_14default_configENS1_25partition_config_selectorILNS1_17partition_subalgoE9EijbEEZZNS1_14partition_implILS5_9ELb0ES3_jN6thrust23THRUST_200600_302600_NS6detail15normal_iteratorINS9_10device_ptrIiEEEENSB_INSC_IjEEEEPNS0_10empty_typeENS0_5tupleIJNS9_16discard_iteratorINS9_11use_defaultEEESH_EEENSJ_IJSM_SI_EEENS0_18inequality_wrapperINS9_8equal_toIiEEEEPmJSH_EEE10hipError_tPvRmT3_T4_T5_T6_T7_T9_mT8_P12ihipStream_tbDpT10_ENKUlT_T0_E_clISt17integral_constantIbLb1EES1C_IbLb0EEEEDaS18_S19_EUlS18_E_NS1_11comp_targetILNS1_3genE2ELNS1_11target_archE906ELNS1_3gpuE6ELNS1_3repE0EEENS1_30default_config_static_selectorELNS0_4arch9wavefront6targetE0EEEvT1_
	.globl	_ZN7rocprim17ROCPRIM_400000_NS6detail17trampoline_kernelINS0_14default_configENS1_25partition_config_selectorILNS1_17partition_subalgoE9EijbEEZZNS1_14partition_implILS5_9ELb0ES3_jN6thrust23THRUST_200600_302600_NS6detail15normal_iteratorINS9_10device_ptrIiEEEENSB_INSC_IjEEEEPNS0_10empty_typeENS0_5tupleIJNS9_16discard_iteratorINS9_11use_defaultEEESH_EEENSJ_IJSM_SI_EEENS0_18inequality_wrapperINS9_8equal_toIiEEEEPmJSH_EEE10hipError_tPvRmT3_T4_T5_T6_T7_T9_mT8_P12ihipStream_tbDpT10_ENKUlT_T0_E_clISt17integral_constantIbLb1EES1C_IbLb0EEEEDaS18_S19_EUlS18_E_NS1_11comp_targetILNS1_3genE2ELNS1_11target_archE906ELNS1_3gpuE6ELNS1_3repE0EEENS1_30default_config_static_selectorELNS0_4arch9wavefront6targetE0EEEvT1_
	.p2align	8
	.type	_ZN7rocprim17ROCPRIM_400000_NS6detail17trampoline_kernelINS0_14default_configENS1_25partition_config_selectorILNS1_17partition_subalgoE9EijbEEZZNS1_14partition_implILS5_9ELb0ES3_jN6thrust23THRUST_200600_302600_NS6detail15normal_iteratorINS9_10device_ptrIiEEEENSB_INSC_IjEEEEPNS0_10empty_typeENS0_5tupleIJNS9_16discard_iteratorINS9_11use_defaultEEESH_EEENSJ_IJSM_SI_EEENS0_18inequality_wrapperINS9_8equal_toIiEEEEPmJSH_EEE10hipError_tPvRmT3_T4_T5_T6_T7_T9_mT8_P12ihipStream_tbDpT10_ENKUlT_T0_E_clISt17integral_constantIbLb1EES1C_IbLb0EEEEDaS18_S19_EUlS18_E_NS1_11comp_targetILNS1_3genE2ELNS1_11target_archE906ELNS1_3gpuE6ELNS1_3repE0EEENS1_30default_config_static_selectorELNS0_4arch9wavefront6targetE0EEEvT1_,@function
_ZN7rocprim17ROCPRIM_400000_NS6detail17trampoline_kernelINS0_14default_configENS1_25partition_config_selectorILNS1_17partition_subalgoE9EijbEEZZNS1_14partition_implILS5_9ELb0ES3_jN6thrust23THRUST_200600_302600_NS6detail15normal_iteratorINS9_10device_ptrIiEEEENSB_INSC_IjEEEEPNS0_10empty_typeENS0_5tupleIJNS9_16discard_iteratorINS9_11use_defaultEEESH_EEENSJ_IJSM_SI_EEENS0_18inequality_wrapperINS9_8equal_toIiEEEEPmJSH_EEE10hipError_tPvRmT3_T4_T5_T6_T7_T9_mT8_P12ihipStream_tbDpT10_ENKUlT_T0_E_clISt17integral_constantIbLb1EES1C_IbLb0EEEEDaS18_S19_EUlS18_E_NS1_11comp_targetILNS1_3genE2ELNS1_11target_archE906ELNS1_3gpuE6ELNS1_3repE0EEENS1_30default_config_static_selectorELNS0_4arch9wavefront6targetE0EEEvT1_: ; @_ZN7rocprim17ROCPRIM_400000_NS6detail17trampoline_kernelINS0_14default_configENS1_25partition_config_selectorILNS1_17partition_subalgoE9EijbEEZZNS1_14partition_implILS5_9ELb0ES3_jN6thrust23THRUST_200600_302600_NS6detail15normal_iteratorINS9_10device_ptrIiEEEENSB_INSC_IjEEEEPNS0_10empty_typeENS0_5tupleIJNS9_16discard_iteratorINS9_11use_defaultEEESH_EEENSJ_IJSM_SI_EEENS0_18inequality_wrapperINS9_8equal_toIiEEEEPmJSH_EEE10hipError_tPvRmT3_T4_T5_T6_T7_T9_mT8_P12ihipStream_tbDpT10_ENKUlT_T0_E_clISt17integral_constantIbLb1EES1C_IbLb0EEEEDaS18_S19_EUlS18_E_NS1_11comp_targetILNS1_3genE2ELNS1_11target_archE906ELNS1_3gpuE6ELNS1_3repE0EEENS1_30default_config_static_selectorELNS0_4arch9wavefront6targetE0EEEvT1_
; %bb.0:
	.section	.rodata,"a",@progbits
	.p2align	6, 0x0
	.amdhsa_kernel _ZN7rocprim17ROCPRIM_400000_NS6detail17trampoline_kernelINS0_14default_configENS1_25partition_config_selectorILNS1_17partition_subalgoE9EijbEEZZNS1_14partition_implILS5_9ELb0ES3_jN6thrust23THRUST_200600_302600_NS6detail15normal_iteratorINS9_10device_ptrIiEEEENSB_INSC_IjEEEEPNS0_10empty_typeENS0_5tupleIJNS9_16discard_iteratorINS9_11use_defaultEEESH_EEENSJ_IJSM_SI_EEENS0_18inequality_wrapperINS9_8equal_toIiEEEEPmJSH_EEE10hipError_tPvRmT3_T4_T5_T6_T7_T9_mT8_P12ihipStream_tbDpT10_ENKUlT_T0_E_clISt17integral_constantIbLb1EES1C_IbLb0EEEEDaS18_S19_EUlS18_E_NS1_11comp_targetILNS1_3genE2ELNS1_11target_archE906ELNS1_3gpuE6ELNS1_3repE0EEENS1_30default_config_static_selectorELNS0_4arch9wavefront6targetE0EEEvT1_
		.amdhsa_group_segment_fixed_size 0
		.amdhsa_private_segment_fixed_size 0
		.amdhsa_kernarg_size 128
		.amdhsa_user_sgpr_count 15
		.amdhsa_user_sgpr_dispatch_ptr 0
		.amdhsa_user_sgpr_queue_ptr 0
		.amdhsa_user_sgpr_kernarg_segment_ptr 1
		.amdhsa_user_sgpr_dispatch_id 0
		.amdhsa_user_sgpr_private_segment_size 0
		.amdhsa_wavefront_size32 1
		.amdhsa_uses_dynamic_stack 0
		.amdhsa_enable_private_segment 0
		.amdhsa_system_sgpr_workgroup_id_x 1
		.amdhsa_system_sgpr_workgroup_id_y 0
		.amdhsa_system_sgpr_workgroup_id_z 0
		.amdhsa_system_sgpr_workgroup_info 0
		.amdhsa_system_vgpr_workitem_id 0
		.amdhsa_next_free_vgpr 1
		.amdhsa_next_free_sgpr 1
		.amdhsa_reserve_vcc 0
		.amdhsa_float_round_mode_32 0
		.amdhsa_float_round_mode_16_64 0
		.amdhsa_float_denorm_mode_32 3
		.amdhsa_float_denorm_mode_16_64 3
		.amdhsa_dx10_clamp 1
		.amdhsa_ieee_mode 1
		.amdhsa_fp16_overflow 0
		.amdhsa_workgroup_processor_mode 1
		.amdhsa_memory_ordered 1
		.amdhsa_forward_progress 0
		.amdhsa_shared_vgpr_count 0
		.amdhsa_exception_fp_ieee_invalid_op 0
		.amdhsa_exception_fp_denorm_src 0
		.amdhsa_exception_fp_ieee_div_zero 0
		.amdhsa_exception_fp_ieee_overflow 0
		.amdhsa_exception_fp_ieee_underflow 0
		.amdhsa_exception_fp_ieee_inexact 0
		.amdhsa_exception_int_div_zero 0
	.end_amdhsa_kernel
	.section	.text._ZN7rocprim17ROCPRIM_400000_NS6detail17trampoline_kernelINS0_14default_configENS1_25partition_config_selectorILNS1_17partition_subalgoE9EijbEEZZNS1_14partition_implILS5_9ELb0ES3_jN6thrust23THRUST_200600_302600_NS6detail15normal_iteratorINS9_10device_ptrIiEEEENSB_INSC_IjEEEEPNS0_10empty_typeENS0_5tupleIJNS9_16discard_iteratorINS9_11use_defaultEEESH_EEENSJ_IJSM_SI_EEENS0_18inequality_wrapperINS9_8equal_toIiEEEEPmJSH_EEE10hipError_tPvRmT3_T4_T5_T6_T7_T9_mT8_P12ihipStream_tbDpT10_ENKUlT_T0_E_clISt17integral_constantIbLb1EES1C_IbLb0EEEEDaS18_S19_EUlS18_E_NS1_11comp_targetILNS1_3genE2ELNS1_11target_archE906ELNS1_3gpuE6ELNS1_3repE0EEENS1_30default_config_static_selectorELNS0_4arch9wavefront6targetE0EEEvT1_,"axG",@progbits,_ZN7rocprim17ROCPRIM_400000_NS6detail17trampoline_kernelINS0_14default_configENS1_25partition_config_selectorILNS1_17partition_subalgoE9EijbEEZZNS1_14partition_implILS5_9ELb0ES3_jN6thrust23THRUST_200600_302600_NS6detail15normal_iteratorINS9_10device_ptrIiEEEENSB_INSC_IjEEEEPNS0_10empty_typeENS0_5tupleIJNS9_16discard_iteratorINS9_11use_defaultEEESH_EEENSJ_IJSM_SI_EEENS0_18inequality_wrapperINS9_8equal_toIiEEEEPmJSH_EEE10hipError_tPvRmT3_T4_T5_T6_T7_T9_mT8_P12ihipStream_tbDpT10_ENKUlT_T0_E_clISt17integral_constantIbLb1EES1C_IbLb0EEEEDaS18_S19_EUlS18_E_NS1_11comp_targetILNS1_3genE2ELNS1_11target_archE906ELNS1_3gpuE6ELNS1_3repE0EEENS1_30default_config_static_selectorELNS0_4arch9wavefront6targetE0EEEvT1_,comdat
.Lfunc_end1097:
	.size	_ZN7rocprim17ROCPRIM_400000_NS6detail17trampoline_kernelINS0_14default_configENS1_25partition_config_selectorILNS1_17partition_subalgoE9EijbEEZZNS1_14partition_implILS5_9ELb0ES3_jN6thrust23THRUST_200600_302600_NS6detail15normal_iteratorINS9_10device_ptrIiEEEENSB_INSC_IjEEEEPNS0_10empty_typeENS0_5tupleIJNS9_16discard_iteratorINS9_11use_defaultEEESH_EEENSJ_IJSM_SI_EEENS0_18inequality_wrapperINS9_8equal_toIiEEEEPmJSH_EEE10hipError_tPvRmT3_T4_T5_T6_T7_T9_mT8_P12ihipStream_tbDpT10_ENKUlT_T0_E_clISt17integral_constantIbLb1EES1C_IbLb0EEEEDaS18_S19_EUlS18_E_NS1_11comp_targetILNS1_3genE2ELNS1_11target_archE906ELNS1_3gpuE6ELNS1_3repE0EEENS1_30default_config_static_selectorELNS0_4arch9wavefront6targetE0EEEvT1_, .Lfunc_end1097-_ZN7rocprim17ROCPRIM_400000_NS6detail17trampoline_kernelINS0_14default_configENS1_25partition_config_selectorILNS1_17partition_subalgoE9EijbEEZZNS1_14partition_implILS5_9ELb0ES3_jN6thrust23THRUST_200600_302600_NS6detail15normal_iteratorINS9_10device_ptrIiEEEENSB_INSC_IjEEEEPNS0_10empty_typeENS0_5tupleIJNS9_16discard_iteratorINS9_11use_defaultEEESH_EEENSJ_IJSM_SI_EEENS0_18inequality_wrapperINS9_8equal_toIiEEEEPmJSH_EEE10hipError_tPvRmT3_T4_T5_T6_T7_T9_mT8_P12ihipStream_tbDpT10_ENKUlT_T0_E_clISt17integral_constantIbLb1EES1C_IbLb0EEEEDaS18_S19_EUlS18_E_NS1_11comp_targetILNS1_3genE2ELNS1_11target_archE906ELNS1_3gpuE6ELNS1_3repE0EEENS1_30default_config_static_selectorELNS0_4arch9wavefront6targetE0EEEvT1_
                                        ; -- End function
	.section	.AMDGPU.csdata,"",@progbits
; Kernel info:
; codeLenInByte = 0
; NumSgprs: 0
; NumVgprs: 0
; ScratchSize: 0
; MemoryBound: 0
; FloatMode: 240
; IeeeMode: 1
; LDSByteSize: 0 bytes/workgroup (compile time only)
; SGPRBlocks: 0
; VGPRBlocks: 0
; NumSGPRsForWavesPerEU: 1
; NumVGPRsForWavesPerEU: 1
; Occupancy: 16
; WaveLimiterHint : 0
; COMPUTE_PGM_RSRC2:SCRATCH_EN: 0
; COMPUTE_PGM_RSRC2:USER_SGPR: 15
; COMPUTE_PGM_RSRC2:TRAP_HANDLER: 0
; COMPUTE_PGM_RSRC2:TGID_X_EN: 1
; COMPUTE_PGM_RSRC2:TGID_Y_EN: 0
; COMPUTE_PGM_RSRC2:TGID_Z_EN: 0
; COMPUTE_PGM_RSRC2:TIDIG_COMP_CNT: 0
	.section	.text._ZN7rocprim17ROCPRIM_400000_NS6detail17trampoline_kernelINS0_14default_configENS1_25partition_config_selectorILNS1_17partition_subalgoE9EijbEEZZNS1_14partition_implILS5_9ELb0ES3_jN6thrust23THRUST_200600_302600_NS6detail15normal_iteratorINS9_10device_ptrIiEEEENSB_INSC_IjEEEEPNS0_10empty_typeENS0_5tupleIJNS9_16discard_iteratorINS9_11use_defaultEEESH_EEENSJ_IJSM_SI_EEENS0_18inequality_wrapperINS9_8equal_toIiEEEEPmJSH_EEE10hipError_tPvRmT3_T4_T5_T6_T7_T9_mT8_P12ihipStream_tbDpT10_ENKUlT_T0_E_clISt17integral_constantIbLb1EES1C_IbLb0EEEEDaS18_S19_EUlS18_E_NS1_11comp_targetILNS1_3genE10ELNS1_11target_archE1200ELNS1_3gpuE4ELNS1_3repE0EEENS1_30default_config_static_selectorELNS0_4arch9wavefront6targetE0EEEvT1_,"axG",@progbits,_ZN7rocprim17ROCPRIM_400000_NS6detail17trampoline_kernelINS0_14default_configENS1_25partition_config_selectorILNS1_17partition_subalgoE9EijbEEZZNS1_14partition_implILS5_9ELb0ES3_jN6thrust23THRUST_200600_302600_NS6detail15normal_iteratorINS9_10device_ptrIiEEEENSB_INSC_IjEEEEPNS0_10empty_typeENS0_5tupleIJNS9_16discard_iteratorINS9_11use_defaultEEESH_EEENSJ_IJSM_SI_EEENS0_18inequality_wrapperINS9_8equal_toIiEEEEPmJSH_EEE10hipError_tPvRmT3_T4_T5_T6_T7_T9_mT8_P12ihipStream_tbDpT10_ENKUlT_T0_E_clISt17integral_constantIbLb1EES1C_IbLb0EEEEDaS18_S19_EUlS18_E_NS1_11comp_targetILNS1_3genE10ELNS1_11target_archE1200ELNS1_3gpuE4ELNS1_3repE0EEENS1_30default_config_static_selectorELNS0_4arch9wavefront6targetE0EEEvT1_,comdat
	.protected	_ZN7rocprim17ROCPRIM_400000_NS6detail17trampoline_kernelINS0_14default_configENS1_25partition_config_selectorILNS1_17partition_subalgoE9EijbEEZZNS1_14partition_implILS5_9ELb0ES3_jN6thrust23THRUST_200600_302600_NS6detail15normal_iteratorINS9_10device_ptrIiEEEENSB_INSC_IjEEEEPNS0_10empty_typeENS0_5tupleIJNS9_16discard_iteratorINS9_11use_defaultEEESH_EEENSJ_IJSM_SI_EEENS0_18inequality_wrapperINS9_8equal_toIiEEEEPmJSH_EEE10hipError_tPvRmT3_T4_T5_T6_T7_T9_mT8_P12ihipStream_tbDpT10_ENKUlT_T0_E_clISt17integral_constantIbLb1EES1C_IbLb0EEEEDaS18_S19_EUlS18_E_NS1_11comp_targetILNS1_3genE10ELNS1_11target_archE1200ELNS1_3gpuE4ELNS1_3repE0EEENS1_30default_config_static_selectorELNS0_4arch9wavefront6targetE0EEEvT1_ ; -- Begin function _ZN7rocprim17ROCPRIM_400000_NS6detail17trampoline_kernelINS0_14default_configENS1_25partition_config_selectorILNS1_17partition_subalgoE9EijbEEZZNS1_14partition_implILS5_9ELb0ES3_jN6thrust23THRUST_200600_302600_NS6detail15normal_iteratorINS9_10device_ptrIiEEEENSB_INSC_IjEEEEPNS0_10empty_typeENS0_5tupleIJNS9_16discard_iteratorINS9_11use_defaultEEESH_EEENSJ_IJSM_SI_EEENS0_18inequality_wrapperINS9_8equal_toIiEEEEPmJSH_EEE10hipError_tPvRmT3_T4_T5_T6_T7_T9_mT8_P12ihipStream_tbDpT10_ENKUlT_T0_E_clISt17integral_constantIbLb1EES1C_IbLb0EEEEDaS18_S19_EUlS18_E_NS1_11comp_targetILNS1_3genE10ELNS1_11target_archE1200ELNS1_3gpuE4ELNS1_3repE0EEENS1_30default_config_static_selectorELNS0_4arch9wavefront6targetE0EEEvT1_
	.globl	_ZN7rocprim17ROCPRIM_400000_NS6detail17trampoline_kernelINS0_14default_configENS1_25partition_config_selectorILNS1_17partition_subalgoE9EijbEEZZNS1_14partition_implILS5_9ELb0ES3_jN6thrust23THRUST_200600_302600_NS6detail15normal_iteratorINS9_10device_ptrIiEEEENSB_INSC_IjEEEEPNS0_10empty_typeENS0_5tupleIJNS9_16discard_iteratorINS9_11use_defaultEEESH_EEENSJ_IJSM_SI_EEENS0_18inequality_wrapperINS9_8equal_toIiEEEEPmJSH_EEE10hipError_tPvRmT3_T4_T5_T6_T7_T9_mT8_P12ihipStream_tbDpT10_ENKUlT_T0_E_clISt17integral_constantIbLb1EES1C_IbLb0EEEEDaS18_S19_EUlS18_E_NS1_11comp_targetILNS1_3genE10ELNS1_11target_archE1200ELNS1_3gpuE4ELNS1_3repE0EEENS1_30default_config_static_selectorELNS0_4arch9wavefront6targetE0EEEvT1_
	.p2align	8
	.type	_ZN7rocprim17ROCPRIM_400000_NS6detail17trampoline_kernelINS0_14default_configENS1_25partition_config_selectorILNS1_17partition_subalgoE9EijbEEZZNS1_14partition_implILS5_9ELb0ES3_jN6thrust23THRUST_200600_302600_NS6detail15normal_iteratorINS9_10device_ptrIiEEEENSB_INSC_IjEEEEPNS0_10empty_typeENS0_5tupleIJNS9_16discard_iteratorINS9_11use_defaultEEESH_EEENSJ_IJSM_SI_EEENS0_18inequality_wrapperINS9_8equal_toIiEEEEPmJSH_EEE10hipError_tPvRmT3_T4_T5_T6_T7_T9_mT8_P12ihipStream_tbDpT10_ENKUlT_T0_E_clISt17integral_constantIbLb1EES1C_IbLb0EEEEDaS18_S19_EUlS18_E_NS1_11comp_targetILNS1_3genE10ELNS1_11target_archE1200ELNS1_3gpuE4ELNS1_3repE0EEENS1_30default_config_static_selectorELNS0_4arch9wavefront6targetE0EEEvT1_,@function
_ZN7rocprim17ROCPRIM_400000_NS6detail17trampoline_kernelINS0_14default_configENS1_25partition_config_selectorILNS1_17partition_subalgoE9EijbEEZZNS1_14partition_implILS5_9ELb0ES3_jN6thrust23THRUST_200600_302600_NS6detail15normal_iteratorINS9_10device_ptrIiEEEENSB_INSC_IjEEEEPNS0_10empty_typeENS0_5tupleIJNS9_16discard_iteratorINS9_11use_defaultEEESH_EEENSJ_IJSM_SI_EEENS0_18inequality_wrapperINS9_8equal_toIiEEEEPmJSH_EEE10hipError_tPvRmT3_T4_T5_T6_T7_T9_mT8_P12ihipStream_tbDpT10_ENKUlT_T0_E_clISt17integral_constantIbLb1EES1C_IbLb0EEEEDaS18_S19_EUlS18_E_NS1_11comp_targetILNS1_3genE10ELNS1_11target_archE1200ELNS1_3gpuE4ELNS1_3repE0EEENS1_30default_config_static_selectorELNS0_4arch9wavefront6targetE0EEEvT1_: ; @_ZN7rocprim17ROCPRIM_400000_NS6detail17trampoline_kernelINS0_14default_configENS1_25partition_config_selectorILNS1_17partition_subalgoE9EijbEEZZNS1_14partition_implILS5_9ELb0ES3_jN6thrust23THRUST_200600_302600_NS6detail15normal_iteratorINS9_10device_ptrIiEEEENSB_INSC_IjEEEEPNS0_10empty_typeENS0_5tupleIJNS9_16discard_iteratorINS9_11use_defaultEEESH_EEENSJ_IJSM_SI_EEENS0_18inequality_wrapperINS9_8equal_toIiEEEEPmJSH_EEE10hipError_tPvRmT3_T4_T5_T6_T7_T9_mT8_P12ihipStream_tbDpT10_ENKUlT_T0_E_clISt17integral_constantIbLb1EES1C_IbLb0EEEEDaS18_S19_EUlS18_E_NS1_11comp_targetILNS1_3genE10ELNS1_11target_archE1200ELNS1_3gpuE4ELNS1_3repE0EEENS1_30default_config_static_selectorELNS0_4arch9wavefront6targetE0EEEvT1_
; %bb.0:
	.section	.rodata,"a",@progbits
	.p2align	6, 0x0
	.amdhsa_kernel _ZN7rocprim17ROCPRIM_400000_NS6detail17trampoline_kernelINS0_14default_configENS1_25partition_config_selectorILNS1_17partition_subalgoE9EijbEEZZNS1_14partition_implILS5_9ELb0ES3_jN6thrust23THRUST_200600_302600_NS6detail15normal_iteratorINS9_10device_ptrIiEEEENSB_INSC_IjEEEEPNS0_10empty_typeENS0_5tupleIJNS9_16discard_iteratorINS9_11use_defaultEEESH_EEENSJ_IJSM_SI_EEENS0_18inequality_wrapperINS9_8equal_toIiEEEEPmJSH_EEE10hipError_tPvRmT3_T4_T5_T6_T7_T9_mT8_P12ihipStream_tbDpT10_ENKUlT_T0_E_clISt17integral_constantIbLb1EES1C_IbLb0EEEEDaS18_S19_EUlS18_E_NS1_11comp_targetILNS1_3genE10ELNS1_11target_archE1200ELNS1_3gpuE4ELNS1_3repE0EEENS1_30default_config_static_selectorELNS0_4arch9wavefront6targetE0EEEvT1_
		.amdhsa_group_segment_fixed_size 0
		.amdhsa_private_segment_fixed_size 0
		.amdhsa_kernarg_size 128
		.amdhsa_user_sgpr_count 15
		.amdhsa_user_sgpr_dispatch_ptr 0
		.amdhsa_user_sgpr_queue_ptr 0
		.amdhsa_user_sgpr_kernarg_segment_ptr 1
		.amdhsa_user_sgpr_dispatch_id 0
		.amdhsa_user_sgpr_private_segment_size 0
		.amdhsa_wavefront_size32 1
		.amdhsa_uses_dynamic_stack 0
		.amdhsa_enable_private_segment 0
		.amdhsa_system_sgpr_workgroup_id_x 1
		.amdhsa_system_sgpr_workgroup_id_y 0
		.amdhsa_system_sgpr_workgroup_id_z 0
		.amdhsa_system_sgpr_workgroup_info 0
		.amdhsa_system_vgpr_workitem_id 0
		.amdhsa_next_free_vgpr 1
		.amdhsa_next_free_sgpr 1
		.amdhsa_reserve_vcc 0
		.amdhsa_float_round_mode_32 0
		.amdhsa_float_round_mode_16_64 0
		.amdhsa_float_denorm_mode_32 3
		.amdhsa_float_denorm_mode_16_64 3
		.amdhsa_dx10_clamp 1
		.amdhsa_ieee_mode 1
		.amdhsa_fp16_overflow 0
		.amdhsa_workgroup_processor_mode 1
		.amdhsa_memory_ordered 1
		.amdhsa_forward_progress 0
		.amdhsa_shared_vgpr_count 0
		.amdhsa_exception_fp_ieee_invalid_op 0
		.amdhsa_exception_fp_denorm_src 0
		.amdhsa_exception_fp_ieee_div_zero 0
		.amdhsa_exception_fp_ieee_overflow 0
		.amdhsa_exception_fp_ieee_underflow 0
		.amdhsa_exception_fp_ieee_inexact 0
		.amdhsa_exception_int_div_zero 0
	.end_amdhsa_kernel
	.section	.text._ZN7rocprim17ROCPRIM_400000_NS6detail17trampoline_kernelINS0_14default_configENS1_25partition_config_selectorILNS1_17partition_subalgoE9EijbEEZZNS1_14partition_implILS5_9ELb0ES3_jN6thrust23THRUST_200600_302600_NS6detail15normal_iteratorINS9_10device_ptrIiEEEENSB_INSC_IjEEEEPNS0_10empty_typeENS0_5tupleIJNS9_16discard_iteratorINS9_11use_defaultEEESH_EEENSJ_IJSM_SI_EEENS0_18inequality_wrapperINS9_8equal_toIiEEEEPmJSH_EEE10hipError_tPvRmT3_T4_T5_T6_T7_T9_mT8_P12ihipStream_tbDpT10_ENKUlT_T0_E_clISt17integral_constantIbLb1EES1C_IbLb0EEEEDaS18_S19_EUlS18_E_NS1_11comp_targetILNS1_3genE10ELNS1_11target_archE1200ELNS1_3gpuE4ELNS1_3repE0EEENS1_30default_config_static_selectorELNS0_4arch9wavefront6targetE0EEEvT1_,"axG",@progbits,_ZN7rocprim17ROCPRIM_400000_NS6detail17trampoline_kernelINS0_14default_configENS1_25partition_config_selectorILNS1_17partition_subalgoE9EijbEEZZNS1_14partition_implILS5_9ELb0ES3_jN6thrust23THRUST_200600_302600_NS6detail15normal_iteratorINS9_10device_ptrIiEEEENSB_INSC_IjEEEEPNS0_10empty_typeENS0_5tupleIJNS9_16discard_iteratorINS9_11use_defaultEEESH_EEENSJ_IJSM_SI_EEENS0_18inequality_wrapperINS9_8equal_toIiEEEEPmJSH_EEE10hipError_tPvRmT3_T4_T5_T6_T7_T9_mT8_P12ihipStream_tbDpT10_ENKUlT_T0_E_clISt17integral_constantIbLb1EES1C_IbLb0EEEEDaS18_S19_EUlS18_E_NS1_11comp_targetILNS1_3genE10ELNS1_11target_archE1200ELNS1_3gpuE4ELNS1_3repE0EEENS1_30default_config_static_selectorELNS0_4arch9wavefront6targetE0EEEvT1_,comdat
.Lfunc_end1098:
	.size	_ZN7rocprim17ROCPRIM_400000_NS6detail17trampoline_kernelINS0_14default_configENS1_25partition_config_selectorILNS1_17partition_subalgoE9EijbEEZZNS1_14partition_implILS5_9ELb0ES3_jN6thrust23THRUST_200600_302600_NS6detail15normal_iteratorINS9_10device_ptrIiEEEENSB_INSC_IjEEEEPNS0_10empty_typeENS0_5tupleIJNS9_16discard_iteratorINS9_11use_defaultEEESH_EEENSJ_IJSM_SI_EEENS0_18inequality_wrapperINS9_8equal_toIiEEEEPmJSH_EEE10hipError_tPvRmT3_T4_T5_T6_T7_T9_mT8_P12ihipStream_tbDpT10_ENKUlT_T0_E_clISt17integral_constantIbLb1EES1C_IbLb0EEEEDaS18_S19_EUlS18_E_NS1_11comp_targetILNS1_3genE10ELNS1_11target_archE1200ELNS1_3gpuE4ELNS1_3repE0EEENS1_30default_config_static_selectorELNS0_4arch9wavefront6targetE0EEEvT1_, .Lfunc_end1098-_ZN7rocprim17ROCPRIM_400000_NS6detail17trampoline_kernelINS0_14default_configENS1_25partition_config_selectorILNS1_17partition_subalgoE9EijbEEZZNS1_14partition_implILS5_9ELb0ES3_jN6thrust23THRUST_200600_302600_NS6detail15normal_iteratorINS9_10device_ptrIiEEEENSB_INSC_IjEEEEPNS0_10empty_typeENS0_5tupleIJNS9_16discard_iteratorINS9_11use_defaultEEESH_EEENSJ_IJSM_SI_EEENS0_18inequality_wrapperINS9_8equal_toIiEEEEPmJSH_EEE10hipError_tPvRmT3_T4_T5_T6_T7_T9_mT8_P12ihipStream_tbDpT10_ENKUlT_T0_E_clISt17integral_constantIbLb1EES1C_IbLb0EEEEDaS18_S19_EUlS18_E_NS1_11comp_targetILNS1_3genE10ELNS1_11target_archE1200ELNS1_3gpuE4ELNS1_3repE0EEENS1_30default_config_static_selectorELNS0_4arch9wavefront6targetE0EEEvT1_
                                        ; -- End function
	.section	.AMDGPU.csdata,"",@progbits
; Kernel info:
; codeLenInByte = 0
; NumSgprs: 0
; NumVgprs: 0
; ScratchSize: 0
; MemoryBound: 0
; FloatMode: 240
; IeeeMode: 1
; LDSByteSize: 0 bytes/workgroup (compile time only)
; SGPRBlocks: 0
; VGPRBlocks: 0
; NumSGPRsForWavesPerEU: 1
; NumVGPRsForWavesPerEU: 1
; Occupancy: 15
; WaveLimiterHint : 0
; COMPUTE_PGM_RSRC2:SCRATCH_EN: 0
; COMPUTE_PGM_RSRC2:USER_SGPR: 15
; COMPUTE_PGM_RSRC2:TRAP_HANDLER: 0
; COMPUTE_PGM_RSRC2:TGID_X_EN: 1
; COMPUTE_PGM_RSRC2:TGID_Y_EN: 0
; COMPUTE_PGM_RSRC2:TGID_Z_EN: 0
; COMPUTE_PGM_RSRC2:TIDIG_COMP_CNT: 0
	.section	.text._ZN7rocprim17ROCPRIM_400000_NS6detail17trampoline_kernelINS0_14default_configENS1_25partition_config_selectorILNS1_17partition_subalgoE9EijbEEZZNS1_14partition_implILS5_9ELb0ES3_jN6thrust23THRUST_200600_302600_NS6detail15normal_iteratorINS9_10device_ptrIiEEEENSB_INSC_IjEEEEPNS0_10empty_typeENS0_5tupleIJNS9_16discard_iteratorINS9_11use_defaultEEESH_EEENSJ_IJSM_SI_EEENS0_18inequality_wrapperINS9_8equal_toIiEEEEPmJSH_EEE10hipError_tPvRmT3_T4_T5_T6_T7_T9_mT8_P12ihipStream_tbDpT10_ENKUlT_T0_E_clISt17integral_constantIbLb1EES1C_IbLb0EEEEDaS18_S19_EUlS18_E_NS1_11comp_targetILNS1_3genE9ELNS1_11target_archE1100ELNS1_3gpuE3ELNS1_3repE0EEENS1_30default_config_static_selectorELNS0_4arch9wavefront6targetE0EEEvT1_,"axG",@progbits,_ZN7rocprim17ROCPRIM_400000_NS6detail17trampoline_kernelINS0_14default_configENS1_25partition_config_selectorILNS1_17partition_subalgoE9EijbEEZZNS1_14partition_implILS5_9ELb0ES3_jN6thrust23THRUST_200600_302600_NS6detail15normal_iteratorINS9_10device_ptrIiEEEENSB_INSC_IjEEEEPNS0_10empty_typeENS0_5tupleIJNS9_16discard_iteratorINS9_11use_defaultEEESH_EEENSJ_IJSM_SI_EEENS0_18inequality_wrapperINS9_8equal_toIiEEEEPmJSH_EEE10hipError_tPvRmT3_T4_T5_T6_T7_T9_mT8_P12ihipStream_tbDpT10_ENKUlT_T0_E_clISt17integral_constantIbLb1EES1C_IbLb0EEEEDaS18_S19_EUlS18_E_NS1_11comp_targetILNS1_3genE9ELNS1_11target_archE1100ELNS1_3gpuE3ELNS1_3repE0EEENS1_30default_config_static_selectorELNS0_4arch9wavefront6targetE0EEEvT1_,comdat
	.protected	_ZN7rocprim17ROCPRIM_400000_NS6detail17trampoline_kernelINS0_14default_configENS1_25partition_config_selectorILNS1_17partition_subalgoE9EijbEEZZNS1_14partition_implILS5_9ELb0ES3_jN6thrust23THRUST_200600_302600_NS6detail15normal_iteratorINS9_10device_ptrIiEEEENSB_INSC_IjEEEEPNS0_10empty_typeENS0_5tupleIJNS9_16discard_iteratorINS9_11use_defaultEEESH_EEENSJ_IJSM_SI_EEENS0_18inequality_wrapperINS9_8equal_toIiEEEEPmJSH_EEE10hipError_tPvRmT3_T4_T5_T6_T7_T9_mT8_P12ihipStream_tbDpT10_ENKUlT_T0_E_clISt17integral_constantIbLb1EES1C_IbLb0EEEEDaS18_S19_EUlS18_E_NS1_11comp_targetILNS1_3genE9ELNS1_11target_archE1100ELNS1_3gpuE3ELNS1_3repE0EEENS1_30default_config_static_selectorELNS0_4arch9wavefront6targetE0EEEvT1_ ; -- Begin function _ZN7rocprim17ROCPRIM_400000_NS6detail17trampoline_kernelINS0_14default_configENS1_25partition_config_selectorILNS1_17partition_subalgoE9EijbEEZZNS1_14partition_implILS5_9ELb0ES3_jN6thrust23THRUST_200600_302600_NS6detail15normal_iteratorINS9_10device_ptrIiEEEENSB_INSC_IjEEEEPNS0_10empty_typeENS0_5tupleIJNS9_16discard_iteratorINS9_11use_defaultEEESH_EEENSJ_IJSM_SI_EEENS0_18inequality_wrapperINS9_8equal_toIiEEEEPmJSH_EEE10hipError_tPvRmT3_T4_T5_T6_T7_T9_mT8_P12ihipStream_tbDpT10_ENKUlT_T0_E_clISt17integral_constantIbLb1EES1C_IbLb0EEEEDaS18_S19_EUlS18_E_NS1_11comp_targetILNS1_3genE9ELNS1_11target_archE1100ELNS1_3gpuE3ELNS1_3repE0EEENS1_30default_config_static_selectorELNS0_4arch9wavefront6targetE0EEEvT1_
	.globl	_ZN7rocprim17ROCPRIM_400000_NS6detail17trampoline_kernelINS0_14default_configENS1_25partition_config_selectorILNS1_17partition_subalgoE9EijbEEZZNS1_14partition_implILS5_9ELb0ES3_jN6thrust23THRUST_200600_302600_NS6detail15normal_iteratorINS9_10device_ptrIiEEEENSB_INSC_IjEEEEPNS0_10empty_typeENS0_5tupleIJNS9_16discard_iteratorINS9_11use_defaultEEESH_EEENSJ_IJSM_SI_EEENS0_18inequality_wrapperINS9_8equal_toIiEEEEPmJSH_EEE10hipError_tPvRmT3_T4_T5_T6_T7_T9_mT8_P12ihipStream_tbDpT10_ENKUlT_T0_E_clISt17integral_constantIbLb1EES1C_IbLb0EEEEDaS18_S19_EUlS18_E_NS1_11comp_targetILNS1_3genE9ELNS1_11target_archE1100ELNS1_3gpuE3ELNS1_3repE0EEENS1_30default_config_static_selectorELNS0_4arch9wavefront6targetE0EEEvT1_
	.p2align	8
	.type	_ZN7rocprim17ROCPRIM_400000_NS6detail17trampoline_kernelINS0_14default_configENS1_25partition_config_selectorILNS1_17partition_subalgoE9EijbEEZZNS1_14partition_implILS5_9ELb0ES3_jN6thrust23THRUST_200600_302600_NS6detail15normal_iteratorINS9_10device_ptrIiEEEENSB_INSC_IjEEEEPNS0_10empty_typeENS0_5tupleIJNS9_16discard_iteratorINS9_11use_defaultEEESH_EEENSJ_IJSM_SI_EEENS0_18inequality_wrapperINS9_8equal_toIiEEEEPmJSH_EEE10hipError_tPvRmT3_T4_T5_T6_T7_T9_mT8_P12ihipStream_tbDpT10_ENKUlT_T0_E_clISt17integral_constantIbLb1EES1C_IbLb0EEEEDaS18_S19_EUlS18_E_NS1_11comp_targetILNS1_3genE9ELNS1_11target_archE1100ELNS1_3gpuE3ELNS1_3repE0EEENS1_30default_config_static_selectorELNS0_4arch9wavefront6targetE0EEEvT1_,@function
_ZN7rocprim17ROCPRIM_400000_NS6detail17trampoline_kernelINS0_14default_configENS1_25partition_config_selectorILNS1_17partition_subalgoE9EijbEEZZNS1_14partition_implILS5_9ELb0ES3_jN6thrust23THRUST_200600_302600_NS6detail15normal_iteratorINS9_10device_ptrIiEEEENSB_INSC_IjEEEEPNS0_10empty_typeENS0_5tupleIJNS9_16discard_iteratorINS9_11use_defaultEEESH_EEENSJ_IJSM_SI_EEENS0_18inequality_wrapperINS9_8equal_toIiEEEEPmJSH_EEE10hipError_tPvRmT3_T4_T5_T6_T7_T9_mT8_P12ihipStream_tbDpT10_ENKUlT_T0_E_clISt17integral_constantIbLb1EES1C_IbLb0EEEEDaS18_S19_EUlS18_E_NS1_11comp_targetILNS1_3genE9ELNS1_11target_archE1100ELNS1_3gpuE3ELNS1_3repE0EEENS1_30default_config_static_selectorELNS0_4arch9wavefront6targetE0EEEvT1_: ; @_ZN7rocprim17ROCPRIM_400000_NS6detail17trampoline_kernelINS0_14default_configENS1_25partition_config_selectorILNS1_17partition_subalgoE9EijbEEZZNS1_14partition_implILS5_9ELb0ES3_jN6thrust23THRUST_200600_302600_NS6detail15normal_iteratorINS9_10device_ptrIiEEEENSB_INSC_IjEEEEPNS0_10empty_typeENS0_5tupleIJNS9_16discard_iteratorINS9_11use_defaultEEESH_EEENSJ_IJSM_SI_EEENS0_18inequality_wrapperINS9_8equal_toIiEEEEPmJSH_EEE10hipError_tPvRmT3_T4_T5_T6_T7_T9_mT8_P12ihipStream_tbDpT10_ENKUlT_T0_E_clISt17integral_constantIbLb1EES1C_IbLb0EEEEDaS18_S19_EUlS18_E_NS1_11comp_targetILNS1_3genE9ELNS1_11target_archE1100ELNS1_3gpuE3ELNS1_3repE0EEENS1_30default_config_static_selectorELNS0_4arch9wavefront6targetE0EEEvT1_
; %bb.0:
	s_clause 0x4
	s_load_b128 s[4:7], s[0:1], 0x8
	s_load_b32 s14, s[0:1], 0x78
	s_load_b128 s[16:19], s[0:1], 0x50
	s_load_b64 s[2:3], s[0:1], 0x60
	s_load_b64 s[8:9], s[0:1], 0x18
	s_mov_b32 s21, 0
	s_mul_i32 s20, s15, 0xc00
	v_lshrrev_b32_e32 v10, 3, v0
	v_add_nc_u32_e32 v14, 0x180, v0
	v_add_nc_u32_e32 v13, 0x300, v0
	;; [unrolled: 1-line block ×3, first 2 shown]
	v_or_b32_e32 v15, 0x600, v0
	v_add_nc_u32_e32 v11, 0x780, v0
	v_add_nc_u32_e32 v9, 0x900, v0
	;; [unrolled: 1-line block ×3, first 2 shown]
	s_waitcnt lgkmcnt(0)
	s_lshl_b64 s[12:13], s[6:7], 2
	s_mul_i32 s22, s14, 0xc00
	s_add_u32 s23, s4, s12
	s_addc_u32 s24, s5, s13
	s_add_i32 s4, s22, s6
	s_load_b64 s[10:11], s[18:19], 0x0
	s_sub_i32 s18, s2, s4
	s_add_i32 s14, s14, -1
	s_addk_i32 s18, 0xc00
	s_add_u32 s4, s6, s22
	s_addc_u32 s5, s7, 0
	s_cmp_eq_u32 s15, s14
	v_cmp_ge_u64_e64 s2, s[4:5], s[2:3]
	s_cselect_b32 s14, -1, 0
	s_lshl_b64 s[4:5], s[20:21], 2
	s_mov_b32 s22, -1
	s_delay_alu instid0(VALU_DEP_1) | instskip(NEXT) | instid1(SALU_CYCLE_1)
	s_and_b32 s19, s14, s2
	s_xor_b32 s20, s19, -1
	s_add_u32 s21, s23, s4
	s_addc_u32 s3, s24, s5
	s_and_b32 vcc_lo, exec_lo, s20
	s_cbranch_vccz .LBB1099_2
; %bb.1:
	v_lshlrev_b32_e32 v7, 2, v0
	v_lshrrev_b32_e32 v19, 3, v14
	v_lshrrev_b32_e32 v20, 3, v13
	;; [unrolled: 1-line block ×4, first 2 shown]
	v_add_co_u32 v1, s2, s21, v7
	s_delay_alu instid0(VALU_DEP_1) | instskip(SKIP_1) | instid1(VALU_DEP_3)
	v_add_co_ci_u32_e64 v2, null, s3, 0, s2
	v_lshrrev_b32_e32 v23, 3, v11
	v_add_co_u32 v3, vcc_lo, 0x1000, v1
	s_delay_alu instid0(VALU_DEP_3)
	v_add_co_ci_u32_e32 v4, vcc_lo, 0, v2, vcc_lo
	v_add_co_u32 v5, vcc_lo, 0x2000, v1
	v_add_co_ci_u32_e32 v6, vcc_lo, 0, v2, vcc_lo
	s_clause 0x7
	flat_load_b32 v8, v[1:2]
	flat_load_b32 v17, v[1:2] offset:1536
	flat_load_b32 v1, v[1:2] offset:3072
	;; [unrolled: 1-line block ×7, first 2 shown]
	v_and_b32_e32 v6, 60, v10
	v_lshrrev_b32_e32 v24, 3, v9
	v_lshrrev_b32_e32 v25, 3, v12
	v_and_b32_e32 v19, 0x7c, v19
	v_and_b32_e32 v20, 0xfc, v20
	;; [unrolled: 1-line block ×4, first 2 shown]
	v_add_nc_u32_e32 v6, v6, v7
	v_and_b32_e32 v23, 0x1fc, v23
	v_and_b32_e32 v24, 0x17c, v24
	;; [unrolled: 1-line block ×3, first 2 shown]
	v_add_nc_u32_e32 v19, v19, v7
	v_add_nc_u32_e32 v20, v20, v7
	;; [unrolled: 1-line block ×4, first 2 shown]
	s_mov_b32 s22, 0
	v_add_nc_u32_e32 v23, v23, v7
	v_add_nc_u32_e32 v24, v24, v7
	;; [unrolled: 1-line block ×3, first 2 shown]
	s_waitcnt vmcnt(7) lgkmcnt(0)
	ds_store_b32 v6, v8
	s_waitcnt vmcnt(6)
	ds_store_b32 v19, v17 offset:1536
	s_waitcnt vmcnt(5)
	ds_store_b32 v20, v1 offset:3072
	;; [unrolled: 2-line block ×7, first 2 shown]
	s_waitcnt lgkmcnt(0)
	s_barrier
.LBB1099_2:
	v_cmp_gt_u32_e64 s2, s18, v0
	s_and_not1_b32 vcc_lo, exec_lo, s22
	s_cbranch_vccnz .LBB1099_20
; %bb.3:
                                        ; implicit-def: $vgpr1_vgpr2_vgpr3_vgpr4_vgpr5_vgpr6_vgpr7_vgpr8
	s_delay_alu instid0(VALU_DEP_1)
	s_and_saveexec_b32 s22, s2
	s_cbranch_execz .LBB1099_11
; %bb.4:
	v_lshlrev_b32_e32 v1, 2, v0
	s_delay_alu instid0(VALU_DEP_1) | instskip(NEXT) | instid1(VALU_DEP_1)
	v_add_co_u32 v1, s2, s21, v1
	v_add_co_ci_u32_e64 v2, null, s3, 0, s2
	flat_load_b32 v1, v[1:2]
	s_or_b32 exec_lo, exec_lo, s22
	s_delay_alu instid0(SALU_CYCLE_1)
	s_mov_b32 s2, exec_lo
	v_cmpx_gt_u32_e64 s18, v14
	s_cbranch_execnz .LBB1099_12
.LBB1099_5:
	s_or_b32 exec_lo, exec_lo, s2
	s_delay_alu instid0(SALU_CYCLE_1)
	s_mov_b32 s2, exec_lo
	v_cmpx_gt_u32_e64 s18, v13
	s_cbranch_execz .LBB1099_13
.LBB1099_6:
	v_lshlrev_b32_e32 v3, 2, v0
	s_delay_alu instid0(VALU_DEP_1) | instskip(NEXT) | instid1(VALU_DEP_1)
	v_add_co_u32 v17, s22, s21, v3
	v_add_co_ci_u32_e64 v18, null, s3, 0, s22
	flat_load_b32 v3, v[17:18] offset:3072
	s_or_b32 exec_lo, exec_lo, s2
	s_delay_alu instid0(SALU_CYCLE_1)
	s_mov_b32 s2, exec_lo
	v_cmpx_gt_u32_e64 s18, v16
	s_cbranch_execnz .LBB1099_14
.LBB1099_7:
	s_or_b32 exec_lo, exec_lo, s2
	s_delay_alu instid0(SALU_CYCLE_1)
	s_mov_b32 s2, exec_lo
	v_cmpx_gt_u32_e64 s18, v15
	s_cbranch_execz .LBB1099_15
.LBB1099_8:
	v_lshlrev_b32_e32 v5, 2, v15
	s_delay_alu instid0(VALU_DEP_1) | instskip(NEXT) | instid1(VALU_DEP_1)
	v_add_co_u32 v17, s22, s21, v5
	v_add_co_ci_u32_e64 v18, null, s3, 0, s22
	flat_load_b32 v5, v[17:18]
	s_or_b32 exec_lo, exec_lo, s2
	s_delay_alu instid0(SALU_CYCLE_1)
	s_mov_b32 s2, exec_lo
	v_cmpx_gt_u32_e64 s18, v11
	s_cbranch_execnz .LBB1099_16
.LBB1099_9:
	s_or_b32 exec_lo, exec_lo, s2
	s_delay_alu instid0(SALU_CYCLE_1)
	s_mov_b32 s2, exec_lo
	v_cmpx_gt_u32_e64 s18, v9
	s_cbranch_execz .LBB1099_17
.LBB1099_10:
	v_lshlrev_b32_e32 v7, 2, v9
	s_delay_alu instid0(VALU_DEP_1) | instskip(NEXT) | instid1(VALU_DEP_1)
	v_add_co_u32 v17, s22, s21, v7
	v_add_co_ci_u32_e64 v18, null, s3, 0, s22
	flat_load_b32 v7, v[17:18]
	s_or_b32 exec_lo, exec_lo, s2
	s_delay_alu instid0(SALU_CYCLE_1)
	s_mov_b32 s2, exec_lo
	v_cmpx_gt_u32_e64 s18, v12
	s_cbranch_execnz .LBB1099_18
	s_branch .LBB1099_19
.LBB1099_11:
	s_or_b32 exec_lo, exec_lo, s22
	s_delay_alu instid0(SALU_CYCLE_1)
	s_mov_b32 s2, exec_lo
	v_cmpx_gt_u32_e64 s18, v14
	s_cbranch_execz .LBB1099_5
.LBB1099_12:
	v_lshlrev_b32_e32 v2, 2, v0
	s_delay_alu instid0(VALU_DEP_1) | instskip(NEXT) | instid1(VALU_DEP_1)
	v_add_co_u32 v17, s22, s21, v2
	v_add_co_ci_u32_e64 v18, null, s3, 0, s22
	flat_load_b32 v2, v[17:18] offset:1536
	s_or_b32 exec_lo, exec_lo, s2
	s_delay_alu instid0(SALU_CYCLE_1)
	s_mov_b32 s2, exec_lo
	v_cmpx_gt_u32_e64 s18, v13
	s_cbranch_execnz .LBB1099_6
.LBB1099_13:
	s_or_b32 exec_lo, exec_lo, s2
	s_delay_alu instid0(SALU_CYCLE_1)
	s_mov_b32 s2, exec_lo
	v_cmpx_gt_u32_e64 s18, v16
	s_cbranch_execz .LBB1099_7
.LBB1099_14:
	v_lshlrev_b32_e32 v4, 2, v16
	s_delay_alu instid0(VALU_DEP_1) | instskip(NEXT) | instid1(VALU_DEP_1)
	v_add_co_u32 v17, s22, s21, v4
	v_add_co_ci_u32_e64 v18, null, s3, 0, s22
	flat_load_b32 v4, v[17:18]
	s_or_b32 exec_lo, exec_lo, s2
	s_delay_alu instid0(SALU_CYCLE_1)
	s_mov_b32 s2, exec_lo
	v_cmpx_gt_u32_e64 s18, v15
	s_cbranch_execnz .LBB1099_8
.LBB1099_15:
	s_or_b32 exec_lo, exec_lo, s2
	s_delay_alu instid0(SALU_CYCLE_1)
	s_mov_b32 s2, exec_lo
	v_cmpx_gt_u32_e64 s18, v11
	s_cbranch_execz .LBB1099_9
.LBB1099_16:
	v_lshlrev_b32_e32 v6, 2, v11
	s_delay_alu instid0(VALU_DEP_1) | instskip(NEXT) | instid1(VALU_DEP_1)
	v_add_co_u32 v17, s22, s21, v6
	v_add_co_ci_u32_e64 v18, null, s3, 0, s22
	flat_load_b32 v6, v[17:18]
	s_or_b32 exec_lo, exec_lo, s2
	s_delay_alu instid0(SALU_CYCLE_1)
	s_mov_b32 s2, exec_lo
	v_cmpx_gt_u32_e64 s18, v9
	s_cbranch_execnz .LBB1099_10
.LBB1099_17:
	s_or_b32 exec_lo, exec_lo, s2
	s_delay_alu instid0(SALU_CYCLE_1)
	s_mov_b32 s2, exec_lo
	v_cmpx_gt_u32_e64 s18, v12
	s_cbranch_execz .LBB1099_19
.LBB1099_18:
	v_lshlrev_b32_e32 v8, 2, v12
	s_delay_alu instid0(VALU_DEP_1) | instskip(NEXT) | instid1(VALU_DEP_1)
	v_add_co_u32 v17, s22, s21, v8
	v_add_co_ci_u32_e64 v18, null, s3, 0, s22
	flat_load_b32 v8, v[17:18]
.LBB1099_19:
	s_or_b32 exec_lo, exec_lo, s2
	v_lshrrev_b32_e32 v17, 3, v14
	v_lshrrev_b32_e32 v18, 3, v13
	;; [unrolled: 1-line block ×4, first 2 shown]
	v_and_b32_e32 v19, 60, v10
	v_lshlrev_b32_e32 v20, 2, v0
	v_lshrrev_b32_e32 v23, 3, v11
	v_lshrrev_b32_e32 v24, 3, v9
	;; [unrolled: 1-line block ×3, first 2 shown]
	v_and_b32_e32 v17, 0x7c, v17
	v_and_b32_e32 v18, 0xfc, v18
	;; [unrolled: 1-line block ×4, first 2 shown]
	v_add_nc_u32_e32 v19, v19, v20
	v_and_b32_e32 v23, 0x1fc, v23
	v_and_b32_e32 v24, 0x1fc, v24
	;; [unrolled: 1-line block ×3, first 2 shown]
	v_add_nc_u32_e32 v17, v17, v20
	v_add_nc_u32_e32 v18, v18, v20
	v_add_nc_u32_e32 v21, v21, v20
	v_add_nc_u32_e32 v22, v22, v20
	v_add_nc_u32_e32 v23, v23, v20
	v_add_nc_u32_e32 v24, v24, v20
	v_add_nc_u32_e32 v20, v25, v20
	s_waitcnt vmcnt(0) lgkmcnt(0)
	ds_store_b32 v19, v1
	ds_store_b32 v17, v2 offset:1536
	ds_store_b32 v18, v3 offset:3072
	;; [unrolled: 1-line block ×7, first 2 shown]
	s_waitcnt lgkmcnt(0)
	s_barrier
.LBB1099_20:
	v_lshlrev_b32_e32 v19, 3, v0
	v_lshrrev_b32_e32 v1, 2, v0
	s_waitcnt lgkmcnt(0)
	buffer_gl0_inv
	s_add_u32 s2, s8, s12
	s_addc_u32 s8, s9, s13
	s_add_u32 s2, s2, s4
	v_add_lshl_u32 v17, v1, v19, 2
	s_addc_u32 s4, s8, s5
	s_and_b32 vcc_lo, exec_lo, s20
	s_mov_b32 s5, -1
	ds_load_2addr_b32 v[7:8], v17 offset1:1
	ds_load_2addr_b32 v[5:6], v17 offset0:2 offset1:3
	ds_load_2addr_b32 v[3:4], v17 offset0:4 offset1:5
	;; [unrolled: 1-line block ×3, first 2 shown]
	s_waitcnt lgkmcnt(0)
	s_barrier
	buffer_gl0_inv
	s_cbranch_vccz .LBB1099_22
; %bb.21:
	v_lshlrev_b32_e32 v18, 2, v0
	v_lshrrev_b32_e32 v29, 3, v14
	v_lshrrev_b32_e32 v30, 3, v13
	;; [unrolled: 1-line block ×4, first 2 shown]
	v_add_co_u32 v20, s5, s2, v18
	s_delay_alu instid0(VALU_DEP_1) | instskip(SKIP_1) | instid1(VALU_DEP_3)
	v_add_co_ci_u32_e64 v21, null, s4, 0, s5
	v_lshrrev_b32_e32 v33, 3, v11
	v_add_co_u32 v22, vcc_lo, 0x1000, v20
	s_delay_alu instid0(VALU_DEP_3)
	v_add_co_ci_u32_e32 v23, vcc_lo, 0, v21, vcc_lo
	v_add_co_u32 v24, vcc_lo, 0x2000, v20
	v_add_co_ci_u32_e32 v25, vcc_lo, 0, v21, vcc_lo
	s_clause 0x7
	flat_load_b32 v26, v[20:21]
	flat_load_b32 v27, v[20:21] offset:1536
	flat_load_b32 v20, v[20:21] offset:3072
	;; [unrolled: 1-line block ×7, first 2 shown]
	v_and_b32_e32 v25, 60, v10
	v_lshrrev_b32_e32 v34, 3, v9
	v_lshrrev_b32_e32 v35, 3, v12
	v_and_b32_e32 v29, 0x7c, v29
	v_and_b32_e32 v30, 0xfc, v30
	;; [unrolled: 1-line block ×4, first 2 shown]
	v_add_nc_u32_e32 v25, v25, v18
	v_and_b32_e32 v33, 0x1fc, v33
	v_and_b32_e32 v34, 0x17c, v34
	;; [unrolled: 1-line block ×3, first 2 shown]
	v_add_nc_u32_e32 v29, v29, v18
	v_add_nc_u32_e32 v30, v30, v18
	v_add_nc_u32_e32 v31, v31, v18
	v_add_nc_u32_e32 v32, v32, v18
	s_mov_b32 s5, 0
	v_add_nc_u32_e32 v33, v33, v18
	v_add_nc_u32_e32 v34, v34, v18
	;; [unrolled: 1-line block ×3, first 2 shown]
	s_waitcnt vmcnt(7) lgkmcnt(7)
	ds_store_b32 v25, v26
	s_waitcnt vmcnt(6) lgkmcnt(7)
	ds_store_b32 v29, v27 offset:1536
	s_waitcnt vmcnt(5) lgkmcnt(7)
	ds_store_b32 v30, v20 offset:3072
	;; [unrolled: 2-line block ×7, first 2 shown]
	s_waitcnt lgkmcnt(0)
	s_barrier
.LBB1099_22:
	s_and_not1_b32 vcc_lo, exec_lo, s5
	s_cbranch_vccnz .LBB1099_40
; %bb.23:
	s_mov_b32 s5, exec_lo
                                        ; implicit-def: $vgpr18
	v_cmpx_gt_u32_e64 s18, v0
	s_cbranch_execz .LBB1099_25
; %bb.24:
	v_lshlrev_b32_e32 v18, 2, v0
	s_delay_alu instid0(VALU_DEP_1) | instskip(NEXT) | instid1(VALU_DEP_1)
	v_add_co_u32 v20, s8, s2, v18
	v_add_co_ci_u32_e64 v21, null, s4, 0, s8
	flat_load_b32 v18, v[20:21]
.LBB1099_25:
	s_or_b32 exec_lo, exec_lo, s5
	s_delay_alu instid0(SALU_CYCLE_1)
	s_mov_b32 s5, exec_lo
                                        ; implicit-def: $vgpr20
	v_cmpx_gt_u32_e64 s18, v14
	s_cbranch_execz .LBB1099_27
; %bb.26:
	v_lshlrev_b32_e32 v20, 2, v0
	s_delay_alu instid0(VALU_DEP_1) | instskip(NEXT) | instid1(VALU_DEP_1)
	v_add_co_u32 v20, s8, s2, v20
	v_add_co_ci_u32_e64 v21, null, s4, 0, s8
	flat_load_b32 v20, v[20:21] offset:1536
.LBB1099_27:
	s_or_b32 exec_lo, exec_lo, s5
	s_delay_alu instid0(SALU_CYCLE_1)
	s_mov_b32 s5, exec_lo
                                        ; implicit-def: $vgpr21
	v_cmpx_gt_u32_e64 s18, v13
	s_cbranch_execz .LBB1099_29
; %bb.28:
	v_lshlrev_b32_e32 v21, 2, v0
	s_delay_alu instid0(VALU_DEP_1) | instskip(NEXT) | instid1(VALU_DEP_1)
	v_add_co_u32 v21, s8, s2, v21
	v_add_co_ci_u32_e64 v22, null, s4, 0, s8
	flat_load_b32 v21, v[21:22] offset:3072
.LBB1099_29:
	s_or_b32 exec_lo, exec_lo, s5
	s_delay_alu instid0(SALU_CYCLE_1)
	s_mov_b32 s5, exec_lo
                                        ; implicit-def: $vgpr22
	v_cmpx_gt_u32_e64 s18, v16
	s_cbranch_execz .LBB1099_31
; %bb.30:
	v_lshlrev_b32_e32 v22, 2, v16
	s_delay_alu instid0(VALU_DEP_1) | instskip(NEXT) | instid1(VALU_DEP_1)
	v_add_co_u32 v22, s8, s2, v22
	v_add_co_ci_u32_e64 v23, null, s4, 0, s8
	flat_load_b32 v22, v[22:23]
.LBB1099_31:
	s_or_b32 exec_lo, exec_lo, s5
	s_delay_alu instid0(SALU_CYCLE_1)
	s_mov_b32 s5, exec_lo
                                        ; implicit-def: $vgpr23
	v_cmpx_gt_u32_e64 s18, v15
	s_cbranch_execz .LBB1099_33
; %bb.32:
	v_lshlrev_b32_e32 v23, 2, v15
	s_delay_alu instid0(VALU_DEP_1) | instskip(NEXT) | instid1(VALU_DEP_1)
	v_add_co_u32 v23, s8, s2, v23
	v_add_co_ci_u32_e64 v24, null, s4, 0, s8
	flat_load_b32 v23, v[23:24]
.LBB1099_33:
	s_or_b32 exec_lo, exec_lo, s5
	s_delay_alu instid0(SALU_CYCLE_1)
	s_mov_b32 s5, exec_lo
                                        ; implicit-def: $vgpr24
	v_cmpx_gt_u32_e64 s18, v11
	s_cbranch_execz .LBB1099_35
; %bb.34:
	v_lshlrev_b32_e32 v24, 2, v11
	s_delay_alu instid0(VALU_DEP_1) | instskip(NEXT) | instid1(VALU_DEP_1)
	v_add_co_u32 v24, s8, s2, v24
	v_add_co_ci_u32_e64 v25, null, s4, 0, s8
	flat_load_b32 v24, v[24:25]
.LBB1099_35:
	s_or_b32 exec_lo, exec_lo, s5
	s_delay_alu instid0(SALU_CYCLE_1)
	s_mov_b32 s5, exec_lo
                                        ; implicit-def: $vgpr25
	v_cmpx_gt_u32_e64 s18, v9
	s_cbranch_execz .LBB1099_37
; %bb.36:
	v_lshlrev_b32_e32 v25, 2, v9
	s_delay_alu instid0(VALU_DEP_1) | instskip(NEXT) | instid1(VALU_DEP_1)
	v_add_co_u32 v25, s8, s2, v25
	v_add_co_ci_u32_e64 v26, null, s4, 0, s8
	flat_load_b32 v25, v[25:26]
.LBB1099_37:
	s_or_b32 exec_lo, exec_lo, s5
	s_delay_alu instid0(SALU_CYCLE_1)
	s_mov_b32 s5, exec_lo
                                        ; implicit-def: $vgpr26
	v_cmpx_gt_u32_e64 s18, v12
	s_cbranch_execz .LBB1099_39
; %bb.38:
	v_lshlrev_b32_e32 v26, 2, v12
	s_delay_alu instid0(VALU_DEP_1) | instskip(NEXT) | instid1(VALU_DEP_1)
	v_add_co_u32 v26, s2, s2, v26
	v_add_co_ci_u32_e64 v27, null, s4, 0, s2
	flat_load_b32 v26, v[26:27]
.LBB1099_39:
	s_or_b32 exec_lo, exec_lo, s5
	v_lshrrev_b32_e32 v14, 3, v14
	v_lshrrev_b32_e32 v13, 3, v13
	;; [unrolled: 1-line block ×4, first 2 shown]
	v_and_b32_e32 v10, 60, v10
	v_lshlrev_b32_e32 v27, 2, v0
	v_lshrrev_b32_e32 v11, 3, v11
	v_lshrrev_b32_e32 v9, 3, v9
	;; [unrolled: 1-line block ×3, first 2 shown]
	v_and_b32_e32 v14, 0x7c, v14
	v_and_b32_e32 v13, 0xfc, v13
	;; [unrolled: 1-line block ×4, first 2 shown]
	v_add_nc_u32_e32 v10, v10, v27
	v_and_b32_e32 v11, 0x1fc, v11
	v_and_b32_e32 v9, 0x1fc, v9
	;; [unrolled: 1-line block ×3, first 2 shown]
	v_add_nc_u32_e32 v14, v14, v27
	v_add_nc_u32_e32 v13, v13, v27
	;; [unrolled: 1-line block ×7, first 2 shown]
	s_waitcnt vmcnt(0) lgkmcnt(0)
	ds_store_b32 v10, v18
	ds_store_b32 v14, v20 offset:1536
	ds_store_b32 v13, v21 offset:3072
	;; [unrolled: 1-line block ×7, first 2 shown]
	s_waitcnt lgkmcnt(0)
	s_barrier
.LBB1099_40:
	buffer_gl0_inv
	ds_load_2addr_b32 v[15:16], v17 offset1:1
	ds_load_2addr_b32 v[13:14], v17 offset0:2 offset1:3
	ds_load_2addr_b32 v[11:12], v17 offset0:4 offset1:5
	;; [unrolled: 1-line block ×3, first 2 shown]
	s_cmp_lg_u32 s15, 0
	s_mov_b32 s9, 0
	s_cselect_b32 s12, -1, 0
	s_cmp_lg_u64 s[6:7], 0
	s_waitcnt lgkmcnt(0)
	s_cselect_b32 s2, -1, 0
	s_barrier
	s_or_b32 s2, s12, s2
	buffer_gl0_inv
	s_and_b32 vcc_lo, exec_lo, s2
	s_cbranch_vccz .LBB1099_45
; %bb.41:
	v_add_co_u32 v17, s2, -4, s21
	s_delay_alu instid0(VALU_DEP_1)
	v_add_co_ci_u32_e64 v18, null, -1, s3, s2
	v_lshlrev_b32_e32 v21, 2, v0
	s_mov_b32 s3, -1
	s_and_b32 vcc_lo, exec_lo, s20
	flat_load_b32 v20, v[17:18]
	ds_store_b32 v21, v2
	s_cbranch_vccz .LBB1099_46
; %bb.42:
	s_waitcnt vmcnt(0) lgkmcnt(1)
	v_mov_b32_e32 v17, v20
	s_mov_b32 s3, 0
	s_mov_b32 s2, exec_lo
	s_waitcnt lgkmcnt(0)
	s_barrier
	buffer_gl0_inv
	v_cmpx_ne_u32_e32 0, v0
	s_cbranch_execz .LBB1099_44
; %bb.43:
	v_add_nc_u32_e32 v17, -4, v21
	ds_load_b32 v17, v17
.LBB1099_44:
	s_or_b32 exec_lo, exec_lo, s2
	v_cmp_ne_u32_e32 vcc_lo, v1, v2
	s_waitcnt lgkmcnt(0)
	v_cmp_ne_u32_e64 s2, v17, v7
	v_cndmask_b32_e64 v18, 0, 1, vcc_lo
	v_cmp_ne_u32_e32 vcc_lo, v4, v1
	s_delay_alu instid0(VALU_DEP_2) | instskip(SKIP_2) | instid1(VALU_DEP_2)
	v_lshlrev_b16 v18, 8, v18
	v_cndmask_b32_e64 v22, 0, 1, vcc_lo
	v_cmp_ne_u32_e32 vcc_lo, v3, v4
	v_or_b32_e32 v18, v22, v18
	v_cndmask_b32_e64 v23, 0, 1, vcc_lo
	v_cmp_ne_u32_e32 vcc_lo, v5, v6
	s_delay_alu instid0(VALU_DEP_3) | instskip(NEXT) | instid1(VALU_DEP_3)
	v_lshlrev_b32_e32 v18, 16, v18
	v_lshlrev_b16 v23, 8, v23
	v_cndmask_b32_e64 v24, 0, 1, vcc_lo
	v_cmp_ne_u32_e32 vcc_lo, v6, v3
	s_delay_alu instid0(VALU_DEP_2) | instskip(SKIP_2) | instid1(VALU_DEP_2)
	v_lshlrev_b16 v24, 8, v24
	v_cndmask_b32_e64 v25, 0, 1, vcc_lo
	v_cmp_ne_u32_e32 vcc_lo, v8, v5
	v_or_b32_e32 v23, v25, v23
	v_cndmask_b32_e64 v26, 0, 1, vcc_lo
	v_cmp_ne_u32_e32 vcc_lo, v7, v8
	s_delay_alu instid0(VALU_DEP_3) | instskip(NEXT) | instid1(VALU_DEP_3)
	v_and_b32_e32 v23, 0xffff, v23
	v_or_b32_e32 v24, v26, v24
	v_cndmask_b32_e64 v27, 0, 1, vcc_lo
	s_delay_alu instid0(VALU_DEP_3) | instskip(NEXT) | instid1(VALU_DEP_3)
	v_or_b32_e32 v18, v23, v18
	v_lshlrev_b32_e32 v22, 16, v24
	s_delay_alu instid0(VALU_DEP_3) | instskip(NEXT) | instid1(VALU_DEP_1)
	v_lshlrev_b16 v26, 8, v27
	v_and_b32_e32 v24, 0xffff, v26
	s_delay_alu instid0(VALU_DEP_1)
	v_or_b32_e32 v17, v24, v22
	s_and_b32 vcc_lo, exec_lo, s3
	s_cbranch_vccnz .LBB1099_47
	s_branch .LBB1099_50
.LBB1099_45:
                                        ; implicit-def: $sgpr2
                                        ; implicit-def: $vgpr18
	s_branch .LBB1099_51
.LBB1099_46:
                                        ; implicit-def: $sgpr2
                                        ; implicit-def: $vgpr18
	s_and_b32 vcc_lo, exec_lo, s3
	s_cbranch_vccz .LBB1099_50
.LBB1099_47:
	s_mov_b32 s2, exec_lo
	s_waitcnt vmcnt(0) lgkmcnt(0)
	s_barrier
	buffer_gl0_inv
	v_cmpx_ne_u32_e32 0, v0
	s_cbranch_execz .LBB1099_49
; %bb.48:
	v_add_nc_u32_e32 v17, -4, v21
	ds_load_b32 v20, v17
.LBB1099_49:
	s_or_b32 exec_lo, exec_lo, s2
	v_or_b32_e32 v17, 7, v19
	v_or_b32_e32 v18, 6, v19
	;; [unrolled: 1-line block ×3, first 2 shown]
	v_cmp_ne_u32_e32 vcc_lo, v1, v2
	v_cmp_ne_u32_e64 s3, v4, v1
	v_cmp_gt_u32_e64 s2, s18, v17
	v_cmp_gt_u32_e64 s5, s18, v18
	v_cmp_ne_u32_e64 s4, v3, v4
	v_cmp_gt_u32_e64 s6, s18, v21
	v_or_b32_e32 v18, 3, v19
	s_and_b32 s2, s2, vcc_lo
	v_or_b32_e32 v22, 4, v19
	v_cndmask_b32_e64 v17, 0, 1, s2
	s_and_b32 s2, s5, s3
	v_cmp_gt_u32_e32 vcc_lo, s18, v18
	v_cndmask_b32_e64 v21, 0, 1, s2
	s_and_b32 s2, s6, s4
	v_or_b32_e32 v18, 2, v19
	v_cndmask_b32_e64 v23, 0, 1, s2
	v_cmp_ne_u32_e64 s2, v5, v6
	v_cmp_gt_u32_e64 s3, s18, v22
	v_or_b32_e32 v22, 1, v19
	v_cmp_ne_u32_e64 s4, v6, v3
	v_cmp_ne_u32_e64 s6, v7, v8
	s_and_b32 s2, vcc_lo, s2
	v_cmp_gt_u32_e32 vcc_lo, s18, v18
	v_cndmask_b32_e64 v24, 0, 1, s2
	v_cmp_ne_u32_e64 s2, v8, v5
	v_cmp_gt_u32_e64 s5, s18, v22
	s_and_b32 s3, s3, s4
	v_lshlrev_b16 v23, 8, v23
	v_cndmask_b32_e64 v18, 0, 1, s3
	s_and_b32 s2, vcc_lo, s2
	v_lshlrev_b16 v24, 8, v24
	v_cndmask_b32_e64 v22, 0, 1, s2
	s_and_b32 s2, s5, s6
	v_lshlrev_b16 v17, 8, v17
	v_cndmask_b32_e64 v25, 0, 1, s2
	v_or_b32_e32 v18, v18, v23
	v_or_b32_e32 v22, v22, v24
	v_cmp_gt_u32_e32 vcc_lo, s18, v19
	v_or_b32_e32 v17, v21, v17
	v_lshlrev_b16 v24, 8, v25
	v_and_b32_e32 v18, 0xffff, v18
	v_lshlrev_b32_e32 v21, 16, v22
	s_waitcnt lgkmcnt(0)
	v_cmp_ne_u32_e64 s2, v20, v7
	v_lshlrev_b32_e32 v23, 16, v17
	v_and_b32_e32 v22, 0xffff, v24
	s_delay_alu instid0(VALU_DEP_3) | instskip(NEXT) | instid1(VALU_DEP_2)
	s_and_b32 s2, vcc_lo, s2
	v_or_b32_e32 v18, v18, v23
	s_delay_alu instid0(VALU_DEP_2)
	v_or_b32_e32 v17, v22, v21
.LBB1099_50:
	s_mov_b32 s9, -1
	s_cbranch_execnz .LBB1099_59
.LBB1099_51:
	s_waitcnt vmcnt(0) lgkmcnt(1)
	v_lshlrev_b32_e32 v20, 2, v0
	v_cmp_ne_u32_e64 s3, v1, v2
	v_cmp_ne_u32_e64 s4, v4, v1
	;; [unrolled: 1-line block ×7, first 2 shown]
	s_and_b32 vcc_lo, exec_lo, s20
	ds_store_b32 v20, v2
	s_cbranch_vccz .LBB1099_55
; %bb.52:
	v_cndmask_b32_e64 v17, 0, 1, s3
	v_cndmask_b32_e64 v21, 0, 1, s5
	;; [unrolled: 1-line block ×7, first 2 shown]
	v_lshlrev_b16 v21, 8, v21
	v_lshlrev_b16 v17, 8, v17
	;; [unrolled: 1-line block ×4, first 2 shown]
	s_mov_b32 s3, 0
	v_or_b32_e32 v21, v22, v21
	v_or_b32_e32 v17, v18, v17
	;; [unrolled: 1-line block ×4, first 2 shown]
	s_mov_b32 s4, exec_lo
	v_and_b32_e32 v21, 0xffff, v21
	v_lshlrev_b32_e32 v17, 16, v17
	v_lshlrev_b32_e32 v23, 16, v18
	v_and_b32_e32 v22, 0xffff, v22
	s_waitcnt lgkmcnt(0)
	s_barrier
	v_or_b32_e32 v18, v21, v17
	buffer_gl0_inv
	v_or_b32_e32 v17, v22, v23
                                        ; implicit-def: $sgpr2
	v_cmpx_ne_u32_e32 0, v0
	s_xor_b32 s4, exec_lo, s4
	s_cbranch_execz .LBB1099_54
; %bb.53:
	v_add_nc_u32_e32 v21, -4, v20
	s_or_b32 s9, s9, exec_lo
	ds_load_b32 v21, v21
	s_waitcnt lgkmcnt(0)
	v_cmp_ne_u32_e32 vcc_lo, v21, v7
	s_and_b32 s2, vcc_lo, exec_lo
.LBB1099_54:
	s_or_b32 exec_lo, exec_lo, s4
	s_delay_alu instid0(SALU_CYCLE_1)
	s_and_b32 vcc_lo, exec_lo, s3
	s_cbranch_vccnz .LBB1099_56
	s_branch .LBB1099_59
.LBB1099_55:
                                        ; implicit-def: $sgpr2
                                        ; implicit-def: $vgpr18
	s_cbranch_execz .LBB1099_59
.LBB1099_56:
	v_or_b32_e32 v17, 7, v19
	v_or_b32_e32 v18, 6, v19
	v_cmp_ne_u32_e32 vcc_lo, v1, v2
	v_cmp_ne_u32_e64 s3, v4, v1
	v_or_b32_e32 v21, 5, v19
	v_cmp_gt_u32_e64 s2, s18, v17
	v_cmp_gt_u32_e64 s4, s18, v18
	v_or_b32_e32 v17, 4, v19
	v_or_b32_e32 v22, 3, v19
	v_cmp_gt_u32_e64 s5, s18, v21
	s_and_b32 s2, s2, vcc_lo
	v_cmp_ne_u32_e32 vcc_lo, v3, v4
	v_cndmask_b32_e64 v18, 0, 1, s2
	s_and_b32 s2, s4, s3
	v_cmp_ne_u32_e64 s3, v6, v3
	v_cndmask_b32_e64 v21, 0, 1, s2
	v_cmp_gt_u32_e64 s2, s18, v17
	v_or_b32_e32 v23, 1, v19
	s_and_b32 s4, s5, vcc_lo
	v_cmp_gt_u32_e32 vcc_lo, s18, v22
	v_cndmask_b32_e64 v17, 0, 1, s4
	s_and_b32 s2, s2, s3
	v_or_b32_e32 v25, 2, v19
	v_cndmask_b32_e64 v24, 0, 1, s2
	v_cmp_ne_u32_e64 s2, v5, v6
	v_cmp_gt_u32_e64 s3, s18, v23
	v_cmp_ne_u32_e64 s4, v7, v8
	v_cmp_gt_u32_e64 s5, s18, v25
	v_cmp_ne_u32_e64 s6, v8, v5
	s_and_b32 s2, vcc_lo, s2
	v_lshlrev_b16 v17, 8, v17
	v_cndmask_b32_e64 v22, 0, 1, s2
	s_and_b32 s2, s3, s4
	v_lshlrev_b16 v18, 8, v18
	v_cndmask_b32_e64 v23, 0, 1, s2
	s_and_b32 s2, s5, s6
	v_lshlrev_b16 v22, 8, v22
	v_cndmask_b32_e64 v25, 0, 1, s2
	v_or_b32_e32 v17, v24, v17
	v_lshlrev_b16 v23, 8, v23
	v_or_b32_e32 v18, v21, v18
	s_mov_b32 s3, exec_lo
	v_or_b32_e32 v21, v25, v22
	v_and_b32_e32 v17, 0xffff, v17
	v_or_b32_e32 v22, 1, v23
	v_lshlrev_b32_e32 v18, 16, v18
	s_waitcnt lgkmcnt(0)
	v_lshlrev_b32_e32 v21, 16, v21
	s_barrier
	v_and_b32_e32 v22, 0xffff, v22
	v_or_b32_e32 v18, v17, v18
	buffer_gl0_inv
                                        ; implicit-def: $sgpr2
	v_or_b32_e32 v17, v22, v21
	v_cmpx_ne_u32_e32 0, v0
	s_cbranch_execz .LBB1099_58
; %bb.57:
	v_add_nc_u32_e32 v20, -4, v20
	v_cmp_gt_u32_e32 vcc_lo, s18, v19
	s_or_b32 s9, s9, exec_lo
	ds_load_b32 v20, v20
	s_waitcnt lgkmcnt(0)
	v_cmp_ne_u32_e64 s2, v20, v7
	s_delay_alu instid0(VALU_DEP_1) | instskip(NEXT) | instid1(SALU_CYCLE_1)
	s_and_b32 s2, vcc_lo, s2
	s_and_b32 s2, s2, exec_lo
.LBB1099_58:
	s_or_b32 exec_lo, exec_lo, s3
.LBB1099_59:
	s_and_saveexec_b32 s3, s9
	s_cbranch_execz .LBB1099_61
; %bb.60:
	s_waitcnt vmcnt(0) lgkmcnt(1)
	v_and_b32_e32 v20, 0xffffff00, v17
	v_cndmask_b32_e64 v21, 0, 1, s2
	s_delay_alu instid0(VALU_DEP_1) | instskip(NEXT) | instid1(VALU_DEP_1)
	v_or_b32_e32 v20, v21, v20
	v_and_b32_e32 v20, 0xffff, v20
	s_delay_alu instid0(VALU_DEP_1)
	v_and_or_b32 v17, 0xffff0000, v17, v20
.LBB1099_61:
	s_or_b32 exec_lo, exec_lo, s3
	s_load_b64 s[8:9], s[0:1], 0x70
	s_and_not1_b32 vcc_lo, exec_lo, s19
	s_cbranch_vccnz .LBB1099_63
; %bb.62:
	v_cmp_gt_u32_e32 vcc_lo, s18, v19
	v_or_b32_e32 v21, 1, v19
	v_and_b32_e32 v22, 0xffffff00, v18
	v_or_b32_e32 v23, 2, v19
	s_waitcnt vmcnt(0) lgkmcnt(0)
	v_cndmask_b32_e32 v20, 0, v17, vcc_lo
	v_cmp_gt_u32_e32 vcc_lo, s18, v21
	v_or_b32_e32 v21, 4, v19
	v_cmp_gt_u32_e64 s0, s18, v23
	v_or_b32_e32 v23, 3, v19
	v_and_b32_e32 v20, 0xff, v20
	s_delay_alu instid0(VALU_DEP_2) | instskip(NEXT) | instid1(VALU_DEP_2)
	v_cmp_gt_u32_e64 s1, s18, v23
	v_cndmask_b32_e32 v20, v20, v17, vcc_lo
	v_cmp_gt_u32_e32 vcc_lo, s18, v21
	s_delay_alu instid0(VALU_DEP_2) | instskip(SKIP_1) | instid1(VALU_DEP_2)
	v_dual_cndmask_b32 v21, v22, v18 :: v_dual_and_b32 v20, 0xffff, v20
	v_or_b32_e32 v22, 5, v19
	v_cndmask_b32_e64 v20, v20, v17, s0
	s_delay_alu instid0(VALU_DEP_3) | instskip(NEXT) | instid1(VALU_DEP_3)
	v_and_b32_e32 v21, 0xffff00ff, v21
	v_cmp_gt_u32_e64 s0, s18, v22
	v_or_b32_e32 v22, 6, v19
	v_or_b32_e32 v19, 7, v19
	v_and_b32_e32 v20, 0xffffff, v20
	s_delay_alu instid0(VALU_DEP_4) | instskip(NEXT) | instid1(VALU_DEP_2)
	v_cndmask_b32_e64 v21, v21, v18, s0
	v_cndmask_b32_e64 v20, v20, v17, s1
	s_delay_alu instid0(VALU_DEP_2) | instskip(NEXT) | instid1(VALU_DEP_2)
	v_and_b32_e32 v21, 0xff00ffff, v21
	v_cndmask_b32_e32 v20, v20, v17, vcc_lo
	v_cmp_gt_u32_e32 vcc_lo, s18, v22
	s_delay_alu instid0(VALU_DEP_2) | instskip(NEXT) | instid1(VALU_DEP_1)
	v_cndmask_b32_e64 v20, v20, v17, s0
	v_dual_cndmask_b32 v21, v21, v18 :: v_dual_cndmask_b32 v20, v20, v17
	s_delay_alu instid0(VALU_DEP_1) | instskip(SKIP_1) | instid1(VALU_DEP_2)
	v_and_b32_e32 v21, 0xffffff, v21
	v_cmp_gt_u32_e32 vcc_lo, s18, v19
	v_dual_cndmask_b32 v18, v21, v18 :: v_dual_cndmask_b32 v17, v20, v17
.LBB1099_63:
	s_delay_alu instid0(VALU_DEP_1) | instskip(NEXT) | instid1(VALU_DEP_2)
	v_and_b32_e32 v28, 0xff, v17
	v_alignbit_b32 v19, v18, v17, 24
	v_bfe_u32 v29, v17, 8, 8
	v_bfe_u32 v30, v17, 16, 8
	v_and_b32_e32 v32, 0xff, v18
	v_bfe_u32 v33, v18, 8, 8
	v_and_b32_e32 v31, 0xff, v19
	v_add_nc_u32_e32 v19, v29, v28
	s_waitcnt vmcnt(0) lgkmcnt(0)
	v_and_b32_e32 v20, 0x1e0, v0
	v_mbcnt_lo_u32_b32 v35, -1, 0
	v_bfe_u32 v34, v18, 16, 8
	v_lshrrev_b32_e32 v27, 24, v18
	v_add3_u32 v19, v19, v30, v31
	v_min_u32_e32 v20, 0x160, v20
	v_and_b32_e32 v21, 15, v35
	v_lshrrev_b32_e32 v36, 5, v0
	s_and_b32 vcc_lo, exec_lo, s12
	v_add3_u32 v19, v19, v32, v33
	v_or_b32_e32 v20, 31, v20
	v_cmp_eq_u32_e64 s2, 0, v21
	v_cmp_lt_u32_e64 s3, 1, v21
	v_cmp_lt_u32_e64 s1, 3, v21
	v_add3_u32 v37, v19, v34, v27
	v_and_b32_e32 v19, 16, v35
	v_cmp_lt_u32_e64 s0, 7, v21
	v_cmp_eq_u32_e64 s4, v20, v0
	s_mov_b32 s6, -1
	s_delay_alu instid0(VALU_DEP_3)
	v_cmp_eq_u32_e64 s5, 0, v19
	s_barrier
	buffer_gl0_inv
	s_cbranch_vccz .LBB1099_94
; %bb.64:
	v_mov_b32_dpp v19, v37 row_shr:1 row_mask:0xf bank_mask:0xf
	s_delay_alu instid0(VALU_DEP_1) | instskip(NEXT) | instid1(VALU_DEP_1)
	v_cndmask_b32_e64 v19, v19, 0, s2
	v_add_nc_u32_e32 v19, v19, v37
	s_delay_alu instid0(VALU_DEP_1) | instskip(NEXT) | instid1(VALU_DEP_1)
	v_mov_b32_dpp v20, v19 row_shr:2 row_mask:0xf bank_mask:0xf
	v_cndmask_b32_e64 v20, 0, v20, s3
	s_delay_alu instid0(VALU_DEP_1) | instskip(NEXT) | instid1(VALU_DEP_1)
	v_add_nc_u32_e32 v19, v19, v20
	v_mov_b32_dpp v20, v19 row_shr:4 row_mask:0xf bank_mask:0xf
	s_delay_alu instid0(VALU_DEP_1) | instskip(NEXT) | instid1(VALU_DEP_1)
	v_cndmask_b32_e64 v20, 0, v20, s1
	v_add_nc_u32_e32 v19, v19, v20
	s_delay_alu instid0(VALU_DEP_1) | instskip(NEXT) | instid1(VALU_DEP_1)
	v_mov_b32_dpp v20, v19 row_shr:8 row_mask:0xf bank_mask:0xf
	v_cndmask_b32_e64 v20, 0, v20, s0
	s_delay_alu instid0(VALU_DEP_1) | instskip(SKIP_3) | instid1(VALU_DEP_1)
	v_add_nc_u32_e32 v19, v19, v20
	ds_swizzle_b32 v20, v19 offset:swizzle(BROADCAST,32,15)
	s_waitcnt lgkmcnt(0)
	v_cndmask_b32_e64 v20, v20, 0, s5
	v_add_nc_u32_e32 v19, v19, v20
	s_and_saveexec_b32 s6, s4
	s_cbranch_execz .LBB1099_66
; %bb.65:
	v_lshlrev_b32_e32 v20, 2, v36
	ds_store_b32 v20, v19
.LBB1099_66:
	s_or_b32 exec_lo, exec_lo, s6
	s_delay_alu instid0(SALU_CYCLE_1)
	s_mov_b32 s6, exec_lo
	s_waitcnt lgkmcnt(0)
	s_barrier
	buffer_gl0_inv
	v_cmpx_gt_u32_e32 12, v0
	s_cbranch_execz .LBB1099_68
; %bb.67:
	v_lshlrev_b32_e32 v20, 2, v0
	ds_load_b32 v21, v20
	s_waitcnt lgkmcnt(0)
	v_mov_b32_dpp v22, v21 row_shr:1 row_mask:0xf bank_mask:0xf
	s_delay_alu instid0(VALU_DEP_1) | instskip(NEXT) | instid1(VALU_DEP_1)
	v_cndmask_b32_e64 v22, v22, 0, s2
	v_add_nc_u32_e32 v21, v22, v21
	s_delay_alu instid0(VALU_DEP_1) | instskip(NEXT) | instid1(VALU_DEP_1)
	v_mov_b32_dpp v22, v21 row_shr:2 row_mask:0xf bank_mask:0xf
	v_cndmask_b32_e64 v22, 0, v22, s3
	s_delay_alu instid0(VALU_DEP_1) | instskip(NEXT) | instid1(VALU_DEP_1)
	v_add_nc_u32_e32 v21, v21, v22
	v_mov_b32_dpp v22, v21 row_shr:4 row_mask:0xf bank_mask:0xf
	s_delay_alu instid0(VALU_DEP_1) | instskip(NEXT) | instid1(VALU_DEP_1)
	v_cndmask_b32_e64 v22, 0, v22, s1
	v_add_nc_u32_e32 v21, v21, v22
	s_delay_alu instid0(VALU_DEP_1) | instskip(NEXT) | instid1(VALU_DEP_1)
	v_mov_b32_dpp v22, v21 row_shr:8 row_mask:0xf bank_mask:0xf
	v_cndmask_b32_e64 v22, 0, v22, s0
	s_delay_alu instid0(VALU_DEP_1)
	v_add_nc_u32_e32 v21, v21, v22
	ds_store_b32 v20, v21
.LBB1099_68:
	s_or_b32 exec_lo, exec_lo, s6
	v_cmp_gt_u32_e32 vcc_lo, 32, v0
	s_mov_b32 s7, exec_lo
	s_waitcnt lgkmcnt(0)
	s_barrier
	buffer_gl0_inv
                                        ; implicit-def: $vgpr38
	v_cmpx_lt_u32_e32 31, v0
	s_cbranch_execz .LBB1099_70
; %bb.69:
	v_lshl_add_u32 v20, v36, 2, -4
	ds_load_b32 v38, v20
	s_waitcnt lgkmcnt(0)
	v_add_nc_u32_e32 v19, v38, v19
.LBB1099_70:
	s_or_b32 exec_lo, exec_lo, s7
	v_add_nc_u32_e32 v20, -1, v35
	s_delay_alu instid0(VALU_DEP_1) | instskip(NEXT) | instid1(VALU_DEP_1)
	v_cmp_gt_i32_e64 s6, 0, v20
	v_cndmask_b32_e64 v20, v20, v35, s6
	v_cmp_eq_u32_e64 s6, 0, v35
	s_delay_alu instid0(VALU_DEP_2)
	v_lshlrev_b32_e32 v20, 2, v20
	ds_bpermute_b32 v39, v20, v19
	s_and_saveexec_b32 s7, vcc_lo
	s_cbranch_execz .LBB1099_93
; %bb.71:
	v_mov_b32_e32 v23, 0
	ds_load_b32 v19, v23 offset:44
	s_and_saveexec_b32 s12, s6
	s_cbranch_execz .LBB1099_73
; %bb.72:
	s_add_i32 s18, s15, 32
	s_mov_b32 s19, 0
	v_mov_b32_e32 v20, 1
	s_lshl_b64 s[18:19], s[18:19], 3
	s_delay_alu instid0(SALU_CYCLE_1)
	s_add_u32 s18, s8, s18
	s_addc_u32 s19, s9, s19
	s_waitcnt lgkmcnt(0)
	global_store_b64 v23, v[19:20], s[18:19]
.LBB1099_73:
	s_or_b32 exec_lo, exec_lo, s12
	v_xad_u32 v21, v35, -1, s15
	s_mov_b32 s13, 0
	s_mov_b32 s12, exec_lo
	s_delay_alu instid0(VALU_DEP_1) | instskip(NEXT) | instid1(VALU_DEP_1)
	v_add_nc_u32_e32 v22, 32, v21
	v_lshlrev_b64 v[22:23], 3, v[22:23]
	s_delay_alu instid0(VALU_DEP_1) | instskip(NEXT) | instid1(VALU_DEP_2)
	v_add_co_u32 v25, vcc_lo, s8, v22
	v_add_co_ci_u32_e32 v26, vcc_lo, s9, v23, vcc_lo
	global_load_b64 v[23:24], v[25:26], off glc
	s_waitcnt vmcnt(0)
	v_and_b32_e32 v20, 0xff, v24
	s_delay_alu instid0(VALU_DEP_1)
	v_cmpx_eq_u16_e32 0, v20
	s_cbranch_execz .LBB1099_79
; %bb.74:
	s_mov_b32 s18, 1
	.p2align	6
.LBB1099_75:                            ; =>This Loop Header: Depth=1
                                        ;     Child Loop BB1099_76 Depth 2
	s_delay_alu instid0(SALU_CYCLE_1)
	s_max_u32 s19, s18, 1
.LBB1099_76:                            ;   Parent Loop BB1099_75 Depth=1
                                        ; =>  This Inner Loop Header: Depth=2
	s_delay_alu instid0(SALU_CYCLE_1)
	s_add_i32 s19, s19, -1
	s_sleep 1
	s_cmp_eq_u32 s19, 0
	s_cbranch_scc0 .LBB1099_76
; %bb.77:                               ;   in Loop: Header=BB1099_75 Depth=1
	global_load_b64 v[23:24], v[25:26], off glc
	s_cmp_lt_u32 s18, 32
	s_cselect_b32 s19, -1, 0
	s_delay_alu instid0(SALU_CYCLE_1) | instskip(SKIP_3) | instid1(VALU_DEP_1)
	s_cmp_lg_u32 s19, 0
	s_addc_u32 s18, s18, 0
	s_waitcnt vmcnt(0)
	v_and_b32_e32 v20, 0xff, v24
	v_cmp_ne_u16_e32 vcc_lo, 0, v20
	s_or_b32 s13, vcc_lo, s13
	s_delay_alu instid0(SALU_CYCLE_1)
	s_and_not1_b32 exec_lo, exec_lo, s13
	s_cbranch_execnz .LBB1099_75
; %bb.78:
	s_or_b32 exec_lo, exec_lo, s13
.LBB1099_79:
	s_delay_alu instid0(SALU_CYCLE_1)
	s_or_b32 exec_lo, exec_lo, s12
	v_cmp_ne_u32_e32 vcc_lo, 31, v35
	v_lshlrev_b32_e64 v41, v35, -1
	v_add_nc_u32_e32 v43, 2, v35
	v_add_nc_u32_e32 v45, 4, v35
	;; [unrolled: 1-line block ×3, first 2 shown]
	v_add_co_ci_u32_e32 v20, vcc_lo, 0, v35, vcc_lo
	v_add_nc_u32_e32 v49, 16, v35
	s_delay_alu instid0(VALU_DEP_2)
	v_lshlrev_b32_e32 v40, 2, v20
	v_and_b32_e32 v20, 0xff, v24
	ds_bpermute_b32 v22, v40, v23
	v_cmp_eq_u16_e32 vcc_lo, 2, v20
	v_and_or_b32 v20, vcc_lo, v41, 0x80000000
	v_cmp_gt_u32_e32 vcc_lo, 30, v35
	s_delay_alu instid0(VALU_DEP_2) | instskip(SKIP_1) | instid1(VALU_DEP_2)
	v_ctz_i32_b32_e32 v20, v20
	v_cndmask_b32_e64 v25, 0, 1, vcc_lo
	v_cmp_lt_u32_e32 vcc_lo, v35, v20
	s_waitcnt lgkmcnt(0)
	s_delay_alu instid0(VALU_DEP_2) | instskip(NEXT) | instid1(VALU_DEP_1)
	v_dual_cndmask_b32 v22, 0, v22 :: v_dual_lshlrev_b32 v25, 1, v25
	v_add_lshl_u32 v42, v25, v35, 2
	v_cmp_gt_u32_e32 vcc_lo, 28, v35
	s_delay_alu instid0(VALU_DEP_3) | instskip(SKIP_4) | instid1(VALU_DEP_1)
	v_add_nc_u32_e32 v22, v22, v23
	v_cndmask_b32_e64 v25, 0, 1, vcc_lo
	v_cmp_le_u32_e32 vcc_lo, v43, v20
	ds_bpermute_b32 v23, v42, v22
	v_lshlrev_b32_e32 v25, 2, v25
	v_add_lshl_u32 v44, v25, v35, 2
	s_waitcnt lgkmcnt(0)
	v_cndmask_b32_e32 v23, 0, v23, vcc_lo
	v_cmp_gt_u32_e32 vcc_lo, 24, v35
	s_delay_alu instid0(VALU_DEP_2) | instskip(SKIP_4) | instid1(VALU_DEP_1)
	v_add_nc_u32_e32 v22, v22, v23
	v_cndmask_b32_e64 v25, 0, 1, vcc_lo
	v_cmp_le_u32_e32 vcc_lo, v45, v20
	ds_bpermute_b32 v23, v44, v22
	v_lshlrev_b32_e32 v25, 3, v25
	v_add_lshl_u32 v46, v25, v35, 2
	s_waitcnt lgkmcnt(0)
	v_cndmask_b32_e32 v23, 0, v23, vcc_lo
	v_cmp_gt_u32_e32 vcc_lo, 16, v35
	s_delay_alu instid0(VALU_DEP_2) | instskip(SKIP_4) | instid1(VALU_DEP_1)
	v_add_nc_u32_e32 v22, v22, v23
	v_cndmask_b32_e64 v25, 0, 1, vcc_lo
	v_cmp_le_u32_e32 vcc_lo, v47, v20
	ds_bpermute_b32 v23, v46, v22
	v_lshlrev_b32_e32 v25, 4, v25
	v_add_lshl_u32 v48, v25, v35, 2
	s_waitcnt lgkmcnt(0)
	v_cndmask_b32_e32 v23, 0, v23, vcc_lo
	v_cmp_le_u32_e32 vcc_lo, v49, v20
	s_delay_alu instid0(VALU_DEP_2) | instskip(SKIP_3) | instid1(VALU_DEP_1)
	v_add_nc_u32_e32 v22, v22, v23
	ds_bpermute_b32 v23, v48, v22
	s_waitcnt lgkmcnt(0)
	v_cndmask_b32_e32 v20, 0, v23, vcc_lo
	v_dual_mov_b32 v22, 0 :: v_dual_add_nc_u32 v23, v22, v20
	s_branch .LBB1099_81
.LBB1099_80:                            ;   in Loop: Header=BB1099_81 Depth=1
	s_or_b32 exec_lo, exec_lo, s12
	ds_bpermute_b32 v26, v40, v23
	v_and_b32_e32 v25, 0xff, v24
	v_subrev_nc_u32_e32 v21, 32, v21
	s_delay_alu instid0(VALU_DEP_2) | instskip(SKIP_1) | instid1(VALU_DEP_1)
	v_cmp_eq_u16_e32 vcc_lo, 2, v25
	v_and_or_b32 v25, vcc_lo, v41, 0x80000000
	v_ctz_i32_b32_e32 v25, v25
	s_delay_alu instid0(VALU_DEP_1) | instskip(SKIP_3) | instid1(VALU_DEP_2)
	v_cmp_lt_u32_e32 vcc_lo, v35, v25
	s_waitcnt lgkmcnt(0)
	v_cndmask_b32_e32 v26, 0, v26, vcc_lo
	v_cmp_le_u32_e32 vcc_lo, v43, v25
	v_add_nc_u32_e32 v23, v26, v23
	ds_bpermute_b32 v26, v42, v23
	s_waitcnt lgkmcnt(0)
	v_cndmask_b32_e32 v26, 0, v26, vcc_lo
	v_cmp_le_u32_e32 vcc_lo, v45, v25
	s_delay_alu instid0(VALU_DEP_2) | instskip(SKIP_4) | instid1(VALU_DEP_2)
	v_add_nc_u32_e32 v23, v23, v26
	ds_bpermute_b32 v26, v44, v23
	s_waitcnt lgkmcnt(0)
	v_cndmask_b32_e32 v26, 0, v26, vcc_lo
	v_cmp_le_u32_e32 vcc_lo, v47, v25
	v_add_nc_u32_e32 v23, v23, v26
	ds_bpermute_b32 v26, v46, v23
	s_waitcnt lgkmcnt(0)
	v_cndmask_b32_e32 v26, 0, v26, vcc_lo
	v_cmp_le_u32_e32 vcc_lo, v49, v25
	s_delay_alu instid0(VALU_DEP_2) | instskip(SKIP_3) | instid1(VALU_DEP_1)
	v_add_nc_u32_e32 v23, v23, v26
	ds_bpermute_b32 v26, v48, v23
	s_waitcnt lgkmcnt(0)
	v_cndmask_b32_e32 v25, 0, v26, vcc_lo
	v_add3_u32 v23, v25, v20, v23
.LBB1099_81:                            ; =>This Loop Header: Depth=1
                                        ;     Child Loop BB1099_84 Depth 2
                                        ;       Child Loop BB1099_85 Depth 3
	v_and_b32_e32 v20, 0xff, v24
	s_delay_alu instid0(VALU_DEP_1) | instskip(SKIP_2) | instid1(VALU_DEP_1)
	v_cmp_ne_u16_e32 vcc_lo, 2, v20
	v_cndmask_b32_e64 v20, 0, 1, vcc_lo
	;;#ASMSTART
	;;#ASMEND
	v_cmp_ne_u32_e32 vcc_lo, 0, v20
	v_mov_b32_e32 v20, v23
	s_cmp_lg_u32 vcc_lo, exec_lo
	s_cbranch_scc1 .LBB1099_88
; %bb.82:                               ;   in Loop: Header=BB1099_81 Depth=1
	v_lshlrev_b64 v[23:24], 3, v[21:22]
	s_mov_b32 s12, exec_lo
	s_delay_alu instid0(VALU_DEP_1) | instskip(NEXT) | instid1(VALU_DEP_2)
	v_add_co_u32 v25, vcc_lo, s8, v23
	v_add_co_ci_u32_e32 v26, vcc_lo, s9, v24, vcc_lo
	global_load_b64 v[23:24], v[25:26], off glc
	s_waitcnt vmcnt(0)
	v_and_b32_e32 v50, 0xff, v24
	s_delay_alu instid0(VALU_DEP_1)
	v_cmpx_eq_u16_e32 0, v50
	s_cbranch_execz .LBB1099_80
; %bb.83:                               ;   in Loop: Header=BB1099_81 Depth=1
	s_mov_b32 s18, 1
	s_mov_b32 s13, 0
	.p2align	6
.LBB1099_84:                            ;   Parent Loop BB1099_81 Depth=1
                                        ; =>  This Loop Header: Depth=2
                                        ;       Child Loop BB1099_85 Depth 3
	s_max_u32 s19, s18, 1
.LBB1099_85:                            ;   Parent Loop BB1099_81 Depth=1
                                        ;     Parent Loop BB1099_84 Depth=2
                                        ; =>    This Inner Loop Header: Depth=3
	s_delay_alu instid0(SALU_CYCLE_1)
	s_add_i32 s19, s19, -1
	s_sleep 1
	s_cmp_eq_u32 s19, 0
	s_cbranch_scc0 .LBB1099_85
; %bb.86:                               ;   in Loop: Header=BB1099_84 Depth=2
	global_load_b64 v[23:24], v[25:26], off glc
	s_cmp_lt_u32 s18, 32
	s_cselect_b32 s19, -1, 0
	s_delay_alu instid0(SALU_CYCLE_1) | instskip(SKIP_3) | instid1(VALU_DEP_1)
	s_cmp_lg_u32 s19, 0
	s_addc_u32 s18, s18, 0
	s_waitcnt vmcnt(0)
	v_and_b32_e32 v50, 0xff, v24
	v_cmp_ne_u16_e32 vcc_lo, 0, v50
	s_or_b32 s13, vcc_lo, s13
	s_delay_alu instid0(SALU_CYCLE_1)
	s_and_not1_b32 exec_lo, exec_lo, s13
	s_cbranch_execnz .LBB1099_84
; %bb.87:                               ;   in Loop: Header=BB1099_81 Depth=1
	s_or_b32 exec_lo, exec_lo, s13
	s_branch .LBB1099_80
.LBB1099_88:                            ;   in Loop: Header=BB1099_81 Depth=1
                                        ; implicit-def: $vgpr23
                                        ; implicit-def: $vgpr24
	s_cbranch_execz .LBB1099_81
; %bb.89:
	s_and_saveexec_b32 s12, s6
	s_cbranch_execz .LBB1099_91
; %bb.90:
	s_add_i32 s18, s15, 32
	s_mov_b32 s19, 0
	v_dual_mov_b32 v22, 2 :: v_dual_add_nc_u32 v21, v20, v19
	s_lshl_b64 s[18:19], s[18:19], 3
	v_mov_b32_e32 v23, 0
	s_add_u32 s18, s8, s18
	s_addc_u32 s19, s9, s19
	global_store_b64 v23, v[21:22], s[18:19]
	ds_store_b64 v23, v[19:20] offset:12672
.LBB1099_91:
	s_or_b32 exec_lo, exec_lo, s12
	v_cmp_eq_u32_e32 vcc_lo, 0, v0
	s_and_b32 exec_lo, exec_lo, vcc_lo
	s_cbranch_execz .LBB1099_93
; %bb.92:
	v_mov_b32_e32 v19, 0
	ds_store_b32 v19, v20 offset:44
.LBB1099_93:
	s_or_b32 exec_lo, exec_lo, s7
	v_mov_b32_e32 v19, 0
	s_waitcnt lgkmcnt(0)
	s_waitcnt_vscnt null, 0x0
	s_barrier
	buffer_gl0_inv
	v_cndmask_b32_e64 v21, v39, v38, s6
	ds_load_b32 v20, v19 offset:44
	v_cmp_ne_u32_e32 vcc_lo, 0, v0
	s_waitcnt lgkmcnt(0)
	s_barrier
	buffer_gl0_inv
	v_cndmask_b32_e32 v21, 0, v21, vcc_lo
	s_delay_alu instid0(VALU_DEP_1) | instskip(NEXT) | instid1(VALU_DEP_1)
	v_add_nc_u32_e32 v41, v20, v21
	v_add_nc_u32_e32 v40, v41, v28
	ds_load_b64 v[19:20], v19 offset:12672
	v_add_nc_u32_e32 v39, v40, v29
	s_delay_alu instid0(VALU_DEP_1) | instskip(NEXT) | instid1(VALU_DEP_1)
	v_add_nc_u32_e32 v38, v39, v30
	v_add_nc_u32_e32 v26, v38, v31
	s_delay_alu instid0(VALU_DEP_1) | instskip(NEXT) | instid1(VALU_DEP_1)
	v_add_nc_u32_e32 v25, v26, v32
	v_add_nc_u32_e32 v24, v25, v33
	s_delay_alu instid0(VALU_DEP_1)
	v_add_nc_u32_e32 v23, v24, v34
	v_lshrrev_b64 v[21:22], 24, v[17:18]
	s_branch .LBB1099_104
.LBB1099_94:
                                        ; implicit-def: $vgpr23
                                        ; implicit-def: $vgpr24
                                        ; implicit-def: $vgpr25
                                        ; implicit-def: $vgpr26
                                        ; implicit-def: $vgpr38
                                        ; implicit-def: $vgpr39
                                        ; implicit-def: $vgpr40
                                        ; implicit-def: $vgpr41
                                        ; implicit-def: $vgpr20
	v_lshrrev_b64 v[21:22], 24, v[17:18]
	s_and_b32 vcc_lo, exec_lo, s6
	s_cbranch_vccz .LBB1099_104
; %bb.95:
	s_waitcnt lgkmcnt(0)
	v_mov_b32_dpp v19, v37 row_shr:1 row_mask:0xf bank_mask:0xf
	s_delay_alu instid0(VALU_DEP_1) | instskip(NEXT) | instid1(VALU_DEP_1)
	v_cndmask_b32_e64 v19, v19, 0, s2
	v_add_nc_u32_e32 v19, v19, v37
	s_delay_alu instid0(VALU_DEP_1) | instskip(NEXT) | instid1(VALU_DEP_1)
	v_mov_b32_dpp v20, v19 row_shr:2 row_mask:0xf bank_mask:0xf
	v_cndmask_b32_e64 v20, 0, v20, s3
	s_delay_alu instid0(VALU_DEP_1) | instskip(NEXT) | instid1(VALU_DEP_1)
	v_add_nc_u32_e32 v19, v19, v20
	v_mov_b32_dpp v20, v19 row_shr:4 row_mask:0xf bank_mask:0xf
	s_delay_alu instid0(VALU_DEP_1) | instskip(NEXT) | instid1(VALU_DEP_1)
	v_cndmask_b32_e64 v20, 0, v20, s1
	v_add_nc_u32_e32 v19, v19, v20
	s_delay_alu instid0(VALU_DEP_1) | instskip(NEXT) | instid1(VALU_DEP_1)
	v_mov_b32_dpp v20, v19 row_shr:8 row_mask:0xf bank_mask:0xf
	v_cndmask_b32_e64 v20, 0, v20, s0
	s_delay_alu instid0(VALU_DEP_1) | instskip(SKIP_3) | instid1(VALU_DEP_1)
	v_add_nc_u32_e32 v19, v19, v20
	ds_swizzle_b32 v20, v19 offset:swizzle(BROADCAST,32,15)
	s_waitcnt lgkmcnt(0)
	v_cndmask_b32_e64 v20, v20, 0, s5
	v_add_nc_u32_e32 v19, v19, v20
	s_and_saveexec_b32 s5, s4
	s_cbranch_execz .LBB1099_97
; %bb.96:
	v_lshlrev_b32_e32 v20, 2, v36
	ds_store_b32 v20, v19
.LBB1099_97:
	s_or_b32 exec_lo, exec_lo, s5
	s_delay_alu instid0(SALU_CYCLE_1)
	s_mov_b32 s4, exec_lo
	s_waitcnt lgkmcnt(0)
	s_barrier
	buffer_gl0_inv
	v_cmpx_gt_u32_e32 12, v0
	s_cbranch_execz .LBB1099_99
; %bb.98:
	v_lshlrev_b32_e32 v20, 2, v0
	ds_load_b32 v22, v20
	s_waitcnt lgkmcnt(0)
	v_mov_b32_dpp v23, v22 row_shr:1 row_mask:0xf bank_mask:0xf
	s_delay_alu instid0(VALU_DEP_1) | instskip(NEXT) | instid1(VALU_DEP_1)
	v_cndmask_b32_e64 v23, v23, 0, s2
	v_add_nc_u32_e32 v22, v23, v22
	s_delay_alu instid0(VALU_DEP_1) | instskip(NEXT) | instid1(VALU_DEP_1)
	v_mov_b32_dpp v23, v22 row_shr:2 row_mask:0xf bank_mask:0xf
	v_cndmask_b32_e64 v23, 0, v23, s3
	s_delay_alu instid0(VALU_DEP_1) | instskip(NEXT) | instid1(VALU_DEP_1)
	v_add_nc_u32_e32 v22, v22, v23
	v_mov_b32_dpp v23, v22 row_shr:4 row_mask:0xf bank_mask:0xf
	s_delay_alu instid0(VALU_DEP_1) | instskip(NEXT) | instid1(VALU_DEP_1)
	v_cndmask_b32_e64 v23, 0, v23, s1
	v_add_nc_u32_e32 v22, v22, v23
	s_delay_alu instid0(VALU_DEP_1) | instskip(NEXT) | instid1(VALU_DEP_1)
	v_mov_b32_dpp v23, v22 row_shr:8 row_mask:0xf bank_mask:0xf
	v_cndmask_b32_e64 v23, 0, v23, s0
	s_delay_alu instid0(VALU_DEP_1)
	v_add_nc_u32_e32 v22, v22, v23
	ds_store_b32 v20, v22
.LBB1099_99:
	s_or_b32 exec_lo, exec_lo, s4
	v_mov_b32_e32 v20, 0
	v_mov_b32_e32 v22, 0
	s_mov_b32 s0, exec_lo
	s_waitcnt lgkmcnt(0)
	s_barrier
	buffer_gl0_inv
	v_cmpx_lt_u32_e32 31, v0
	s_cbranch_execz .LBB1099_101
; %bb.100:
	v_lshl_add_u32 v22, v36, 2, -4
	ds_load_b32 v22, v22
.LBB1099_101:
	s_or_b32 exec_lo, exec_lo, s0
	v_add_nc_u32_e32 v23, -1, v35
	s_waitcnt lgkmcnt(0)
	v_add_nc_u32_e32 v19, v22, v19
	s_delay_alu instid0(VALU_DEP_2) | instskip(SKIP_2) | instid1(VALU_DEP_2)
	v_cmp_gt_i32_e32 vcc_lo, 0, v23
	v_cndmask_b32_e32 v23, v23, v35, vcc_lo
	v_cmp_eq_u32_e32 vcc_lo, 0, v0
	v_lshlrev_b32_e32 v23, 2, v23
	ds_bpermute_b32 v23, v23, v19
	ds_load_b32 v19, v20 offset:44
	s_and_saveexec_b32 s0, vcc_lo
	s_cbranch_execz .LBB1099_103
; %bb.102:
	v_mov_b32_e32 v24, 0
	v_mov_b32_e32 v20, 2
	s_waitcnt lgkmcnt(0)
	global_store_b64 v24, v[19:20], s[8:9] offset:256
.LBB1099_103:
	s_or_b32 exec_lo, exec_lo, s0
	v_cmp_eq_u32_e64 s0, 0, v35
	s_waitcnt lgkmcnt(0)
	s_waitcnt_vscnt null, 0x0
	s_barrier
	buffer_gl0_inv
	v_cndmask_b32_e64 v20, v23, v22, s0
	s_delay_alu instid0(VALU_DEP_1) | instskip(SKIP_1) | instid1(VALU_DEP_2)
	v_cndmask_b32_e64 v41, v20, 0, vcc_lo
	v_mov_b32_e32 v20, 0
	v_add_nc_u32_e32 v40, v41, v28
	s_delay_alu instid0(VALU_DEP_1) | instskip(NEXT) | instid1(VALU_DEP_1)
	v_add_nc_u32_e32 v39, v40, v29
	v_add_nc_u32_e32 v38, v39, v30
	s_delay_alu instid0(VALU_DEP_1) | instskip(NEXT) | instid1(VALU_DEP_1)
	v_add_nc_u32_e32 v26, v38, v31
	;; [unrolled: 3-line block ×3, first 2 shown]
	v_add_nc_u32_e32 v23, v24, v34
.LBB1099_104:
	v_lshrrev_b32_e32 v30, 8, v17
	v_lshrrev_b32_e32 v29, 16, v17
	v_and_b32_e32 v17, 1, v17
	s_waitcnt lgkmcnt(0)
	v_cmp_gt_u32_e32 vcc_lo, 0x181, v19
	v_lshrrev_b32_e32 v28, 8, v18
	v_lshrrev_b32_e32 v22, 16, v18
	v_cmp_lt_u32_e64 s0, 0x180, v19
	v_cmp_eq_u32_e64 s1, 1, v17
	s_cbranch_vccnz .LBB1099_122
; %bb.105:
	s_delay_alu instid0(VALU_DEP_1)
	s_and_saveexec_b32 s2, s1
	s_cbranch_execz .LBB1099_107
; %bb.106:
	v_sub_nc_u32_e32 v31, v41, v20
	s_delay_alu instid0(VALU_DEP_1)
	v_lshlrev_b32_e32 v31, 2, v31
	ds_store_b32 v31, v7
.LBB1099_107:
	s_or_b32 exec_lo, exec_lo, s2
	v_and_b32_e32 v7, 1, v30
	s_mov_b32 s1, exec_lo
	s_delay_alu instid0(VALU_DEP_1)
	v_cmpx_eq_u32_e32 1, v7
	s_cbranch_execz .LBB1099_109
; %bb.108:
	v_sub_nc_u32_e32 v7, v40, v20
	s_delay_alu instid0(VALU_DEP_1)
	v_lshlrev_b32_e32 v7, 2, v7
	ds_store_b32 v7, v8
.LBB1099_109:
	s_or_b32 exec_lo, exec_lo, s1
	v_and_b32_e32 v7, 1, v29
	s_mov_b32 s1, exec_lo
	s_delay_alu instid0(VALU_DEP_1)
	v_cmpx_eq_u32_e32 1, v7
	;; [unrolled: 12-line block ×7, first 2 shown]
	s_cbranch_execz .LBB1099_121
; %bb.120:
	v_sub_nc_u32_e32 v1, v23, v20
	s_delay_alu instid0(VALU_DEP_1)
	v_lshlrev_b32_e32 v1, 2, v1
	ds_store_b32 v1, v2
.LBB1099_121:
	s_or_b32 exec_lo, exec_lo, s1
	s_waitcnt lgkmcnt(0)
	s_barrier
	buffer_gl0_inv
.LBB1099_122:
	s_delay_alu instid0(VALU_DEP_2)
	s_and_not1_b32 vcc_lo, exec_lo, s0
	s_barrier
	buffer_gl0_inv
	s_cbranch_vccnz .LBB1099_141
; %bb.123:
	s_mov_b32 s0, exec_lo
	v_cmpx_eq_u32_e32 1, v17
	s_cbranch_execz .LBB1099_125
; %bb.124:
	v_sub_nc_u32_e32 v1, v41, v20
	s_delay_alu instid0(VALU_DEP_1)
	v_lshlrev_b32_e32 v1, 2, v1
	ds_store_b32 v1, v15
.LBB1099_125:
	s_or_b32 exec_lo, exec_lo, s0
	v_and_b32_e32 v1, 1, v30
	s_mov_b32 s0, exec_lo
	s_delay_alu instid0(VALU_DEP_1)
	v_cmpx_eq_u32_e32 1, v1
	s_cbranch_execz .LBB1099_127
; %bb.126:
	v_sub_nc_u32_e32 v1, v40, v20
	s_delay_alu instid0(VALU_DEP_1)
	v_lshlrev_b32_e32 v1, 2, v1
	ds_store_b32 v1, v16
.LBB1099_127:
	s_or_b32 exec_lo, exec_lo, s0
	v_and_b32_e32 v1, 1, v29
	s_mov_b32 s0, exec_lo
	s_delay_alu instid0(VALU_DEP_1)
	;; [unrolled: 12-line block ×7, first 2 shown]
	v_cmpx_eq_u32_e32 1, v1
	s_cbranch_execz .LBB1099_139
; %bb.138:
	v_sub_nc_u32_e32 v1, v23, v20
	s_delay_alu instid0(VALU_DEP_1)
	v_lshlrev_b32_e32 v1, 2, v1
	ds_store_b32 v1, v10
.LBB1099_139:
	s_or_b32 exec_lo, exec_lo, s0
	s_waitcnt lgkmcnt(0)
	s_barrier
	buffer_gl0_inv
	v_cmp_eq_u32_e32 vcc_lo, 0, v0
	s_and_b32 s0, vcc_lo, s14
	s_delay_alu instid0(SALU_CYCLE_1)
	s_and_saveexec_b32 s1, s0
	s_cbranch_execnz .LBB1099_142
.LBB1099_140:
	s_endpgm
.LBB1099_141:
	v_cmp_eq_u32_e32 vcc_lo, 0, v0
	s_and_b32 s0, vcc_lo, s14
	s_delay_alu instid0(SALU_CYCLE_1)
	s_and_saveexec_b32 s1, s0
	s_cbranch_execz .LBB1099_140
.LBB1099_142:
	v_add_co_u32 v0, s0, s10, v19
	s_delay_alu instid0(VALU_DEP_1) | instskip(SKIP_1) | instid1(VALU_DEP_3)
	v_add_co_ci_u32_e64 v1, null, s11, 0, s0
	v_mov_b32_e32 v2, 0
	v_add_co_u32 v0, vcc_lo, v0, v20
	s_delay_alu instid0(VALU_DEP_3)
	v_add_co_ci_u32_e32 v1, vcc_lo, 0, v1, vcc_lo
	global_store_b64 v2, v[0:1], s[16:17]
	s_nop 0
	s_sendmsg sendmsg(MSG_DEALLOC_VGPRS)
	s_endpgm
	.section	.rodata,"a",@progbits
	.p2align	6, 0x0
	.amdhsa_kernel _ZN7rocprim17ROCPRIM_400000_NS6detail17trampoline_kernelINS0_14default_configENS1_25partition_config_selectorILNS1_17partition_subalgoE9EijbEEZZNS1_14partition_implILS5_9ELb0ES3_jN6thrust23THRUST_200600_302600_NS6detail15normal_iteratorINS9_10device_ptrIiEEEENSB_INSC_IjEEEEPNS0_10empty_typeENS0_5tupleIJNS9_16discard_iteratorINS9_11use_defaultEEESH_EEENSJ_IJSM_SI_EEENS0_18inequality_wrapperINS9_8equal_toIiEEEEPmJSH_EEE10hipError_tPvRmT3_T4_T5_T6_T7_T9_mT8_P12ihipStream_tbDpT10_ENKUlT_T0_E_clISt17integral_constantIbLb1EES1C_IbLb0EEEEDaS18_S19_EUlS18_E_NS1_11comp_targetILNS1_3genE9ELNS1_11target_archE1100ELNS1_3gpuE3ELNS1_3repE0EEENS1_30default_config_static_selectorELNS0_4arch9wavefront6targetE0EEEvT1_
		.amdhsa_group_segment_fixed_size 12680
		.amdhsa_private_segment_fixed_size 0
		.amdhsa_kernarg_size 128
		.amdhsa_user_sgpr_count 15
		.amdhsa_user_sgpr_dispatch_ptr 0
		.amdhsa_user_sgpr_queue_ptr 0
		.amdhsa_user_sgpr_kernarg_segment_ptr 1
		.amdhsa_user_sgpr_dispatch_id 0
		.amdhsa_user_sgpr_private_segment_size 0
		.amdhsa_wavefront_size32 1
		.amdhsa_uses_dynamic_stack 0
		.amdhsa_enable_private_segment 0
		.amdhsa_system_sgpr_workgroup_id_x 1
		.amdhsa_system_sgpr_workgroup_id_y 0
		.amdhsa_system_sgpr_workgroup_id_z 0
		.amdhsa_system_sgpr_workgroup_info 0
		.amdhsa_system_vgpr_workitem_id 0
		.amdhsa_next_free_vgpr 51
		.amdhsa_next_free_sgpr 25
		.amdhsa_reserve_vcc 1
		.amdhsa_float_round_mode_32 0
		.amdhsa_float_round_mode_16_64 0
		.amdhsa_float_denorm_mode_32 3
		.amdhsa_float_denorm_mode_16_64 3
		.amdhsa_dx10_clamp 1
		.amdhsa_ieee_mode 1
		.amdhsa_fp16_overflow 0
		.amdhsa_workgroup_processor_mode 1
		.amdhsa_memory_ordered 1
		.amdhsa_forward_progress 0
		.amdhsa_shared_vgpr_count 0
		.amdhsa_exception_fp_ieee_invalid_op 0
		.amdhsa_exception_fp_denorm_src 0
		.amdhsa_exception_fp_ieee_div_zero 0
		.amdhsa_exception_fp_ieee_overflow 0
		.amdhsa_exception_fp_ieee_underflow 0
		.amdhsa_exception_fp_ieee_inexact 0
		.amdhsa_exception_int_div_zero 0
	.end_amdhsa_kernel
	.section	.text._ZN7rocprim17ROCPRIM_400000_NS6detail17trampoline_kernelINS0_14default_configENS1_25partition_config_selectorILNS1_17partition_subalgoE9EijbEEZZNS1_14partition_implILS5_9ELb0ES3_jN6thrust23THRUST_200600_302600_NS6detail15normal_iteratorINS9_10device_ptrIiEEEENSB_INSC_IjEEEEPNS0_10empty_typeENS0_5tupleIJNS9_16discard_iteratorINS9_11use_defaultEEESH_EEENSJ_IJSM_SI_EEENS0_18inequality_wrapperINS9_8equal_toIiEEEEPmJSH_EEE10hipError_tPvRmT3_T4_T5_T6_T7_T9_mT8_P12ihipStream_tbDpT10_ENKUlT_T0_E_clISt17integral_constantIbLb1EES1C_IbLb0EEEEDaS18_S19_EUlS18_E_NS1_11comp_targetILNS1_3genE9ELNS1_11target_archE1100ELNS1_3gpuE3ELNS1_3repE0EEENS1_30default_config_static_selectorELNS0_4arch9wavefront6targetE0EEEvT1_,"axG",@progbits,_ZN7rocprim17ROCPRIM_400000_NS6detail17trampoline_kernelINS0_14default_configENS1_25partition_config_selectorILNS1_17partition_subalgoE9EijbEEZZNS1_14partition_implILS5_9ELb0ES3_jN6thrust23THRUST_200600_302600_NS6detail15normal_iteratorINS9_10device_ptrIiEEEENSB_INSC_IjEEEEPNS0_10empty_typeENS0_5tupleIJNS9_16discard_iteratorINS9_11use_defaultEEESH_EEENSJ_IJSM_SI_EEENS0_18inequality_wrapperINS9_8equal_toIiEEEEPmJSH_EEE10hipError_tPvRmT3_T4_T5_T6_T7_T9_mT8_P12ihipStream_tbDpT10_ENKUlT_T0_E_clISt17integral_constantIbLb1EES1C_IbLb0EEEEDaS18_S19_EUlS18_E_NS1_11comp_targetILNS1_3genE9ELNS1_11target_archE1100ELNS1_3gpuE3ELNS1_3repE0EEENS1_30default_config_static_selectorELNS0_4arch9wavefront6targetE0EEEvT1_,comdat
.Lfunc_end1099:
	.size	_ZN7rocprim17ROCPRIM_400000_NS6detail17trampoline_kernelINS0_14default_configENS1_25partition_config_selectorILNS1_17partition_subalgoE9EijbEEZZNS1_14partition_implILS5_9ELb0ES3_jN6thrust23THRUST_200600_302600_NS6detail15normal_iteratorINS9_10device_ptrIiEEEENSB_INSC_IjEEEEPNS0_10empty_typeENS0_5tupleIJNS9_16discard_iteratorINS9_11use_defaultEEESH_EEENSJ_IJSM_SI_EEENS0_18inequality_wrapperINS9_8equal_toIiEEEEPmJSH_EEE10hipError_tPvRmT3_T4_T5_T6_T7_T9_mT8_P12ihipStream_tbDpT10_ENKUlT_T0_E_clISt17integral_constantIbLb1EES1C_IbLb0EEEEDaS18_S19_EUlS18_E_NS1_11comp_targetILNS1_3genE9ELNS1_11target_archE1100ELNS1_3gpuE3ELNS1_3repE0EEENS1_30default_config_static_selectorELNS0_4arch9wavefront6targetE0EEEvT1_, .Lfunc_end1099-_ZN7rocprim17ROCPRIM_400000_NS6detail17trampoline_kernelINS0_14default_configENS1_25partition_config_selectorILNS1_17partition_subalgoE9EijbEEZZNS1_14partition_implILS5_9ELb0ES3_jN6thrust23THRUST_200600_302600_NS6detail15normal_iteratorINS9_10device_ptrIiEEEENSB_INSC_IjEEEEPNS0_10empty_typeENS0_5tupleIJNS9_16discard_iteratorINS9_11use_defaultEEESH_EEENSJ_IJSM_SI_EEENS0_18inequality_wrapperINS9_8equal_toIiEEEEPmJSH_EEE10hipError_tPvRmT3_T4_T5_T6_T7_T9_mT8_P12ihipStream_tbDpT10_ENKUlT_T0_E_clISt17integral_constantIbLb1EES1C_IbLb0EEEEDaS18_S19_EUlS18_E_NS1_11comp_targetILNS1_3genE9ELNS1_11target_archE1100ELNS1_3gpuE3ELNS1_3repE0EEENS1_30default_config_static_selectorELNS0_4arch9wavefront6targetE0EEEvT1_
                                        ; -- End function
	.section	.AMDGPU.csdata,"",@progbits
; Kernel info:
; codeLenInByte = 7568
; NumSgprs: 27
; NumVgprs: 51
; ScratchSize: 0
; MemoryBound: 0
; FloatMode: 240
; IeeeMode: 1
; LDSByteSize: 12680 bytes/workgroup (compile time only)
; SGPRBlocks: 3
; VGPRBlocks: 6
; NumSGPRsForWavesPerEU: 27
; NumVGPRsForWavesPerEU: 51
; Occupancy: 15
; WaveLimiterHint : 1
; COMPUTE_PGM_RSRC2:SCRATCH_EN: 0
; COMPUTE_PGM_RSRC2:USER_SGPR: 15
; COMPUTE_PGM_RSRC2:TRAP_HANDLER: 0
; COMPUTE_PGM_RSRC2:TGID_X_EN: 1
; COMPUTE_PGM_RSRC2:TGID_Y_EN: 0
; COMPUTE_PGM_RSRC2:TGID_Z_EN: 0
; COMPUTE_PGM_RSRC2:TIDIG_COMP_CNT: 0
	.section	.text._ZN7rocprim17ROCPRIM_400000_NS6detail17trampoline_kernelINS0_14default_configENS1_25partition_config_selectorILNS1_17partition_subalgoE9EijbEEZZNS1_14partition_implILS5_9ELb0ES3_jN6thrust23THRUST_200600_302600_NS6detail15normal_iteratorINS9_10device_ptrIiEEEENSB_INSC_IjEEEEPNS0_10empty_typeENS0_5tupleIJNS9_16discard_iteratorINS9_11use_defaultEEESH_EEENSJ_IJSM_SI_EEENS0_18inequality_wrapperINS9_8equal_toIiEEEEPmJSH_EEE10hipError_tPvRmT3_T4_T5_T6_T7_T9_mT8_P12ihipStream_tbDpT10_ENKUlT_T0_E_clISt17integral_constantIbLb1EES1C_IbLb0EEEEDaS18_S19_EUlS18_E_NS1_11comp_targetILNS1_3genE8ELNS1_11target_archE1030ELNS1_3gpuE2ELNS1_3repE0EEENS1_30default_config_static_selectorELNS0_4arch9wavefront6targetE0EEEvT1_,"axG",@progbits,_ZN7rocprim17ROCPRIM_400000_NS6detail17trampoline_kernelINS0_14default_configENS1_25partition_config_selectorILNS1_17partition_subalgoE9EijbEEZZNS1_14partition_implILS5_9ELb0ES3_jN6thrust23THRUST_200600_302600_NS6detail15normal_iteratorINS9_10device_ptrIiEEEENSB_INSC_IjEEEEPNS0_10empty_typeENS0_5tupleIJNS9_16discard_iteratorINS9_11use_defaultEEESH_EEENSJ_IJSM_SI_EEENS0_18inequality_wrapperINS9_8equal_toIiEEEEPmJSH_EEE10hipError_tPvRmT3_T4_T5_T6_T7_T9_mT8_P12ihipStream_tbDpT10_ENKUlT_T0_E_clISt17integral_constantIbLb1EES1C_IbLb0EEEEDaS18_S19_EUlS18_E_NS1_11comp_targetILNS1_3genE8ELNS1_11target_archE1030ELNS1_3gpuE2ELNS1_3repE0EEENS1_30default_config_static_selectorELNS0_4arch9wavefront6targetE0EEEvT1_,comdat
	.protected	_ZN7rocprim17ROCPRIM_400000_NS6detail17trampoline_kernelINS0_14default_configENS1_25partition_config_selectorILNS1_17partition_subalgoE9EijbEEZZNS1_14partition_implILS5_9ELb0ES3_jN6thrust23THRUST_200600_302600_NS6detail15normal_iteratorINS9_10device_ptrIiEEEENSB_INSC_IjEEEEPNS0_10empty_typeENS0_5tupleIJNS9_16discard_iteratorINS9_11use_defaultEEESH_EEENSJ_IJSM_SI_EEENS0_18inequality_wrapperINS9_8equal_toIiEEEEPmJSH_EEE10hipError_tPvRmT3_T4_T5_T6_T7_T9_mT8_P12ihipStream_tbDpT10_ENKUlT_T0_E_clISt17integral_constantIbLb1EES1C_IbLb0EEEEDaS18_S19_EUlS18_E_NS1_11comp_targetILNS1_3genE8ELNS1_11target_archE1030ELNS1_3gpuE2ELNS1_3repE0EEENS1_30default_config_static_selectorELNS0_4arch9wavefront6targetE0EEEvT1_ ; -- Begin function _ZN7rocprim17ROCPRIM_400000_NS6detail17trampoline_kernelINS0_14default_configENS1_25partition_config_selectorILNS1_17partition_subalgoE9EijbEEZZNS1_14partition_implILS5_9ELb0ES3_jN6thrust23THRUST_200600_302600_NS6detail15normal_iteratorINS9_10device_ptrIiEEEENSB_INSC_IjEEEEPNS0_10empty_typeENS0_5tupleIJNS9_16discard_iteratorINS9_11use_defaultEEESH_EEENSJ_IJSM_SI_EEENS0_18inequality_wrapperINS9_8equal_toIiEEEEPmJSH_EEE10hipError_tPvRmT3_T4_T5_T6_T7_T9_mT8_P12ihipStream_tbDpT10_ENKUlT_T0_E_clISt17integral_constantIbLb1EES1C_IbLb0EEEEDaS18_S19_EUlS18_E_NS1_11comp_targetILNS1_3genE8ELNS1_11target_archE1030ELNS1_3gpuE2ELNS1_3repE0EEENS1_30default_config_static_selectorELNS0_4arch9wavefront6targetE0EEEvT1_
	.globl	_ZN7rocprim17ROCPRIM_400000_NS6detail17trampoline_kernelINS0_14default_configENS1_25partition_config_selectorILNS1_17partition_subalgoE9EijbEEZZNS1_14partition_implILS5_9ELb0ES3_jN6thrust23THRUST_200600_302600_NS6detail15normal_iteratorINS9_10device_ptrIiEEEENSB_INSC_IjEEEEPNS0_10empty_typeENS0_5tupleIJNS9_16discard_iteratorINS9_11use_defaultEEESH_EEENSJ_IJSM_SI_EEENS0_18inequality_wrapperINS9_8equal_toIiEEEEPmJSH_EEE10hipError_tPvRmT3_T4_T5_T6_T7_T9_mT8_P12ihipStream_tbDpT10_ENKUlT_T0_E_clISt17integral_constantIbLb1EES1C_IbLb0EEEEDaS18_S19_EUlS18_E_NS1_11comp_targetILNS1_3genE8ELNS1_11target_archE1030ELNS1_3gpuE2ELNS1_3repE0EEENS1_30default_config_static_selectorELNS0_4arch9wavefront6targetE0EEEvT1_
	.p2align	8
	.type	_ZN7rocprim17ROCPRIM_400000_NS6detail17trampoline_kernelINS0_14default_configENS1_25partition_config_selectorILNS1_17partition_subalgoE9EijbEEZZNS1_14partition_implILS5_9ELb0ES3_jN6thrust23THRUST_200600_302600_NS6detail15normal_iteratorINS9_10device_ptrIiEEEENSB_INSC_IjEEEEPNS0_10empty_typeENS0_5tupleIJNS9_16discard_iteratorINS9_11use_defaultEEESH_EEENSJ_IJSM_SI_EEENS0_18inequality_wrapperINS9_8equal_toIiEEEEPmJSH_EEE10hipError_tPvRmT3_T4_T5_T6_T7_T9_mT8_P12ihipStream_tbDpT10_ENKUlT_T0_E_clISt17integral_constantIbLb1EES1C_IbLb0EEEEDaS18_S19_EUlS18_E_NS1_11comp_targetILNS1_3genE8ELNS1_11target_archE1030ELNS1_3gpuE2ELNS1_3repE0EEENS1_30default_config_static_selectorELNS0_4arch9wavefront6targetE0EEEvT1_,@function
_ZN7rocprim17ROCPRIM_400000_NS6detail17trampoline_kernelINS0_14default_configENS1_25partition_config_selectorILNS1_17partition_subalgoE9EijbEEZZNS1_14partition_implILS5_9ELb0ES3_jN6thrust23THRUST_200600_302600_NS6detail15normal_iteratorINS9_10device_ptrIiEEEENSB_INSC_IjEEEEPNS0_10empty_typeENS0_5tupleIJNS9_16discard_iteratorINS9_11use_defaultEEESH_EEENSJ_IJSM_SI_EEENS0_18inequality_wrapperINS9_8equal_toIiEEEEPmJSH_EEE10hipError_tPvRmT3_T4_T5_T6_T7_T9_mT8_P12ihipStream_tbDpT10_ENKUlT_T0_E_clISt17integral_constantIbLb1EES1C_IbLb0EEEEDaS18_S19_EUlS18_E_NS1_11comp_targetILNS1_3genE8ELNS1_11target_archE1030ELNS1_3gpuE2ELNS1_3repE0EEENS1_30default_config_static_selectorELNS0_4arch9wavefront6targetE0EEEvT1_: ; @_ZN7rocprim17ROCPRIM_400000_NS6detail17trampoline_kernelINS0_14default_configENS1_25partition_config_selectorILNS1_17partition_subalgoE9EijbEEZZNS1_14partition_implILS5_9ELb0ES3_jN6thrust23THRUST_200600_302600_NS6detail15normal_iteratorINS9_10device_ptrIiEEEENSB_INSC_IjEEEEPNS0_10empty_typeENS0_5tupleIJNS9_16discard_iteratorINS9_11use_defaultEEESH_EEENSJ_IJSM_SI_EEENS0_18inequality_wrapperINS9_8equal_toIiEEEEPmJSH_EEE10hipError_tPvRmT3_T4_T5_T6_T7_T9_mT8_P12ihipStream_tbDpT10_ENKUlT_T0_E_clISt17integral_constantIbLb1EES1C_IbLb0EEEEDaS18_S19_EUlS18_E_NS1_11comp_targetILNS1_3genE8ELNS1_11target_archE1030ELNS1_3gpuE2ELNS1_3repE0EEENS1_30default_config_static_selectorELNS0_4arch9wavefront6targetE0EEEvT1_
; %bb.0:
	.section	.rodata,"a",@progbits
	.p2align	6, 0x0
	.amdhsa_kernel _ZN7rocprim17ROCPRIM_400000_NS6detail17trampoline_kernelINS0_14default_configENS1_25partition_config_selectorILNS1_17partition_subalgoE9EijbEEZZNS1_14partition_implILS5_9ELb0ES3_jN6thrust23THRUST_200600_302600_NS6detail15normal_iteratorINS9_10device_ptrIiEEEENSB_INSC_IjEEEEPNS0_10empty_typeENS0_5tupleIJNS9_16discard_iteratorINS9_11use_defaultEEESH_EEENSJ_IJSM_SI_EEENS0_18inequality_wrapperINS9_8equal_toIiEEEEPmJSH_EEE10hipError_tPvRmT3_T4_T5_T6_T7_T9_mT8_P12ihipStream_tbDpT10_ENKUlT_T0_E_clISt17integral_constantIbLb1EES1C_IbLb0EEEEDaS18_S19_EUlS18_E_NS1_11comp_targetILNS1_3genE8ELNS1_11target_archE1030ELNS1_3gpuE2ELNS1_3repE0EEENS1_30default_config_static_selectorELNS0_4arch9wavefront6targetE0EEEvT1_
		.amdhsa_group_segment_fixed_size 0
		.amdhsa_private_segment_fixed_size 0
		.amdhsa_kernarg_size 128
		.amdhsa_user_sgpr_count 15
		.amdhsa_user_sgpr_dispatch_ptr 0
		.amdhsa_user_sgpr_queue_ptr 0
		.amdhsa_user_sgpr_kernarg_segment_ptr 1
		.amdhsa_user_sgpr_dispatch_id 0
		.amdhsa_user_sgpr_private_segment_size 0
		.amdhsa_wavefront_size32 1
		.amdhsa_uses_dynamic_stack 0
		.amdhsa_enable_private_segment 0
		.amdhsa_system_sgpr_workgroup_id_x 1
		.amdhsa_system_sgpr_workgroup_id_y 0
		.amdhsa_system_sgpr_workgroup_id_z 0
		.amdhsa_system_sgpr_workgroup_info 0
		.amdhsa_system_vgpr_workitem_id 0
		.amdhsa_next_free_vgpr 1
		.amdhsa_next_free_sgpr 1
		.amdhsa_reserve_vcc 0
		.amdhsa_float_round_mode_32 0
		.amdhsa_float_round_mode_16_64 0
		.amdhsa_float_denorm_mode_32 3
		.amdhsa_float_denorm_mode_16_64 3
		.amdhsa_dx10_clamp 1
		.amdhsa_ieee_mode 1
		.amdhsa_fp16_overflow 0
		.amdhsa_workgroup_processor_mode 1
		.amdhsa_memory_ordered 1
		.amdhsa_forward_progress 0
		.amdhsa_shared_vgpr_count 0
		.amdhsa_exception_fp_ieee_invalid_op 0
		.amdhsa_exception_fp_denorm_src 0
		.amdhsa_exception_fp_ieee_div_zero 0
		.amdhsa_exception_fp_ieee_overflow 0
		.amdhsa_exception_fp_ieee_underflow 0
		.amdhsa_exception_fp_ieee_inexact 0
		.amdhsa_exception_int_div_zero 0
	.end_amdhsa_kernel
	.section	.text._ZN7rocprim17ROCPRIM_400000_NS6detail17trampoline_kernelINS0_14default_configENS1_25partition_config_selectorILNS1_17partition_subalgoE9EijbEEZZNS1_14partition_implILS5_9ELb0ES3_jN6thrust23THRUST_200600_302600_NS6detail15normal_iteratorINS9_10device_ptrIiEEEENSB_INSC_IjEEEEPNS0_10empty_typeENS0_5tupleIJNS9_16discard_iteratorINS9_11use_defaultEEESH_EEENSJ_IJSM_SI_EEENS0_18inequality_wrapperINS9_8equal_toIiEEEEPmJSH_EEE10hipError_tPvRmT3_T4_T5_T6_T7_T9_mT8_P12ihipStream_tbDpT10_ENKUlT_T0_E_clISt17integral_constantIbLb1EES1C_IbLb0EEEEDaS18_S19_EUlS18_E_NS1_11comp_targetILNS1_3genE8ELNS1_11target_archE1030ELNS1_3gpuE2ELNS1_3repE0EEENS1_30default_config_static_selectorELNS0_4arch9wavefront6targetE0EEEvT1_,"axG",@progbits,_ZN7rocprim17ROCPRIM_400000_NS6detail17trampoline_kernelINS0_14default_configENS1_25partition_config_selectorILNS1_17partition_subalgoE9EijbEEZZNS1_14partition_implILS5_9ELb0ES3_jN6thrust23THRUST_200600_302600_NS6detail15normal_iteratorINS9_10device_ptrIiEEEENSB_INSC_IjEEEEPNS0_10empty_typeENS0_5tupleIJNS9_16discard_iteratorINS9_11use_defaultEEESH_EEENSJ_IJSM_SI_EEENS0_18inequality_wrapperINS9_8equal_toIiEEEEPmJSH_EEE10hipError_tPvRmT3_T4_T5_T6_T7_T9_mT8_P12ihipStream_tbDpT10_ENKUlT_T0_E_clISt17integral_constantIbLb1EES1C_IbLb0EEEEDaS18_S19_EUlS18_E_NS1_11comp_targetILNS1_3genE8ELNS1_11target_archE1030ELNS1_3gpuE2ELNS1_3repE0EEENS1_30default_config_static_selectorELNS0_4arch9wavefront6targetE0EEEvT1_,comdat
.Lfunc_end1100:
	.size	_ZN7rocprim17ROCPRIM_400000_NS6detail17trampoline_kernelINS0_14default_configENS1_25partition_config_selectorILNS1_17partition_subalgoE9EijbEEZZNS1_14partition_implILS5_9ELb0ES3_jN6thrust23THRUST_200600_302600_NS6detail15normal_iteratorINS9_10device_ptrIiEEEENSB_INSC_IjEEEEPNS0_10empty_typeENS0_5tupleIJNS9_16discard_iteratorINS9_11use_defaultEEESH_EEENSJ_IJSM_SI_EEENS0_18inequality_wrapperINS9_8equal_toIiEEEEPmJSH_EEE10hipError_tPvRmT3_T4_T5_T6_T7_T9_mT8_P12ihipStream_tbDpT10_ENKUlT_T0_E_clISt17integral_constantIbLb1EES1C_IbLb0EEEEDaS18_S19_EUlS18_E_NS1_11comp_targetILNS1_3genE8ELNS1_11target_archE1030ELNS1_3gpuE2ELNS1_3repE0EEENS1_30default_config_static_selectorELNS0_4arch9wavefront6targetE0EEEvT1_, .Lfunc_end1100-_ZN7rocprim17ROCPRIM_400000_NS6detail17trampoline_kernelINS0_14default_configENS1_25partition_config_selectorILNS1_17partition_subalgoE9EijbEEZZNS1_14partition_implILS5_9ELb0ES3_jN6thrust23THRUST_200600_302600_NS6detail15normal_iteratorINS9_10device_ptrIiEEEENSB_INSC_IjEEEEPNS0_10empty_typeENS0_5tupleIJNS9_16discard_iteratorINS9_11use_defaultEEESH_EEENSJ_IJSM_SI_EEENS0_18inequality_wrapperINS9_8equal_toIiEEEEPmJSH_EEE10hipError_tPvRmT3_T4_T5_T6_T7_T9_mT8_P12ihipStream_tbDpT10_ENKUlT_T0_E_clISt17integral_constantIbLb1EES1C_IbLb0EEEEDaS18_S19_EUlS18_E_NS1_11comp_targetILNS1_3genE8ELNS1_11target_archE1030ELNS1_3gpuE2ELNS1_3repE0EEENS1_30default_config_static_selectorELNS0_4arch9wavefront6targetE0EEEvT1_
                                        ; -- End function
	.section	.AMDGPU.csdata,"",@progbits
; Kernel info:
; codeLenInByte = 0
; NumSgprs: 0
; NumVgprs: 0
; ScratchSize: 0
; MemoryBound: 0
; FloatMode: 240
; IeeeMode: 1
; LDSByteSize: 0 bytes/workgroup (compile time only)
; SGPRBlocks: 0
; VGPRBlocks: 0
; NumSGPRsForWavesPerEU: 1
; NumVGPRsForWavesPerEU: 1
; Occupancy: 16
; WaveLimiterHint : 0
; COMPUTE_PGM_RSRC2:SCRATCH_EN: 0
; COMPUTE_PGM_RSRC2:USER_SGPR: 15
; COMPUTE_PGM_RSRC2:TRAP_HANDLER: 0
; COMPUTE_PGM_RSRC2:TGID_X_EN: 1
; COMPUTE_PGM_RSRC2:TGID_Y_EN: 0
; COMPUTE_PGM_RSRC2:TGID_Z_EN: 0
; COMPUTE_PGM_RSRC2:TIDIG_COMP_CNT: 0
	.section	.text._ZN7rocprim17ROCPRIM_400000_NS6detail17trampoline_kernelINS0_14default_configENS1_25partition_config_selectorILNS1_17partition_subalgoE9EijbEEZZNS1_14partition_implILS5_9ELb0ES3_jN6thrust23THRUST_200600_302600_NS6detail15normal_iteratorINS9_10device_ptrIiEEEENSB_INSC_IjEEEEPNS0_10empty_typeENS0_5tupleIJNS9_16discard_iteratorINS9_11use_defaultEEESH_EEENSJ_IJSM_SI_EEENS0_18inequality_wrapperINS9_8equal_toIiEEEEPmJSH_EEE10hipError_tPvRmT3_T4_T5_T6_T7_T9_mT8_P12ihipStream_tbDpT10_ENKUlT_T0_E_clISt17integral_constantIbLb0EES1C_IbLb1EEEEDaS18_S19_EUlS18_E_NS1_11comp_targetILNS1_3genE0ELNS1_11target_archE4294967295ELNS1_3gpuE0ELNS1_3repE0EEENS1_30default_config_static_selectorELNS0_4arch9wavefront6targetE0EEEvT1_,"axG",@progbits,_ZN7rocprim17ROCPRIM_400000_NS6detail17trampoline_kernelINS0_14default_configENS1_25partition_config_selectorILNS1_17partition_subalgoE9EijbEEZZNS1_14partition_implILS5_9ELb0ES3_jN6thrust23THRUST_200600_302600_NS6detail15normal_iteratorINS9_10device_ptrIiEEEENSB_INSC_IjEEEEPNS0_10empty_typeENS0_5tupleIJNS9_16discard_iteratorINS9_11use_defaultEEESH_EEENSJ_IJSM_SI_EEENS0_18inequality_wrapperINS9_8equal_toIiEEEEPmJSH_EEE10hipError_tPvRmT3_T4_T5_T6_T7_T9_mT8_P12ihipStream_tbDpT10_ENKUlT_T0_E_clISt17integral_constantIbLb0EES1C_IbLb1EEEEDaS18_S19_EUlS18_E_NS1_11comp_targetILNS1_3genE0ELNS1_11target_archE4294967295ELNS1_3gpuE0ELNS1_3repE0EEENS1_30default_config_static_selectorELNS0_4arch9wavefront6targetE0EEEvT1_,comdat
	.protected	_ZN7rocprim17ROCPRIM_400000_NS6detail17trampoline_kernelINS0_14default_configENS1_25partition_config_selectorILNS1_17partition_subalgoE9EijbEEZZNS1_14partition_implILS5_9ELb0ES3_jN6thrust23THRUST_200600_302600_NS6detail15normal_iteratorINS9_10device_ptrIiEEEENSB_INSC_IjEEEEPNS0_10empty_typeENS0_5tupleIJNS9_16discard_iteratorINS9_11use_defaultEEESH_EEENSJ_IJSM_SI_EEENS0_18inequality_wrapperINS9_8equal_toIiEEEEPmJSH_EEE10hipError_tPvRmT3_T4_T5_T6_T7_T9_mT8_P12ihipStream_tbDpT10_ENKUlT_T0_E_clISt17integral_constantIbLb0EES1C_IbLb1EEEEDaS18_S19_EUlS18_E_NS1_11comp_targetILNS1_3genE0ELNS1_11target_archE4294967295ELNS1_3gpuE0ELNS1_3repE0EEENS1_30default_config_static_selectorELNS0_4arch9wavefront6targetE0EEEvT1_ ; -- Begin function _ZN7rocprim17ROCPRIM_400000_NS6detail17trampoline_kernelINS0_14default_configENS1_25partition_config_selectorILNS1_17partition_subalgoE9EijbEEZZNS1_14partition_implILS5_9ELb0ES3_jN6thrust23THRUST_200600_302600_NS6detail15normal_iteratorINS9_10device_ptrIiEEEENSB_INSC_IjEEEEPNS0_10empty_typeENS0_5tupleIJNS9_16discard_iteratorINS9_11use_defaultEEESH_EEENSJ_IJSM_SI_EEENS0_18inequality_wrapperINS9_8equal_toIiEEEEPmJSH_EEE10hipError_tPvRmT3_T4_T5_T6_T7_T9_mT8_P12ihipStream_tbDpT10_ENKUlT_T0_E_clISt17integral_constantIbLb0EES1C_IbLb1EEEEDaS18_S19_EUlS18_E_NS1_11comp_targetILNS1_3genE0ELNS1_11target_archE4294967295ELNS1_3gpuE0ELNS1_3repE0EEENS1_30default_config_static_selectorELNS0_4arch9wavefront6targetE0EEEvT1_
	.globl	_ZN7rocprim17ROCPRIM_400000_NS6detail17trampoline_kernelINS0_14default_configENS1_25partition_config_selectorILNS1_17partition_subalgoE9EijbEEZZNS1_14partition_implILS5_9ELb0ES3_jN6thrust23THRUST_200600_302600_NS6detail15normal_iteratorINS9_10device_ptrIiEEEENSB_INSC_IjEEEEPNS0_10empty_typeENS0_5tupleIJNS9_16discard_iteratorINS9_11use_defaultEEESH_EEENSJ_IJSM_SI_EEENS0_18inequality_wrapperINS9_8equal_toIiEEEEPmJSH_EEE10hipError_tPvRmT3_T4_T5_T6_T7_T9_mT8_P12ihipStream_tbDpT10_ENKUlT_T0_E_clISt17integral_constantIbLb0EES1C_IbLb1EEEEDaS18_S19_EUlS18_E_NS1_11comp_targetILNS1_3genE0ELNS1_11target_archE4294967295ELNS1_3gpuE0ELNS1_3repE0EEENS1_30default_config_static_selectorELNS0_4arch9wavefront6targetE0EEEvT1_
	.p2align	8
	.type	_ZN7rocprim17ROCPRIM_400000_NS6detail17trampoline_kernelINS0_14default_configENS1_25partition_config_selectorILNS1_17partition_subalgoE9EijbEEZZNS1_14partition_implILS5_9ELb0ES3_jN6thrust23THRUST_200600_302600_NS6detail15normal_iteratorINS9_10device_ptrIiEEEENSB_INSC_IjEEEEPNS0_10empty_typeENS0_5tupleIJNS9_16discard_iteratorINS9_11use_defaultEEESH_EEENSJ_IJSM_SI_EEENS0_18inequality_wrapperINS9_8equal_toIiEEEEPmJSH_EEE10hipError_tPvRmT3_T4_T5_T6_T7_T9_mT8_P12ihipStream_tbDpT10_ENKUlT_T0_E_clISt17integral_constantIbLb0EES1C_IbLb1EEEEDaS18_S19_EUlS18_E_NS1_11comp_targetILNS1_3genE0ELNS1_11target_archE4294967295ELNS1_3gpuE0ELNS1_3repE0EEENS1_30default_config_static_selectorELNS0_4arch9wavefront6targetE0EEEvT1_,@function
_ZN7rocprim17ROCPRIM_400000_NS6detail17trampoline_kernelINS0_14default_configENS1_25partition_config_selectorILNS1_17partition_subalgoE9EijbEEZZNS1_14partition_implILS5_9ELb0ES3_jN6thrust23THRUST_200600_302600_NS6detail15normal_iteratorINS9_10device_ptrIiEEEENSB_INSC_IjEEEEPNS0_10empty_typeENS0_5tupleIJNS9_16discard_iteratorINS9_11use_defaultEEESH_EEENSJ_IJSM_SI_EEENS0_18inequality_wrapperINS9_8equal_toIiEEEEPmJSH_EEE10hipError_tPvRmT3_T4_T5_T6_T7_T9_mT8_P12ihipStream_tbDpT10_ENKUlT_T0_E_clISt17integral_constantIbLb0EES1C_IbLb1EEEEDaS18_S19_EUlS18_E_NS1_11comp_targetILNS1_3genE0ELNS1_11target_archE4294967295ELNS1_3gpuE0ELNS1_3repE0EEENS1_30default_config_static_selectorELNS0_4arch9wavefront6targetE0EEEvT1_: ; @_ZN7rocprim17ROCPRIM_400000_NS6detail17trampoline_kernelINS0_14default_configENS1_25partition_config_selectorILNS1_17partition_subalgoE9EijbEEZZNS1_14partition_implILS5_9ELb0ES3_jN6thrust23THRUST_200600_302600_NS6detail15normal_iteratorINS9_10device_ptrIiEEEENSB_INSC_IjEEEEPNS0_10empty_typeENS0_5tupleIJNS9_16discard_iteratorINS9_11use_defaultEEESH_EEENSJ_IJSM_SI_EEENS0_18inequality_wrapperINS9_8equal_toIiEEEEPmJSH_EEE10hipError_tPvRmT3_T4_T5_T6_T7_T9_mT8_P12ihipStream_tbDpT10_ENKUlT_T0_E_clISt17integral_constantIbLb0EES1C_IbLb1EEEEDaS18_S19_EUlS18_E_NS1_11comp_targetILNS1_3genE0ELNS1_11target_archE4294967295ELNS1_3gpuE0ELNS1_3repE0EEENS1_30default_config_static_selectorELNS0_4arch9wavefront6targetE0EEEvT1_
; %bb.0:
	.section	.rodata,"a",@progbits
	.p2align	6, 0x0
	.amdhsa_kernel _ZN7rocprim17ROCPRIM_400000_NS6detail17trampoline_kernelINS0_14default_configENS1_25partition_config_selectorILNS1_17partition_subalgoE9EijbEEZZNS1_14partition_implILS5_9ELb0ES3_jN6thrust23THRUST_200600_302600_NS6detail15normal_iteratorINS9_10device_ptrIiEEEENSB_INSC_IjEEEEPNS0_10empty_typeENS0_5tupleIJNS9_16discard_iteratorINS9_11use_defaultEEESH_EEENSJ_IJSM_SI_EEENS0_18inequality_wrapperINS9_8equal_toIiEEEEPmJSH_EEE10hipError_tPvRmT3_T4_T5_T6_T7_T9_mT8_P12ihipStream_tbDpT10_ENKUlT_T0_E_clISt17integral_constantIbLb0EES1C_IbLb1EEEEDaS18_S19_EUlS18_E_NS1_11comp_targetILNS1_3genE0ELNS1_11target_archE4294967295ELNS1_3gpuE0ELNS1_3repE0EEENS1_30default_config_static_selectorELNS0_4arch9wavefront6targetE0EEEvT1_
		.amdhsa_group_segment_fixed_size 0
		.amdhsa_private_segment_fixed_size 0
		.amdhsa_kernarg_size 144
		.amdhsa_user_sgpr_count 15
		.amdhsa_user_sgpr_dispatch_ptr 0
		.amdhsa_user_sgpr_queue_ptr 0
		.amdhsa_user_sgpr_kernarg_segment_ptr 1
		.amdhsa_user_sgpr_dispatch_id 0
		.amdhsa_user_sgpr_private_segment_size 0
		.amdhsa_wavefront_size32 1
		.amdhsa_uses_dynamic_stack 0
		.amdhsa_enable_private_segment 0
		.amdhsa_system_sgpr_workgroup_id_x 1
		.amdhsa_system_sgpr_workgroup_id_y 0
		.amdhsa_system_sgpr_workgroup_id_z 0
		.amdhsa_system_sgpr_workgroup_info 0
		.amdhsa_system_vgpr_workitem_id 0
		.amdhsa_next_free_vgpr 1
		.amdhsa_next_free_sgpr 1
		.amdhsa_reserve_vcc 0
		.amdhsa_float_round_mode_32 0
		.amdhsa_float_round_mode_16_64 0
		.amdhsa_float_denorm_mode_32 3
		.amdhsa_float_denorm_mode_16_64 3
		.amdhsa_dx10_clamp 1
		.amdhsa_ieee_mode 1
		.amdhsa_fp16_overflow 0
		.amdhsa_workgroup_processor_mode 1
		.amdhsa_memory_ordered 1
		.amdhsa_forward_progress 0
		.amdhsa_shared_vgpr_count 0
		.amdhsa_exception_fp_ieee_invalid_op 0
		.amdhsa_exception_fp_denorm_src 0
		.amdhsa_exception_fp_ieee_div_zero 0
		.amdhsa_exception_fp_ieee_overflow 0
		.amdhsa_exception_fp_ieee_underflow 0
		.amdhsa_exception_fp_ieee_inexact 0
		.amdhsa_exception_int_div_zero 0
	.end_amdhsa_kernel
	.section	.text._ZN7rocprim17ROCPRIM_400000_NS6detail17trampoline_kernelINS0_14default_configENS1_25partition_config_selectorILNS1_17partition_subalgoE9EijbEEZZNS1_14partition_implILS5_9ELb0ES3_jN6thrust23THRUST_200600_302600_NS6detail15normal_iteratorINS9_10device_ptrIiEEEENSB_INSC_IjEEEEPNS0_10empty_typeENS0_5tupleIJNS9_16discard_iteratorINS9_11use_defaultEEESH_EEENSJ_IJSM_SI_EEENS0_18inequality_wrapperINS9_8equal_toIiEEEEPmJSH_EEE10hipError_tPvRmT3_T4_T5_T6_T7_T9_mT8_P12ihipStream_tbDpT10_ENKUlT_T0_E_clISt17integral_constantIbLb0EES1C_IbLb1EEEEDaS18_S19_EUlS18_E_NS1_11comp_targetILNS1_3genE0ELNS1_11target_archE4294967295ELNS1_3gpuE0ELNS1_3repE0EEENS1_30default_config_static_selectorELNS0_4arch9wavefront6targetE0EEEvT1_,"axG",@progbits,_ZN7rocprim17ROCPRIM_400000_NS6detail17trampoline_kernelINS0_14default_configENS1_25partition_config_selectorILNS1_17partition_subalgoE9EijbEEZZNS1_14partition_implILS5_9ELb0ES3_jN6thrust23THRUST_200600_302600_NS6detail15normal_iteratorINS9_10device_ptrIiEEEENSB_INSC_IjEEEEPNS0_10empty_typeENS0_5tupleIJNS9_16discard_iteratorINS9_11use_defaultEEESH_EEENSJ_IJSM_SI_EEENS0_18inequality_wrapperINS9_8equal_toIiEEEEPmJSH_EEE10hipError_tPvRmT3_T4_T5_T6_T7_T9_mT8_P12ihipStream_tbDpT10_ENKUlT_T0_E_clISt17integral_constantIbLb0EES1C_IbLb1EEEEDaS18_S19_EUlS18_E_NS1_11comp_targetILNS1_3genE0ELNS1_11target_archE4294967295ELNS1_3gpuE0ELNS1_3repE0EEENS1_30default_config_static_selectorELNS0_4arch9wavefront6targetE0EEEvT1_,comdat
.Lfunc_end1101:
	.size	_ZN7rocprim17ROCPRIM_400000_NS6detail17trampoline_kernelINS0_14default_configENS1_25partition_config_selectorILNS1_17partition_subalgoE9EijbEEZZNS1_14partition_implILS5_9ELb0ES3_jN6thrust23THRUST_200600_302600_NS6detail15normal_iteratorINS9_10device_ptrIiEEEENSB_INSC_IjEEEEPNS0_10empty_typeENS0_5tupleIJNS9_16discard_iteratorINS9_11use_defaultEEESH_EEENSJ_IJSM_SI_EEENS0_18inequality_wrapperINS9_8equal_toIiEEEEPmJSH_EEE10hipError_tPvRmT3_T4_T5_T6_T7_T9_mT8_P12ihipStream_tbDpT10_ENKUlT_T0_E_clISt17integral_constantIbLb0EES1C_IbLb1EEEEDaS18_S19_EUlS18_E_NS1_11comp_targetILNS1_3genE0ELNS1_11target_archE4294967295ELNS1_3gpuE0ELNS1_3repE0EEENS1_30default_config_static_selectorELNS0_4arch9wavefront6targetE0EEEvT1_, .Lfunc_end1101-_ZN7rocprim17ROCPRIM_400000_NS6detail17trampoline_kernelINS0_14default_configENS1_25partition_config_selectorILNS1_17partition_subalgoE9EijbEEZZNS1_14partition_implILS5_9ELb0ES3_jN6thrust23THRUST_200600_302600_NS6detail15normal_iteratorINS9_10device_ptrIiEEEENSB_INSC_IjEEEEPNS0_10empty_typeENS0_5tupleIJNS9_16discard_iteratorINS9_11use_defaultEEESH_EEENSJ_IJSM_SI_EEENS0_18inequality_wrapperINS9_8equal_toIiEEEEPmJSH_EEE10hipError_tPvRmT3_T4_T5_T6_T7_T9_mT8_P12ihipStream_tbDpT10_ENKUlT_T0_E_clISt17integral_constantIbLb0EES1C_IbLb1EEEEDaS18_S19_EUlS18_E_NS1_11comp_targetILNS1_3genE0ELNS1_11target_archE4294967295ELNS1_3gpuE0ELNS1_3repE0EEENS1_30default_config_static_selectorELNS0_4arch9wavefront6targetE0EEEvT1_
                                        ; -- End function
	.section	.AMDGPU.csdata,"",@progbits
; Kernel info:
; codeLenInByte = 0
; NumSgprs: 0
; NumVgprs: 0
; ScratchSize: 0
; MemoryBound: 0
; FloatMode: 240
; IeeeMode: 1
; LDSByteSize: 0 bytes/workgroup (compile time only)
; SGPRBlocks: 0
; VGPRBlocks: 0
; NumSGPRsForWavesPerEU: 1
; NumVGPRsForWavesPerEU: 1
; Occupancy: 16
; WaveLimiterHint : 0
; COMPUTE_PGM_RSRC2:SCRATCH_EN: 0
; COMPUTE_PGM_RSRC2:USER_SGPR: 15
; COMPUTE_PGM_RSRC2:TRAP_HANDLER: 0
; COMPUTE_PGM_RSRC2:TGID_X_EN: 1
; COMPUTE_PGM_RSRC2:TGID_Y_EN: 0
; COMPUTE_PGM_RSRC2:TGID_Z_EN: 0
; COMPUTE_PGM_RSRC2:TIDIG_COMP_CNT: 0
	.section	.text._ZN7rocprim17ROCPRIM_400000_NS6detail17trampoline_kernelINS0_14default_configENS1_25partition_config_selectorILNS1_17partition_subalgoE9EijbEEZZNS1_14partition_implILS5_9ELb0ES3_jN6thrust23THRUST_200600_302600_NS6detail15normal_iteratorINS9_10device_ptrIiEEEENSB_INSC_IjEEEEPNS0_10empty_typeENS0_5tupleIJNS9_16discard_iteratorINS9_11use_defaultEEESH_EEENSJ_IJSM_SI_EEENS0_18inequality_wrapperINS9_8equal_toIiEEEEPmJSH_EEE10hipError_tPvRmT3_T4_T5_T6_T7_T9_mT8_P12ihipStream_tbDpT10_ENKUlT_T0_E_clISt17integral_constantIbLb0EES1C_IbLb1EEEEDaS18_S19_EUlS18_E_NS1_11comp_targetILNS1_3genE5ELNS1_11target_archE942ELNS1_3gpuE9ELNS1_3repE0EEENS1_30default_config_static_selectorELNS0_4arch9wavefront6targetE0EEEvT1_,"axG",@progbits,_ZN7rocprim17ROCPRIM_400000_NS6detail17trampoline_kernelINS0_14default_configENS1_25partition_config_selectorILNS1_17partition_subalgoE9EijbEEZZNS1_14partition_implILS5_9ELb0ES3_jN6thrust23THRUST_200600_302600_NS6detail15normal_iteratorINS9_10device_ptrIiEEEENSB_INSC_IjEEEEPNS0_10empty_typeENS0_5tupleIJNS9_16discard_iteratorINS9_11use_defaultEEESH_EEENSJ_IJSM_SI_EEENS0_18inequality_wrapperINS9_8equal_toIiEEEEPmJSH_EEE10hipError_tPvRmT3_T4_T5_T6_T7_T9_mT8_P12ihipStream_tbDpT10_ENKUlT_T0_E_clISt17integral_constantIbLb0EES1C_IbLb1EEEEDaS18_S19_EUlS18_E_NS1_11comp_targetILNS1_3genE5ELNS1_11target_archE942ELNS1_3gpuE9ELNS1_3repE0EEENS1_30default_config_static_selectorELNS0_4arch9wavefront6targetE0EEEvT1_,comdat
	.protected	_ZN7rocprim17ROCPRIM_400000_NS6detail17trampoline_kernelINS0_14default_configENS1_25partition_config_selectorILNS1_17partition_subalgoE9EijbEEZZNS1_14partition_implILS5_9ELb0ES3_jN6thrust23THRUST_200600_302600_NS6detail15normal_iteratorINS9_10device_ptrIiEEEENSB_INSC_IjEEEEPNS0_10empty_typeENS0_5tupleIJNS9_16discard_iteratorINS9_11use_defaultEEESH_EEENSJ_IJSM_SI_EEENS0_18inequality_wrapperINS9_8equal_toIiEEEEPmJSH_EEE10hipError_tPvRmT3_T4_T5_T6_T7_T9_mT8_P12ihipStream_tbDpT10_ENKUlT_T0_E_clISt17integral_constantIbLb0EES1C_IbLb1EEEEDaS18_S19_EUlS18_E_NS1_11comp_targetILNS1_3genE5ELNS1_11target_archE942ELNS1_3gpuE9ELNS1_3repE0EEENS1_30default_config_static_selectorELNS0_4arch9wavefront6targetE0EEEvT1_ ; -- Begin function _ZN7rocprim17ROCPRIM_400000_NS6detail17trampoline_kernelINS0_14default_configENS1_25partition_config_selectorILNS1_17partition_subalgoE9EijbEEZZNS1_14partition_implILS5_9ELb0ES3_jN6thrust23THRUST_200600_302600_NS6detail15normal_iteratorINS9_10device_ptrIiEEEENSB_INSC_IjEEEEPNS0_10empty_typeENS0_5tupleIJNS9_16discard_iteratorINS9_11use_defaultEEESH_EEENSJ_IJSM_SI_EEENS0_18inequality_wrapperINS9_8equal_toIiEEEEPmJSH_EEE10hipError_tPvRmT3_T4_T5_T6_T7_T9_mT8_P12ihipStream_tbDpT10_ENKUlT_T0_E_clISt17integral_constantIbLb0EES1C_IbLb1EEEEDaS18_S19_EUlS18_E_NS1_11comp_targetILNS1_3genE5ELNS1_11target_archE942ELNS1_3gpuE9ELNS1_3repE0EEENS1_30default_config_static_selectorELNS0_4arch9wavefront6targetE0EEEvT1_
	.globl	_ZN7rocprim17ROCPRIM_400000_NS6detail17trampoline_kernelINS0_14default_configENS1_25partition_config_selectorILNS1_17partition_subalgoE9EijbEEZZNS1_14partition_implILS5_9ELb0ES3_jN6thrust23THRUST_200600_302600_NS6detail15normal_iteratorINS9_10device_ptrIiEEEENSB_INSC_IjEEEEPNS0_10empty_typeENS0_5tupleIJNS9_16discard_iteratorINS9_11use_defaultEEESH_EEENSJ_IJSM_SI_EEENS0_18inequality_wrapperINS9_8equal_toIiEEEEPmJSH_EEE10hipError_tPvRmT3_T4_T5_T6_T7_T9_mT8_P12ihipStream_tbDpT10_ENKUlT_T0_E_clISt17integral_constantIbLb0EES1C_IbLb1EEEEDaS18_S19_EUlS18_E_NS1_11comp_targetILNS1_3genE5ELNS1_11target_archE942ELNS1_3gpuE9ELNS1_3repE0EEENS1_30default_config_static_selectorELNS0_4arch9wavefront6targetE0EEEvT1_
	.p2align	8
	.type	_ZN7rocprim17ROCPRIM_400000_NS6detail17trampoline_kernelINS0_14default_configENS1_25partition_config_selectorILNS1_17partition_subalgoE9EijbEEZZNS1_14partition_implILS5_9ELb0ES3_jN6thrust23THRUST_200600_302600_NS6detail15normal_iteratorINS9_10device_ptrIiEEEENSB_INSC_IjEEEEPNS0_10empty_typeENS0_5tupleIJNS9_16discard_iteratorINS9_11use_defaultEEESH_EEENSJ_IJSM_SI_EEENS0_18inequality_wrapperINS9_8equal_toIiEEEEPmJSH_EEE10hipError_tPvRmT3_T4_T5_T6_T7_T9_mT8_P12ihipStream_tbDpT10_ENKUlT_T0_E_clISt17integral_constantIbLb0EES1C_IbLb1EEEEDaS18_S19_EUlS18_E_NS1_11comp_targetILNS1_3genE5ELNS1_11target_archE942ELNS1_3gpuE9ELNS1_3repE0EEENS1_30default_config_static_selectorELNS0_4arch9wavefront6targetE0EEEvT1_,@function
_ZN7rocprim17ROCPRIM_400000_NS6detail17trampoline_kernelINS0_14default_configENS1_25partition_config_selectorILNS1_17partition_subalgoE9EijbEEZZNS1_14partition_implILS5_9ELb0ES3_jN6thrust23THRUST_200600_302600_NS6detail15normal_iteratorINS9_10device_ptrIiEEEENSB_INSC_IjEEEEPNS0_10empty_typeENS0_5tupleIJNS9_16discard_iteratorINS9_11use_defaultEEESH_EEENSJ_IJSM_SI_EEENS0_18inequality_wrapperINS9_8equal_toIiEEEEPmJSH_EEE10hipError_tPvRmT3_T4_T5_T6_T7_T9_mT8_P12ihipStream_tbDpT10_ENKUlT_T0_E_clISt17integral_constantIbLb0EES1C_IbLb1EEEEDaS18_S19_EUlS18_E_NS1_11comp_targetILNS1_3genE5ELNS1_11target_archE942ELNS1_3gpuE9ELNS1_3repE0EEENS1_30default_config_static_selectorELNS0_4arch9wavefront6targetE0EEEvT1_: ; @_ZN7rocprim17ROCPRIM_400000_NS6detail17trampoline_kernelINS0_14default_configENS1_25partition_config_selectorILNS1_17partition_subalgoE9EijbEEZZNS1_14partition_implILS5_9ELb0ES3_jN6thrust23THRUST_200600_302600_NS6detail15normal_iteratorINS9_10device_ptrIiEEEENSB_INSC_IjEEEEPNS0_10empty_typeENS0_5tupleIJNS9_16discard_iteratorINS9_11use_defaultEEESH_EEENSJ_IJSM_SI_EEENS0_18inequality_wrapperINS9_8equal_toIiEEEEPmJSH_EEE10hipError_tPvRmT3_T4_T5_T6_T7_T9_mT8_P12ihipStream_tbDpT10_ENKUlT_T0_E_clISt17integral_constantIbLb0EES1C_IbLb1EEEEDaS18_S19_EUlS18_E_NS1_11comp_targetILNS1_3genE5ELNS1_11target_archE942ELNS1_3gpuE9ELNS1_3repE0EEENS1_30default_config_static_selectorELNS0_4arch9wavefront6targetE0EEEvT1_
; %bb.0:
	.section	.rodata,"a",@progbits
	.p2align	6, 0x0
	.amdhsa_kernel _ZN7rocprim17ROCPRIM_400000_NS6detail17trampoline_kernelINS0_14default_configENS1_25partition_config_selectorILNS1_17partition_subalgoE9EijbEEZZNS1_14partition_implILS5_9ELb0ES3_jN6thrust23THRUST_200600_302600_NS6detail15normal_iteratorINS9_10device_ptrIiEEEENSB_INSC_IjEEEEPNS0_10empty_typeENS0_5tupleIJNS9_16discard_iteratorINS9_11use_defaultEEESH_EEENSJ_IJSM_SI_EEENS0_18inequality_wrapperINS9_8equal_toIiEEEEPmJSH_EEE10hipError_tPvRmT3_T4_T5_T6_T7_T9_mT8_P12ihipStream_tbDpT10_ENKUlT_T0_E_clISt17integral_constantIbLb0EES1C_IbLb1EEEEDaS18_S19_EUlS18_E_NS1_11comp_targetILNS1_3genE5ELNS1_11target_archE942ELNS1_3gpuE9ELNS1_3repE0EEENS1_30default_config_static_selectorELNS0_4arch9wavefront6targetE0EEEvT1_
		.amdhsa_group_segment_fixed_size 0
		.amdhsa_private_segment_fixed_size 0
		.amdhsa_kernarg_size 144
		.amdhsa_user_sgpr_count 15
		.amdhsa_user_sgpr_dispatch_ptr 0
		.amdhsa_user_sgpr_queue_ptr 0
		.amdhsa_user_sgpr_kernarg_segment_ptr 1
		.amdhsa_user_sgpr_dispatch_id 0
		.amdhsa_user_sgpr_private_segment_size 0
		.amdhsa_wavefront_size32 1
		.amdhsa_uses_dynamic_stack 0
		.amdhsa_enable_private_segment 0
		.amdhsa_system_sgpr_workgroup_id_x 1
		.amdhsa_system_sgpr_workgroup_id_y 0
		.amdhsa_system_sgpr_workgroup_id_z 0
		.amdhsa_system_sgpr_workgroup_info 0
		.amdhsa_system_vgpr_workitem_id 0
		.amdhsa_next_free_vgpr 1
		.amdhsa_next_free_sgpr 1
		.amdhsa_reserve_vcc 0
		.amdhsa_float_round_mode_32 0
		.amdhsa_float_round_mode_16_64 0
		.amdhsa_float_denorm_mode_32 3
		.amdhsa_float_denorm_mode_16_64 3
		.amdhsa_dx10_clamp 1
		.amdhsa_ieee_mode 1
		.amdhsa_fp16_overflow 0
		.amdhsa_workgroup_processor_mode 1
		.amdhsa_memory_ordered 1
		.amdhsa_forward_progress 0
		.amdhsa_shared_vgpr_count 0
		.amdhsa_exception_fp_ieee_invalid_op 0
		.amdhsa_exception_fp_denorm_src 0
		.amdhsa_exception_fp_ieee_div_zero 0
		.amdhsa_exception_fp_ieee_overflow 0
		.amdhsa_exception_fp_ieee_underflow 0
		.amdhsa_exception_fp_ieee_inexact 0
		.amdhsa_exception_int_div_zero 0
	.end_amdhsa_kernel
	.section	.text._ZN7rocprim17ROCPRIM_400000_NS6detail17trampoline_kernelINS0_14default_configENS1_25partition_config_selectorILNS1_17partition_subalgoE9EijbEEZZNS1_14partition_implILS5_9ELb0ES3_jN6thrust23THRUST_200600_302600_NS6detail15normal_iteratorINS9_10device_ptrIiEEEENSB_INSC_IjEEEEPNS0_10empty_typeENS0_5tupleIJNS9_16discard_iteratorINS9_11use_defaultEEESH_EEENSJ_IJSM_SI_EEENS0_18inequality_wrapperINS9_8equal_toIiEEEEPmJSH_EEE10hipError_tPvRmT3_T4_T5_T6_T7_T9_mT8_P12ihipStream_tbDpT10_ENKUlT_T0_E_clISt17integral_constantIbLb0EES1C_IbLb1EEEEDaS18_S19_EUlS18_E_NS1_11comp_targetILNS1_3genE5ELNS1_11target_archE942ELNS1_3gpuE9ELNS1_3repE0EEENS1_30default_config_static_selectorELNS0_4arch9wavefront6targetE0EEEvT1_,"axG",@progbits,_ZN7rocprim17ROCPRIM_400000_NS6detail17trampoline_kernelINS0_14default_configENS1_25partition_config_selectorILNS1_17partition_subalgoE9EijbEEZZNS1_14partition_implILS5_9ELb0ES3_jN6thrust23THRUST_200600_302600_NS6detail15normal_iteratorINS9_10device_ptrIiEEEENSB_INSC_IjEEEEPNS0_10empty_typeENS0_5tupleIJNS9_16discard_iteratorINS9_11use_defaultEEESH_EEENSJ_IJSM_SI_EEENS0_18inequality_wrapperINS9_8equal_toIiEEEEPmJSH_EEE10hipError_tPvRmT3_T4_T5_T6_T7_T9_mT8_P12ihipStream_tbDpT10_ENKUlT_T0_E_clISt17integral_constantIbLb0EES1C_IbLb1EEEEDaS18_S19_EUlS18_E_NS1_11comp_targetILNS1_3genE5ELNS1_11target_archE942ELNS1_3gpuE9ELNS1_3repE0EEENS1_30default_config_static_selectorELNS0_4arch9wavefront6targetE0EEEvT1_,comdat
.Lfunc_end1102:
	.size	_ZN7rocprim17ROCPRIM_400000_NS6detail17trampoline_kernelINS0_14default_configENS1_25partition_config_selectorILNS1_17partition_subalgoE9EijbEEZZNS1_14partition_implILS5_9ELb0ES3_jN6thrust23THRUST_200600_302600_NS6detail15normal_iteratorINS9_10device_ptrIiEEEENSB_INSC_IjEEEEPNS0_10empty_typeENS0_5tupleIJNS9_16discard_iteratorINS9_11use_defaultEEESH_EEENSJ_IJSM_SI_EEENS0_18inequality_wrapperINS9_8equal_toIiEEEEPmJSH_EEE10hipError_tPvRmT3_T4_T5_T6_T7_T9_mT8_P12ihipStream_tbDpT10_ENKUlT_T0_E_clISt17integral_constantIbLb0EES1C_IbLb1EEEEDaS18_S19_EUlS18_E_NS1_11comp_targetILNS1_3genE5ELNS1_11target_archE942ELNS1_3gpuE9ELNS1_3repE0EEENS1_30default_config_static_selectorELNS0_4arch9wavefront6targetE0EEEvT1_, .Lfunc_end1102-_ZN7rocprim17ROCPRIM_400000_NS6detail17trampoline_kernelINS0_14default_configENS1_25partition_config_selectorILNS1_17partition_subalgoE9EijbEEZZNS1_14partition_implILS5_9ELb0ES3_jN6thrust23THRUST_200600_302600_NS6detail15normal_iteratorINS9_10device_ptrIiEEEENSB_INSC_IjEEEEPNS0_10empty_typeENS0_5tupleIJNS9_16discard_iteratorINS9_11use_defaultEEESH_EEENSJ_IJSM_SI_EEENS0_18inequality_wrapperINS9_8equal_toIiEEEEPmJSH_EEE10hipError_tPvRmT3_T4_T5_T6_T7_T9_mT8_P12ihipStream_tbDpT10_ENKUlT_T0_E_clISt17integral_constantIbLb0EES1C_IbLb1EEEEDaS18_S19_EUlS18_E_NS1_11comp_targetILNS1_3genE5ELNS1_11target_archE942ELNS1_3gpuE9ELNS1_3repE0EEENS1_30default_config_static_selectorELNS0_4arch9wavefront6targetE0EEEvT1_
                                        ; -- End function
	.section	.AMDGPU.csdata,"",@progbits
; Kernel info:
; codeLenInByte = 0
; NumSgprs: 0
; NumVgprs: 0
; ScratchSize: 0
; MemoryBound: 0
; FloatMode: 240
; IeeeMode: 1
; LDSByteSize: 0 bytes/workgroup (compile time only)
; SGPRBlocks: 0
; VGPRBlocks: 0
; NumSGPRsForWavesPerEU: 1
; NumVGPRsForWavesPerEU: 1
; Occupancy: 16
; WaveLimiterHint : 0
; COMPUTE_PGM_RSRC2:SCRATCH_EN: 0
; COMPUTE_PGM_RSRC2:USER_SGPR: 15
; COMPUTE_PGM_RSRC2:TRAP_HANDLER: 0
; COMPUTE_PGM_RSRC2:TGID_X_EN: 1
; COMPUTE_PGM_RSRC2:TGID_Y_EN: 0
; COMPUTE_PGM_RSRC2:TGID_Z_EN: 0
; COMPUTE_PGM_RSRC2:TIDIG_COMP_CNT: 0
	.section	.text._ZN7rocprim17ROCPRIM_400000_NS6detail17trampoline_kernelINS0_14default_configENS1_25partition_config_selectorILNS1_17partition_subalgoE9EijbEEZZNS1_14partition_implILS5_9ELb0ES3_jN6thrust23THRUST_200600_302600_NS6detail15normal_iteratorINS9_10device_ptrIiEEEENSB_INSC_IjEEEEPNS0_10empty_typeENS0_5tupleIJNS9_16discard_iteratorINS9_11use_defaultEEESH_EEENSJ_IJSM_SI_EEENS0_18inequality_wrapperINS9_8equal_toIiEEEEPmJSH_EEE10hipError_tPvRmT3_T4_T5_T6_T7_T9_mT8_P12ihipStream_tbDpT10_ENKUlT_T0_E_clISt17integral_constantIbLb0EES1C_IbLb1EEEEDaS18_S19_EUlS18_E_NS1_11comp_targetILNS1_3genE4ELNS1_11target_archE910ELNS1_3gpuE8ELNS1_3repE0EEENS1_30default_config_static_selectorELNS0_4arch9wavefront6targetE0EEEvT1_,"axG",@progbits,_ZN7rocprim17ROCPRIM_400000_NS6detail17trampoline_kernelINS0_14default_configENS1_25partition_config_selectorILNS1_17partition_subalgoE9EijbEEZZNS1_14partition_implILS5_9ELb0ES3_jN6thrust23THRUST_200600_302600_NS6detail15normal_iteratorINS9_10device_ptrIiEEEENSB_INSC_IjEEEEPNS0_10empty_typeENS0_5tupleIJNS9_16discard_iteratorINS9_11use_defaultEEESH_EEENSJ_IJSM_SI_EEENS0_18inequality_wrapperINS9_8equal_toIiEEEEPmJSH_EEE10hipError_tPvRmT3_T4_T5_T6_T7_T9_mT8_P12ihipStream_tbDpT10_ENKUlT_T0_E_clISt17integral_constantIbLb0EES1C_IbLb1EEEEDaS18_S19_EUlS18_E_NS1_11comp_targetILNS1_3genE4ELNS1_11target_archE910ELNS1_3gpuE8ELNS1_3repE0EEENS1_30default_config_static_selectorELNS0_4arch9wavefront6targetE0EEEvT1_,comdat
	.protected	_ZN7rocprim17ROCPRIM_400000_NS6detail17trampoline_kernelINS0_14default_configENS1_25partition_config_selectorILNS1_17partition_subalgoE9EijbEEZZNS1_14partition_implILS5_9ELb0ES3_jN6thrust23THRUST_200600_302600_NS6detail15normal_iteratorINS9_10device_ptrIiEEEENSB_INSC_IjEEEEPNS0_10empty_typeENS0_5tupleIJNS9_16discard_iteratorINS9_11use_defaultEEESH_EEENSJ_IJSM_SI_EEENS0_18inequality_wrapperINS9_8equal_toIiEEEEPmJSH_EEE10hipError_tPvRmT3_T4_T5_T6_T7_T9_mT8_P12ihipStream_tbDpT10_ENKUlT_T0_E_clISt17integral_constantIbLb0EES1C_IbLb1EEEEDaS18_S19_EUlS18_E_NS1_11comp_targetILNS1_3genE4ELNS1_11target_archE910ELNS1_3gpuE8ELNS1_3repE0EEENS1_30default_config_static_selectorELNS0_4arch9wavefront6targetE0EEEvT1_ ; -- Begin function _ZN7rocprim17ROCPRIM_400000_NS6detail17trampoline_kernelINS0_14default_configENS1_25partition_config_selectorILNS1_17partition_subalgoE9EijbEEZZNS1_14partition_implILS5_9ELb0ES3_jN6thrust23THRUST_200600_302600_NS6detail15normal_iteratorINS9_10device_ptrIiEEEENSB_INSC_IjEEEEPNS0_10empty_typeENS0_5tupleIJNS9_16discard_iteratorINS9_11use_defaultEEESH_EEENSJ_IJSM_SI_EEENS0_18inequality_wrapperINS9_8equal_toIiEEEEPmJSH_EEE10hipError_tPvRmT3_T4_T5_T6_T7_T9_mT8_P12ihipStream_tbDpT10_ENKUlT_T0_E_clISt17integral_constantIbLb0EES1C_IbLb1EEEEDaS18_S19_EUlS18_E_NS1_11comp_targetILNS1_3genE4ELNS1_11target_archE910ELNS1_3gpuE8ELNS1_3repE0EEENS1_30default_config_static_selectorELNS0_4arch9wavefront6targetE0EEEvT1_
	.globl	_ZN7rocprim17ROCPRIM_400000_NS6detail17trampoline_kernelINS0_14default_configENS1_25partition_config_selectorILNS1_17partition_subalgoE9EijbEEZZNS1_14partition_implILS5_9ELb0ES3_jN6thrust23THRUST_200600_302600_NS6detail15normal_iteratorINS9_10device_ptrIiEEEENSB_INSC_IjEEEEPNS0_10empty_typeENS0_5tupleIJNS9_16discard_iteratorINS9_11use_defaultEEESH_EEENSJ_IJSM_SI_EEENS0_18inequality_wrapperINS9_8equal_toIiEEEEPmJSH_EEE10hipError_tPvRmT3_T4_T5_T6_T7_T9_mT8_P12ihipStream_tbDpT10_ENKUlT_T0_E_clISt17integral_constantIbLb0EES1C_IbLb1EEEEDaS18_S19_EUlS18_E_NS1_11comp_targetILNS1_3genE4ELNS1_11target_archE910ELNS1_3gpuE8ELNS1_3repE0EEENS1_30default_config_static_selectorELNS0_4arch9wavefront6targetE0EEEvT1_
	.p2align	8
	.type	_ZN7rocprim17ROCPRIM_400000_NS6detail17trampoline_kernelINS0_14default_configENS1_25partition_config_selectorILNS1_17partition_subalgoE9EijbEEZZNS1_14partition_implILS5_9ELb0ES3_jN6thrust23THRUST_200600_302600_NS6detail15normal_iteratorINS9_10device_ptrIiEEEENSB_INSC_IjEEEEPNS0_10empty_typeENS0_5tupleIJNS9_16discard_iteratorINS9_11use_defaultEEESH_EEENSJ_IJSM_SI_EEENS0_18inequality_wrapperINS9_8equal_toIiEEEEPmJSH_EEE10hipError_tPvRmT3_T4_T5_T6_T7_T9_mT8_P12ihipStream_tbDpT10_ENKUlT_T0_E_clISt17integral_constantIbLb0EES1C_IbLb1EEEEDaS18_S19_EUlS18_E_NS1_11comp_targetILNS1_3genE4ELNS1_11target_archE910ELNS1_3gpuE8ELNS1_3repE0EEENS1_30default_config_static_selectorELNS0_4arch9wavefront6targetE0EEEvT1_,@function
_ZN7rocprim17ROCPRIM_400000_NS6detail17trampoline_kernelINS0_14default_configENS1_25partition_config_selectorILNS1_17partition_subalgoE9EijbEEZZNS1_14partition_implILS5_9ELb0ES3_jN6thrust23THRUST_200600_302600_NS6detail15normal_iteratorINS9_10device_ptrIiEEEENSB_INSC_IjEEEEPNS0_10empty_typeENS0_5tupleIJNS9_16discard_iteratorINS9_11use_defaultEEESH_EEENSJ_IJSM_SI_EEENS0_18inequality_wrapperINS9_8equal_toIiEEEEPmJSH_EEE10hipError_tPvRmT3_T4_T5_T6_T7_T9_mT8_P12ihipStream_tbDpT10_ENKUlT_T0_E_clISt17integral_constantIbLb0EES1C_IbLb1EEEEDaS18_S19_EUlS18_E_NS1_11comp_targetILNS1_3genE4ELNS1_11target_archE910ELNS1_3gpuE8ELNS1_3repE0EEENS1_30default_config_static_selectorELNS0_4arch9wavefront6targetE0EEEvT1_: ; @_ZN7rocprim17ROCPRIM_400000_NS6detail17trampoline_kernelINS0_14default_configENS1_25partition_config_selectorILNS1_17partition_subalgoE9EijbEEZZNS1_14partition_implILS5_9ELb0ES3_jN6thrust23THRUST_200600_302600_NS6detail15normal_iteratorINS9_10device_ptrIiEEEENSB_INSC_IjEEEEPNS0_10empty_typeENS0_5tupleIJNS9_16discard_iteratorINS9_11use_defaultEEESH_EEENSJ_IJSM_SI_EEENS0_18inequality_wrapperINS9_8equal_toIiEEEEPmJSH_EEE10hipError_tPvRmT3_T4_T5_T6_T7_T9_mT8_P12ihipStream_tbDpT10_ENKUlT_T0_E_clISt17integral_constantIbLb0EES1C_IbLb1EEEEDaS18_S19_EUlS18_E_NS1_11comp_targetILNS1_3genE4ELNS1_11target_archE910ELNS1_3gpuE8ELNS1_3repE0EEENS1_30default_config_static_selectorELNS0_4arch9wavefront6targetE0EEEvT1_
; %bb.0:
	.section	.rodata,"a",@progbits
	.p2align	6, 0x0
	.amdhsa_kernel _ZN7rocprim17ROCPRIM_400000_NS6detail17trampoline_kernelINS0_14default_configENS1_25partition_config_selectorILNS1_17partition_subalgoE9EijbEEZZNS1_14partition_implILS5_9ELb0ES3_jN6thrust23THRUST_200600_302600_NS6detail15normal_iteratorINS9_10device_ptrIiEEEENSB_INSC_IjEEEEPNS0_10empty_typeENS0_5tupleIJNS9_16discard_iteratorINS9_11use_defaultEEESH_EEENSJ_IJSM_SI_EEENS0_18inequality_wrapperINS9_8equal_toIiEEEEPmJSH_EEE10hipError_tPvRmT3_T4_T5_T6_T7_T9_mT8_P12ihipStream_tbDpT10_ENKUlT_T0_E_clISt17integral_constantIbLb0EES1C_IbLb1EEEEDaS18_S19_EUlS18_E_NS1_11comp_targetILNS1_3genE4ELNS1_11target_archE910ELNS1_3gpuE8ELNS1_3repE0EEENS1_30default_config_static_selectorELNS0_4arch9wavefront6targetE0EEEvT1_
		.amdhsa_group_segment_fixed_size 0
		.amdhsa_private_segment_fixed_size 0
		.amdhsa_kernarg_size 144
		.amdhsa_user_sgpr_count 15
		.amdhsa_user_sgpr_dispatch_ptr 0
		.amdhsa_user_sgpr_queue_ptr 0
		.amdhsa_user_sgpr_kernarg_segment_ptr 1
		.amdhsa_user_sgpr_dispatch_id 0
		.amdhsa_user_sgpr_private_segment_size 0
		.amdhsa_wavefront_size32 1
		.amdhsa_uses_dynamic_stack 0
		.amdhsa_enable_private_segment 0
		.amdhsa_system_sgpr_workgroup_id_x 1
		.amdhsa_system_sgpr_workgroup_id_y 0
		.amdhsa_system_sgpr_workgroup_id_z 0
		.amdhsa_system_sgpr_workgroup_info 0
		.amdhsa_system_vgpr_workitem_id 0
		.amdhsa_next_free_vgpr 1
		.amdhsa_next_free_sgpr 1
		.amdhsa_reserve_vcc 0
		.amdhsa_float_round_mode_32 0
		.amdhsa_float_round_mode_16_64 0
		.amdhsa_float_denorm_mode_32 3
		.amdhsa_float_denorm_mode_16_64 3
		.amdhsa_dx10_clamp 1
		.amdhsa_ieee_mode 1
		.amdhsa_fp16_overflow 0
		.amdhsa_workgroup_processor_mode 1
		.amdhsa_memory_ordered 1
		.amdhsa_forward_progress 0
		.amdhsa_shared_vgpr_count 0
		.amdhsa_exception_fp_ieee_invalid_op 0
		.amdhsa_exception_fp_denorm_src 0
		.amdhsa_exception_fp_ieee_div_zero 0
		.amdhsa_exception_fp_ieee_overflow 0
		.amdhsa_exception_fp_ieee_underflow 0
		.amdhsa_exception_fp_ieee_inexact 0
		.amdhsa_exception_int_div_zero 0
	.end_amdhsa_kernel
	.section	.text._ZN7rocprim17ROCPRIM_400000_NS6detail17trampoline_kernelINS0_14default_configENS1_25partition_config_selectorILNS1_17partition_subalgoE9EijbEEZZNS1_14partition_implILS5_9ELb0ES3_jN6thrust23THRUST_200600_302600_NS6detail15normal_iteratorINS9_10device_ptrIiEEEENSB_INSC_IjEEEEPNS0_10empty_typeENS0_5tupleIJNS9_16discard_iteratorINS9_11use_defaultEEESH_EEENSJ_IJSM_SI_EEENS0_18inequality_wrapperINS9_8equal_toIiEEEEPmJSH_EEE10hipError_tPvRmT3_T4_T5_T6_T7_T9_mT8_P12ihipStream_tbDpT10_ENKUlT_T0_E_clISt17integral_constantIbLb0EES1C_IbLb1EEEEDaS18_S19_EUlS18_E_NS1_11comp_targetILNS1_3genE4ELNS1_11target_archE910ELNS1_3gpuE8ELNS1_3repE0EEENS1_30default_config_static_selectorELNS0_4arch9wavefront6targetE0EEEvT1_,"axG",@progbits,_ZN7rocprim17ROCPRIM_400000_NS6detail17trampoline_kernelINS0_14default_configENS1_25partition_config_selectorILNS1_17partition_subalgoE9EijbEEZZNS1_14partition_implILS5_9ELb0ES3_jN6thrust23THRUST_200600_302600_NS6detail15normal_iteratorINS9_10device_ptrIiEEEENSB_INSC_IjEEEEPNS0_10empty_typeENS0_5tupleIJNS9_16discard_iteratorINS9_11use_defaultEEESH_EEENSJ_IJSM_SI_EEENS0_18inequality_wrapperINS9_8equal_toIiEEEEPmJSH_EEE10hipError_tPvRmT3_T4_T5_T6_T7_T9_mT8_P12ihipStream_tbDpT10_ENKUlT_T0_E_clISt17integral_constantIbLb0EES1C_IbLb1EEEEDaS18_S19_EUlS18_E_NS1_11comp_targetILNS1_3genE4ELNS1_11target_archE910ELNS1_3gpuE8ELNS1_3repE0EEENS1_30default_config_static_selectorELNS0_4arch9wavefront6targetE0EEEvT1_,comdat
.Lfunc_end1103:
	.size	_ZN7rocprim17ROCPRIM_400000_NS6detail17trampoline_kernelINS0_14default_configENS1_25partition_config_selectorILNS1_17partition_subalgoE9EijbEEZZNS1_14partition_implILS5_9ELb0ES3_jN6thrust23THRUST_200600_302600_NS6detail15normal_iteratorINS9_10device_ptrIiEEEENSB_INSC_IjEEEEPNS0_10empty_typeENS0_5tupleIJNS9_16discard_iteratorINS9_11use_defaultEEESH_EEENSJ_IJSM_SI_EEENS0_18inequality_wrapperINS9_8equal_toIiEEEEPmJSH_EEE10hipError_tPvRmT3_T4_T5_T6_T7_T9_mT8_P12ihipStream_tbDpT10_ENKUlT_T0_E_clISt17integral_constantIbLb0EES1C_IbLb1EEEEDaS18_S19_EUlS18_E_NS1_11comp_targetILNS1_3genE4ELNS1_11target_archE910ELNS1_3gpuE8ELNS1_3repE0EEENS1_30default_config_static_selectorELNS0_4arch9wavefront6targetE0EEEvT1_, .Lfunc_end1103-_ZN7rocprim17ROCPRIM_400000_NS6detail17trampoline_kernelINS0_14default_configENS1_25partition_config_selectorILNS1_17partition_subalgoE9EijbEEZZNS1_14partition_implILS5_9ELb0ES3_jN6thrust23THRUST_200600_302600_NS6detail15normal_iteratorINS9_10device_ptrIiEEEENSB_INSC_IjEEEEPNS0_10empty_typeENS0_5tupleIJNS9_16discard_iteratorINS9_11use_defaultEEESH_EEENSJ_IJSM_SI_EEENS0_18inequality_wrapperINS9_8equal_toIiEEEEPmJSH_EEE10hipError_tPvRmT3_T4_T5_T6_T7_T9_mT8_P12ihipStream_tbDpT10_ENKUlT_T0_E_clISt17integral_constantIbLb0EES1C_IbLb1EEEEDaS18_S19_EUlS18_E_NS1_11comp_targetILNS1_3genE4ELNS1_11target_archE910ELNS1_3gpuE8ELNS1_3repE0EEENS1_30default_config_static_selectorELNS0_4arch9wavefront6targetE0EEEvT1_
                                        ; -- End function
	.section	.AMDGPU.csdata,"",@progbits
; Kernel info:
; codeLenInByte = 0
; NumSgprs: 0
; NumVgprs: 0
; ScratchSize: 0
; MemoryBound: 0
; FloatMode: 240
; IeeeMode: 1
; LDSByteSize: 0 bytes/workgroup (compile time only)
; SGPRBlocks: 0
; VGPRBlocks: 0
; NumSGPRsForWavesPerEU: 1
; NumVGPRsForWavesPerEU: 1
; Occupancy: 15
; WaveLimiterHint : 0
; COMPUTE_PGM_RSRC2:SCRATCH_EN: 0
; COMPUTE_PGM_RSRC2:USER_SGPR: 15
; COMPUTE_PGM_RSRC2:TRAP_HANDLER: 0
; COMPUTE_PGM_RSRC2:TGID_X_EN: 1
; COMPUTE_PGM_RSRC2:TGID_Y_EN: 0
; COMPUTE_PGM_RSRC2:TGID_Z_EN: 0
; COMPUTE_PGM_RSRC2:TIDIG_COMP_CNT: 0
	.section	.text._ZN7rocprim17ROCPRIM_400000_NS6detail17trampoline_kernelINS0_14default_configENS1_25partition_config_selectorILNS1_17partition_subalgoE9EijbEEZZNS1_14partition_implILS5_9ELb0ES3_jN6thrust23THRUST_200600_302600_NS6detail15normal_iteratorINS9_10device_ptrIiEEEENSB_INSC_IjEEEEPNS0_10empty_typeENS0_5tupleIJNS9_16discard_iteratorINS9_11use_defaultEEESH_EEENSJ_IJSM_SI_EEENS0_18inequality_wrapperINS9_8equal_toIiEEEEPmJSH_EEE10hipError_tPvRmT3_T4_T5_T6_T7_T9_mT8_P12ihipStream_tbDpT10_ENKUlT_T0_E_clISt17integral_constantIbLb0EES1C_IbLb1EEEEDaS18_S19_EUlS18_E_NS1_11comp_targetILNS1_3genE3ELNS1_11target_archE908ELNS1_3gpuE7ELNS1_3repE0EEENS1_30default_config_static_selectorELNS0_4arch9wavefront6targetE0EEEvT1_,"axG",@progbits,_ZN7rocprim17ROCPRIM_400000_NS6detail17trampoline_kernelINS0_14default_configENS1_25partition_config_selectorILNS1_17partition_subalgoE9EijbEEZZNS1_14partition_implILS5_9ELb0ES3_jN6thrust23THRUST_200600_302600_NS6detail15normal_iteratorINS9_10device_ptrIiEEEENSB_INSC_IjEEEEPNS0_10empty_typeENS0_5tupleIJNS9_16discard_iteratorINS9_11use_defaultEEESH_EEENSJ_IJSM_SI_EEENS0_18inequality_wrapperINS9_8equal_toIiEEEEPmJSH_EEE10hipError_tPvRmT3_T4_T5_T6_T7_T9_mT8_P12ihipStream_tbDpT10_ENKUlT_T0_E_clISt17integral_constantIbLb0EES1C_IbLb1EEEEDaS18_S19_EUlS18_E_NS1_11comp_targetILNS1_3genE3ELNS1_11target_archE908ELNS1_3gpuE7ELNS1_3repE0EEENS1_30default_config_static_selectorELNS0_4arch9wavefront6targetE0EEEvT1_,comdat
	.protected	_ZN7rocprim17ROCPRIM_400000_NS6detail17trampoline_kernelINS0_14default_configENS1_25partition_config_selectorILNS1_17partition_subalgoE9EijbEEZZNS1_14partition_implILS5_9ELb0ES3_jN6thrust23THRUST_200600_302600_NS6detail15normal_iteratorINS9_10device_ptrIiEEEENSB_INSC_IjEEEEPNS0_10empty_typeENS0_5tupleIJNS9_16discard_iteratorINS9_11use_defaultEEESH_EEENSJ_IJSM_SI_EEENS0_18inequality_wrapperINS9_8equal_toIiEEEEPmJSH_EEE10hipError_tPvRmT3_T4_T5_T6_T7_T9_mT8_P12ihipStream_tbDpT10_ENKUlT_T0_E_clISt17integral_constantIbLb0EES1C_IbLb1EEEEDaS18_S19_EUlS18_E_NS1_11comp_targetILNS1_3genE3ELNS1_11target_archE908ELNS1_3gpuE7ELNS1_3repE0EEENS1_30default_config_static_selectorELNS0_4arch9wavefront6targetE0EEEvT1_ ; -- Begin function _ZN7rocprim17ROCPRIM_400000_NS6detail17trampoline_kernelINS0_14default_configENS1_25partition_config_selectorILNS1_17partition_subalgoE9EijbEEZZNS1_14partition_implILS5_9ELb0ES3_jN6thrust23THRUST_200600_302600_NS6detail15normal_iteratorINS9_10device_ptrIiEEEENSB_INSC_IjEEEEPNS0_10empty_typeENS0_5tupleIJNS9_16discard_iteratorINS9_11use_defaultEEESH_EEENSJ_IJSM_SI_EEENS0_18inequality_wrapperINS9_8equal_toIiEEEEPmJSH_EEE10hipError_tPvRmT3_T4_T5_T6_T7_T9_mT8_P12ihipStream_tbDpT10_ENKUlT_T0_E_clISt17integral_constantIbLb0EES1C_IbLb1EEEEDaS18_S19_EUlS18_E_NS1_11comp_targetILNS1_3genE3ELNS1_11target_archE908ELNS1_3gpuE7ELNS1_3repE0EEENS1_30default_config_static_selectorELNS0_4arch9wavefront6targetE0EEEvT1_
	.globl	_ZN7rocprim17ROCPRIM_400000_NS6detail17trampoline_kernelINS0_14default_configENS1_25partition_config_selectorILNS1_17partition_subalgoE9EijbEEZZNS1_14partition_implILS5_9ELb0ES3_jN6thrust23THRUST_200600_302600_NS6detail15normal_iteratorINS9_10device_ptrIiEEEENSB_INSC_IjEEEEPNS0_10empty_typeENS0_5tupleIJNS9_16discard_iteratorINS9_11use_defaultEEESH_EEENSJ_IJSM_SI_EEENS0_18inequality_wrapperINS9_8equal_toIiEEEEPmJSH_EEE10hipError_tPvRmT3_T4_T5_T6_T7_T9_mT8_P12ihipStream_tbDpT10_ENKUlT_T0_E_clISt17integral_constantIbLb0EES1C_IbLb1EEEEDaS18_S19_EUlS18_E_NS1_11comp_targetILNS1_3genE3ELNS1_11target_archE908ELNS1_3gpuE7ELNS1_3repE0EEENS1_30default_config_static_selectorELNS0_4arch9wavefront6targetE0EEEvT1_
	.p2align	8
	.type	_ZN7rocprim17ROCPRIM_400000_NS6detail17trampoline_kernelINS0_14default_configENS1_25partition_config_selectorILNS1_17partition_subalgoE9EijbEEZZNS1_14partition_implILS5_9ELb0ES3_jN6thrust23THRUST_200600_302600_NS6detail15normal_iteratorINS9_10device_ptrIiEEEENSB_INSC_IjEEEEPNS0_10empty_typeENS0_5tupleIJNS9_16discard_iteratorINS9_11use_defaultEEESH_EEENSJ_IJSM_SI_EEENS0_18inequality_wrapperINS9_8equal_toIiEEEEPmJSH_EEE10hipError_tPvRmT3_T4_T5_T6_T7_T9_mT8_P12ihipStream_tbDpT10_ENKUlT_T0_E_clISt17integral_constantIbLb0EES1C_IbLb1EEEEDaS18_S19_EUlS18_E_NS1_11comp_targetILNS1_3genE3ELNS1_11target_archE908ELNS1_3gpuE7ELNS1_3repE0EEENS1_30default_config_static_selectorELNS0_4arch9wavefront6targetE0EEEvT1_,@function
_ZN7rocprim17ROCPRIM_400000_NS6detail17trampoline_kernelINS0_14default_configENS1_25partition_config_selectorILNS1_17partition_subalgoE9EijbEEZZNS1_14partition_implILS5_9ELb0ES3_jN6thrust23THRUST_200600_302600_NS6detail15normal_iteratorINS9_10device_ptrIiEEEENSB_INSC_IjEEEEPNS0_10empty_typeENS0_5tupleIJNS9_16discard_iteratorINS9_11use_defaultEEESH_EEENSJ_IJSM_SI_EEENS0_18inequality_wrapperINS9_8equal_toIiEEEEPmJSH_EEE10hipError_tPvRmT3_T4_T5_T6_T7_T9_mT8_P12ihipStream_tbDpT10_ENKUlT_T0_E_clISt17integral_constantIbLb0EES1C_IbLb1EEEEDaS18_S19_EUlS18_E_NS1_11comp_targetILNS1_3genE3ELNS1_11target_archE908ELNS1_3gpuE7ELNS1_3repE0EEENS1_30default_config_static_selectorELNS0_4arch9wavefront6targetE0EEEvT1_: ; @_ZN7rocprim17ROCPRIM_400000_NS6detail17trampoline_kernelINS0_14default_configENS1_25partition_config_selectorILNS1_17partition_subalgoE9EijbEEZZNS1_14partition_implILS5_9ELb0ES3_jN6thrust23THRUST_200600_302600_NS6detail15normal_iteratorINS9_10device_ptrIiEEEENSB_INSC_IjEEEEPNS0_10empty_typeENS0_5tupleIJNS9_16discard_iteratorINS9_11use_defaultEEESH_EEENSJ_IJSM_SI_EEENS0_18inequality_wrapperINS9_8equal_toIiEEEEPmJSH_EEE10hipError_tPvRmT3_T4_T5_T6_T7_T9_mT8_P12ihipStream_tbDpT10_ENKUlT_T0_E_clISt17integral_constantIbLb0EES1C_IbLb1EEEEDaS18_S19_EUlS18_E_NS1_11comp_targetILNS1_3genE3ELNS1_11target_archE908ELNS1_3gpuE7ELNS1_3repE0EEENS1_30default_config_static_selectorELNS0_4arch9wavefront6targetE0EEEvT1_
; %bb.0:
	.section	.rodata,"a",@progbits
	.p2align	6, 0x0
	.amdhsa_kernel _ZN7rocprim17ROCPRIM_400000_NS6detail17trampoline_kernelINS0_14default_configENS1_25partition_config_selectorILNS1_17partition_subalgoE9EijbEEZZNS1_14partition_implILS5_9ELb0ES3_jN6thrust23THRUST_200600_302600_NS6detail15normal_iteratorINS9_10device_ptrIiEEEENSB_INSC_IjEEEEPNS0_10empty_typeENS0_5tupleIJNS9_16discard_iteratorINS9_11use_defaultEEESH_EEENSJ_IJSM_SI_EEENS0_18inequality_wrapperINS9_8equal_toIiEEEEPmJSH_EEE10hipError_tPvRmT3_T4_T5_T6_T7_T9_mT8_P12ihipStream_tbDpT10_ENKUlT_T0_E_clISt17integral_constantIbLb0EES1C_IbLb1EEEEDaS18_S19_EUlS18_E_NS1_11comp_targetILNS1_3genE3ELNS1_11target_archE908ELNS1_3gpuE7ELNS1_3repE0EEENS1_30default_config_static_selectorELNS0_4arch9wavefront6targetE0EEEvT1_
		.amdhsa_group_segment_fixed_size 0
		.amdhsa_private_segment_fixed_size 0
		.amdhsa_kernarg_size 144
		.amdhsa_user_sgpr_count 15
		.amdhsa_user_sgpr_dispatch_ptr 0
		.amdhsa_user_sgpr_queue_ptr 0
		.amdhsa_user_sgpr_kernarg_segment_ptr 1
		.amdhsa_user_sgpr_dispatch_id 0
		.amdhsa_user_sgpr_private_segment_size 0
		.amdhsa_wavefront_size32 1
		.amdhsa_uses_dynamic_stack 0
		.amdhsa_enable_private_segment 0
		.amdhsa_system_sgpr_workgroup_id_x 1
		.amdhsa_system_sgpr_workgroup_id_y 0
		.amdhsa_system_sgpr_workgroup_id_z 0
		.amdhsa_system_sgpr_workgroup_info 0
		.amdhsa_system_vgpr_workitem_id 0
		.amdhsa_next_free_vgpr 1
		.amdhsa_next_free_sgpr 1
		.amdhsa_reserve_vcc 0
		.amdhsa_float_round_mode_32 0
		.amdhsa_float_round_mode_16_64 0
		.amdhsa_float_denorm_mode_32 3
		.amdhsa_float_denorm_mode_16_64 3
		.amdhsa_dx10_clamp 1
		.amdhsa_ieee_mode 1
		.amdhsa_fp16_overflow 0
		.amdhsa_workgroup_processor_mode 1
		.amdhsa_memory_ordered 1
		.amdhsa_forward_progress 0
		.amdhsa_shared_vgpr_count 0
		.amdhsa_exception_fp_ieee_invalid_op 0
		.amdhsa_exception_fp_denorm_src 0
		.amdhsa_exception_fp_ieee_div_zero 0
		.amdhsa_exception_fp_ieee_overflow 0
		.amdhsa_exception_fp_ieee_underflow 0
		.amdhsa_exception_fp_ieee_inexact 0
		.amdhsa_exception_int_div_zero 0
	.end_amdhsa_kernel
	.section	.text._ZN7rocprim17ROCPRIM_400000_NS6detail17trampoline_kernelINS0_14default_configENS1_25partition_config_selectorILNS1_17partition_subalgoE9EijbEEZZNS1_14partition_implILS5_9ELb0ES3_jN6thrust23THRUST_200600_302600_NS6detail15normal_iteratorINS9_10device_ptrIiEEEENSB_INSC_IjEEEEPNS0_10empty_typeENS0_5tupleIJNS9_16discard_iteratorINS9_11use_defaultEEESH_EEENSJ_IJSM_SI_EEENS0_18inequality_wrapperINS9_8equal_toIiEEEEPmJSH_EEE10hipError_tPvRmT3_T4_T5_T6_T7_T9_mT8_P12ihipStream_tbDpT10_ENKUlT_T0_E_clISt17integral_constantIbLb0EES1C_IbLb1EEEEDaS18_S19_EUlS18_E_NS1_11comp_targetILNS1_3genE3ELNS1_11target_archE908ELNS1_3gpuE7ELNS1_3repE0EEENS1_30default_config_static_selectorELNS0_4arch9wavefront6targetE0EEEvT1_,"axG",@progbits,_ZN7rocprim17ROCPRIM_400000_NS6detail17trampoline_kernelINS0_14default_configENS1_25partition_config_selectorILNS1_17partition_subalgoE9EijbEEZZNS1_14partition_implILS5_9ELb0ES3_jN6thrust23THRUST_200600_302600_NS6detail15normal_iteratorINS9_10device_ptrIiEEEENSB_INSC_IjEEEEPNS0_10empty_typeENS0_5tupleIJNS9_16discard_iteratorINS9_11use_defaultEEESH_EEENSJ_IJSM_SI_EEENS0_18inequality_wrapperINS9_8equal_toIiEEEEPmJSH_EEE10hipError_tPvRmT3_T4_T5_T6_T7_T9_mT8_P12ihipStream_tbDpT10_ENKUlT_T0_E_clISt17integral_constantIbLb0EES1C_IbLb1EEEEDaS18_S19_EUlS18_E_NS1_11comp_targetILNS1_3genE3ELNS1_11target_archE908ELNS1_3gpuE7ELNS1_3repE0EEENS1_30default_config_static_selectorELNS0_4arch9wavefront6targetE0EEEvT1_,comdat
.Lfunc_end1104:
	.size	_ZN7rocprim17ROCPRIM_400000_NS6detail17trampoline_kernelINS0_14default_configENS1_25partition_config_selectorILNS1_17partition_subalgoE9EijbEEZZNS1_14partition_implILS5_9ELb0ES3_jN6thrust23THRUST_200600_302600_NS6detail15normal_iteratorINS9_10device_ptrIiEEEENSB_INSC_IjEEEEPNS0_10empty_typeENS0_5tupleIJNS9_16discard_iteratorINS9_11use_defaultEEESH_EEENSJ_IJSM_SI_EEENS0_18inequality_wrapperINS9_8equal_toIiEEEEPmJSH_EEE10hipError_tPvRmT3_T4_T5_T6_T7_T9_mT8_P12ihipStream_tbDpT10_ENKUlT_T0_E_clISt17integral_constantIbLb0EES1C_IbLb1EEEEDaS18_S19_EUlS18_E_NS1_11comp_targetILNS1_3genE3ELNS1_11target_archE908ELNS1_3gpuE7ELNS1_3repE0EEENS1_30default_config_static_selectorELNS0_4arch9wavefront6targetE0EEEvT1_, .Lfunc_end1104-_ZN7rocprim17ROCPRIM_400000_NS6detail17trampoline_kernelINS0_14default_configENS1_25partition_config_selectorILNS1_17partition_subalgoE9EijbEEZZNS1_14partition_implILS5_9ELb0ES3_jN6thrust23THRUST_200600_302600_NS6detail15normal_iteratorINS9_10device_ptrIiEEEENSB_INSC_IjEEEEPNS0_10empty_typeENS0_5tupleIJNS9_16discard_iteratorINS9_11use_defaultEEESH_EEENSJ_IJSM_SI_EEENS0_18inequality_wrapperINS9_8equal_toIiEEEEPmJSH_EEE10hipError_tPvRmT3_T4_T5_T6_T7_T9_mT8_P12ihipStream_tbDpT10_ENKUlT_T0_E_clISt17integral_constantIbLb0EES1C_IbLb1EEEEDaS18_S19_EUlS18_E_NS1_11comp_targetILNS1_3genE3ELNS1_11target_archE908ELNS1_3gpuE7ELNS1_3repE0EEENS1_30default_config_static_selectorELNS0_4arch9wavefront6targetE0EEEvT1_
                                        ; -- End function
	.section	.AMDGPU.csdata,"",@progbits
; Kernel info:
; codeLenInByte = 0
; NumSgprs: 0
; NumVgprs: 0
; ScratchSize: 0
; MemoryBound: 0
; FloatMode: 240
; IeeeMode: 1
; LDSByteSize: 0 bytes/workgroup (compile time only)
; SGPRBlocks: 0
; VGPRBlocks: 0
; NumSGPRsForWavesPerEU: 1
; NumVGPRsForWavesPerEU: 1
; Occupancy: 16
; WaveLimiterHint : 0
; COMPUTE_PGM_RSRC2:SCRATCH_EN: 0
; COMPUTE_PGM_RSRC2:USER_SGPR: 15
; COMPUTE_PGM_RSRC2:TRAP_HANDLER: 0
; COMPUTE_PGM_RSRC2:TGID_X_EN: 1
; COMPUTE_PGM_RSRC2:TGID_Y_EN: 0
; COMPUTE_PGM_RSRC2:TGID_Z_EN: 0
; COMPUTE_PGM_RSRC2:TIDIG_COMP_CNT: 0
	.section	.text._ZN7rocprim17ROCPRIM_400000_NS6detail17trampoline_kernelINS0_14default_configENS1_25partition_config_selectorILNS1_17partition_subalgoE9EijbEEZZNS1_14partition_implILS5_9ELb0ES3_jN6thrust23THRUST_200600_302600_NS6detail15normal_iteratorINS9_10device_ptrIiEEEENSB_INSC_IjEEEEPNS0_10empty_typeENS0_5tupleIJNS9_16discard_iteratorINS9_11use_defaultEEESH_EEENSJ_IJSM_SI_EEENS0_18inequality_wrapperINS9_8equal_toIiEEEEPmJSH_EEE10hipError_tPvRmT3_T4_T5_T6_T7_T9_mT8_P12ihipStream_tbDpT10_ENKUlT_T0_E_clISt17integral_constantIbLb0EES1C_IbLb1EEEEDaS18_S19_EUlS18_E_NS1_11comp_targetILNS1_3genE2ELNS1_11target_archE906ELNS1_3gpuE6ELNS1_3repE0EEENS1_30default_config_static_selectorELNS0_4arch9wavefront6targetE0EEEvT1_,"axG",@progbits,_ZN7rocprim17ROCPRIM_400000_NS6detail17trampoline_kernelINS0_14default_configENS1_25partition_config_selectorILNS1_17partition_subalgoE9EijbEEZZNS1_14partition_implILS5_9ELb0ES3_jN6thrust23THRUST_200600_302600_NS6detail15normal_iteratorINS9_10device_ptrIiEEEENSB_INSC_IjEEEEPNS0_10empty_typeENS0_5tupleIJNS9_16discard_iteratorINS9_11use_defaultEEESH_EEENSJ_IJSM_SI_EEENS0_18inequality_wrapperINS9_8equal_toIiEEEEPmJSH_EEE10hipError_tPvRmT3_T4_T5_T6_T7_T9_mT8_P12ihipStream_tbDpT10_ENKUlT_T0_E_clISt17integral_constantIbLb0EES1C_IbLb1EEEEDaS18_S19_EUlS18_E_NS1_11comp_targetILNS1_3genE2ELNS1_11target_archE906ELNS1_3gpuE6ELNS1_3repE0EEENS1_30default_config_static_selectorELNS0_4arch9wavefront6targetE0EEEvT1_,comdat
	.protected	_ZN7rocprim17ROCPRIM_400000_NS6detail17trampoline_kernelINS0_14default_configENS1_25partition_config_selectorILNS1_17partition_subalgoE9EijbEEZZNS1_14partition_implILS5_9ELb0ES3_jN6thrust23THRUST_200600_302600_NS6detail15normal_iteratorINS9_10device_ptrIiEEEENSB_INSC_IjEEEEPNS0_10empty_typeENS0_5tupleIJNS9_16discard_iteratorINS9_11use_defaultEEESH_EEENSJ_IJSM_SI_EEENS0_18inequality_wrapperINS9_8equal_toIiEEEEPmJSH_EEE10hipError_tPvRmT3_T4_T5_T6_T7_T9_mT8_P12ihipStream_tbDpT10_ENKUlT_T0_E_clISt17integral_constantIbLb0EES1C_IbLb1EEEEDaS18_S19_EUlS18_E_NS1_11comp_targetILNS1_3genE2ELNS1_11target_archE906ELNS1_3gpuE6ELNS1_3repE0EEENS1_30default_config_static_selectorELNS0_4arch9wavefront6targetE0EEEvT1_ ; -- Begin function _ZN7rocprim17ROCPRIM_400000_NS6detail17trampoline_kernelINS0_14default_configENS1_25partition_config_selectorILNS1_17partition_subalgoE9EijbEEZZNS1_14partition_implILS5_9ELb0ES3_jN6thrust23THRUST_200600_302600_NS6detail15normal_iteratorINS9_10device_ptrIiEEEENSB_INSC_IjEEEEPNS0_10empty_typeENS0_5tupleIJNS9_16discard_iteratorINS9_11use_defaultEEESH_EEENSJ_IJSM_SI_EEENS0_18inequality_wrapperINS9_8equal_toIiEEEEPmJSH_EEE10hipError_tPvRmT3_T4_T5_T6_T7_T9_mT8_P12ihipStream_tbDpT10_ENKUlT_T0_E_clISt17integral_constantIbLb0EES1C_IbLb1EEEEDaS18_S19_EUlS18_E_NS1_11comp_targetILNS1_3genE2ELNS1_11target_archE906ELNS1_3gpuE6ELNS1_3repE0EEENS1_30default_config_static_selectorELNS0_4arch9wavefront6targetE0EEEvT1_
	.globl	_ZN7rocprim17ROCPRIM_400000_NS6detail17trampoline_kernelINS0_14default_configENS1_25partition_config_selectorILNS1_17partition_subalgoE9EijbEEZZNS1_14partition_implILS5_9ELb0ES3_jN6thrust23THRUST_200600_302600_NS6detail15normal_iteratorINS9_10device_ptrIiEEEENSB_INSC_IjEEEEPNS0_10empty_typeENS0_5tupleIJNS9_16discard_iteratorINS9_11use_defaultEEESH_EEENSJ_IJSM_SI_EEENS0_18inequality_wrapperINS9_8equal_toIiEEEEPmJSH_EEE10hipError_tPvRmT3_T4_T5_T6_T7_T9_mT8_P12ihipStream_tbDpT10_ENKUlT_T0_E_clISt17integral_constantIbLb0EES1C_IbLb1EEEEDaS18_S19_EUlS18_E_NS1_11comp_targetILNS1_3genE2ELNS1_11target_archE906ELNS1_3gpuE6ELNS1_3repE0EEENS1_30default_config_static_selectorELNS0_4arch9wavefront6targetE0EEEvT1_
	.p2align	8
	.type	_ZN7rocprim17ROCPRIM_400000_NS6detail17trampoline_kernelINS0_14default_configENS1_25partition_config_selectorILNS1_17partition_subalgoE9EijbEEZZNS1_14partition_implILS5_9ELb0ES3_jN6thrust23THRUST_200600_302600_NS6detail15normal_iteratorINS9_10device_ptrIiEEEENSB_INSC_IjEEEEPNS0_10empty_typeENS0_5tupleIJNS9_16discard_iteratorINS9_11use_defaultEEESH_EEENSJ_IJSM_SI_EEENS0_18inequality_wrapperINS9_8equal_toIiEEEEPmJSH_EEE10hipError_tPvRmT3_T4_T5_T6_T7_T9_mT8_P12ihipStream_tbDpT10_ENKUlT_T0_E_clISt17integral_constantIbLb0EES1C_IbLb1EEEEDaS18_S19_EUlS18_E_NS1_11comp_targetILNS1_3genE2ELNS1_11target_archE906ELNS1_3gpuE6ELNS1_3repE0EEENS1_30default_config_static_selectorELNS0_4arch9wavefront6targetE0EEEvT1_,@function
_ZN7rocprim17ROCPRIM_400000_NS6detail17trampoline_kernelINS0_14default_configENS1_25partition_config_selectorILNS1_17partition_subalgoE9EijbEEZZNS1_14partition_implILS5_9ELb0ES3_jN6thrust23THRUST_200600_302600_NS6detail15normal_iteratorINS9_10device_ptrIiEEEENSB_INSC_IjEEEEPNS0_10empty_typeENS0_5tupleIJNS9_16discard_iteratorINS9_11use_defaultEEESH_EEENSJ_IJSM_SI_EEENS0_18inequality_wrapperINS9_8equal_toIiEEEEPmJSH_EEE10hipError_tPvRmT3_T4_T5_T6_T7_T9_mT8_P12ihipStream_tbDpT10_ENKUlT_T0_E_clISt17integral_constantIbLb0EES1C_IbLb1EEEEDaS18_S19_EUlS18_E_NS1_11comp_targetILNS1_3genE2ELNS1_11target_archE906ELNS1_3gpuE6ELNS1_3repE0EEENS1_30default_config_static_selectorELNS0_4arch9wavefront6targetE0EEEvT1_: ; @_ZN7rocprim17ROCPRIM_400000_NS6detail17trampoline_kernelINS0_14default_configENS1_25partition_config_selectorILNS1_17partition_subalgoE9EijbEEZZNS1_14partition_implILS5_9ELb0ES3_jN6thrust23THRUST_200600_302600_NS6detail15normal_iteratorINS9_10device_ptrIiEEEENSB_INSC_IjEEEEPNS0_10empty_typeENS0_5tupleIJNS9_16discard_iteratorINS9_11use_defaultEEESH_EEENSJ_IJSM_SI_EEENS0_18inequality_wrapperINS9_8equal_toIiEEEEPmJSH_EEE10hipError_tPvRmT3_T4_T5_T6_T7_T9_mT8_P12ihipStream_tbDpT10_ENKUlT_T0_E_clISt17integral_constantIbLb0EES1C_IbLb1EEEEDaS18_S19_EUlS18_E_NS1_11comp_targetILNS1_3genE2ELNS1_11target_archE906ELNS1_3gpuE6ELNS1_3repE0EEENS1_30default_config_static_selectorELNS0_4arch9wavefront6targetE0EEEvT1_
; %bb.0:
	.section	.rodata,"a",@progbits
	.p2align	6, 0x0
	.amdhsa_kernel _ZN7rocprim17ROCPRIM_400000_NS6detail17trampoline_kernelINS0_14default_configENS1_25partition_config_selectorILNS1_17partition_subalgoE9EijbEEZZNS1_14partition_implILS5_9ELb0ES3_jN6thrust23THRUST_200600_302600_NS6detail15normal_iteratorINS9_10device_ptrIiEEEENSB_INSC_IjEEEEPNS0_10empty_typeENS0_5tupleIJNS9_16discard_iteratorINS9_11use_defaultEEESH_EEENSJ_IJSM_SI_EEENS0_18inequality_wrapperINS9_8equal_toIiEEEEPmJSH_EEE10hipError_tPvRmT3_T4_T5_T6_T7_T9_mT8_P12ihipStream_tbDpT10_ENKUlT_T0_E_clISt17integral_constantIbLb0EES1C_IbLb1EEEEDaS18_S19_EUlS18_E_NS1_11comp_targetILNS1_3genE2ELNS1_11target_archE906ELNS1_3gpuE6ELNS1_3repE0EEENS1_30default_config_static_selectorELNS0_4arch9wavefront6targetE0EEEvT1_
		.amdhsa_group_segment_fixed_size 0
		.amdhsa_private_segment_fixed_size 0
		.amdhsa_kernarg_size 144
		.amdhsa_user_sgpr_count 15
		.amdhsa_user_sgpr_dispatch_ptr 0
		.amdhsa_user_sgpr_queue_ptr 0
		.amdhsa_user_sgpr_kernarg_segment_ptr 1
		.amdhsa_user_sgpr_dispatch_id 0
		.amdhsa_user_sgpr_private_segment_size 0
		.amdhsa_wavefront_size32 1
		.amdhsa_uses_dynamic_stack 0
		.amdhsa_enable_private_segment 0
		.amdhsa_system_sgpr_workgroup_id_x 1
		.amdhsa_system_sgpr_workgroup_id_y 0
		.amdhsa_system_sgpr_workgroup_id_z 0
		.amdhsa_system_sgpr_workgroup_info 0
		.amdhsa_system_vgpr_workitem_id 0
		.amdhsa_next_free_vgpr 1
		.amdhsa_next_free_sgpr 1
		.amdhsa_reserve_vcc 0
		.amdhsa_float_round_mode_32 0
		.amdhsa_float_round_mode_16_64 0
		.amdhsa_float_denorm_mode_32 3
		.amdhsa_float_denorm_mode_16_64 3
		.amdhsa_dx10_clamp 1
		.amdhsa_ieee_mode 1
		.amdhsa_fp16_overflow 0
		.amdhsa_workgroup_processor_mode 1
		.amdhsa_memory_ordered 1
		.amdhsa_forward_progress 0
		.amdhsa_shared_vgpr_count 0
		.amdhsa_exception_fp_ieee_invalid_op 0
		.amdhsa_exception_fp_denorm_src 0
		.amdhsa_exception_fp_ieee_div_zero 0
		.amdhsa_exception_fp_ieee_overflow 0
		.amdhsa_exception_fp_ieee_underflow 0
		.amdhsa_exception_fp_ieee_inexact 0
		.amdhsa_exception_int_div_zero 0
	.end_amdhsa_kernel
	.section	.text._ZN7rocprim17ROCPRIM_400000_NS6detail17trampoline_kernelINS0_14default_configENS1_25partition_config_selectorILNS1_17partition_subalgoE9EijbEEZZNS1_14partition_implILS5_9ELb0ES3_jN6thrust23THRUST_200600_302600_NS6detail15normal_iteratorINS9_10device_ptrIiEEEENSB_INSC_IjEEEEPNS0_10empty_typeENS0_5tupleIJNS9_16discard_iteratorINS9_11use_defaultEEESH_EEENSJ_IJSM_SI_EEENS0_18inequality_wrapperINS9_8equal_toIiEEEEPmJSH_EEE10hipError_tPvRmT3_T4_T5_T6_T7_T9_mT8_P12ihipStream_tbDpT10_ENKUlT_T0_E_clISt17integral_constantIbLb0EES1C_IbLb1EEEEDaS18_S19_EUlS18_E_NS1_11comp_targetILNS1_3genE2ELNS1_11target_archE906ELNS1_3gpuE6ELNS1_3repE0EEENS1_30default_config_static_selectorELNS0_4arch9wavefront6targetE0EEEvT1_,"axG",@progbits,_ZN7rocprim17ROCPRIM_400000_NS6detail17trampoline_kernelINS0_14default_configENS1_25partition_config_selectorILNS1_17partition_subalgoE9EijbEEZZNS1_14partition_implILS5_9ELb0ES3_jN6thrust23THRUST_200600_302600_NS6detail15normal_iteratorINS9_10device_ptrIiEEEENSB_INSC_IjEEEEPNS0_10empty_typeENS0_5tupleIJNS9_16discard_iteratorINS9_11use_defaultEEESH_EEENSJ_IJSM_SI_EEENS0_18inequality_wrapperINS9_8equal_toIiEEEEPmJSH_EEE10hipError_tPvRmT3_T4_T5_T6_T7_T9_mT8_P12ihipStream_tbDpT10_ENKUlT_T0_E_clISt17integral_constantIbLb0EES1C_IbLb1EEEEDaS18_S19_EUlS18_E_NS1_11comp_targetILNS1_3genE2ELNS1_11target_archE906ELNS1_3gpuE6ELNS1_3repE0EEENS1_30default_config_static_selectorELNS0_4arch9wavefront6targetE0EEEvT1_,comdat
.Lfunc_end1105:
	.size	_ZN7rocprim17ROCPRIM_400000_NS6detail17trampoline_kernelINS0_14default_configENS1_25partition_config_selectorILNS1_17partition_subalgoE9EijbEEZZNS1_14partition_implILS5_9ELb0ES3_jN6thrust23THRUST_200600_302600_NS6detail15normal_iteratorINS9_10device_ptrIiEEEENSB_INSC_IjEEEEPNS0_10empty_typeENS0_5tupleIJNS9_16discard_iteratorINS9_11use_defaultEEESH_EEENSJ_IJSM_SI_EEENS0_18inequality_wrapperINS9_8equal_toIiEEEEPmJSH_EEE10hipError_tPvRmT3_T4_T5_T6_T7_T9_mT8_P12ihipStream_tbDpT10_ENKUlT_T0_E_clISt17integral_constantIbLb0EES1C_IbLb1EEEEDaS18_S19_EUlS18_E_NS1_11comp_targetILNS1_3genE2ELNS1_11target_archE906ELNS1_3gpuE6ELNS1_3repE0EEENS1_30default_config_static_selectorELNS0_4arch9wavefront6targetE0EEEvT1_, .Lfunc_end1105-_ZN7rocprim17ROCPRIM_400000_NS6detail17trampoline_kernelINS0_14default_configENS1_25partition_config_selectorILNS1_17partition_subalgoE9EijbEEZZNS1_14partition_implILS5_9ELb0ES3_jN6thrust23THRUST_200600_302600_NS6detail15normal_iteratorINS9_10device_ptrIiEEEENSB_INSC_IjEEEEPNS0_10empty_typeENS0_5tupleIJNS9_16discard_iteratorINS9_11use_defaultEEESH_EEENSJ_IJSM_SI_EEENS0_18inequality_wrapperINS9_8equal_toIiEEEEPmJSH_EEE10hipError_tPvRmT3_T4_T5_T6_T7_T9_mT8_P12ihipStream_tbDpT10_ENKUlT_T0_E_clISt17integral_constantIbLb0EES1C_IbLb1EEEEDaS18_S19_EUlS18_E_NS1_11comp_targetILNS1_3genE2ELNS1_11target_archE906ELNS1_3gpuE6ELNS1_3repE0EEENS1_30default_config_static_selectorELNS0_4arch9wavefront6targetE0EEEvT1_
                                        ; -- End function
	.section	.AMDGPU.csdata,"",@progbits
; Kernel info:
; codeLenInByte = 0
; NumSgprs: 0
; NumVgprs: 0
; ScratchSize: 0
; MemoryBound: 0
; FloatMode: 240
; IeeeMode: 1
; LDSByteSize: 0 bytes/workgroup (compile time only)
; SGPRBlocks: 0
; VGPRBlocks: 0
; NumSGPRsForWavesPerEU: 1
; NumVGPRsForWavesPerEU: 1
; Occupancy: 16
; WaveLimiterHint : 0
; COMPUTE_PGM_RSRC2:SCRATCH_EN: 0
; COMPUTE_PGM_RSRC2:USER_SGPR: 15
; COMPUTE_PGM_RSRC2:TRAP_HANDLER: 0
; COMPUTE_PGM_RSRC2:TGID_X_EN: 1
; COMPUTE_PGM_RSRC2:TGID_Y_EN: 0
; COMPUTE_PGM_RSRC2:TGID_Z_EN: 0
; COMPUTE_PGM_RSRC2:TIDIG_COMP_CNT: 0
	.section	.text._ZN7rocprim17ROCPRIM_400000_NS6detail17trampoline_kernelINS0_14default_configENS1_25partition_config_selectorILNS1_17partition_subalgoE9EijbEEZZNS1_14partition_implILS5_9ELb0ES3_jN6thrust23THRUST_200600_302600_NS6detail15normal_iteratorINS9_10device_ptrIiEEEENSB_INSC_IjEEEEPNS0_10empty_typeENS0_5tupleIJNS9_16discard_iteratorINS9_11use_defaultEEESH_EEENSJ_IJSM_SI_EEENS0_18inequality_wrapperINS9_8equal_toIiEEEEPmJSH_EEE10hipError_tPvRmT3_T4_T5_T6_T7_T9_mT8_P12ihipStream_tbDpT10_ENKUlT_T0_E_clISt17integral_constantIbLb0EES1C_IbLb1EEEEDaS18_S19_EUlS18_E_NS1_11comp_targetILNS1_3genE10ELNS1_11target_archE1200ELNS1_3gpuE4ELNS1_3repE0EEENS1_30default_config_static_selectorELNS0_4arch9wavefront6targetE0EEEvT1_,"axG",@progbits,_ZN7rocprim17ROCPRIM_400000_NS6detail17trampoline_kernelINS0_14default_configENS1_25partition_config_selectorILNS1_17partition_subalgoE9EijbEEZZNS1_14partition_implILS5_9ELb0ES3_jN6thrust23THRUST_200600_302600_NS6detail15normal_iteratorINS9_10device_ptrIiEEEENSB_INSC_IjEEEEPNS0_10empty_typeENS0_5tupleIJNS9_16discard_iteratorINS9_11use_defaultEEESH_EEENSJ_IJSM_SI_EEENS0_18inequality_wrapperINS9_8equal_toIiEEEEPmJSH_EEE10hipError_tPvRmT3_T4_T5_T6_T7_T9_mT8_P12ihipStream_tbDpT10_ENKUlT_T0_E_clISt17integral_constantIbLb0EES1C_IbLb1EEEEDaS18_S19_EUlS18_E_NS1_11comp_targetILNS1_3genE10ELNS1_11target_archE1200ELNS1_3gpuE4ELNS1_3repE0EEENS1_30default_config_static_selectorELNS0_4arch9wavefront6targetE0EEEvT1_,comdat
	.protected	_ZN7rocprim17ROCPRIM_400000_NS6detail17trampoline_kernelINS0_14default_configENS1_25partition_config_selectorILNS1_17partition_subalgoE9EijbEEZZNS1_14partition_implILS5_9ELb0ES3_jN6thrust23THRUST_200600_302600_NS6detail15normal_iteratorINS9_10device_ptrIiEEEENSB_INSC_IjEEEEPNS0_10empty_typeENS0_5tupleIJNS9_16discard_iteratorINS9_11use_defaultEEESH_EEENSJ_IJSM_SI_EEENS0_18inequality_wrapperINS9_8equal_toIiEEEEPmJSH_EEE10hipError_tPvRmT3_T4_T5_T6_T7_T9_mT8_P12ihipStream_tbDpT10_ENKUlT_T0_E_clISt17integral_constantIbLb0EES1C_IbLb1EEEEDaS18_S19_EUlS18_E_NS1_11comp_targetILNS1_3genE10ELNS1_11target_archE1200ELNS1_3gpuE4ELNS1_3repE0EEENS1_30default_config_static_selectorELNS0_4arch9wavefront6targetE0EEEvT1_ ; -- Begin function _ZN7rocprim17ROCPRIM_400000_NS6detail17trampoline_kernelINS0_14default_configENS1_25partition_config_selectorILNS1_17partition_subalgoE9EijbEEZZNS1_14partition_implILS5_9ELb0ES3_jN6thrust23THRUST_200600_302600_NS6detail15normal_iteratorINS9_10device_ptrIiEEEENSB_INSC_IjEEEEPNS0_10empty_typeENS0_5tupleIJNS9_16discard_iteratorINS9_11use_defaultEEESH_EEENSJ_IJSM_SI_EEENS0_18inequality_wrapperINS9_8equal_toIiEEEEPmJSH_EEE10hipError_tPvRmT3_T4_T5_T6_T7_T9_mT8_P12ihipStream_tbDpT10_ENKUlT_T0_E_clISt17integral_constantIbLb0EES1C_IbLb1EEEEDaS18_S19_EUlS18_E_NS1_11comp_targetILNS1_3genE10ELNS1_11target_archE1200ELNS1_3gpuE4ELNS1_3repE0EEENS1_30default_config_static_selectorELNS0_4arch9wavefront6targetE0EEEvT1_
	.globl	_ZN7rocprim17ROCPRIM_400000_NS6detail17trampoline_kernelINS0_14default_configENS1_25partition_config_selectorILNS1_17partition_subalgoE9EijbEEZZNS1_14partition_implILS5_9ELb0ES3_jN6thrust23THRUST_200600_302600_NS6detail15normal_iteratorINS9_10device_ptrIiEEEENSB_INSC_IjEEEEPNS0_10empty_typeENS0_5tupleIJNS9_16discard_iteratorINS9_11use_defaultEEESH_EEENSJ_IJSM_SI_EEENS0_18inequality_wrapperINS9_8equal_toIiEEEEPmJSH_EEE10hipError_tPvRmT3_T4_T5_T6_T7_T9_mT8_P12ihipStream_tbDpT10_ENKUlT_T0_E_clISt17integral_constantIbLb0EES1C_IbLb1EEEEDaS18_S19_EUlS18_E_NS1_11comp_targetILNS1_3genE10ELNS1_11target_archE1200ELNS1_3gpuE4ELNS1_3repE0EEENS1_30default_config_static_selectorELNS0_4arch9wavefront6targetE0EEEvT1_
	.p2align	8
	.type	_ZN7rocprim17ROCPRIM_400000_NS6detail17trampoline_kernelINS0_14default_configENS1_25partition_config_selectorILNS1_17partition_subalgoE9EijbEEZZNS1_14partition_implILS5_9ELb0ES3_jN6thrust23THRUST_200600_302600_NS6detail15normal_iteratorINS9_10device_ptrIiEEEENSB_INSC_IjEEEEPNS0_10empty_typeENS0_5tupleIJNS9_16discard_iteratorINS9_11use_defaultEEESH_EEENSJ_IJSM_SI_EEENS0_18inequality_wrapperINS9_8equal_toIiEEEEPmJSH_EEE10hipError_tPvRmT3_T4_T5_T6_T7_T9_mT8_P12ihipStream_tbDpT10_ENKUlT_T0_E_clISt17integral_constantIbLb0EES1C_IbLb1EEEEDaS18_S19_EUlS18_E_NS1_11comp_targetILNS1_3genE10ELNS1_11target_archE1200ELNS1_3gpuE4ELNS1_3repE0EEENS1_30default_config_static_selectorELNS0_4arch9wavefront6targetE0EEEvT1_,@function
_ZN7rocprim17ROCPRIM_400000_NS6detail17trampoline_kernelINS0_14default_configENS1_25partition_config_selectorILNS1_17partition_subalgoE9EijbEEZZNS1_14partition_implILS5_9ELb0ES3_jN6thrust23THRUST_200600_302600_NS6detail15normal_iteratorINS9_10device_ptrIiEEEENSB_INSC_IjEEEEPNS0_10empty_typeENS0_5tupleIJNS9_16discard_iteratorINS9_11use_defaultEEESH_EEENSJ_IJSM_SI_EEENS0_18inequality_wrapperINS9_8equal_toIiEEEEPmJSH_EEE10hipError_tPvRmT3_T4_T5_T6_T7_T9_mT8_P12ihipStream_tbDpT10_ENKUlT_T0_E_clISt17integral_constantIbLb0EES1C_IbLb1EEEEDaS18_S19_EUlS18_E_NS1_11comp_targetILNS1_3genE10ELNS1_11target_archE1200ELNS1_3gpuE4ELNS1_3repE0EEENS1_30default_config_static_selectorELNS0_4arch9wavefront6targetE0EEEvT1_: ; @_ZN7rocprim17ROCPRIM_400000_NS6detail17trampoline_kernelINS0_14default_configENS1_25partition_config_selectorILNS1_17partition_subalgoE9EijbEEZZNS1_14partition_implILS5_9ELb0ES3_jN6thrust23THRUST_200600_302600_NS6detail15normal_iteratorINS9_10device_ptrIiEEEENSB_INSC_IjEEEEPNS0_10empty_typeENS0_5tupleIJNS9_16discard_iteratorINS9_11use_defaultEEESH_EEENSJ_IJSM_SI_EEENS0_18inequality_wrapperINS9_8equal_toIiEEEEPmJSH_EEE10hipError_tPvRmT3_T4_T5_T6_T7_T9_mT8_P12ihipStream_tbDpT10_ENKUlT_T0_E_clISt17integral_constantIbLb0EES1C_IbLb1EEEEDaS18_S19_EUlS18_E_NS1_11comp_targetILNS1_3genE10ELNS1_11target_archE1200ELNS1_3gpuE4ELNS1_3repE0EEENS1_30default_config_static_selectorELNS0_4arch9wavefront6targetE0EEEvT1_
; %bb.0:
	.section	.rodata,"a",@progbits
	.p2align	6, 0x0
	.amdhsa_kernel _ZN7rocprim17ROCPRIM_400000_NS6detail17trampoline_kernelINS0_14default_configENS1_25partition_config_selectorILNS1_17partition_subalgoE9EijbEEZZNS1_14partition_implILS5_9ELb0ES3_jN6thrust23THRUST_200600_302600_NS6detail15normal_iteratorINS9_10device_ptrIiEEEENSB_INSC_IjEEEEPNS0_10empty_typeENS0_5tupleIJNS9_16discard_iteratorINS9_11use_defaultEEESH_EEENSJ_IJSM_SI_EEENS0_18inequality_wrapperINS9_8equal_toIiEEEEPmJSH_EEE10hipError_tPvRmT3_T4_T5_T6_T7_T9_mT8_P12ihipStream_tbDpT10_ENKUlT_T0_E_clISt17integral_constantIbLb0EES1C_IbLb1EEEEDaS18_S19_EUlS18_E_NS1_11comp_targetILNS1_3genE10ELNS1_11target_archE1200ELNS1_3gpuE4ELNS1_3repE0EEENS1_30default_config_static_selectorELNS0_4arch9wavefront6targetE0EEEvT1_
		.amdhsa_group_segment_fixed_size 0
		.amdhsa_private_segment_fixed_size 0
		.amdhsa_kernarg_size 144
		.amdhsa_user_sgpr_count 15
		.amdhsa_user_sgpr_dispatch_ptr 0
		.amdhsa_user_sgpr_queue_ptr 0
		.amdhsa_user_sgpr_kernarg_segment_ptr 1
		.amdhsa_user_sgpr_dispatch_id 0
		.amdhsa_user_sgpr_private_segment_size 0
		.amdhsa_wavefront_size32 1
		.amdhsa_uses_dynamic_stack 0
		.amdhsa_enable_private_segment 0
		.amdhsa_system_sgpr_workgroup_id_x 1
		.amdhsa_system_sgpr_workgroup_id_y 0
		.amdhsa_system_sgpr_workgroup_id_z 0
		.amdhsa_system_sgpr_workgroup_info 0
		.amdhsa_system_vgpr_workitem_id 0
		.amdhsa_next_free_vgpr 1
		.amdhsa_next_free_sgpr 1
		.amdhsa_reserve_vcc 0
		.amdhsa_float_round_mode_32 0
		.amdhsa_float_round_mode_16_64 0
		.amdhsa_float_denorm_mode_32 3
		.amdhsa_float_denorm_mode_16_64 3
		.amdhsa_dx10_clamp 1
		.amdhsa_ieee_mode 1
		.amdhsa_fp16_overflow 0
		.amdhsa_workgroup_processor_mode 1
		.amdhsa_memory_ordered 1
		.amdhsa_forward_progress 0
		.amdhsa_shared_vgpr_count 0
		.amdhsa_exception_fp_ieee_invalid_op 0
		.amdhsa_exception_fp_denorm_src 0
		.amdhsa_exception_fp_ieee_div_zero 0
		.amdhsa_exception_fp_ieee_overflow 0
		.amdhsa_exception_fp_ieee_underflow 0
		.amdhsa_exception_fp_ieee_inexact 0
		.amdhsa_exception_int_div_zero 0
	.end_amdhsa_kernel
	.section	.text._ZN7rocprim17ROCPRIM_400000_NS6detail17trampoline_kernelINS0_14default_configENS1_25partition_config_selectorILNS1_17partition_subalgoE9EijbEEZZNS1_14partition_implILS5_9ELb0ES3_jN6thrust23THRUST_200600_302600_NS6detail15normal_iteratorINS9_10device_ptrIiEEEENSB_INSC_IjEEEEPNS0_10empty_typeENS0_5tupleIJNS9_16discard_iteratorINS9_11use_defaultEEESH_EEENSJ_IJSM_SI_EEENS0_18inequality_wrapperINS9_8equal_toIiEEEEPmJSH_EEE10hipError_tPvRmT3_T4_T5_T6_T7_T9_mT8_P12ihipStream_tbDpT10_ENKUlT_T0_E_clISt17integral_constantIbLb0EES1C_IbLb1EEEEDaS18_S19_EUlS18_E_NS1_11comp_targetILNS1_3genE10ELNS1_11target_archE1200ELNS1_3gpuE4ELNS1_3repE0EEENS1_30default_config_static_selectorELNS0_4arch9wavefront6targetE0EEEvT1_,"axG",@progbits,_ZN7rocprim17ROCPRIM_400000_NS6detail17trampoline_kernelINS0_14default_configENS1_25partition_config_selectorILNS1_17partition_subalgoE9EijbEEZZNS1_14partition_implILS5_9ELb0ES3_jN6thrust23THRUST_200600_302600_NS6detail15normal_iteratorINS9_10device_ptrIiEEEENSB_INSC_IjEEEEPNS0_10empty_typeENS0_5tupleIJNS9_16discard_iteratorINS9_11use_defaultEEESH_EEENSJ_IJSM_SI_EEENS0_18inequality_wrapperINS9_8equal_toIiEEEEPmJSH_EEE10hipError_tPvRmT3_T4_T5_T6_T7_T9_mT8_P12ihipStream_tbDpT10_ENKUlT_T0_E_clISt17integral_constantIbLb0EES1C_IbLb1EEEEDaS18_S19_EUlS18_E_NS1_11comp_targetILNS1_3genE10ELNS1_11target_archE1200ELNS1_3gpuE4ELNS1_3repE0EEENS1_30default_config_static_selectorELNS0_4arch9wavefront6targetE0EEEvT1_,comdat
.Lfunc_end1106:
	.size	_ZN7rocprim17ROCPRIM_400000_NS6detail17trampoline_kernelINS0_14default_configENS1_25partition_config_selectorILNS1_17partition_subalgoE9EijbEEZZNS1_14partition_implILS5_9ELb0ES3_jN6thrust23THRUST_200600_302600_NS6detail15normal_iteratorINS9_10device_ptrIiEEEENSB_INSC_IjEEEEPNS0_10empty_typeENS0_5tupleIJNS9_16discard_iteratorINS9_11use_defaultEEESH_EEENSJ_IJSM_SI_EEENS0_18inequality_wrapperINS9_8equal_toIiEEEEPmJSH_EEE10hipError_tPvRmT3_T4_T5_T6_T7_T9_mT8_P12ihipStream_tbDpT10_ENKUlT_T0_E_clISt17integral_constantIbLb0EES1C_IbLb1EEEEDaS18_S19_EUlS18_E_NS1_11comp_targetILNS1_3genE10ELNS1_11target_archE1200ELNS1_3gpuE4ELNS1_3repE0EEENS1_30default_config_static_selectorELNS0_4arch9wavefront6targetE0EEEvT1_, .Lfunc_end1106-_ZN7rocprim17ROCPRIM_400000_NS6detail17trampoline_kernelINS0_14default_configENS1_25partition_config_selectorILNS1_17partition_subalgoE9EijbEEZZNS1_14partition_implILS5_9ELb0ES3_jN6thrust23THRUST_200600_302600_NS6detail15normal_iteratorINS9_10device_ptrIiEEEENSB_INSC_IjEEEEPNS0_10empty_typeENS0_5tupleIJNS9_16discard_iteratorINS9_11use_defaultEEESH_EEENSJ_IJSM_SI_EEENS0_18inequality_wrapperINS9_8equal_toIiEEEEPmJSH_EEE10hipError_tPvRmT3_T4_T5_T6_T7_T9_mT8_P12ihipStream_tbDpT10_ENKUlT_T0_E_clISt17integral_constantIbLb0EES1C_IbLb1EEEEDaS18_S19_EUlS18_E_NS1_11comp_targetILNS1_3genE10ELNS1_11target_archE1200ELNS1_3gpuE4ELNS1_3repE0EEENS1_30default_config_static_selectorELNS0_4arch9wavefront6targetE0EEEvT1_
                                        ; -- End function
	.section	.AMDGPU.csdata,"",@progbits
; Kernel info:
; codeLenInByte = 0
; NumSgprs: 0
; NumVgprs: 0
; ScratchSize: 0
; MemoryBound: 0
; FloatMode: 240
; IeeeMode: 1
; LDSByteSize: 0 bytes/workgroup (compile time only)
; SGPRBlocks: 0
; VGPRBlocks: 0
; NumSGPRsForWavesPerEU: 1
; NumVGPRsForWavesPerEU: 1
; Occupancy: 15
; WaveLimiterHint : 0
; COMPUTE_PGM_RSRC2:SCRATCH_EN: 0
; COMPUTE_PGM_RSRC2:USER_SGPR: 15
; COMPUTE_PGM_RSRC2:TRAP_HANDLER: 0
; COMPUTE_PGM_RSRC2:TGID_X_EN: 1
; COMPUTE_PGM_RSRC2:TGID_Y_EN: 0
; COMPUTE_PGM_RSRC2:TGID_Z_EN: 0
; COMPUTE_PGM_RSRC2:TIDIG_COMP_CNT: 0
	.section	.text._ZN7rocprim17ROCPRIM_400000_NS6detail17trampoline_kernelINS0_14default_configENS1_25partition_config_selectorILNS1_17partition_subalgoE9EijbEEZZNS1_14partition_implILS5_9ELb0ES3_jN6thrust23THRUST_200600_302600_NS6detail15normal_iteratorINS9_10device_ptrIiEEEENSB_INSC_IjEEEEPNS0_10empty_typeENS0_5tupleIJNS9_16discard_iteratorINS9_11use_defaultEEESH_EEENSJ_IJSM_SI_EEENS0_18inequality_wrapperINS9_8equal_toIiEEEEPmJSH_EEE10hipError_tPvRmT3_T4_T5_T6_T7_T9_mT8_P12ihipStream_tbDpT10_ENKUlT_T0_E_clISt17integral_constantIbLb0EES1C_IbLb1EEEEDaS18_S19_EUlS18_E_NS1_11comp_targetILNS1_3genE9ELNS1_11target_archE1100ELNS1_3gpuE3ELNS1_3repE0EEENS1_30default_config_static_selectorELNS0_4arch9wavefront6targetE0EEEvT1_,"axG",@progbits,_ZN7rocprim17ROCPRIM_400000_NS6detail17trampoline_kernelINS0_14default_configENS1_25partition_config_selectorILNS1_17partition_subalgoE9EijbEEZZNS1_14partition_implILS5_9ELb0ES3_jN6thrust23THRUST_200600_302600_NS6detail15normal_iteratorINS9_10device_ptrIiEEEENSB_INSC_IjEEEEPNS0_10empty_typeENS0_5tupleIJNS9_16discard_iteratorINS9_11use_defaultEEESH_EEENSJ_IJSM_SI_EEENS0_18inequality_wrapperINS9_8equal_toIiEEEEPmJSH_EEE10hipError_tPvRmT3_T4_T5_T6_T7_T9_mT8_P12ihipStream_tbDpT10_ENKUlT_T0_E_clISt17integral_constantIbLb0EES1C_IbLb1EEEEDaS18_S19_EUlS18_E_NS1_11comp_targetILNS1_3genE9ELNS1_11target_archE1100ELNS1_3gpuE3ELNS1_3repE0EEENS1_30default_config_static_selectorELNS0_4arch9wavefront6targetE0EEEvT1_,comdat
	.protected	_ZN7rocprim17ROCPRIM_400000_NS6detail17trampoline_kernelINS0_14default_configENS1_25partition_config_selectorILNS1_17partition_subalgoE9EijbEEZZNS1_14partition_implILS5_9ELb0ES3_jN6thrust23THRUST_200600_302600_NS6detail15normal_iteratorINS9_10device_ptrIiEEEENSB_INSC_IjEEEEPNS0_10empty_typeENS0_5tupleIJNS9_16discard_iteratorINS9_11use_defaultEEESH_EEENSJ_IJSM_SI_EEENS0_18inequality_wrapperINS9_8equal_toIiEEEEPmJSH_EEE10hipError_tPvRmT3_T4_T5_T6_T7_T9_mT8_P12ihipStream_tbDpT10_ENKUlT_T0_E_clISt17integral_constantIbLb0EES1C_IbLb1EEEEDaS18_S19_EUlS18_E_NS1_11comp_targetILNS1_3genE9ELNS1_11target_archE1100ELNS1_3gpuE3ELNS1_3repE0EEENS1_30default_config_static_selectorELNS0_4arch9wavefront6targetE0EEEvT1_ ; -- Begin function _ZN7rocprim17ROCPRIM_400000_NS6detail17trampoline_kernelINS0_14default_configENS1_25partition_config_selectorILNS1_17partition_subalgoE9EijbEEZZNS1_14partition_implILS5_9ELb0ES3_jN6thrust23THRUST_200600_302600_NS6detail15normal_iteratorINS9_10device_ptrIiEEEENSB_INSC_IjEEEEPNS0_10empty_typeENS0_5tupleIJNS9_16discard_iteratorINS9_11use_defaultEEESH_EEENSJ_IJSM_SI_EEENS0_18inequality_wrapperINS9_8equal_toIiEEEEPmJSH_EEE10hipError_tPvRmT3_T4_T5_T6_T7_T9_mT8_P12ihipStream_tbDpT10_ENKUlT_T0_E_clISt17integral_constantIbLb0EES1C_IbLb1EEEEDaS18_S19_EUlS18_E_NS1_11comp_targetILNS1_3genE9ELNS1_11target_archE1100ELNS1_3gpuE3ELNS1_3repE0EEENS1_30default_config_static_selectorELNS0_4arch9wavefront6targetE0EEEvT1_
	.globl	_ZN7rocprim17ROCPRIM_400000_NS6detail17trampoline_kernelINS0_14default_configENS1_25partition_config_selectorILNS1_17partition_subalgoE9EijbEEZZNS1_14partition_implILS5_9ELb0ES3_jN6thrust23THRUST_200600_302600_NS6detail15normal_iteratorINS9_10device_ptrIiEEEENSB_INSC_IjEEEEPNS0_10empty_typeENS0_5tupleIJNS9_16discard_iteratorINS9_11use_defaultEEESH_EEENSJ_IJSM_SI_EEENS0_18inequality_wrapperINS9_8equal_toIiEEEEPmJSH_EEE10hipError_tPvRmT3_T4_T5_T6_T7_T9_mT8_P12ihipStream_tbDpT10_ENKUlT_T0_E_clISt17integral_constantIbLb0EES1C_IbLb1EEEEDaS18_S19_EUlS18_E_NS1_11comp_targetILNS1_3genE9ELNS1_11target_archE1100ELNS1_3gpuE3ELNS1_3repE0EEENS1_30default_config_static_selectorELNS0_4arch9wavefront6targetE0EEEvT1_
	.p2align	8
	.type	_ZN7rocprim17ROCPRIM_400000_NS6detail17trampoline_kernelINS0_14default_configENS1_25partition_config_selectorILNS1_17partition_subalgoE9EijbEEZZNS1_14partition_implILS5_9ELb0ES3_jN6thrust23THRUST_200600_302600_NS6detail15normal_iteratorINS9_10device_ptrIiEEEENSB_INSC_IjEEEEPNS0_10empty_typeENS0_5tupleIJNS9_16discard_iteratorINS9_11use_defaultEEESH_EEENSJ_IJSM_SI_EEENS0_18inequality_wrapperINS9_8equal_toIiEEEEPmJSH_EEE10hipError_tPvRmT3_T4_T5_T6_T7_T9_mT8_P12ihipStream_tbDpT10_ENKUlT_T0_E_clISt17integral_constantIbLb0EES1C_IbLb1EEEEDaS18_S19_EUlS18_E_NS1_11comp_targetILNS1_3genE9ELNS1_11target_archE1100ELNS1_3gpuE3ELNS1_3repE0EEENS1_30default_config_static_selectorELNS0_4arch9wavefront6targetE0EEEvT1_,@function
_ZN7rocprim17ROCPRIM_400000_NS6detail17trampoline_kernelINS0_14default_configENS1_25partition_config_selectorILNS1_17partition_subalgoE9EijbEEZZNS1_14partition_implILS5_9ELb0ES3_jN6thrust23THRUST_200600_302600_NS6detail15normal_iteratorINS9_10device_ptrIiEEEENSB_INSC_IjEEEEPNS0_10empty_typeENS0_5tupleIJNS9_16discard_iteratorINS9_11use_defaultEEESH_EEENSJ_IJSM_SI_EEENS0_18inequality_wrapperINS9_8equal_toIiEEEEPmJSH_EEE10hipError_tPvRmT3_T4_T5_T6_T7_T9_mT8_P12ihipStream_tbDpT10_ENKUlT_T0_E_clISt17integral_constantIbLb0EES1C_IbLb1EEEEDaS18_S19_EUlS18_E_NS1_11comp_targetILNS1_3genE9ELNS1_11target_archE1100ELNS1_3gpuE3ELNS1_3repE0EEENS1_30default_config_static_selectorELNS0_4arch9wavefront6targetE0EEEvT1_: ; @_ZN7rocprim17ROCPRIM_400000_NS6detail17trampoline_kernelINS0_14default_configENS1_25partition_config_selectorILNS1_17partition_subalgoE9EijbEEZZNS1_14partition_implILS5_9ELb0ES3_jN6thrust23THRUST_200600_302600_NS6detail15normal_iteratorINS9_10device_ptrIiEEEENSB_INSC_IjEEEEPNS0_10empty_typeENS0_5tupleIJNS9_16discard_iteratorINS9_11use_defaultEEESH_EEENSJ_IJSM_SI_EEENS0_18inequality_wrapperINS9_8equal_toIiEEEEPmJSH_EEE10hipError_tPvRmT3_T4_T5_T6_T7_T9_mT8_P12ihipStream_tbDpT10_ENKUlT_T0_E_clISt17integral_constantIbLb0EES1C_IbLb1EEEEDaS18_S19_EUlS18_E_NS1_11comp_targetILNS1_3genE9ELNS1_11target_archE1100ELNS1_3gpuE3ELNS1_3repE0EEENS1_30default_config_static_selectorELNS0_4arch9wavefront6targetE0EEEvT1_
; %bb.0:
	s_clause 0x4
	s_load_b128 s[4:7], s[0:1], 0x8
	s_load_b64 s[8:9], s[0:1], 0x18
	s_load_b64 s[16:17], s[0:1], 0x60
	s_load_b128 s[12:15], s[0:1], 0x50
	s_load_b64 s[10:11], s[0:1], 0x70
	v_cmp_ne_u32_e64 s3, 0, v0
	v_cmp_eq_u32_e64 s2, 0, v0
	s_delay_alu instid0(VALU_DEP_1)
	s_and_saveexec_b32 s18, s2
	s_cbranch_execz .LBB1107_4
; %bb.1:
	s_mov_b32 s20, exec_lo
	s_mov_b32 s19, exec_lo
	v_mbcnt_lo_u32_b32 v1, s20, 0
                                        ; implicit-def: $vgpr2
	s_delay_alu instid0(VALU_DEP_1)
	v_cmpx_eq_u32_e32 0, v1
	s_cbranch_execz .LBB1107_3
; %bb.2:
	s_load_b64 s[22:23], s[0:1], 0x80
	s_bcnt1_i32_b32 s20, s20
	s_delay_alu instid0(SALU_CYCLE_1)
	v_dual_mov_b32 v2, 0 :: v_dual_mov_b32 v3, s20
	s_waitcnt lgkmcnt(0)
	global_atomic_add_u32 v2, v2, v3, s[22:23] glc
.LBB1107_3:
	s_or_b32 exec_lo, exec_lo, s19
	s_waitcnt vmcnt(0)
	v_readfirstlane_b32 s19, v2
	s_delay_alu instid0(VALU_DEP_1)
	v_dual_mov_b32 v2, 0 :: v_dual_add_nc_u32 v1, s19, v1
	ds_store_b32 v2, v1
.LBB1107_4:
	s_or_b32 exec_lo, exec_lo, s18
	v_dual_mov_b32 v1, 0 :: v_dual_add_nc_u32 v18, 0x180, v0
	s_waitcnt lgkmcnt(0)
	s_barrier
	buffer_gl0_inv
	ds_load_b32 v2, v1
	s_waitcnt lgkmcnt(0)
	s_barrier
	buffer_gl0_inv
	global_load_b64 v[9:10], v1, s[14:15]
	s_load_b32 s0, s[0:1], 0x78
	s_lshl_b64 s[14:15], s[6:7], 2
	v_lshrrev_b32_e32 v16, 3, v0
	s_add_u32 s21, s4, s14
	s_addc_u32 s22, s5, s15
	v_add_nc_u32_e32 v17, 0x300, v0
	v_add_nc_u32_e32 v15, 0x480, v0
	v_or_b32_e32 v14, 0x600, v0
	v_add_nc_u32_e32 v13, 0x780, v0
	v_add_nc_u32_e32 v12, 0x900, v0
	;; [unrolled: 1-line block ×3, first 2 shown]
	v_readfirstlane_b32 s18, v2
	s_waitcnt lgkmcnt(0)
	s_mul_i32 s1, s0, 0xc00
	s_delay_alu instid0(SALU_CYCLE_1) | instskip(NEXT) | instid1(SALU_CYCLE_1)
	s_add_i32 s4, s1, s6
	s_sub_i32 s19, s16, s4
	s_add_i32 s4, s0, -1
	s_addk_i32 s19, 0xc00
	s_add_u32 s0, s6, s1
	s_addc_u32 s1, s7, 0
	s_cmp_eq_u32 s18, s4
	v_cmp_ge_u64_e64 s5, s[0:1], s[16:17]
	s_cselect_b32 s16, -1, 0
	s_mul_i32 s0, s18, 0xc00
	s_mov_b32 s1, 0
	s_delay_alu instid0(VALU_DEP_1)
	s_and_b32 s17, s5, s16
	s_lshl_b64 s[4:5], s[0:1], 2
	s_xor_b32 s20, s17, -1
	s_add_u32 s21, s21, s4
	s_addc_u32 s1, s22, s5
	s_and_b32 vcc_lo, exec_lo, s20
	s_mov_b32 s22, -1
	s_cbranch_vccz .LBB1107_6
; %bb.5:
	v_lshlrev_b32_e32 v7, 2, v0
	v_lshrrev_b32_e32 v21, 3, v18
	v_lshrrev_b32_e32 v22, 3, v17
	;; [unrolled: 1-line block ×4, first 2 shown]
	v_add_co_u32 v1, s0, s21, v7
	s_delay_alu instid0(VALU_DEP_1) | instskip(SKIP_1) | instid1(VALU_DEP_3)
	v_add_co_ci_u32_e64 v2, null, s1, 0, s0
	v_lshrrev_b32_e32 v25, 3, v13
	v_add_co_u32 v3, vcc_lo, 0x1000, v1
	s_delay_alu instid0(VALU_DEP_3)
	v_add_co_ci_u32_e32 v4, vcc_lo, 0, v2, vcc_lo
	v_add_co_u32 v5, vcc_lo, 0x2000, v1
	v_add_co_ci_u32_e32 v6, vcc_lo, 0, v2, vcc_lo
	s_clause 0x7
	flat_load_b32 v8, v[1:2]
	flat_load_b32 v19, v[1:2] offset:1536
	flat_load_b32 v1, v[1:2] offset:3072
	;; [unrolled: 1-line block ×7, first 2 shown]
	v_and_b32_e32 v6, 60, v16
	v_lshrrev_b32_e32 v26, 3, v12
	v_lshrrev_b32_e32 v27, 3, v11
	v_and_b32_e32 v21, 0x7c, v21
	v_and_b32_e32 v22, 0xfc, v22
	;; [unrolled: 1-line block ×4, first 2 shown]
	v_add_nc_u32_e32 v6, v6, v7
	v_and_b32_e32 v25, 0x1fc, v25
	v_and_b32_e32 v26, 0x17c, v26
	v_and_b32_e32 v27, 0x1fc, v27
	v_add_nc_u32_e32 v21, v21, v7
	v_add_nc_u32_e32 v22, v22, v7
	v_add_nc_u32_e32 v23, v23, v7
	v_add_nc_u32_e32 v24, v24, v7
	s_mov_b32 s22, 0
	v_add_nc_u32_e32 v25, v25, v7
	v_add_nc_u32_e32 v26, v26, v7
	;; [unrolled: 1-line block ×3, first 2 shown]
	s_waitcnt vmcnt(7) lgkmcnt(7)
	ds_store_b32 v6, v8
	s_waitcnt vmcnt(6) lgkmcnt(7)
	ds_store_b32 v21, v19 offset:1536
	s_waitcnt vmcnt(5) lgkmcnt(7)
	ds_store_b32 v22, v1 offset:3072
	;; [unrolled: 2-line block ×7, first 2 shown]
	s_waitcnt lgkmcnt(0)
	s_barrier
.LBB1107_6:
	v_cmp_gt_u32_e64 s0, s19, v0
	s_and_not1_b32 vcc_lo, exec_lo, s22
	s_cbranch_vccnz .LBB1107_24
; %bb.7:
                                        ; implicit-def: $vgpr1_vgpr2_vgpr3_vgpr4_vgpr5_vgpr6_vgpr7_vgpr8
	s_delay_alu instid0(VALU_DEP_1)
	s_and_saveexec_b32 s22, s0
	s_cbranch_execz .LBB1107_15
; %bb.8:
	v_lshlrev_b32_e32 v1, 2, v0
	s_delay_alu instid0(VALU_DEP_1) | instskip(NEXT) | instid1(VALU_DEP_1)
	v_add_co_u32 v1, s0, s21, v1
	v_add_co_ci_u32_e64 v2, null, s1, 0, s0
	flat_load_b32 v1, v[1:2]
	s_or_b32 exec_lo, exec_lo, s22
	s_delay_alu instid0(SALU_CYCLE_1)
	s_mov_b32 s0, exec_lo
	v_cmpx_gt_u32_e64 s19, v18
	s_cbranch_execnz .LBB1107_16
.LBB1107_9:
	s_or_b32 exec_lo, exec_lo, s0
	s_delay_alu instid0(SALU_CYCLE_1)
	s_mov_b32 s0, exec_lo
	v_cmpx_gt_u32_e64 s19, v17
	s_cbranch_execz .LBB1107_17
.LBB1107_10:
	v_lshlrev_b32_e32 v3, 2, v0
	s_delay_alu instid0(VALU_DEP_1) | instskip(NEXT) | instid1(VALU_DEP_1)
	v_add_co_u32 v19, s22, s21, v3
	v_add_co_ci_u32_e64 v20, null, s1, 0, s22
	flat_load_b32 v3, v[19:20] offset:3072
	s_or_b32 exec_lo, exec_lo, s0
	s_delay_alu instid0(SALU_CYCLE_1)
	s_mov_b32 s0, exec_lo
	v_cmpx_gt_u32_e64 s19, v15
	s_cbranch_execnz .LBB1107_18
.LBB1107_11:
	s_or_b32 exec_lo, exec_lo, s0
	s_delay_alu instid0(SALU_CYCLE_1)
	s_mov_b32 s0, exec_lo
	v_cmpx_gt_u32_e64 s19, v14
	s_cbranch_execz .LBB1107_19
.LBB1107_12:
	v_lshlrev_b32_e32 v5, 2, v14
	s_delay_alu instid0(VALU_DEP_1) | instskip(NEXT) | instid1(VALU_DEP_1)
	v_add_co_u32 v19, s22, s21, v5
	v_add_co_ci_u32_e64 v20, null, s1, 0, s22
	flat_load_b32 v5, v[19:20]
	s_or_b32 exec_lo, exec_lo, s0
	s_delay_alu instid0(SALU_CYCLE_1)
	s_mov_b32 s0, exec_lo
	v_cmpx_gt_u32_e64 s19, v13
	s_cbranch_execnz .LBB1107_20
.LBB1107_13:
	s_or_b32 exec_lo, exec_lo, s0
	s_delay_alu instid0(SALU_CYCLE_1)
	s_mov_b32 s0, exec_lo
	v_cmpx_gt_u32_e64 s19, v12
	s_cbranch_execz .LBB1107_21
.LBB1107_14:
	v_lshlrev_b32_e32 v7, 2, v12
	s_delay_alu instid0(VALU_DEP_1) | instskip(NEXT) | instid1(VALU_DEP_1)
	v_add_co_u32 v19, s22, s21, v7
	v_add_co_ci_u32_e64 v20, null, s1, 0, s22
	flat_load_b32 v7, v[19:20]
	s_or_b32 exec_lo, exec_lo, s0
	s_delay_alu instid0(SALU_CYCLE_1)
	s_mov_b32 s0, exec_lo
	v_cmpx_gt_u32_e64 s19, v11
	s_cbranch_execnz .LBB1107_22
	s_branch .LBB1107_23
.LBB1107_15:
	s_or_b32 exec_lo, exec_lo, s22
	s_delay_alu instid0(SALU_CYCLE_1)
	s_mov_b32 s0, exec_lo
	v_cmpx_gt_u32_e64 s19, v18
	s_cbranch_execz .LBB1107_9
.LBB1107_16:
	v_lshlrev_b32_e32 v2, 2, v0
	s_delay_alu instid0(VALU_DEP_1) | instskip(NEXT) | instid1(VALU_DEP_1)
	v_add_co_u32 v19, s22, s21, v2
	v_add_co_ci_u32_e64 v20, null, s1, 0, s22
	flat_load_b32 v2, v[19:20] offset:1536
	s_or_b32 exec_lo, exec_lo, s0
	s_delay_alu instid0(SALU_CYCLE_1)
	s_mov_b32 s0, exec_lo
	v_cmpx_gt_u32_e64 s19, v17
	s_cbranch_execnz .LBB1107_10
.LBB1107_17:
	s_or_b32 exec_lo, exec_lo, s0
	s_delay_alu instid0(SALU_CYCLE_1)
	s_mov_b32 s0, exec_lo
	v_cmpx_gt_u32_e64 s19, v15
	s_cbranch_execz .LBB1107_11
.LBB1107_18:
	v_lshlrev_b32_e32 v4, 2, v15
	s_delay_alu instid0(VALU_DEP_1) | instskip(NEXT) | instid1(VALU_DEP_1)
	v_add_co_u32 v19, s22, s21, v4
	v_add_co_ci_u32_e64 v20, null, s1, 0, s22
	flat_load_b32 v4, v[19:20]
	s_or_b32 exec_lo, exec_lo, s0
	s_delay_alu instid0(SALU_CYCLE_1)
	s_mov_b32 s0, exec_lo
	v_cmpx_gt_u32_e64 s19, v14
	s_cbranch_execnz .LBB1107_12
.LBB1107_19:
	s_or_b32 exec_lo, exec_lo, s0
	s_delay_alu instid0(SALU_CYCLE_1)
	s_mov_b32 s0, exec_lo
	v_cmpx_gt_u32_e64 s19, v13
	s_cbranch_execz .LBB1107_13
.LBB1107_20:
	v_lshlrev_b32_e32 v6, 2, v13
	s_delay_alu instid0(VALU_DEP_1) | instskip(NEXT) | instid1(VALU_DEP_1)
	v_add_co_u32 v19, s22, s21, v6
	v_add_co_ci_u32_e64 v20, null, s1, 0, s22
	flat_load_b32 v6, v[19:20]
	s_or_b32 exec_lo, exec_lo, s0
	s_delay_alu instid0(SALU_CYCLE_1)
	s_mov_b32 s0, exec_lo
	v_cmpx_gt_u32_e64 s19, v12
	s_cbranch_execnz .LBB1107_14
.LBB1107_21:
	s_or_b32 exec_lo, exec_lo, s0
	s_delay_alu instid0(SALU_CYCLE_1)
	s_mov_b32 s0, exec_lo
	v_cmpx_gt_u32_e64 s19, v11
	s_cbranch_execz .LBB1107_23
.LBB1107_22:
	v_lshlrev_b32_e32 v8, 2, v11
	s_delay_alu instid0(VALU_DEP_1) | instskip(NEXT) | instid1(VALU_DEP_1)
	v_add_co_u32 v19, s22, s21, v8
	v_add_co_ci_u32_e64 v20, null, s1, 0, s22
	flat_load_b32 v8, v[19:20]
.LBB1107_23:
	s_or_b32 exec_lo, exec_lo, s0
	v_lshrrev_b32_e32 v19, 3, v18
	v_lshrrev_b32_e32 v20, 3, v17
	;; [unrolled: 1-line block ×4, first 2 shown]
	v_and_b32_e32 v21, 60, v16
	v_lshlrev_b32_e32 v22, 2, v0
	v_lshrrev_b32_e32 v25, 3, v13
	v_lshrrev_b32_e32 v26, 3, v12
	;; [unrolled: 1-line block ×3, first 2 shown]
	v_and_b32_e32 v19, 0x7c, v19
	v_and_b32_e32 v20, 0xfc, v20
	v_and_b32_e32 v23, 0xfc, v23
	v_and_b32_e32 v24, 0xfc, v24
	v_add_nc_u32_e32 v21, v21, v22
	v_and_b32_e32 v25, 0x1fc, v25
	v_and_b32_e32 v26, 0x1fc, v26
	;; [unrolled: 1-line block ×3, first 2 shown]
	v_add_nc_u32_e32 v19, v19, v22
	v_add_nc_u32_e32 v20, v20, v22
	;; [unrolled: 1-line block ×7, first 2 shown]
	s_waitcnt vmcnt(0) lgkmcnt(0)
	ds_store_b32 v21, v1
	ds_store_b32 v19, v2 offset:1536
	ds_store_b32 v20, v3 offset:3072
	;; [unrolled: 1-line block ×7, first 2 shown]
	s_waitcnt lgkmcnt(0)
	s_barrier
.LBB1107_24:
	v_lshlrev_b32_e32 v21, 3, v0
	v_lshrrev_b32_e32 v1, 2, v0
	s_waitcnt vmcnt(0)
	buffer_gl0_inv
	s_add_u32 s0, s8, s14
	s_addc_u32 s8, s9, s15
	s_add_u32 s0, s0, s4
	v_add_lshl_u32 v19, v1, v21, 2
	s_addc_u32 s4, s8, s5
	s_and_b32 vcc_lo, exec_lo, s20
	s_mov_b32 s5, -1
	ds_load_2addr_b32 v[7:8], v19 offset1:1
	ds_load_2addr_b32 v[5:6], v19 offset0:2 offset1:3
	ds_load_2addr_b32 v[3:4], v19 offset0:4 offset1:5
	;; [unrolled: 1-line block ×3, first 2 shown]
	s_waitcnt lgkmcnt(0)
	s_barrier
	buffer_gl0_inv
	s_cbranch_vccz .LBB1107_26
; %bb.25:
	v_lshlrev_b32_e32 v20, 2, v0
	v_lshrrev_b32_e32 v31, 3, v18
	v_lshrrev_b32_e32 v32, 3, v17
	;; [unrolled: 1-line block ×4, first 2 shown]
	v_add_co_u32 v22, s5, s0, v20
	s_delay_alu instid0(VALU_DEP_1) | instskip(SKIP_1) | instid1(VALU_DEP_3)
	v_add_co_ci_u32_e64 v23, null, s4, 0, s5
	v_lshrrev_b32_e32 v35, 3, v13
	v_add_co_u32 v24, vcc_lo, 0x1000, v22
	s_delay_alu instid0(VALU_DEP_3)
	v_add_co_ci_u32_e32 v25, vcc_lo, 0, v23, vcc_lo
	v_add_co_u32 v26, vcc_lo, 0x2000, v22
	v_add_co_ci_u32_e32 v27, vcc_lo, 0, v23, vcc_lo
	s_clause 0x7
	flat_load_b32 v28, v[22:23]
	flat_load_b32 v29, v[22:23] offset:1536
	flat_load_b32 v22, v[22:23] offset:3072
	;; [unrolled: 1-line block ×7, first 2 shown]
	v_and_b32_e32 v27, 60, v16
	v_lshrrev_b32_e32 v36, 3, v12
	v_lshrrev_b32_e32 v37, 3, v11
	v_and_b32_e32 v31, 0x7c, v31
	v_and_b32_e32 v32, 0xfc, v32
	;; [unrolled: 1-line block ×4, first 2 shown]
	v_add_nc_u32_e32 v27, v27, v20
	v_and_b32_e32 v35, 0x1fc, v35
	v_and_b32_e32 v36, 0x17c, v36
	;; [unrolled: 1-line block ×3, first 2 shown]
	v_add_nc_u32_e32 v31, v31, v20
	v_add_nc_u32_e32 v32, v32, v20
	;; [unrolled: 1-line block ×4, first 2 shown]
	s_mov_b32 s5, 0
	v_add_nc_u32_e32 v35, v35, v20
	v_add_nc_u32_e32 v36, v36, v20
	;; [unrolled: 1-line block ×3, first 2 shown]
	s_waitcnt vmcnt(7) lgkmcnt(7)
	ds_store_b32 v27, v28
	s_waitcnt vmcnt(6) lgkmcnt(7)
	ds_store_b32 v31, v29 offset:1536
	s_waitcnt vmcnt(5) lgkmcnt(7)
	ds_store_b32 v32, v22 offset:3072
	;; [unrolled: 2-line block ×7, first 2 shown]
	s_waitcnt lgkmcnt(0)
	s_barrier
.LBB1107_26:
	s_and_not1_b32 vcc_lo, exec_lo, s5
	s_cbranch_vccnz .LBB1107_44
; %bb.27:
	s_mov_b32 s5, exec_lo
                                        ; implicit-def: $vgpr20
	v_cmpx_gt_u32_e64 s19, v0
	s_cbranch_execz .LBB1107_29
; %bb.28:
	v_lshlrev_b32_e32 v20, 2, v0
	s_delay_alu instid0(VALU_DEP_1) | instskip(NEXT) | instid1(VALU_DEP_1)
	v_add_co_u32 v22, s8, s0, v20
	v_add_co_ci_u32_e64 v23, null, s4, 0, s8
	flat_load_b32 v20, v[22:23]
.LBB1107_29:
	s_or_b32 exec_lo, exec_lo, s5
	s_delay_alu instid0(SALU_CYCLE_1)
	s_mov_b32 s5, exec_lo
                                        ; implicit-def: $vgpr22
	v_cmpx_gt_u32_e64 s19, v18
	s_cbranch_execz .LBB1107_31
; %bb.30:
	v_lshlrev_b32_e32 v22, 2, v0
	s_delay_alu instid0(VALU_DEP_1) | instskip(NEXT) | instid1(VALU_DEP_1)
	v_add_co_u32 v22, s8, s0, v22
	v_add_co_ci_u32_e64 v23, null, s4, 0, s8
	flat_load_b32 v22, v[22:23] offset:1536
.LBB1107_31:
	s_or_b32 exec_lo, exec_lo, s5
	s_delay_alu instid0(SALU_CYCLE_1)
	s_mov_b32 s5, exec_lo
                                        ; implicit-def: $vgpr23
	v_cmpx_gt_u32_e64 s19, v17
	s_cbranch_execz .LBB1107_33
; %bb.32:
	v_lshlrev_b32_e32 v23, 2, v0
	s_delay_alu instid0(VALU_DEP_1) | instskip(NEXT) | instid1(VALU_DEP_1)
	v_add_co_u32 v23, s8, s0, v23
	v_add_co_ci_u32_e64 v24, null, s4, 0, s8
	flat_load_b32 v23, v[23:24] offset:3072
.LBB1107_33:
	s_or_b32 exec_lo, exec_lo, s5
	s_delay_alu instid0(SALU_CYCLE_1)
	s_mov_b32 s5, exec_lo
                                        ; implicit-def: $vgpr24
	v_cmpx_gt_u32_e64 s19, v15
	s_cbranch_execz .LBB1107_35
; %bb.34:
	v_lshlrev_b32_e32 v24, 2, v15
	s_delay_alu instid0(VALU_DEP_1) | instskip(NEXT) | instid1(VALU_DEP_1)
	v_add_co_u32 v24, s8, s0, v24
	v_add_co_ci_u32_e64 v25, null, s4, 0, s8
	flat_load_b32 v24, v[24:25]
.LBB1107_35:
	s_or_b32 exec_lo, exec_lo, s5
	s_delay_alu instid0(SALU_CYCLE_1)
	s_mov_b32 s5, exec_lo
                                        ; implicit-def: $vgpr25
	v_cmpx_gt_u32_e64 s19, v14
	s_cbranch_execz .LBB1107_37
; %bb.36:
	v_lshlrev_b32_e32 v25, 2, v14
	s_delay_alu instid0(VALU_DEP_1) | instskip(NEXT) | instid1(VALU_DEP_1)
	v_add_co_u32 v25, s8, s0, v25
	v_add_co_ci_u32_e64 v26, null, s4, 0, s8
	flat_load_b32 v25, v[25:26]
.LBB1107_37:
	s_or_b32 exec_lo, exec_lo, s5
	s_delay_alu instid0(SALU_CYCLE_1)
	s_mov_b32 s5, exec_lo
                                        ; implicit-def: $vgpr26
	v_cmpx_gt_u32_e64 s19, v13
	s_cbranch_execz .LBB1107_39
; %bb.38:
	v_lshlrev_b32_e32 v26, 2, v13
	s_delay_alu instid0(VALU_DEP_1) | instskip(NEXT) | instid1(VALU_DEP_1)
	v_add_co_u32 v26, s8, s0, v26
	v_add_co_ci_u32_e64 v27, null, s4, 0, s8
	flat_load_b32 v26, v[26:27]
.LBB1107_39:
	s_or_b32 exec_lo, exec_lo, s5
	s_delay_alu instid0(SALU_CYCLE_1)
	s_mov_b32 s5, exec_lo
                                        ; implicit-def: $vgpr27
	v_cmpx_gt_u32_e64 s19, v12
	s_cbranch_execz .LBB1107_41
; %bb.40:
	v_lshlrev_b32_e32 v27, 2, v12
	s_delay_alu instid0(VALU_DEP_1) | instskip(NEXT) | instid1(VALU_DEP_1)
	v_add_co_u32 v27, s8, s0, v27
	v_add_co_ci_u32_e64 v28, null, s4, 0, s8
	flat_load_b32 v27, v[27:28]
.LBB1107_41:
	s_or_b32 exec_lo, exec_lo, s5
	s_delay_alu instid0(SALU_CYCLE_1)
	s_mov_b32 s5, exec_lo
                                        ; implicit-def: $vgpr28
	v_cmpx_gt_u32_e64 s19, v11
	s_cbranch_execz .LBB1107_43
; %bb.42:
	v_lshlrev_b32_e32 v28, 2, v11
	s_delay_alu instid0(VALU_DEP_1) | instskip(NEXT) | instid1(VALU_DEP_1)
	v_add_co_u32 v28, s0, s0, v28
	v_add_co_ci_u32_e64 v29, null, s4, 0, s0
	flat_load_b32 v28, v[28:29]
.LBB1107_43:
	s_or_b32 exec_lo, exec_lo, s5
	v_lshrrev_b32_e32 v18, 3, v18
	v_lshrrev_b32_e32 v17, 3, v17
	v_lshrrev_b32_e32 v15, 3, v15
	v_lshrrev_b32_e32 v14, 3, v14
	v_and_b32_e32 v16, 60, v16
	v_lshlrev_b32_e32 v29, 2, v0
	v_lshrrev_b32_e32 v13, 3, v13
	v_lshrrev_b32_e32 v12, 3, v12
	;; [unrolled: 1-line block ×3, first 2 shown]
	v_and_b32_e32 v18, 0x7c, v18
	v_and_b32_e32 v17, 0xfc, v17
	v_and_b32_e32 v15, 0xfc, v15
	v_and_b32_e32 v14, 0xfc, v14
	v_add_nc_u32_e32 v16, v16, v29
	v_and_b32_e32 v13, 0x1fc, v13
	v_and_b32_e32 v12, 0x1fc, v12
	;; [unrolled: 1-line block ×3, first 2 shown]
	v_add_nc_u32_e32 v18, v18, v29
	v_add_nc_u32_e32 v17, v17, v29
	;; [unrolled: 1-line block ×7, first 2 shown]
	s_waitcnt vmcnt(0) lgkmcnt(0)
	ds_store_b32 v16, v20
	ds_store_b32 v18, v22 offset:1536
	ds_store_b32 v17, v23 offset:3072
	;; [unrolled: 1-line block ×7, first 2 shown]
	s_waitcnt lgkmcnt(0)
	s_barrier
.LBB1107_44:
	buffer_gl0_inv
	ds_load_2addr_b32 v[17:18], v19 offset1:1
	ds_load_2addr_b32 v[15:16], v19 offset0:2 offset1:3
	ds_load_2addr_b32 v[13:14], v19 offset0:4 offset1:5
	;; [unrolled: 1-line block ×3, first 2 shown]
	s_cmp_lg_u32 s18, 0
	s_mov_b32 s14, 0
	s_cselect_b32 s9, -1, 0
	s_cmp_lg_u64 s[6:7], 0
	s_waitcnt lgkmcnt(0)
	s_cselect_b32 s0, -1, 0
	s_barrier
	s_or_b32 s0, s0, s9
	buffer_gl0_inv
	s_and_b32 vcc_lo, exec_lo, s0
	s_cbranch_vccz .LBB1107_49
; %bb.45:
	v_add_co_u32 v19, s0, -4, s21
	s_delay_alu instid0(VALU_DEP_1)
	v_add_co_ci_u32_e64 v20, null, -1, s1, s0
	v_lshlrev_b32_e32 v23, 2, v0
	s_mov_b32 s1, -1
	s_and_b32 vcc_lo, exec_lo, s20
	flat_load_b32 v22, v[19:20]
	ds_store_b32 v23, v2
	s_cbranch_vccz .LBB1107_50
; %bb.46:
	s_waitcnt vmcnt(0) lgkmcnt(1)
	v_mov_b32_e32 v19, v22
	s_waitcnt lgkmcnt(0)
	s_barrier
	buffer_gl0_inv
	s_and_saveexec_b32 s0, s3
	s_cbranch_execz .LBB1107_48
; %bb.47:
	v_add_nc_u32_e32 v19, -4, v23
	ds_load_b32 v19, v19
.LBB1107_48:
	s_or_b32 exec_lo, exec_lo, s0
	v_cmp_ne_u32_e32 vcc_lo, v1, v2
	s_waitcnt lgkmcnt(0)
	v_cmp_ne_u32_e64 s0, v19, v7
	v_cndmask_b32_e64 v20, 0, 1, vcc_lo
	v_cmp_ne_u32_e32 vcc_lo, v4, v1
	s_delay_alu instid0(VALU_DEP_2) | instskip(SKIP_2) | instid1(VALU_DEP_2)
	v_lshlrev_b16 v20, 8, v20
	v_cndmask_b32_e64 v24, 0, 1, vcc_lo
	v_cmp_ne_u32_e32 vcc_lo, v3, v4
	v_or_b32_e32 v20, v24, v20
	v_cndmask_b32_e64 v25, 0, 1, vcc_lo
	v_cmp_ne_u32_e32 vcc_lo, v5, v6
	s_delay_alu instid0(VALU_DEP_3) | instskip(NEXT) | instid1(VALU_DEP_3)
	v_lshlrev_b32_e32 v20, 16, v20
	v_lshlrev_b16 v25, 8, v25
	v_cndmask_b32_e64 v26, 0, 1, vcc_lo
	v_cmp_ne_u32_e32 vcc_lo, v6, v3
	s_delay_alu instid0(VALU_DEP_2) | instskip(SKIP_2) | instid1(VALU_DEP_2)
	v_lshlrev_b16 v26, 8, v26
	v_cndmask_b32_e64 v27, 0, 1, vcc_lo
	v_cmp_ne_u32_e32 vcc_lo, v8, v5
	v_or_b32_e32 v25, v27, v25
	v_cndmask_b32_e64 v28, 0, 1, vcc_lo
	v_cmp_ne_u32_e32 vcc_lo, v7, v8
	s_delay_alu instid0(VALU_DEP_3) | instskip(NEXT) | instid1(VALU_DEP_3)
	v_and_b32_e32 v25, 0xffff, v25
	v_or_b32_e32 v26, v28, v26
	v_cndmask_b32_e64 v29, 0, 1, vcc_lo
	s_delay_alu instid0(VALU_DEP_3) | instskip(NEXT) | instid1(VALU_DEP_3)
	v_or_b32_e32 v20, v25, v20
	v_lshlrev_b32_e32 v24, 16, v26
	s_delay_alu instid0(VALU_DEP_3) | instskip(NEXT) | instid1(VALU_DEP_1)
	v_lshlrev_b16 v28, 8, v29
	v_and_b32_e32 v26, 0xffff, v28
	s_delay_alu instid0(VALU_DEP_1)
	v_or_b32_e32 v19, v26, v24
	s_branch .LBB1107_54
.LBB1107_49:
                                        ; implicit-def: $sgpr0
                                        ; implicit-def: $vgpr20
	s_branch .LBB1107_55
.LBB1107_50:
                                        ; implicit-def: $sgpr0
                                        ; implicit-def: $vgpr20
	s_and_b32 vcc_lo, exec_lo, s1
	s_cbranch_vccz .LBB1107_54
; %bb.51:
	s_waitcnt vmcnt(0) lgkmcnt(0)
	s_barrier
	buffer_gl0_inv
	s_and_saveexec_b32 s0, s3
	s_cbranch_execz .LBB1107_53
; %bb.52:
	v_add_nc_u32_e32 v19, -4, v23
	ds_load_b32 v22, v19
.LBB1107_53:
	s_or_b32 exec_lo, exec_lo, s0
	v_or_b32_e32 v19, 7, v21
	v_or_b32_e32 v20, 6, v21
	;; [unrolled: 1-line block ×3, first 2 shown]
	v_cmp_ne_u32_e32 vcc_lo, v1, v2
	v_cmp_ne_u32_e64 s1, v4, v1
	v_cmp_gt_u32_e64 s0, s19, v19
	v_cmp_gt_u32_e64 s5, s19, v20
	v_cmp_ne_u32_e64 s4, v3, v4
	v_cmp_gt_u32_e64 s6, s19, v23
	v_or_b32_e32 v20, 3, v21
	s_and_b32 s0, s0, vcc_lo
	v_or_b32_e32 v24, 4, v21
	v_cndmask_b32_e64 v19, 0, 1, s0
	s_and_b32 s0, s5, s1
	v_cmp_gt_u32_e32 vcc_lo, s19, v20
	v_cndmask_b32_e64 v23, 0, 1, s0
	s_and_b32 s0, s6, s4
	v_or_b32_e32 v20, 2, v21
	v_cndmask_b32_e64 v25, 0, 1, s0
	v_cmp_ne_u32_e64 s0, v5, v6
	v_cmp_gt_u32_e64 s1, s19, v24
	v_or_b32_e32 v24, 1, v21
	v_cmp_ne_u32_e64 s4, v6, v3
	v_cmp_ne_u32_e64 s6, v7, v8
	s_and_b32 s0, vcc_lo, s0
	v_cmp_gt_u32_e32 vcc_lo, s19, v20
	v_cndmask_b32_e64 v26, 0, 1, s0
	v_cmp_ne_u32_e64 s0, v8, v5
	v_cmp_gt_u32_e64 s5, s19, v24
	s_and_b32 s1, s1, s4
	v_lshlrev_b16 v25, 8, v25
	v_cndmask_b32_e64 v20, 0, 1, s1
	s_and_b32 s0, vcc_lo, s0
	v_lshlrev_b16 v26, 8, v26
	v_cndmask_b32_e64 v24, 0, 1, s0
	s_and_b32 s0, s5, s6
	v_lshlrev_b16 v19, 8, v19
	v_cndmask_b32_e64 v27, 0, 1, s0
	v_or_b32_e32 v20, v20, v25
	v_or_b32_e32 v24, v24, v26
	v_cmp_gt_u32_e32 vcc_lo, s19, v21
	v_or_b32_e32 v19, v23, v19
	v_lshlrev_b16 v26, 8, v27
	v_and_b32_e32 v20, 0xffff, v20
	v_lshlrev_b32_e32 v23, 16, v24
	s_waitcnt lgkmcnt(0)
	v_cmp_ne_u32_e64 s0, v22, v7
	v_lshlrev_b32_e32 v25, 16, v19
	v_and_b32_e32 v24, 0xffff, v26
	s_delay_alu instid0(VALU_DEP_3) | instskip(NEXT) | instid1(VALU_DEP_2)
	s_and_b32 s0, vcc_lo, s0
	v_or_b32_e32 v20, v20, v25
	s_delay_alu instid0(VALU_DEP_2)
	v_or_b32_e32 v19, v24, v23
.LBB1107_54:
	s_mov_b32 s14, -1
	s_cbranch_execnz .LBB1107_63
.LBB1107_55:
	s_waitcnt vmcnt(0) lgkmcnt(1)
	v_lshlrev_b32_e32 v22, 2, v0
	v_cmp_ne_u32_e64 s1, v1, v2
	v_cmp_ne_u32_e64 s4, v4, v1
	;; [unrolled: 1-line block ×7, first 2 shown]
	s_and_b32 vcc_lo, exec_lo, s20
	ds_store_b32 v22, v2
	s_cbranch_vccz .LBB1107_59
; %bb.56:
	v_cndmask_b32_e64 v19, 0, 1, s1
	v_cndmask_b32_e64 v23, 0, 1, s5
	;; [unrolled: 1-line block ×7, first 2 shown]
	v_lshlrev_b16 v23, 8, v23
	v_lshlrev_b16 v19, 8, v19
	;; [unrolled: 1-line block ×4, first 2 shown]
	s_waitcnt lgkmcnt(0)
	v_or_b32_e32 v23, v24, v23
	v_or_b32_e32 v19, v20, v19
	;; [unrolled: 1-line block ×4, first 2 shown]
	s_barrier
	v_and_b32_e32 v23, 0xffff, v23
	v_lshlrev_b32_e32 v19, 16, v19
	v_lshlrev_b32_e32 v25, 16, v20
	v_and_b32_e32 v24, 0xffff, v24
	buffer_gl0_inv
                                        ; implicit-def: $sgpr0
	v_or_b32_e32 v20, v23, v19
	v_or_b32_e32 v19, v24, v25
	s_and_saveexec_b32 s1, s3
	s_delay_alu instid0(SALU_CYCLE_1)
	s_xor_b32 s1, exec_lo, s1
	s_cbranch_execz .LBB1107_58
; %bb.57:
	v_add_nc_u32_e32 v23, -4, v22
	s_or_b32 s14, s14, exec_lo
	ds_load_b32 v23, v23
	s_waitcnt lgkmcnt(0)
	v_cmp_ne_u32_e32 vcc_lo, v23, v7
	s_and_b32 s0, vcc_lo, exec_lo
.LBB1107_58:
	s_or_b32 exec_lo, exec_lo, s1
	s_branch .LBB1107_63
.LBB1107_59:
                                        ; implicit-def: $sgpr0
                                        ; implicit-def: $vgpr20
	s_cbranch_execz .LBB1107_63
; %bb.60:
	v_or_b32_e32 v19, 7, v21
	v_or_b32_e32 v20, 6, v21
	v_cmp_ne_u32_e32 vcc_lo, v1, v2
	v_cmp_ne_u32_e64 s1, v4, v1
	v_or_b32_e32 v23, 5, v21
	v_cmp_gt_u32_e64 s0, s19, v19
	v_cmp_gt_u32_e64 s4, s19, v20
	v_or_b32_e32 v19, 4, v21
	v_or_b32_e32 v24, 3, v21
	v_cmp_gt_u32_e64 s5, s19, v23
	s_and_b32 s0, s0, vcc_lo
	v_cmp_ne_u32_e32 vcc_lo, v3, v4
	v_cndmask_b32_e64 v20, 0, 1, s0
	s_and_b32 s0, s4, s1
	v_cmp_ne_u32_e64 s1, v6, v3
	v_cndmask_b32_e64 v23, 0, 1, s0
	v_cmp_gt_u32_e64 s0, s19, v19
	v_or_b32_e32 v25, 1, v21
	s_and_b32 s4, s5, vcc_lo
	v_cmp_gt_u32_e32 vcc_lo, s19, v24
	v_cndmask_b32_e64 v19, 0, 1, s4
	s_and_b32 s0, s0, s1
	v_or_b32_e32 v27, 2, v21
	v_cndmask_b32_e64 v26, 0, 1, s0
	v_cmp_ne_u32_e64 s0, v5, v6
	v_cmp_gt_u32_e64 s1, s19, v25
	v_cmp_ne_u32_e64 s4, v7, v8
	v_cmp_gt_u32_e64 s5, s19, v27
	v_cmp_ne_u32_e64 s6, v8, v5
	s_and_b32 s0, vcc_lo, s0
	v_lshlrev_b16 v19, 8, v19
	v_cndmask_b32_e64 v24, 0, 1, s0
	s_and_b32 s0, s1, s4
	v_lshlrev_b16 v20, 8, v20
	v_cndmask_b32_e64 v25, 0, 1, s0
	s_and_b32 s0, s5, s6
	v_lshlrev_b16 v24, 8, v24
	v_cndmask_b32_e64 v27, 0, 1, s0
	v_or_b32_e32 v19, v26, v19
	v_lshlrev_b16 v25, 8, v25
	v_or_b32_e32 v20, v23, v20
	s_waitcnt lgkmcnt(0)
	v_or_b32_e32 v23, v27, v24
	v_and_b32_e32 v19, 0xffff, v19
	v_or_b32_e32 v24, 1, v25
	v_lshlrev_b32_e32 v20, 16, v20
	s_barrier
	v_lshlrev_b32_e32 v23, 16, v23
	buffer_gl0_inv
	v_and_b32_e32 v24, 0xffff, v24
	v_or_b32_e32 v20, v19, v20
                                        ; implicit-def: $sgpr0
	s_delay_alu instid0(VALU_DEP_2)
	v_or_b32_e32 v19, v24, v23
	s_and_saveexec_b32 s1, s3
	s_cbranch_execz .LBB1107_62
; %bb.61:
	v_add_nc_u32_e32 v22, -4, v22
	v_cmp_gt_u32_e32 vcc_lo, s19, v21
	s_or_b32 s14, s14, exec_lo
	ds_load_b32 v22, v22
	s_waitcnt lgkmcnt(0)
	v_cmp_ne_u32_e64 s0, v22, v7
	s_delay_alu instid0(VALU_DEP_1) | instskip(NEXT) | instid1(SALU_CYCLE_1)
	s_and_b32 s0, vcc_lo, s0
	s_and_b32 s0, s0, exec_lo
.LBB1107_62:
	s_or_b32 exec_lo, exec_lo, s1
.LBB1107_63:
	s_and_saveexec_b32 s1, s14
	s_cbranch_execz .LBB1107_65
; %bb.64:
	s_waitcnt vmcnt(0) lgkmcnt(1)
	v_and_b32_e32 v22, 0xffffff00, v19
	v_cndmask_b32_e64 v23, 0, 1, s0
	s_delay_alu instid0(VALU_DEP_1) | instskip(NEXT) | instid1(VALU_DEP_1)
	v_or_b32_e32 v22, v23, v22
	v_and_b32_e32 v22, 0xffff, v22
	s_delay_alu instid0(VALU_DEP_1)
	v_and_or_b32 v19, 0xffff0000, v19, v22
.LBB1107_65:
	s_or_b32 exec_lo, exec_lo, s1
	s_delay_alu instid0(SALU_CYCLE_1)
	s_and_not1_b32 vcc_lo, exec_lo, s17
	s_cbranch_vccnz .LBB1107_67
; %bb.66:
	v_cmp_gt_u32_e32 vcc_lo, s19, v21
	v_or_b32_e32 v23, 1, v21
	v_and_b32_e32 v24, 0xffffff00, v20
	v_or_b32_e32 v25, 2, v21
	s_waitcnt vmcnt(0) lgkmcnt(1)
	v_cndmask_b32_e32 v22, 0, v19, vcc_lo
	v_cmp_gt_u32_e32 vcc_lo, s19, v23
	v_or_b32_e32 v23, 4, v21
	v_cmp_gt_u32_e64 s0, s19, v25
	v_or_b32_e32 v25, 3, v21
	v_and_b32_e32 v22, 0xff, v22
	s_delay_alu instid0(VALU_DEP_2) | instskip(NEXT) | instid1(VALU_DEP_2)
	v_cmp_gt_u32_e64 s1, s19, v25
	v_cndmask_b32_e32 v22, v22, v19, vcc_lo
	v_cmp_gt_u32_e32 vcc_lo, s19, v23
	s_delay_alu instid0(VALU_DEP_2) | instskip(SKIP_1) | instid1(VALU_DEP_2)
	v_dual_cndmask_b32 v23, v24, v20 :: v_dual_and_b32 v22, 0xffff, v22
	v_or_b32_e32 v24, 5, v21
	v_cndmask_b32_e64 v22, v22, v19, s0
	s_delay_alu instid0(VALU_DEP_3) | instskip(NEXT) | instid1(VALU_DEP_3)
	v_and_b32_e32 v23, 0xffff00ff, v23
	v_cmp_gt_u32_e64 s0, s19, v24
	v_or_b32_e32 v24, 6, v21
	v_or_b32_e32 v21, 7, v21
	v_and_b32_e32 v22, 0xffffff, v22
	s_delay_alu instid0(VALU_DEP_4) | instskip(NEXT) | instid1(VALU_DEP_2)
	v_cndmask_b32_e64 v23, v23, v20, s0
	v_cndmask_b32_e64 v22, v22, v19, s1
	s_delay_alu instid0(VALU_DEP_2) | instskip(NEXT) | instid1(VALU_DEP_2)
	v_and_b32_e32 v23, 0xff00ffff, v23
	v_cndmask_b32_e32 v22, v22, v19, vcc_lo
	v_cmp_gt_u32_e32 vcc_lo, s19, v24
	s_delay_alu instid0(VALU_DEP_2) | instskip(NEXT) | instid1(VALU_DEP_1)
	v_cndmask_b32_e64 v22, v22, v19, s0
	v_dual_cndmask_b32 v23, v23, v20 :: v_dual_cndmask_b32 v22, v22, v19
	s_delay_alu instid0(VALU_DEP_1) | instskip(SKIP_1) | instid1(VALU_DEP_2)
	v_and_b32_e32 v23, 0xffffff, v23
	v_cmp_gt_u32_e32 vcc_lo, s19, v21
	v_dual_cndmask_b32 v20, v23, v20 :: v_dual_cndmask_b32 v19, v22, v19
.LBB1107_67:
	s_delay_alu instid0(VALU_DEP_1) | instskip(NEXT) | instid1(VALU_DEP_2)
	v_and_b32_e32 v30, 0xff, v19
	v_alignbit_b32 v21, v20, v19, 24
	v_bfe_u32 v31, v19, 8, 8
	v_bfe_u32 v32, v19, 16, 8
	v_and_b32_e32 v34, 0xff, v20
	v_bfe_u32 v35, v20, 8, 8
	v_and_b32_e32 v33, 0xff, v21
	v_add_nc_u32_e32 v21, v31, v30
	s_waitcnt vmcnt(0) lgkmcnt(1)
	v_and_b32_e32 v22, 0x1e0, v0
	v_mbcnt_lo_u32_b32 v37, -1, 0
	v_bfe_u32 v36, v20, 16, 8
	v_lshrrev_b32_e32 v29, 24, v20
	v_add3_u32 v21, v21, v32, v33
	v_min_u32_e32 v22, 0x160, v22
	v_and_b32_e32 v23, 15, v37
	v_lshrrev_b32_e32 v38, 5, v0
	s_and_b32 vcc_lo, exec_lo, s9
	v_add3_u32 v21, v21, v34, v35
	v_or_b32_e32 v22, 31, v22
	v_cmp_eq_u32_e64 s3, 0, v23
	v_cmp_lt_u32_e64 s4, 1, v23
	v_cmp_lt_u32_e64 s1, 3, v23
	v_add3_u32 v39, v21, v36, v29
	v_and_b32_e32 v21, 16, v37
	v_cmp_lt_u32_e64 s0, 7, v23
	v_cmp_eq_u32_e64 s5, v22, v0
	s_mov_b32 s7, -1
	s_waitcnt lgkmcnt(0)
	v_cmp_eq_u32_e64 s6, 0, v21
	s_barrier
	buffer_gl0_inv
	s_cbranch_vccz .LBB1107_93
; %bb.68:
	v_mov_b32_dpp v21, v39 row_shr:1 row_mask:0xf bank_mask:0xf
	s_delay_alu instid0(VALU_DEP_1) | instskip(NEXT) | instid1(VALU_DEP_1)
	v_cndmask_b32_e64 v21, v21, 0, s3
	v_add_nc_u32_e32 v21, v21, v39
	s_delay_alu instid0(VALU_DEP_1) | instskip(NEXT) | instid1(VALU_DEP_1)
	v_mov_b32_dpp v22, v21 row_shr:2 row_mask:0xf bank_mask:0xf
	v_cndmask_b32_e64 v22, 0, v22, s4
	s_delay_alu instid0(VALU_DEP_1) | instskip(NEXT) | instid1(VALU_DEP_1)
	v_add_nc_u32_e32 v21, v21, v22
	v_mov_b32_dpp v22, v21 row_shr:4 row_mask:0xf bank_mask:0xf
	s_delay_alu instid0(VALU_DEP_1) | instskip(NEXT) | instid1(VALU_DEP_1)
	v_cndmask_b32_e64 v22, 0, v22, s1
	v_add_nc_u32_e32 v21, v21, v22
	s_delay_alu instid0(VALU_DEP_1) | instskip(NEXT) | instid1(VALU_DEP_1)
	v_mov_b32_dpp v22, v21 row_shr:8 row_mask:0xf bank_mask:0xf
	v_cndmask_b32_e64 v22, 0, v22, s0
	s_delay_alu instid0(VALU_DEP_1) | instskip(SKIP_3) | instid1(VALU_DEP_1)
	v_add_nc_u32_e32 v21, v21, v22
	ds_swizzle_b32 v22, v21 offset:swizzle(BROADCAST,32,15)
	s_waitcnt lgkmcnt(0)
	v_cndmask_b32_e64 v22, v22, 0, s6
	v_add_nc_u32_e32 v21, v21, v22
	s_and_saveexec_b32 s7, s5
	s_cbranch_execz .LBB1107_70
; %bb.69:
	v_lshlrev_b32_e32 v22, 2, v38
	ds_store_b32 v22, v21
.LBB1107_70:
	s_or_b32 exec_lo, exec_lo, s7
	s_delay_alu instid0(SALU_CYCLE_1)
	s_mov_b32 s7, exec_lo
	s_waitcnt lgkmcnt(0)
	s_barrier
	buffer_gl0_inv
	v_cmpx_gt_u32_e32 12, v0
	s_cbranch_execz .LBB1107_72
; %bb.71:
	v_lshlrev_b32_e32 v22, 2, v0
	ds_load_b32 v23, v22
	s_waitcnt lgkmcnt(0)
	v_mov_b32_dpp v24, v23 row_shr:1 row_mask:0xf bank_mask:0xf
	s_delay_alu instid0(VALU_DEP_1) | instskip(NEXT) | instid1(VALU_DEP_1)
	v_cndmask_b32_e64 v24, v24, 0, s3
	v_add_nc_u32_e32 v23, v24, v23
	s_delay_alu instid0(VALU_DEP_1) | instskip(NEXT) | instid1(VALU_DEP_1)
	v_mov_b32_dpp v24, v23 row_shr:2 row_mask:0xf bank_mask:0xf
	v_cndmask_b32_e64 v24, 0, v24, s4
	s_delay_alu instid0(VALU_DEP_1) | instskip(NEXT) | instid1(VALU_DEP_1)
	v_add_nc_u32_e32 v23, v23, v24
	v_mov_b32_dpp v24, v23 row_shr:4 row_mask:0xf bank_mask:0xf
	s_delay_alu instid0(VALU_DEP_1) | instskip(NEXT) | instid1(VALU_DEP_1)
	v_cndmask_b32_e64 v24, 0, v24, s1
	v_add_nc_u32_e32 v23, v23, v24
	s_delay_alu instid0(VALU_DEP_1) | instskip(NEXT) | instid1(VALU_DEP_1)
	v_mov_b32_dpp v24, v23 row_shr:8 row_mask:0xf bank_mask:0xf
	v_cndmask_b32_e64 v24, 0, v24, s0
	s_delay_alu instid0(VALU_DEP_1)
	v_add_nc_u32_e32 v23, v23, v24
	ds_store_b32 v22, v23
.LBB1107_72:
	s_or_b32 exec_lo, exec_lo, s7
	v_cmp_gt_u32_e32 vcc_lo, 32, v0
	s_mov_b32 s8, exec_lo
	s_waitcnt lgkmcnt(0)
	s_barrier
	buffer_gl0_inv
                                        ; implicit-def: $vgpr40
	v_cmpx_lt_u32_e32 31, v0
	s_cbranch_execz .LBB1107_74
; %bb.73:
	v_lshl_add_u32 v22, v38, 2, -4
	ds_load_b32 v40, v22
	s_waitcnt lgkmcnt(0)
	v_add_nc_u32_e32 v21, v40, v21
.LBB1107_74:
	s_or_b32 exec_lo, exec_lo, s8
	v_add_nc_u32_e32 v22, -1, v37
	s_delay_alu instid0(VALU_DEP_1) | instskip(NEXT) | instid1(VALU_DEP_1)
	v_cmp_gt_i32_e64 s7, 0, v22
	v_cndmask_b32_e64 v22, v22, v37, s7
	v_cmp_eq_u32_e64 s7, 0, v37
	s_delay_alu instid0(VALU_DEP_2)
	v_lshlrev_b32_e32 v22, 2, v22
	ds_bpermute_b32 v41, v22, v21
	s_and_saveexec_b32 s8, vcc_lo
	s_cbranch_execz .LBB1107_92
; %bb.75:
	v_mov_b32_e32 v25, 0
	ds_load_b32 v21, v25 offset:44
	s_and_saveexec_b32 s9, s7
	s_cbranch_execz .LBB1107_77
; %bb.76:
	s_add_i32 s14, s18, 32
	s_mov_b32 s15, 0
	v_mov_b32_e32 v22, 1
	s_lshl_b64 s[14:15], s[14:15], 3
	s_delay_alu instid0(SALU_CYCLE_1)
	s_add_u32 s14, s10, s14
	s_addc_u32 s15, s11, s15
	s_waitcnt lgkmcnt(0)
	global_store_b64 v25, v[21:22], s[14:15]
.LBB1107_77:
	s_or_b32 exec_lo, exec_lo, s9
	v_xad_u32 v23, v37, -1, s18
	s_mov_b32 s14, 0
	s_mov_b32 s9, exec_lo
	s_delay_alu instid0(VALU_DEP_1) | instskip(NEXT) | instid1(VALU_DEP_1)
	v_add_nc_u32_e32 v24, 32, v23
	v_lshlrev_b64 v[24:25], 3, v[24:25]
	s_delay_alu instid0(VALU_DEP_1) | instskip(NEXT) | instid1(VALU_DEP_2)
	v_add_co_u32 v27, vcc_lo, s10, v24
	v_add_co_ci_u32_e32 v28, vcc_lo, s11, v25, vcc_lo
	global_load_b64 v[25:26], v[27:28], off glc
	s_waitcnt vmcnt(0)
	v_and_b32_e32 v22, 0xff, v26
	s_delay_alu instid0(VALU_DEP_1)
	v_cmpx_eq_u16_e32 0, v22
	s_cbranch_execz .LBB1107_80
.LBB1107_78:                            ; =>This Inner Loop Header: Depth=1
	global_load_b64 v[25:26], v[27:28], off glc
	s_waitcnt vmcnt(0)
	v_and_b32_e32 v22, 0xff, v26
	s_delay_alu instid0(VALU_DEP_1) | instskip(SKIP_1) | instid1(SALU_CYCLE_1)
	v_cmp_ne_u16_e32 vcc_lo, 0, v22
	s_or_b32 s14, vcc_lo, s14
	s_and_not1_b32 exec_lo, exec_lo, s14
	s_cbranch_execnz .LBB1107_78
; %bb.79:
	s_or_b32 exec_lo, exec_lo, s14
.LBB1107_80:
	s_delay_alu instid0(SALU_CYCLE_1)
	s_or_b32 exec_lo, exec_lo, s9
	v_cmp_ne_u32_e32 vcc_lo, 31, v37
	v_lshlrev_b32_e64 v43, v37, -1
	v_add_nc_u32_e32 v45, 2, v37
	v_add_nc_u32_e32 v47, 4, v37
	;; [unrolled: 1-line block ×3, first 2 shown]
	v_add_co_ci_u32_e32 v22, vcc_lo, 0, v37, vcc_lo
	v_add_nc_u32_e32 v51, 16, v37
	s_delay_alu instid0(VALU_DEP_2)
	v_lshlrev_b32_e32 v42, 2, v22
	v_and_b32_e32 v22, 0xff, v26
	ds_bpermute_b32 v24, v42, v25
	v_cmp_eq_u16_e32 vcc_lo, 2, v22
	v_and_or_b32 v22, vcc_lo, v43, 0x80000000
	v_cmp_gt_u32_e32 vcc_lo, 30, v37
	s_delay_alu instid0(VALU_DEP_2) | instskip(SKIP_1) | instid1(VALU_DEP_2)
	v_ctz_i32_b32_e32 v22, v22
	v_cndmask_b32_e64 v27, 0, 1, vcc_lo
	v_cmp_lt_u32_e32 vcc_lo, v37, v22
	s_waitcnt lgkmcnt(0)
	s_delay_alu instid0(VALU_DEP_2) | instskip(NEXT) | instid1(VALU_DEP_1)
	v_dual_cndmask_b32 v24, 0, v24 :: v_dual_lshlrev_b32 v27, 1, v27
	v_add_lshl_u32 v44, v27, v37, 2
	v_cmp_gt_u32_e32 vcc_lo, 28, v37
	s_delay_alu instid0(VALU_DEP_3) | instskip(SKIP_4) | instid1(VALU_DEP_1)
	v_add_nc_u32_e32 v24, v24, v25
	v_cndmask_b32_e64 v27, 0, 1, vcc_lo
	v_cmp_le_u32_e32 vcc_lo, v45, v22
	ds_bpermute_b32 v25, v44, v24
	v_lshlrev_b32_e32 v27, 2, v27
	v_add_lshl_u32 v46, v27, v37, 2
	s_waitcnt lgkmcnt(0)
	v_cndmask_b32_e32 v25, 0, v25, vcc_lo
	v_cmp_gt_u32_e32 vcc_lo, 24, v37
	s_delay_alu instid0(VALU_DEP_2) | instskip(SKIP_4) | instid1(VALU_DEP_1)
	v_add_nc_u32_e32 v24, v24, v25
	v_cndmask_b32_e64 v27, 0, 1, vcc_lo
	v_cmp_le_u32_e32 vcc_lo, v47, v22
	ds_bpermute_b32 v25, v46, v24
	v_lshlrev_b32_e32 v27, 3, v27
	v_add_lshl_u32 v48, v27, v37, 2
	s_waitcnt lgkmcnt(0)
	v_cndmask_b32_e32 v25, 0, v25, vcc_lo
	v_cmp_gt_u32_e32 vcc_lo, 16, v37
	s_delay_alu instid0(VALU_DEP_2) | instskip(SKIP_4) | instid1(VALU_DEP_1)
	v_add_nc_u32_e32 v24, v24, v25
	v_cndmask_b32_e64 v27, 0, 1, vcc_lo
	v_cmp_le_u32_e32 vcc_lo, v49, v22
	ds_bpermute_b32 v25, v48, v24
	v_lshlrev_b32_e32 v27, 4, v27
	v_add_lshl_u32 v50, v27, v37, 2
	s_waitcnt lgkmcnt(0)
	v_cndmask_b32_e32 v25, 0, v25, vcc_lo
	v_cmp_le_u32_e32 vcc_lo, v51, v22
	s_delay_alu instid0(VALU_DEP_2) | instskip(SKIP_3) | instid1(VALU_DEP_1)
	v_add_nc_u32_e32 v24, v24, v25
	ds_bpermute_b32 v25, v50, v24
	s_waitcnt lgkmcnt(0)
	v_cndmask_b32_e32 v22, 0, v25, vcc_lo
	v_dual_mov_b32 v24, 0 :: v_dual_add_nc_u32 v25, v24, v22
	s_branch .LBB1107_82
.LBB1107_81:                            ;   in Loop: Header=BB1107_82 Depth=1
	s_or_b32 exec_lo, exec_lo, s9
	ds_bpermute_b32 v28, v42, v25
	v_and_b32_e32 v27, 0xff, v26
	v_subrev_nc_u32_e32 v23, 32, v23
	s_delay_alu instid0(VALU_DEP_2) | instskip(SKIP_1) | instid1(VALU_DEP_1)
	v_cmp_eq_u16_e32 vcc_lo, 2, v27
	v_and_or_b32 v27, vcc_lo, v43, 0x80000000
	v_ctz_i32_b32_e32 v27, v27
	s_delay_alu instid0(VALU_DEP_1) | instskip(SKIP_3) | instid1(VALU_DEP_2)
	v_cmp_lt_u32_e32 vcc_lo, v37, v27
	s_waitcnt lgkmcnt(0)
	v_cndmask_b32_e32 v28, 0, v28, vcc_lo
	v_cmp_le_u32_e32 vcc_lo, v45, v27
	v_add_nc_u32_e32 v25, v28, v25
	ds_bpermute_b32 v28, v44, v25
	s_waitcnt lgkmcnt(0)
	v_cndmask_b32_e32 v28, 0, v28, vcc_lo
	v_cmp_le_u32_e32 vcc_lo, v47, v27
	s_delay_alu instid0(VALU_DEP_2) | instskip(SKIP_4) | instid1(VALU_DEP_2)
	v_add_nc_u32_e32 v25, v25, v28
	ds_bpermute_b32 v28, v46, v25
	s_waitcnt lgkmcnt(0)
	v_cndmask_b32_e32 v28, 0, v28, vcc_lo
	v_cmp_le_u32_e32 vcc_lo, v49, v27
	v_add_nc_u32_e32 v25, v25, v28
	ds_bpermute_b32 v28, v48, v25
	s_waitcnt lgkmcnt(0)
	v_cndmask_b32_e32 v28, 0, v28, vcc_lo
	v_cmp_le_u32_e32 vcc_lo, v51, v27
	s_delay_alu instid0(VALU_DEP_2) | instskip(SKIP_3) | instid1(VALU_DEP_1)
	v_add_nc_u32_e32 v25, v25, v28
	ds_bpermute_b32 v28, v50, v25
	s_waitcnt lgkmcnt(0)
	v_cndmask_b32_e32 v27, 0, v28, vcc_lo
	v_add3_u32 v25, v27, v22, v25
.LBB1107_82:                            ; =>This Loop Header: Depth=1
                                        ;     Child Loop BB1107_85 Depth 2
	v_and_b32_e32 v22, 0xff, v26
	s_delay_alu instid0(VALU_DEP_1) | instskip(SKIP_2) | instid1(VALU_DEP_1)
	v_cmp_ne_u16_e32 vcc_lo, 2, v22
	v_cndmask_b32_e64 v22, 0, 1, vcc_lo
	;;#ASMSTART
	;;#ASMEND
	v_cmp_ne_u32_e32 vcc_lo, 0, v22
	v_mov_b32_e32 v22, v25
	s_cmp_lg_u32 vcc_lo, exec_lo
	s_cbranch_scc1 .LBB1107_87
; %bb.83:                               ;   in Loop: Header=BB1107_82 Depth=1
	v_lshlrev_b64 v[25:26], 3, v[23:24]
	s_mov_b32 s9, exec_lo
	s_delay_alu instid0(VALU_DEP_1) | instskip(NEXT) | instid1(VALU_DEP_2)
	v_add_co_u32 v27, vcc_lo, s10, v25
	v_add_co_ci_u32_e32 v28, vcc_lo, s11, v26, vcc_lo
	global_load_b64 v[25:26], v[27:28], off glc
	s_waitcnt vmcnt(0)
	v_and_b32_e32 v52, 0xff, v26
	s_delay_alu instid0(VALU_DEP_1)
	v_cmpx_eq_u16_e32 0, v52
	s_cbranch_execz .LBB1107_81
; %bb.84:                               ;   in Loop: Header=BB1107_82 Depth=1
	s_mov_b32 s14, 0
.LBB1107_85:                            ;   Parent Loop BB1107_82 Depth=1
                                        ; =>  This Inner Loop Header: Depth=2
	global_load_b64 v[25:26], v[27:28], off glc
	s_waitcnt vmcnt(0)
	v_and_b32_e32 v52, 0xff, v26
	s_delay_alu instid0(VALU_DEP_1) | instskip(SKIP_1) | instid1(SALU_CYCLE_1)
	v_cmp_ne_u16_e32 vcc_lo, 0, v52
	s_or_b32 s14, vcc_lo, s14
	s_and_not1_b32 exec_lo, exec_lo, s14
	s_cbranch_execnz .LBB1107_85
; %bb.86:                               ;   in Loop: Header=BB1107_82 Depth=1
	s_or_b32 exec_lo, exec_lo, s14
	s_branch .LBB1107_81
.LBB1107_87:                            ;   in Loop: Header=BB1107_82 Depth=1
                                        ; implicit-def: $vgpr25
                                        ; implicit-def: $vgpr26
	s_cbranch_execz .LBB1107_82
; %bb.88:
	s_and_saveexec_b32 s9, s7
	s_cbranch_execz .LBB1107_90
; %bb.89:
	s_add_i32 s14, s18, 32
	s_mov_b32 s15, 0
	v_dual_mov_b32 v24, 2 :: v_dual_add_nc_u32 v23, v22, v21
	s_lshl_b64 s[14:15], s[14:15], 3
	v_mov_b32_e32 v25, 0
	s_add_u32 s14, s10, s14
	s_addc_u32 s15, s11, s15
	global_store_b64 v25, v[23:24], s[14:15]
	ds_store_b64 v25, v[21:22] offset:12672
.LBB1107_90:
	s_or_b32 exec_lo, exec_lo, s9
	s_delay_alu instid0(SALU_CYCLE_1)
	s_and_b32 exec_lo, exec_lo, s2
	s_cbranch_execz .LBB1107_92
; %bb.91:
	v_mov_b32_e32 v21, 0
	ds_store_b32 v21, v22 offset:44
.LBB1107_92:
	s_or_b32 exec_lo, exec_lo, s8
	v_mov_b32_e32 v21, 0
	s_waitcnt lgkmcnt(0)
	s_waitcnt_vscnt null, 0x0
	s_barrier
	buffer_gl0_inv
	v_cndmask_b32_e64 v23, v41, v40, s7
	ds_load_b32 v22, v21 offset:44
	s_waitcnt lgkmcnt(0)
	s_barrier
	buffer_gl0_inv
	v_cndmask_b32_e64 v23, v23, 0, s2
	s_delay_alu instid0(VALU_DEP_1) | instskip(NEXT) | instid1(VALU_DEP_1)
	v_add_nc_u32_e32 v43, v22, v23
	v_add_nc_u32_e32 v42, v43, v30
	ds_load_b64 v[21:22], v21 offset:12672
	v_add_nc_u32_e32 v41, v42, v31
	s_delay_alu instid0(VALU_DEP_1) | instskip(NEXT) | instid1(VALU_DEP_1)
	v_add_nc_u32_e32 v40, v41, v32
	v_add_nc_u32_e32 v28, v40, v33
	s_delay_alu instid0(VALU_DEP_1) | instskip(NEXT) | instid1(VALU_DEP_1)
	v_add_nc_u32_e32 v27, v28, v34
	v_add_nc_u32_e32 v26, v27, v35
	s_delay_alu instid0(VALU_DEP_1)
	v_add_nc_u32_e32 v25, v26, v36
	v_lshrrev_b64 v[23:24], 24, v[19:20]
	s_branch .LBB1107_103
.LBB1107_93:
                                        ; implicit-def: $vgpr25
                                        ; implicit-def: $vgpr26
                                        ; implicit-def: $vgpr27
                                        ; implicit-def: $vgpr28
                                        ; implicit-def: $vgpr40
                                        ; implicit-def: $vgpr41
                                        ; implicit-def: $vgpr42
                                        ; implicit-def: $vgpr43
                                        ; implicit-def: $vgpr22
	v_lshrrev_b64 v[23:24], 24, v[19:20]
	s_and_b32 vcc_lo, exec_lo, s7
	s_cbranch_vccz .LBB1107_103
; %bb.94:
	s_waitcnt lgkmcnt(0)
	v_mov_b32_dpp v21, v39 row_shr:1 row_mask:0xf bank_mask:0xf
	s_delay_alu instid0(VALU_DEP_1) | instskip(NEXT) | instid1(VALU_DEP_1)
	v_cndmask_b32_e64 v21, v21, 0, s3
	v_add_nc_u32_e32 v21, v21, v39
	s_delay_alu instid0(VALU_DEP_1) | instskip(NEXT) | instid1(VALU_DEP_1)
	v_mov_b32_dpp v22, v21 row_shr:2 row_mask:0xf bank_mask:0xf
	v_cndmask_b32_e64 v22, 0, v22, s4
	s_delay_alu instid0(VALU_DEP_1) | instskip(NEXT) | instid1(VALU_DEP_1)
	v_add_nc_u32_e32 v21, v21, v22
	v_mov_b32_dpp v22, v21 row_shr:4 row_mask:0xf bank_mask:0xf
	s_delay_alu instid0(VALU_DEP_1) | instskip(NEXT) | instid1(VALU_DEP_1)
	v_cndmask_b32_e64 v22, 0, v22, s1
	v_add_nc_u32_e32 v21, v21, v22
	s_delay_alu instid0(VALU_DEP_1) | instskip(NEXT) | instid1(VALU_DEP_1)
	v_mov_b32_dpp v22, v21 row_shr:8 row_mask:0xf bank_mask:0xf
	v_cndmask_b32_e64 v22, 0, v22, s0
	s_delay_alu instid0(VALU_DEP_1) | instskip(SKIP_3) | instid1(VALU_DEP_1)
	v_add_nc_u32_e32 v21, v21, v22
	ds_swizzle_b32 v22, v21 offset:swizzle(BROADCAST,32,15)
	s_waitcnt lgkmcnt(0)
	v_cndmask_b32_e64 v22, v22, 0, s6
	v_add_nc_u32_e32 v21, v21, v22
	s_and_saveexec_b32 s6, s5
	s_cbranch_execz .LBB1107_96
; %bb.95:
	v_lshlrev_b32_e32 v22, 2, v38
	ds_store_b32 v22, v21
.LBB1107_96:
	s_or_b32 exec_lo, exec_lo, s6
	s_delay_alu instid0(SALU_CYCLE_1)
	s_mov_b32 s5, exec_lo
	s_waitcnt lgkmcnt(0)
	s_barrier
	buffer_gl0_inv
	v_cmpx_gt_u32_e32 12, v0
	s_cbranch_execz .LBB1107_98
; %bb.97:
	v_lshlrev_b32_e32 v22, 2, v0
	ds_load_b32 v24, v22
	s_waitcnt lgkmcnt(0)
	v_mov_b32_dpp v25, v24 row_shr:1 row_mask:0xf bank_mask:0xf
	s_delay_alu instid0(VALU_DEP_1) | instskip(NEXT) | instid1(VALU_DEP_1)
	v_cndmask_b32_e64 v25, v25, 0, s3
	v_add_nc_u32_e32 v24, v25, v24
	s_delay_alu instid0(VALU_DEP_1) | instskip(NEXT) | instid1(VALU_DEP_1)
	v_mov_b32_dpp v25, v24 row_shr:2 row_mask:0xf bank_mask:0xf
	v_cndmask_b32_e64 v25, 0, v25, s4
	s_delay_alu instid0(VALU_DEP_1) | instskip(NEXT) | instid1(VALU_DEP_1)
	v_add_nc_u32_e32 v24, v24, v25
	v_mov_b32_dpp v25, v24 row_shr:4 row_mask:0xf bank_mask:0xf
	s_delay_alu instid0(VALU_DEP_1) | instskip(NEXT) | instid1(VALU_DEP_1)
	v_cndmask_b32_e64 v25, 0, v25, s1
	v_add_nc_u32_e32 v24, v24, v25
	s_delay_alu instid0(VALU_DEP_1) | instskip(NEXT) | instid1(VALU_DEP_1)
	v_mov_b32_dpp v25, v24 row_shr:8 row_mask:0xf bank_mask:0xf
	v_cndmask_b32_e64 v25, 0, v25, s0
	s_delay_alu instid0(VALU_DEP_1)
	v_add_nc_u32_e32 v24, v24, v25
	ds_store_b32 v22, v24
.LBB1107_98:
	s_or_b32 exec_lo, exec_lo, s5
	v_cmp_lt_u32_e32 vcc_lo, 31, v0
	v_mov_b32_e32 v22, 0
	v_mov_b32_e32 v0, 0
	s_waitcnt lgkmcnt(0)
	s_barrier
	buffer_gl0_inv
	s_and_saveexec_b32 s0, vcc_lo
	s_cbranch_execz .LBB1107_100
; %bb.99:
	v_lshl_add_u32 v0, v38, 2, -4
	ds_load_b32 v0, v0
.LBB1107_100:
	s_or_b32 exec_lo, exec_lo, s0
	v_add_nc_u32_e32 v24, -1, v37
	s_waitcnt lgkmcnt(0)
	v_add_nc_u32_e32 v21, v0, v21
	s_delay_alu instid0(VALU_DEP_2) | instskip(SKIP_1) | instid1(VALU_DEP_1)
	v_cmp_gt_i32_e32 vcc_lo, 0, v24
	v_cndmask_b32_e32 v24, v24, v37, vcc_lo
	v_lshlrev_b32_e32 v24, 2, v24
	ds_bpermute_b32 v24, v24, v21
	ds_load_b32 v21, v22 offset:44
	s_and_saveexec_b32 s0, s2
	s_cbranch_execz .LBB1107_102
; %bb.101:
	v_dual_mov_b32 v25, 0 :: v_dual_mov_b32 v22, 2
	s_waitcnt lgkmcnt(0)
	global_store_b64 v25, v[21:22], s[10:11] offset:256
.LBB1107_102:
	s_or_b32 exec_lo, exec_lo, s0
	v_cmp_eq_u32_e32 vcc_lo, 0, v37
	s_waitcnt lgkmcnt(0)
	s_waitcnt_vscnt null, 0x0
	s_barrier
	buffer_gl0_inv
	v_mov_b32_e32 v22, 0
	v_cndmask_b32_e32 v0, v24, v0, vcc_lo
	s_delay_alu instid0(VALU_DEP_1) | instskip(NEXT) | instid1(VALU_DEP_1)
	v_cndmask_b32_e64 v43, v0, 0, s2
	v_add_nc_u32_e32 v42, v43, v30
	s_delay_alu instid0(VALU_DEP_1) | instskip(NEXT) | instid1(VALU_DEP_1)
	v_add_nc_u32_e32 v41, v42, v31
	v_add_nc_u32_e32 v40, v41, v32
	s_delay_alu instid0(VALU_DEP_1) | instskip(NEXT) | instid1(VALU_DEP_1)
	v_add_nc_u32_e32 v28, v40, v33
	;; [unrolled: 3-line block ×3, first 2 shown]
	v_add_nc_u32_e32 v25, v26, v36
.LBB1107_103:
	v_lshrrev_b32_e32 v31, 8, v19
	v_lshrrev_b32_e32 v30, 16, v19
	v_and_b32_e32 v19, 1, v19
	s_waitcnt lgkmcnt(0)
	v_cmp_gt_u32_e32 vcc_lo, 0x181, v21
	v_lshrrev_b32_e32 v24, 8, v20
	v_lshrrev_b32_e32 v0, 16, v20
	v_cmp_lt_u32_e64 s0, 0x180, v21
	v_cmp_eq_u32_e64 s1, 1, v19
	s_cbranch_vccnz .LBB1107_121
; %bb.104:
	s_delay_alu instid0(VALU_DEP_1)
	s_and_saveexec_b32 s3, s1
	s_cbranch_execz .LBB1107_106
; %bb.105:
	v_sub_nc_u32_e32 v32, v43, v22
	s_delay_alu instid0(VALU_DEP_1)
	v_lshlrev_b32_e32 v32, 2, v32
	ds_store_b32 v32, v7
.LBB1107_106:
	s_or_b32 exec_lo, exec_lo, s3
	v_and_b32_e32 v7, 1, v31
	s_mov_b32 s1, exec_lo
	s_delay_alu instid0(VALU_DEP_1)
	v_cmpx_eq_u32_e32 1, v7
	s_cbranch_execz .LBB1107_108
; %bb.107:
	v_sub_nc_u32_e32 v7, v42, v22
	s_delay_alu instid0(VALU_DEP_1)
	v_lshlrev_b32_e32 v7, 2, v7
	ds_store_b32 v7, v8
.LBB1107_108:
	s_or_b32 exec_lo, exec_lo, s1
	v_and_b32_e32 v7, 1, v30
	s_mov_b32 s1, exec_lo
	s_delay_alu instid0(VALU_DEP_1)
	v_cmpx_eq_u32_e32 1, v7
	;; [unrolled: 12-line block ×7, first 2 shown]
	s_cbranch_execz .LBB1107_120
; %bb.119:
	v_sub_nc_u32_e32 v1, v25, v22
	s_delay_alu instid0(VALU_DEP_1)
	v_lshlrev_b32_e32 v1, 2, v1
	ds_store_b32 v1, v2
.LBB1107_120:
	s_or_b32 exec_lo, exec_lo, s1
	s_waitcnt lgkmcnt(0)
	s_barrier
	buffer_gl0_inv
.LBB1107_121:
	s_delay_alu instid0(VALU_DEP_2)
	s_and_not1_b32 vcc_lo, exec_lo, s0
	s_barrier
	buffer_gl0_inv
	s_cbranch_vccnz .LBB1107_140
; %bb.122:
	s_mov_b32 s0, exec_lo
	v_cmpx_eq_u32_e32 1, v19
	s_cbranch_execz .LBB1107_124
; %bb.123:
	v_sub_nc_u32_e32 v1, v43, v22
	s_delay_alu instid0(VALU_DEP_1)
	v_lshlrev_b32_e32 v1, 2, v1
	ds_store_b32 v1, v17
.LBB1107_124:
	s_or_b32 exec_lo, exec_lo, s0
	v_and_b32_e32 v1, 1, v31
	s_mov_b32 s0, exec_lo
	s_delay_alu instid0(VALU_DEP_1)
	v_cmpx_eq_u32_e32 1, v1
	s_cbranch_execz .LBB1107_126
; %bb.125:
	v_sub_nc_u32_e32 v1, v42, v22
	s_delay_alu instid0(VALU_DEP_1)
	v_lshlrev_b32_e32 v1, 2, v1
	ds_store_b32 v1, v18
.LBB1107_126:
	s_or_b32 exec_lo, exec_lo, s0
	v_and_b32_e32 v1, 1, v30
	s_mov_b32 s0, exec_lo
	s_delay_alu instid0(VALU_DEP_1)
	;; [unrolled: 12-line block ×7, first 2 shown]
	v_cmpx_eq_u32_e32 1, v0
	s_cbranch_execz .LBB1107_138
; %bb.137:
	v_sub_nc_u32_e32 v0, v25, v22
	s_delay_alu instid0(VALU_DEP_1)
	v_lshlrev_b32_e32 v0, 2, v0
	ds_store_b32 v0, v12
.LBB1107_138:
	s_or_b32 exec_lo, exec_lo, s0
	s_waitcnt lgkmcnt(0)
	s_barrier
	buffer_gl0_inv
	s_and_b32 s0, s2, s16
	s_delay_alu instid0(SALU_CYCLE_1)
	s_and_saveexec_b32 s1, s0
	s_cbranch_execnz .LBB1107_141
.LBB1107_139:
	s_endpgm
.LBB1107_140:
	s_and_b32 s0, s2, s16
	s_delay_alu instid0(SALU_CYCLE_1)
	s_and_saveexec_b32 s1, s0
	s_cbranch_execz .LBB1107_139
.LBB1107_141:
	v_add_co_u32 v0, vcc_lo, v9, v21
	v_add_co_ci_u32_e32 v1, vcc_lo, 0, v10, vcc_lo
	v_mov_b32_e32 v2, 0
	s_delay_alu instid0(VALU_DEP_3) | instskip(NEXT) | instid1(VALU_DEP_3)
	v_add_co_u32 v0, vcc_lo, v0, v22
	v_add_co_ci_u32_e32 v1, vcc_lo, 0, v1, vcc_lo
	global_store_b64 v2, v[0:1], s[12:13]
	s_nop 0
	s_sendmsg sendmsg(MSG_DEALLOC_VGPRS)
	s_endpgm
	.section	.rodata,"a",@progbits
	.p2align	6, 0x0
	.amdhsa_kernel _ZN7rocprim17ROCPRIM_400000_NS6detail17trampoline_kernelINS0_14default_configENS1_25partition_config_selectorILNS1_17partition_subalgoE9EijbEEZZNS1_14partition_implILS5_9ELb0ES3_jN6thrust23THRUST_200600_302600_NS6detail15normal_iteratorINS9_10device_ptrIiEEEENSB_INSC_IjEEEEPNS0_10empty_typeENS0_5tupleIJNS9_16discard_iteratorINS9_11use_defaultEEESH_EEENSJ_IJSM_SI_EEENS0_18inequality_wrapperINS9_8equal_toIiEEEEPmJSH_EEE10hipError_tPvRmT3_T4_T5_T6_T7_T9_mT8_P12ihipStream_tbDpT10_ENKUlT_T0_E_clISt17integral_constantIbLb0EES1C_IbLb1EEEEDaS18_S19_EUlS18_E_NS1_11comp_targetILNS1_3genE9ELNS1_11target_archE1100ELNS1_3gpuE3ELNS1_3repE0EEENS1_30default_config_static_selectorELNS0_4arch9wavefront6targetE0EEEvT1_
		.amdhsa_group_segment_fixed_size 12680
		.amdhsa_private_segment_fixed_size 0
		.amdhsa_kernarg_size 144
		.amdhsa_user_sgpr_count 15
		.amdhsa_user_sgpr_dispatch_ptr 0
		.amdhsa_user_sgpr_queue_ptr 0
		.amdhsa_user_sgpr_kernarg_segment_ptr 1
		.amdhsa_user_sgpr_dispatch_id 0
		.amdhsa_user_sgpr_private_segment_size 0
		.amdhsa_wavefront_size32 1
		.amdhsa_uses_dynamic_stack 0
		.amdhsa_enable_private_segment 0
		.amdhsa_system_sgpr_workgroup_id_x 1
		.amdhsa_system_sgpr_workgroup_id_y 0
		.amdhsa_system_sgpr_workgroup_id_z 0
		.amdhsa_system_sgpr_workgroup_info 0
		.amdhsa_system_vgpr_workitem_id 0
		.amdhsa_next_free_vgpr 53
		.amdhsa_next_free_sgpr 24
		.amdhsa_reserve_vcc 1
		.amdhsa_float_round_mode_32 0
		.amdhsa_float_round_mode_16_64 0
		.amdhsa_float_denorm_mode_32 3
		.amdhsa_float_denorm_mode_16_64 3
		.amdhsa_dx10_clamp 1
		.amdhsa_ieee_mode 1
		.amdhsa_fp16_overflow 0
		.amdhsa_workgroup_processor_mode 1
		.amdhsa_memory_ordered 1
		.amdhsa_forward_progress 0
		.amdhsa_shared_vgpr_count 0
		.amdhsa_exception_fp_ieee_invalid_op 0
		.amdhsa_exception_fp_denorm_src 0
		.amdhsa_exception_fp_ieee_div_zero 0
		.amdhsa_exception_fp_ieee_overflow 0
		.amdhsa_exception_fp_ieee_underflow 0
		.amdhsa_exception_fp_ieee_inexact 0
		.amdhsa_exception_int_div_zero 0
	.end_amdhsa_kernel
	.section	.text._ZN7rocprim17ROCPRIM_400000_NS6detail17trampoline_kernelINS0_14default_configENS1_25partition_config_selectorILNS1_17partition_subalgoE9EijbEEZZNS1_14partition_implILS5_9ELb0ES3_jN6thrust23THRUST_200600_302600_NS6detail15normal_iteratorINS9_10device_ptrIiEEEENSB_INSC_IjEEEEPNS0_10empty_typeENS0_5tupleIJNS9_16discard_iteratorINS9_11use_defaultEEESH_EEENSJ_IJSM_SI_EEENS0_18inequality_wrapperINS9_8equal_toIiEEEEPmJSH_EEE10hipError_tPvRmT3_T4_T5_T6_T7_T9_mT8_P12ihipStream_tbDpT10_ENKUlT_T0_E_clISt17integral_constantIbLb0EES1C_IbLb1EEEEDaS18_S19_EUlS18_E_NS1_11comp_targetILNS1_3genE9ELNS1_11target_archE1100ELNS1_3gpuE3ELNS1_3repE0EEENS1_30default_config_static_selectorELNS0_4arch9wavefront6targetE0EEEvT1_,"axG",@progbits,_ZN7rocprim17ROCPRIM_400000_NS6detail17trampoline_kernelINS0_14default_configENS1_25partition_config_selectorILNS1_17partition_subalgoE9EijbEEZZNS1_14partition_implILS5_9ELb0ES3_jN6thrust23THRUST_200600_302600_NS6detail15normal_iteratorINS9_10device_ptrIiEEEENSB_INSC_IjEEEEPNS0_10empty_typeENS0_5tupleIJNS9_16discard_iteratorINS9_11use_defaultEEESH_EEENSJ_IJSM_SI_EEENS0_18inequality_wrapperINS9_8equal_toIiEEEEPmJSH_EEE10hipError_tPvRmT3_T4_T5_T6_T7_T9_mT8_P12ihipStream_tbDpT10_ENKUlT_T0_E_clISt17integral_constantIbLb0EES1C_IbLb1EEEEDaS18_S19_EUlS18_E_NS1_11comp_targetILNS1_3genE9ELNS1_11target_archE1100ELNS1_3gpuE3ELNS1_3repE0EEENS1_30default_config_static_selectorELNS0_4arch9wavefront6targetE0EEEvT1_,comdat
.Lfunc_end1107:
	.size	_ZN7rocprim17ROCPRIM_400000_NS6detail17trampoline_kernelINS0_14default_configENS1_25partition_config_selectorILNS1_17partition_subalgoE9EijbEEZZNS1_14partition_implILS5_9ELb0ES3_jN6thrust23THRUST_200600_302600_NS6detail15normal_iteratorINS9_10device_ptrIiEEEENSB_INSC_IjEEEEPNS0_10empty_typeENS0_5tupleIJNS9_16discard_iteratorINS9_11use_defaultEEESH_EEENSJ_IJSM_SI_EEENS0_18inequality_wrapperINS9_8equal_toIiEEEEPmJSH_EEE10hipError_tPvRmT3_T4_T5_T6_T7_T9_mT8_P12ihipStream_tbDpT10_ENKUlT_T0_E_clISt17integral_constantIbLb0EES1C_IbLb1EEEEDaS18_S19_EUlS18_E_NS1_11comp_targetILNS1_3genE9ELNS1_11target_archE1100ELNS1_3gpuE3ELNS1_3repE0EEENS1_30default_config_static_selectorELNS0_4arch9wavefront6targetE0EEEvT1_, .Lfunc_end1107-_ZN7rocprim17ROCPRIM_400000_NS6detail17trampoline_kernelINS0_14default_configENS1_25partition_config_selectorILNS1_17partition_subalgoE9EijbEEZZNS1_14partition_implILS5_9ELb0ES3_jN6thrust23THRUST_200600_302600_NS6detail15normal_iteratorINS9_10device_ptrIiEEEENSB_INSC_IjEEEEPNS0_10empty_typeENS0_5tupleIJNS9_16discard_iteratorINS9_11use_defaultEEESH_EEENSJ_IJSM_SI_EEENS0_18inequality_wrapperINS9_8equal_toIiEEEEPmJSH_EEE10hipError_tPvRmT3_T4_T5_T6_T7_T9_mT8_P12ihipStream_tbDpT10_ENKUlT_T0_E_clISt17integral_constantIbLb0EES1C_IbLb1EEEEDaS18_S19_EUlS18_E_NS1_11comp_targetILNS1_3genE9ELNS1_11target_archE1100ELNS1_3gpuE3ELNS1_3repE0EEENS1_30default_config_static_selectorELNS0_4arch9wavefront6targetE0EEEvT1_
                                        ; -- End function
	.section	.AMDGPU.csdata,"",@progbits
; Kernel info:
; codeLenInByte = 7588
; NumSgprs: 26
; NumVgprs: 53
; ScratchSize: 0
; MemoryBound: 0
; FloatMode: 240
; IeeeMode: 1
; LDSByteSize: 12680 bytes/workgroup (compile time only)
; SGPRBlocks: 3
; VGPRBlocks: 6
; NumSGPRsForWavesPerEU: 26
; NumVGPRsForWavesPerEU: 53
; Occupancy: 15
; WaveLimiterHint : 1
; COMPUTE_PGM_RSRC2:SCRATCH_EN: 0
; COMPUTE_PGM_RSRC2:USER_SGPR: 15
; COMPUTE_PGM_RSRC2:TRAP_HANDLER: 0
; COMPUTE_PGM_RSRC2:TGID_X_EN: 1
; COMPUTE_PGM_RSRC2:TGID_Y_EN: 0
; COMPUTE_PGM_RSRC2:TGID_Z_EN: 0
; COMPUTE_PGM_RSRC2:TIDIG_COMP_CNT: 0
	.section	.text._ZN7rocprim17ROCPRIM_400000_NS6detail17trampoline_kernelINS0_14default_configENS1_25partition_config_selectorILNS1_17partition_subalgoE9EijbEEZZNS1_14partition_implILS5_9ELb0ES3_jN6thrust23THRUST_200600_302600_NS6detail15normal_iteratorINS9_10device_ptrIiEEEENSB_INSC_IjEEEEPNS0_10empty_typeENS0_5tupleIJNS9_16discard_iteratorINS9_11use_defaultEEESH_EEENSJ_IJSM_SI_EEENS0_18inequality_wrapperINS9_8equal_toIiEEEEPmJSH_EEE10hipError_tPvRmT3_T4_T5_T6_T7_T9_mT8_P12ihipStream_tbDpT10_ENKUlT_T0_E_clISt17integral_constantIbLb0EES1C_IbLb1EEEEDaS18_S19_EUlS18_E_NS1_11comp_targetILNS1_3genE8ELNS1_11target_archE1030ELNS1_3gpuE2ELNS1_3repE0EEENS1_30default_config_static_selectorELNS0_4arch9wavefront6targetE0EEEvT1_,"axG",@progbits,_ZN7rocprim17ROCPRIM_400000_NS6detail17trampoline_kernelINS0_14default_configENS1_25partition_config_selectorILNS1_17partition_subalgoE9EijbEEZZNS1_14partition_implILS5_9ELb0ES3_jN6thrust23THRUST_200600_302600_NS6detail15normal_iteratorINS9_10device_ptrIiEEEENSB_INSC_IjEEEEPNS0_10empty_typeENS0_5tupleIJNS9_16discard_iteratorINS9_11use_defaultEEESH_EEENSJ_IJSM_SI_EEENS0_18inequality_wrapperINS9_8equal_toIiEEEEPmJSH_EEE10hipError_tPvRmT3_T4_T5_T6_T7_T9_mT8_P12ihipStream_tbDpT10_ENKUlT_T0_E_clISt17integral_constantIbLb0EES1C_IbLb1EEEEDaS18_S19_EUlS18_E_NS1_11comp_targetILNS1_3genE8ELNS1_11target_archE1030ELNS1_3gpuE2ELNS1_3repE0EEENS1_30default_config_static_selectorELNS0_4arch9wavefront6targetE0EEEvT1_,comdat
	.protected	_ZN7rocprim17ROCPRIM_400000_NS6detail17trampoline_kernelINS0_14default_configENS1_25partition_config_selectorILNS1_17partition_subalgoE9EijbEEZZNS1_14partition_implILS5_9ELb0ES3_jN6thrust23THRUST_200600_302600_NS6detail15normal_iteratorINS9_10device_ptrIiEEEENSB_INSC_IjEEEEPNS0_10empty_typeENS0_5tupleIJNS9_16discard_iteratorINS9_11use_defaultEEESH_EEENSJ_IJSM_SI_EEENS0_18inequality_wrapperINS9_8equal_toIiEEEEPmJSH_EEE10hipError_tPvRmT3_T4_T5_T6_T7_T9_mT8_P12ihipStream_tbDpT10_ENKUlT_T0_E_clISt17integral_constantIbLb0EES1C_IbLb1EEEEDaS18_S19_EUlS18_E_NS1_11comp_targetILNS1_3genE8ELNS1_11target_archE1030ELNS1_3gpuE2ELNS1_3repE0EEENS1_30default_config_static_selectorELNS0_4arch9wavefront6targetE0EEEvT1_ ; -- Begin function _ZN7rocprim17ROCPRIM_400000_NS6detail17trampoline_kernelINS0_14default_configENS1_25partition_config_selectorILNS1_17partition_subalgoE9EijbEEZZNS1_14partition_implILS5_9ELb0ES3_jN6thrust23THRUST_200600_302600_NS6detail15normal_iteratorINS9_10device_ptrIiEEEENSB_INSC_IjEEEEPNS0_10empty_typeENS0_5tupleIJNS9_16discard_iteratorINS9_11use_defaultEEESH_EEENSJ_IJSM_SI_EEENS0_18inequality_wrapperINS9_8equal_toIiEEEEPmJSH_EEE10hipError_tPvRmT3_T4_T5_T6_T7_T9_mT8_P12ihipStream_tbDpT10_ENKUlT_T0_E_clISt17integral_constantIbLb0EES1C_IbLb1EEEEDaS18_S19_EUlS18_E_NS1_11comp_targetILNS1_3genE8ELNS1_11target_archE1030ELNS1_3gpuE2ELNS1_3repE0EEENS1_30default_config_static_selectorELNS0_4arch9wavefront6targetE0EEEvT1_
	.globl	_ZN7rocprim17ROCPRIM_400000_NS6detail17trampoline_kernelINS0_14default_configENS1_25partition_config_selectorILNS1_17partition_subalgoE9EijbEEZZNS1_14partition_implILS5_9ELb0ES3_jN6thrust23THRUST_200600_302600_NS6detail15normal_iteratorINS9_10device_ptrIiEEEENSB_INSC_IjEEEEPNS0_10empty_typeENS0_5tupleIJNS9_16discard_iteratorINS9_11use_defaultEEESH_EEENSJ_IJSM_SI_EEENS0_18inequality_wrapperINS9_8equal_toIiEEEEPmJSH_EEE10hipError_tPvRmT3_T4_T5_T6_T7_T9_mT8_P12ihipStream_tbDpT10_ENKUlT_T0_E_clISt17integral_constantIbLb0EES1C_IbLb1EEEEDaS18_S19_EUlS18_E_NS1_11comp_targetILNS1_3genE8ELNS1_11target_archE1030ELNS1_3gpuE2ELNS1_3repE0EEENS1_30default_config_static_selectorELNS0_4arch9wavefront6targetE0EEEvT1_
	.p2align	8
	.type	_ZN7rocprim17ROCPRIM_400000_NS6detail17trampoline_kernelINS0_14default_configENS1_25partition_config_selectorILNS1_17partition_subalgoE9EijbEEZZNS1_14partition_implILS5_9ELb0ES3_jN6thrust23THRUST_200600_302600_NS6detail15normal_iteratorINS9_10device_ptrIiEEEENSB_INSC_IjEEEEPNS0_10empty_typeENS0_5tupleIJNS9_16discard_iteratorINS9_11use_defaultEEESH_EEENSJ_IJSM_SI_EEENS0_18inequality_wrapperINS9_8equal_toIiEEEEPmJSH_EEE10hipError_tPvRmT3_T4_T5_T6_T7_T9_mT8_P12ihipStream_tbDpT10_ENKUlT_T0_E_clISt17integral_constantIbLb0EES1C_IbLb1EEEEDaS18_S19_EUlS18_E_NS1_11comp_targetILNS1_3genE8ELNS1_11target_archE1030ELNS1_3gpuE2ELNS1_3repE0EEENS1_30default_config_static_selectorELNS0_4arch9wavefront6targetE0EEEvT1_,@function
_ZN7rocprim17ROCPRIM_400000_NS6detail17trampoline_kernelINS0_14default_configENS1_25partition_config_selectorILNS1_17partition_subalgoE9EijbEEZZNS1_14partition_implILS5_9ELb0ES3_jN6thrust23THRUST_200600_302600_NS6detail15normal_iteratorINS9_10device_ptrIiEEEENSB_INSC_IjEEEEPNS0_10empty_typeENS0_5tupleIJNS9_16discard_iteratorINS9_11use_defaultEEESH_EEENSJ_IJSM_SI_EEENS0_18inequality_wrapperINS9_8equal_toIiEEEEPmJSH_EEE10hipError_tPvRmT3_T4_T5_T6_T7_T9_mT8_P12ihipStream_tbDpT10_ENKUlT_T0_E_clISt17integral_constantIbLb0EES1C_IbLb1EEEEDaS18_S19_EUlS18_E_NS1_11comp_targetILNS1_3genE8ELNS1_11target_archE1030ELNS1_3gpuE2ELNS1_3repE0EEENS1_30default_config_static_selectorELNS0_4arch9wavefront6targetE0EEEvT1_: ; @_ZN7rocprim17ROCPRIM_400000_NS6detail17trampoline_kernelINS0_14default_configENS1_25partition_config_selectorILNS1_17partition_subalgoE9EijbEEZZNS1_14partition_implILS5_9ELb0ES3_jN6thrust23THRUST_200600_302600_NS6detail15normal_iteratorINS9_10device_ptrIiEEEENSB_INSC_IjEEEEPNS0_10empty_typeENS0_5tupleIJNS9_16discard_iteratorINS9_11use_defaultEEESH_EEENSJ_IJSM_SI_EEENS0_18inequality_wrapperINS9_8equal_toIiEEEEPmJSH_EEE10hipError_tPvRmT3_T4_T5_T6_T7_T9_mT8_P12ihipStream_tbDpT10_ENKUlT_T0_E_clISt17integral_constantIbLb0EES1C_IbLb1EEEEDaS18_S19_EUlS18_E_NS1_11comp_targetILNS1_3genE8ELNS1_11target_archE1030ELNS1_3gpuE2ELNS1_3repE0EEENS1_30default_config_static_selectorELNS0_4arch9wavefront6targetE0EEEvT1_
; %bb.0:
	.section	.rodata,"a",@progbits
	.p2align	6, 0x0
	.amdhsa_kernel _ZN7rocprim17ROCPRIM_400000_NS6detail17trampoline_kernelINS0_14default_configENS1_25partition_config_selectorILNS1_17partition_subalgoE9EijbEEZZNS1_14partition_implILS5_9ELb0ES3_jN6thrust23THRUST_200600_302600_NS6detail15normal_iteratorINS9_10device_ptrIiEEEENSB_INSC_IjEEEEPNS0_10empty_typeENS0_5tupleIJNS9_16discard_iteratorINS9_11use_defaultEEESH_EEENSJ_IJSM_SI_EEENS0_18inequality_wrapperINS9_8equal_toIiEEEEPmJSH_EEE10hipError_tPvRmT3_T4_T5_T6_T7_T9_mT8_P12ihipStream_tbDpT10_ENKUlT_T0_E_clISt17integral_constantIbLb0EES1C_IbLb1EEEEDaS18_S19_EUlS18_E_NS1_11comp_targetILNS1_3genE8ELNS1_11target_archE1030ELNS1_3gpuE2ELNS1_3repE0EEENS1_30default_config_static_selectorELNS0_4arch9wavefront6targetE0EEEvT1_
		.amdhsa_group_segment_fixed_size 0
		.amdhsa_private_segment_fixed_size 0
		.amdhsa_kernarg_size 144
		.amdhsa_user_sgpr_count 15
		.amdhsa_user_sgpr_dispatch_ptr 0
		.amdhsa_user_sgpr_queue_ptr 0
		.amdhsa_user_sgpr_kernarg_segment_ptr 1
		.amdhsa_user_sgpr_dispatch_id 0
		.amdhsa_user_sgpr_private_segment_size 0
		.amdhsa_wavefront_size32 1
		.amdhsa_uses_dynamic_stack 0
		.amdhsa_enable_private_segment 0
		.amdhsa_system_sgpr_workgroup_id_x 1
		.amdhsa_system_sgpr_workgroup_id_y 0
		.amdhsa_system_sgpr_workgroup_id_z 0
		.amdhsa_system_sgpr_workgroup_info 0
		.amdhsa_system_vgpr_workitem_id 0
		.amdhsa_next_free_vgpr 1
		.amdhsa_next_free_sgpr 1
		.amdhsa_reserve_vcc 0
		.amdhsa_float_round_mode_32 0
		.amdhsa_float_round_mode_16_64 0
		.amdhsa_float_denorm_mode_32 3
		.amdhsa_float_denorm_mode_16_64 3
		.amdhsa_dx10_clamp 1
		.amdhsa_ieee_mode 1
		.amdhsa_fp16_overflow 0
		.amdhsa_workgroup_processor_mode 1
		.amdhsa_memory_ordered 1
		.amdhsa_forward_progress 0
		.amdhsa_shared_vgpr_count 0
		.amdhsa_exception_fp_ieee_invalid_op 0
		.amdhsa_exception_fp_denorm_src 0
		.amdhsa_exception_fp_ieee_div_zero 0
		.amdhsa_exception_fp_ieee_overflow 0
		.amdhsa_exception_fp_ieee_underflow 0
		.amdhsa_exception_fp_ieee_inexact 0
		.amdhsa_exception_int_div_zero 0
	.end_amdhsa_kernel
	.section	.text._ZN7rocprim17ROCPRIM_400000_NS6detail17trampoline_kernelINS0_14default_configENS1_25partition_config_selectorILNS1_17partition_subalgoE9EijbEEZZNS1_14partition_implILS5_9ELb0ES3_jN6thrust23THRUST_200600_302600_NS6detail15normal_iteratorINS9_10device_ptrIiEEEENSB_INSC_IjEEEEPNS0_10empty_typeENS0_5tupleIJNS9_16discard_iteratorINS9_11use_defaultEEESH_EEENSJ_IJSM_SI_EEENS0_18inequality_wrapperINS9_8equal_toIiEEEEPmJSH_EEE10hipError_tPvRmT3_T4_T5_T6_T7_T9_mT8_P12ihipStream_tbDpT10_ENKUlT_T0_E_clISt17integral_constantIbLb0EES1C_IbLb1EEEEDaS18_S19_EUlS18_E_NS1_11comp_targetILNS1_3genE8ELNS1_11target_archE1030ELNS1_3gpuE2ELNS1_3repE0EEENS1_30default_config_static_selectorELNS0_4arch9wavefront6targetE0EEEvT1_,"axG",@progbits,_ZN7rocprim17ROCPRIM_400000_NS6detail17trampoline_kernelINS0_14default_configENS1_25partition_config_selectorILNS1_17partition_subalgoE9EijbEEZZNS1_14partition_implILS5_9ELb0ES3_jN6thrust23THRUST_200600_302600_NS6detail15normal_iteratorINS9_10device_ptrIiEEEENSB_INSC_IjEEEEPNS0_10empty_typeENS0_5tupleIJNS9_16discard_iteratorINS9_11use_defaultEEESH_EEENSJ_IJSM_SI_EEENS0_18inequality_wrapperINS9_8equal_toIiEEEEPmJSH_EEE10hipError_tPvRmT3_T4_T5_T6_T7_T9_mT8_P12ihipStream_tbDpT10_ENKUlT_T0_E_clISt17integral_constantIbLb0EES1C_IbLb1EEEEDaS18_S19_EUlS18_E_NS1_11comp_targetILNS1_3genE8ELNS1_11target_archE1030ELNS1_3gpuE2ELNS1_3repE0EEENS1_30default_config_static_selectorELNS0_4arch9wavefront6targetE0EEEvT1_,comdat
.Lfunc_end1108:
	.size	_ZN7rocprim17ROCPRIM_400000_NS6detail17trampoline_kernelINS0_14default_configENS1_25partition_config_selectorILNS1_17partition_subalgoE9EijbEEZZNS1_14partition_implILS5_9ELb0ES3_jN6thrust23THRUST_200600_302600_NS6detail15normal_iteratorINS9_10device_ptrIiEEEENSB_INSC_IjEEEEPNS0_10empty_typeENS0_5tupleIJNS9_16discard_iteratorINS9_11use_defaultEEESH_EEENSJ_IJSM_SI_EEENS0_18inequality_wrapperINS9_8equal_toIiEEEEPmJSH_EEE10hipError_tPvRmT3_T4_T5_T6_T7_T9_mT8_P12ihipStream_tbDpT10_ENKUlT_T0_E_clISt17integral_constantIbLb0EES1C_IbLb1EEEEDaS18_S19_EUlS18_E_NS1_11comp_targetILNS1_3genE8ELNS1_11target_archE1030ELNS1_3gpuE2ELNS1_3repE0EEENS1_30default_config_static_selectorELNS0_4arch9wavefront6targetE0EEEvT1_, .Lfunc_end1108-_ZN7rocprim17ROCPRIM_400000_NS6detail17trampoline_kernelINS0_14default_configENS1_25partition_config_selectorILNS1_17partition_subalgoE9EijbEEZZNS1_14partition_implILS5_9ELb0ES3_jN6thrust23THRUST_200600_302600_NS6detail15normal_iteratorINS9_10device_ptrIiEEEENSB_INSC_IjEEEEPNS0_10empty_typeENS0_5tupleIJNS9_16discard_iteratorINS9_11use_defaultEEESH_EEENSJ_IJSM_SI_EEENS0_18inequality_wrapperINS9_8equal_toIiEEEEPmJSH_EEE10hipError_tPvRmT3_T4_T5_T6_T7_T9_mT8_P12ihipStream_tbDpT10_ENKUlT_T0_E_clISt17integral_constantIbLb0EES1C_IbLb1EEEEDaS18_S19_EUlS18_E_NS1_11comp_targetILNS1_3genE8ELNS1_11target_archE1030ELNS1_3gpuE2ELNS1_3repE0EEENS1_30default_config_static_selectorELNS0_4arch9wavefront6targetE0EEEvT1_
                                        ; -- End function
	.section	.AMDGPU.csdata,"",@progbits
; Kernel info:
; codeLenInByte = 0
; NumSgprs: 0
; NumVgprs: 0
; ScratchSize: 0
; MemoryBound: 0
; FloatMode: 240
; IeeeMode: 1
; LDSByteSize: 0 bytes/workgroup (compile time only)
; SGPRBlocks: 0
; VGPRBlocks: 0
; NumSGPRsForWavesPerEU: 1
; NumVGPRsForWavesPerEU: 1
; Occupancy: 16
; WaveLimiterHint : 0
; COMPUTE_PGM_RSRC2:SCRATCH_EN: 0
; COMPUTE_PGM_RSRC2:USER_SGPR: 15
; COMPUTE_PGM_RSRC2:TRAP_HANDLER: 0
; COMPUTE_PGM_RSRC2:TGID_X_EN: 1
; COMPUTE_PGM_RSRC2:TGID_Y_EN: 0
; COMPUTE_PGM_RSRC2:TGID_Z_EN: 0
; COMPUTE_PGM_RSRC2:TIDIG_COMP_CNT: 0
	.section	.text._ZN7rocprim17ROCPRIM_400000_NS6detail17trampoline_kernelINS0_14default_configENS1_25partition_config_selectorILNS1_17partition_subalgoE9EijbEEZZNS1_14partition_implILS5_9ELb0ES3_jN6thrust23THRUST_200600_302600_NS6detail15normal_iteratorINS9_10device_ptrIiEEEENSB_INSC_IjEEEEPNS0_10empty_typeENS0_5tupleIJSE_SH_EEENSJ_IJNS9_16discard_iteratorINS9_11use_defaultEEESI_EEENS0_18inequality_wrapperINS9_8equal_toIiEEEEPmJSH_EEE10hipError_tPvRmT3_T4_T5_T6_T7_T9_mT8_P12ihipStream_tbDpT10_ENKUlT_T0_E_clISt17integral_constantIbLb0EES1D_EEDaS18_S19_EUlS18_E_NS1_11comp_targetILNS1_3genE0ELNS1_11target_archE4294967295ELNS1_3gpuE0ELNS1_3repE0EEENS1_30default_config_static_selectorELNS0_4arch9wavefront6targetE0EEEvT1_,"axG",@progbits,_ZN7rocprim17ROCPRIM_400000_NS6detail17trampoline_kernelINS0_14default_configENS1_25partition_config_selectorILNS1_17partition_subalgoE9EijbEEZZNS1_14partition_implILS5_9ELb0ES3_jN6thrust23THRUST_200600_302600_NS6detail15normal_iteratorINS9_10device_ptrIiEEEENSB_INSC_IjEEEEPNS0_10empty_typeENS0_5tupleIJSE_SH_EEENSJ_IJNS9_16discard_iteratorINS9_11use_defaultEEESI_EEENS0_18inequality_wrapperINS9_8equal_toIiEEEEPmJSH_EEE10hipError_tPvRmT3_T4_T5_T6_T7_T9_mT8_P12ihipStream_tbDpT10_ENKUlT_T0_E_clISt17integral_constantIbLb0EES1D_EEDaS18_S19_EUlS18_E_NS1_11comp_targetILNS1_3genE0ELNS1_11target_archE4294967295ELNS1_3gpuE0ELNS1_3repE0EEENS1_30default_config_static_selectorELNS0_4arch9wavefront6targetE0EEEvT1_,comdat
	.protected	_ZN7rocprim17ROCPRIM_400000_NS6detail17trampoline_kernelINS0_14default_configENS1_25partition_config_selectorILNS1_17partition_subalgoE9EijbEEZZNS1_14partition_implILS5_9ELb0ES3_jN6thrust23THRUST_200600_302600_NS6detail15normal_iteratorINS9_10device_ptrIiEEEENSB_INSC_IjEEEEPNS0_10empty_typeENS0_5tupleIJSE_SH_EEENSJ_IJNS9_16discard_iteratorINS9_11use_defaultEEESI_EEENS0_18inequality_wrapperINS9_8equal_toIiEEEEPmJSH_EEE10hipError_tPvRmT3_T4_T5_T6_T7_T9_mT8_P12ihipStream_tbDpT10_ENKUlT_T0_E_clISt17integral_constantIbLb0EES1D_EEDaS18_S19_EUlS18_E_NS1_11comp_targetILNS1_3genE0ELNS1_11target_archE4294967295ELNS1_3gpuE0ELNS1_3repE0EEENS1_30default_config_static_selectorELNS0_4arch9wavefront6targetE0EEEvT1_ ; -- Begin function _ZN7rocprim17ROCPRIM_400000_NS6detail17trampoline_kernelINS0_14default_configENS1_25partition_config_selectorILNS1_17partition_subalgoE9EijbEEZZNS1_14partition_implILS5_9ELb0ES3_jN6thrust23THRUST_200600_302600_NS6detail15normal_iteratorINS9_10device_ptrIiEEEENSB_INSC_IjEEEEPNS0_10empty_typeENS0_5tupleIJSE_SH_EEENSJ_IJNS9_16discard_iteratorINS9_11use_defaultEEESI_EEENS0_18inequality_wrapperINS9_8equal_toIiEEEEPmJSH_EEE10hipError_tPvRmT3_T4_T5_T6_T7_T9_mT8_P12ihipStream_tbDpT10_ENKUlT_T0_E_clISt17integral_constantIbLb0EES1D_EEDaS18_S19_EUlS18_E_NS1_11comp_targetILNS1_3genE0ELNS1_11target_archE4294967295ELNS1_3gpuE0ELNS1_3repE0EEENS1_30default_config_static_selectorELNS0_4arch9wavefront6targetE0EEEvT1_
	.globl	_ZN7rocprim17ROCPRIM_400000_NS6detail17trampoline_kernelINS0_14default_configENS1_25partition_config_selectorILNS1_17partition_subalgoE9EijbEEZZNS1_14partition_implILS5_9ELb0ES3_jN6thrust23THRUST_200600_302600_NS6detail15normal_iteratorINS9_10device_ptrIiEEEENSB_INSC_IjEEEEPNS0_10empty_typeENS0_5tupleIJSE_SH_EEENSJ_IJNS9_16discard_iteratorINS9_11use_defaultEEESI_EEENS0_18inequality_wrapperINS9_8equal_toIiEEEEPmJSH_EEE10hipError_tPvRmT3_T4_T5_T6_T7_T9_mT8_P12ihipStream_tbDpT10_ENKUlT_T0_E_clISt17integral_constantIbLb0EES1D_EEDaS18_S19_EUlS18_E_NS1_11comp_targetILNS1_3genE0ELNS1_11target_archE4294967295ELNS1_3gpuE0ELNS1_3repE0EEENS1_30default_config_static_selectorELNS0_4arch9wavefront6targetE0EEEvT1_
	.p2align	8
	.type	_ZN7rocprim17ROCPRIM_400000_NS6detail17trampoline_kernelINS0_14default_configENS1_25partition_config_selectorILNS1_17partition_subalgoE9EijbEEZZNS1_14partition_implILS5_9ELb0ES3_jN6thrust23THRUST_200600_302600_NS6detail15normal_iteratorINS9_10device_ptrIiEEEENSB_INSC_IjEEEEPNS0_10empty_typeENS0_5tupleIJSE_SH_EEENSJ_IJNS9_16discard_iteratorINS9_11use_defaultEEESI_EEENS0_18inequality_wrapperINS9_8equal_toIiEEEEPmJSH_EEE10hipError_tPvRmT3_T4_T5_T6_T7_T9_mT8_P12ihipStream_tbDpT10_ENKUlT_T0_E_clISt17integral_constantIbLb0EES1D_EEDaS18_S19_EUlS18_E_NS1_11comp_targetILNS1_3genE0ELNS1_11target_archE4294967295ELNS1_3gpuE0ELNS1_3repE0EEENS1_30default_config_static_selectorELNS0_4arch9wavefront6targetE0EEEvT1_,@function
_ZN7rocprim17ROCPRIM_400000_NS6detail17trampoline_kernelINS0_14default_configENS1_25partition_config_selectorILNS1_17partition_subalgoE9EijbEEZZNS1_14partition_implILS5_9ELb0ES3_jN6thrust23THRUST_200600_302600_NS6detail15normal_iteratorINS9_10device_ptrIiEEEENSB_INSC_IjEEEEPNS0_10empty_typeENS0_5tupleIJSE_SH_EEENSJ_IJNS9_16discard_iteratorINS9_11use_defaultEEESI_EEENS0_18inequality_wrapperINS9_8equal_toIiEEEEPmJSH_EEE10hipError_tPvRmT3_T4_T5_T6_T7_T9_mT8_P12ihipStream_tbDpT10_ENKUlT_T0_E_clISt17integral_constantIbLb0EES1D_EEDaS18_S19_EUlS18_E_NS1_11comp_targetILNS1_3genE0ELNS1_11target_archE4294967295ELNS1_3gpuE0ELNS1_3repE0EEENS1_30default_config_static_selectorELNS0_4arch9wavefront6targetE0EEEvT1_: ; @_ZN7rocprim17ROCPRIM_400000_NS6detail17trampoline_kernelINS0_14default_configENS1_25partition_config_selectorILNS1_17partition_subalgoE9EijbEEZZNS1_14partition_implILS5_9ELb0ES3_jN6thrust23THRUST_200600_302600_NS6detail15normal_iteratorINS9_10device_ptrIiEEEENSB_INSC_IjEEEEPNS0_10empty_typeENS0_5tupleIJSE_SH_EEENSJ_IJNS9_16discard_iteratorINS9_11use_defaultEEESI_EEENS0_18inequality_wrapperINS9_8equal_toIiEEEEPmJSH_EEE10hipError_tPvRmT3_T4_T5_T6_T7_T9_mT8_P12ihipStream_tbDpT10_ENKUlT_T0_E_clISt17integral_constantIbLb0EES1D_EEDaS18_S19_EUlS18_E_NS1_11comp_targetILNS1_3genE0ELNS1_11target_archE4294967295ELNS1_3gpuE0ELNS1_3repE0EEENS1_30default_config_static_selectorELNS0_4arch9wavefront6targetE0EEEvT1_
; %bb.0:
	.section	.rodata,"a",@progbits
	.p2align	6, 0x0
	.amdhsa_kernel _ZN7rocprim17ROCPRIM_400000_NS6detail17trampoline_kernelINS0_14default_configENS1_25partition_config_selectorILNS1_17partition_subalgoE9EijbEEZZNS1_14partition_implILS5_9ELb0ES3_jN6thrust23THRUST_200600_302600_NS6detail15normal_iteratorINS9_10device_ptrIiEEEENSB_INSC_IjEEEEPNS0_10empty_typeENS0_5tupleIJSE_SH_EEENSJ_IJNS9_16discard_iteratorINS9_11use_defaultEEESI_EEENS0_18inequality_wrapperINS9_8equal_toIiEEEEPmJSH_EEE10hipError_tPvRmT3_T4_T5_T6_T7_T9_mT8_P12ihipStream_tbDpT10_ENKUlT_T0_E_clISt17integral_constantIbLb0EES1D_EEDaS18_S19_EUlS18_E_NS1_11comp_targetILNS1_3genE0ELNS1_11target_archE4294967295ELNS1_3gpuE0ELNS1_3repE0EEENS1_30default_config_static_selectorELNS0_4arch9wavefront6targetE0EEEvT1_
		.amdhsa_group_segment_fixed_size 0
		.amdhsa_private_segment_fixed_size 0
		.amdhsa_kernarg_size 120
		.amdhsa_user_sgpr_count 15
		.amdhsa_user_sgpr_dispatch_ptr 0
		.amdhsa_user_sgpr_queue_ptr 0
		.amdhsa_user_sgpr_kernarg_segment_ptr 1
		.amdhsa_user_sgpr_dispatch_id 0
		.amdhsa_user_sgpr_private_segment_size 0
		.amdhsa_wavefront_size32 1
		.amdhsa_uses_dynamic_stack 0
		.amdhsa_enable_private_segment 0
		.amdhsa_system_sgpr_workgroup_id_x 1
		.amdhsa_system_sgpr_workgroup_id_y 0
		.amdhsa_system_sgpr_workgroup_id_z 0
		.amdhsa_system_sgpr_workgroup_info 0
		.amdhsa_system_vgpr_workitem_id 0
		.amdhsa_next_free_vgpr 1
		.amdhsa_next_free_sgpr 1
		.amdhsa_reserve_vcc 0
		.amdhsa_float_round_mode_32 0
		.amdhsa_float_round_mode_16_64 0
		.amdhsa_float_denorm_mode_32 3
		.amdhsa_float_denorm_mode_16_64 3
		.amdhsa_dx10_clamp 1
		.amdhsa_ieee_mode 1
		.amdhsa_fp16_overflow 0
		.amdhsa_workgroup_processor_mode 1
		.amdhsa_memory_ordered 1
		.amdhsa_forward_progress 0
		.amdhsa_shared_vgpr_count 0
		.amdhsa_exception_fp_ieee_invalid_op 0
		.amdhsa_exception_fp_denorm_src 0
		.amdhsa_exception_fp_ieee_div_zero 0
		.amdhsa_exception_fp_ieee_overflow 0
		.amdhsa_exception_fp_ieee_underflow 0
		.amdhsa_exception_fp_ieee_inexact 0
		.amdhsa_exception_int_div_zero 0
	.end_amdhsa_kernel
	.section	.text._ZN7rocprim17ROCPRIM_400000_NS6detail17trampoline_kernelINS0_14default_configENS1_25partition_config_selectorILNS1_17partition_subalgoE9EijbEEZZNS1_14partition_implILS5_9ELb0ES3_jN6thrust23THRUST_200600_302600_NS6detail15normal_iteratorINS9_10device_ptrIiEEEENSB_INSC_IjEEEEPNS0_10empty_typeENS0_5tupleIJSE_SH_EEENSJ_IJNS9_16discard_iteratorINS9_11use_defaultEEESI_EEENS0_18inequality_wrapperINS9_8equal_toIiEEEEPmJSH_EEE10hipError_tPvRmT3_T4_T5_T6_T7_T9_mT8_P12ihipStream_tbDpT10_ENKUlT_T0_E_clISt17integral_constantIbLb0EES1D_EEDaS18_S19_EUlS18_E_NS1_11comp_targetILNS1_3genE0ELNS1_11target_archE4294967295ELNS1_3gpuE0ELNS1_3repE0EEENS1_30default_config_static_selectorELNS0_4arch9wavefront6targetE0EEEvT1_,"axG",@progbits,_ZN7rocprim17ROCPRIM_400000_NS6detail17trampoline_kernelINS0_14default_configENS1_25partition_config_selectorILNS1_17partition_subalgoE9EijbEEZZNS1_14partition_implILS5_9ELb0ES3_jN6thrust23THRUST_200600_302600_NS6detail15normal_iteratorINS9_10device_ptrIiEEEENSB_INSC_IjEEEEPNS0_10empty_typeENS0_5tupleIJSE_SH_EEENSJ_IJNS9_16discard_iteratorINS9_11use_defaultEEESI_EEENS0_18inequality_wrapperINS9_8equal_toIiEEEEPmJSH_EEE10hipError_tPvRmT3_T4_T5_T6_T7_T9_mT8_P12ihipStream_tbDpT10_ENKUlT_T0_E_clISt17integral_constantIbLb0EES1D_EEDaS18_S19_EUlS18_E_NS1_11comp_targetILNS1_3genE0ELNS1_11target_archE4294967295ELNS1_3gpuE0ELNS1_3repE0EEENS1_30default_config_static_selectorELNS0_4arch9wavefront6targetE0EEEvT1_,comdat
.Lfunc_end1109:
	.size	_ZN7rocprim17ROCPRIM_400000_NS6detail17trampoline_kernelINS0_14default_configENS1_25partition_config_selectorILNS1_17partition_subalgoE9EijbEEZZNS1_14partition_implILS5_9ELb0ES3_jN6thrust23THRUST_200600_302600_NS6detail15normal_iteratorINS9_10device_ptrIiEEEENSB_INSC_IjEEEEPNS0_10empty_typeENS0_5tupleIJSE_SH_EEENSJ_IJNS9_16discard_iteratorINS9_11use_defaultEEESI_EEENS0_18inequality_wrapperINS9_8equal_toIiEEEEPmJSH_EEE10hipError_tPvRmT3_T4_T5_T6_T7_T9_mT8_P12ihipStream_tbDpT10_ENKUlT_T0_E_clISt17integral_constantIbLb0EES1D_EEDaS18_S19_EUlS18_E_NS1_11comp_targetILNS1_3genE0ELNS1_11target_archE4294967295ELNS1_3gpuE0ELNS1_3repE0EEENS1_30default_config_static_selectorELNS0_4arch9wavefront6targetE0EEEvT1_, .Lfunc_end1109-_ZN7rocprim17ROCPRIM_400000_NS6detail17trampoline_kernelINS0_14default_configENS1_25partition_config_selectorILNS1_17partition_subalgoE9EijbEEZZNS1_14partition_implILS5_9ELb0ES3_jN6thrust23THRUST_200600_302600_NS6detail15normal_iteratorINS9_10device_ptrIiEEEENSB_INSC_IjEEEEPNS0_10empty_typeENS0_5tupleIJSE_SH_EEENSJ_IJNS9_16discard_iteratorINS9_11use_defaultEEESI_EEENS0_18inequality_wrapperINS9_8equal_toIiEEEEPmJSH_EEE10hipError_tPvRmT3_T4_T5_T6_T7_T9_mT8_P12ihipStream_tbDpT10_ENKUlT_T0_E_clISt17integral_constantIbLb0EES1D_EEDaS18_S19_EUlS18_E_NS1_11comp_targetILNS1_3genE0ELNS1_11target_archE4294967295ELNS1_3gpuE0ELNS1_3repE0EEENS1_30default_config_static_selectorELNS0_4arch9wavefront6targetE0EEEvT1_
                                        ; -- End function
	.section	.AMDGPU.csdata,"",@progbits
; Kernel info:
; codeLenInByte = 0
; NumSgprs: 0
; NumVgprs: 0
; ScratchSize: 0
; MemoryBound: 0
; FloatMode: 240
; IeeeMode: 1
; LDSByteSize: 0 bytes/workgroup (compile time only)
; SGPRBlocks: 0
; VGPRBlocks: 0
; NumSGPRsForWavesPerEU: 1
; NumVGPRsForWavesPerEU: 1
; Occupancy: 16
; WaveLimiterHint : 0
; COMPUTE_PGM_RSRC2:SCRATCH_EN: 0
; COMPUTE_PGM_RSRC2:USER_SGPR: 15
; COMPUTE_PGM_RSRC2:TRAP_HANDLER: 0
; COMPUTE_PGM_RSRC2:TGID_X_EN: 1
; COMPUTE_PGM_RSRC2:TGID_Y_EN: 0
; COMPUTE_PGM_RSRC2:TGID_Z_EN: 0
; COMPUTE_PGM_RSRC2:TIDIG_COMP_CNT: 0
	.section	.text._ZN7rocprim17ROCPRIM_400000_NS6detail17trampoline_kernelINS0_14default_configENS1_25partition_config_selectorILNS1_17partition_subalgoE9EijbEEZZNS1_14partition_implILS5_9ELb0ES3_jN6thrust23THRUST_200600_302600_NS6detail15normal_iteratorINS9_10device_ptrIiEEEENSB_INSC_IjEEEEPNS0_10empty_typeENS0_5tupleIJSE_SH_EEENSJ_IJNS9_16discard_iteratorINS9_11use_defaultEEESI_EEENS0_18inequality_wrapperINS9_8equal_toIiEEEEPmJSH_EEE10hipError_tPvRmT3_T4_T5_T6_T7_T9_mT8_P12ihipStream_tbDpT10_ENKUlT_T0_E_clISt17integral_constantIbLb0EES1D_EEDaS18_S19_EUlS18_E_NS1_11comp_targetILNS1_3genE5ELNS1_11target_archE942ELNS1_3gpuE9ELNS1_3repE0EEENS1_30default_config_static_selectorELNS0_4arch9wavefront6targetE0EEEvT1_,"axG",@progbits,_ZN7rocprim17ROCPRIM_400000_NS6detail17trampoline_kernelINS0_14default_configENS1_25partition_config_selectorILNS1_17partition_subalgoE9EijbEEZZNS1_14partition_implILS5_9ELb0ES3_jN6thrust23THRUST_200600_302600_NS6detail15normal_iteratorINS9_10device_ptrIiEEEENSB_INSC_IjEEEEPNS0_10empty_typeENS0_5tupleIJSE_SH_EEENSJ_IJNS9_16discard_iteratorINS9_11use_defaultEEESI_EEENS0_18inequality_wrapperINS9_8equal_toIiEEEEPmJSH_EEE10hipError_tPvRmT3_T4_T5_T6_T7_T9_mT8_P12ihipStream_tbDpT10_ENKUlT_T0_E_clISt17integral_constantIbLb0EES1D_EEDaS18_S19_EUlS18_E_NS1_11comp_targetILNS1_3genE5ELNS1_11target_archE942ELNS1_3gpuE9ELNS1_3repE0EEENS1_30default_config_static_selectorELNS0_4arch9wavefront6targetE0EEEvT1_,comdat
	.protected	_ZN7rocprim17ROCPRIM_400000_NS6detail17trampoline_kernelINS0_14default_configENS1_25partition_config_selectorILNS1_17partition_subalgoE9EijbEEZZNS1_14partition_implILS5_9ELb0ES3_jN6thrust23THRUST_200600_302600_NS6detail15normal_iteratorINS9_10device_ptrIiEEEENSB_INSC_IjEEEEPNS0_10empty_typeENS0_5tupleIJSE_SH_EEENSJ_IJNS9_16discard_iteratorINS9_11use_defaultEEESI_EEENS0_18inequality_wrapperINS9_8equal_toIiEEEEPmJSH_EEE10hipError_tPvRmT3_T4_T5_T6_T7_T9_mT8_P12ihipStream_tbDpT10_ENKUlT_T0_E_clISt17integral_constantIbLb0EES1D_EEDaS18_S19_EUlS18_E_NS1_11comp_targetILNS1_3genE5ELNS1_11target_archE942ELNS1_3gpuE9ELNS1_3repE0EEENS1_30default_config_static_selectorELNS0_4arch9wavefront6targetE0EEEvT1_ ; -- Begin function _ZN7rocprim17ROCPRIM_400000_NS6detail17trampoline_kernelINS0_14default_configENS1_25partition_config_selectorILNS1_17partition_subalgoE9EijbEEZZNS1_14partition_implILS5_9ELb0ES3_jN6thrust23THRUST_200600_302600_NS6detail15normal_iteratorINS9_10device_ptrIiEEEENSB_INSC_IjEEEEPNS0_10empty_typeENS0_5tupleIJSE_SH_EEENSJ_IJNS9_16discard_iteratorINS9_11use_defaultEEESI_EEENS0_18inequality_wrapperINS9_8equal_toIiEEEEPmJSH_EEE10hipError_tPvRmT3_T4_T5_T6_T7_T9_mT8_P12ihipStream_tbDpT10_ENKUlT_T0_E_clISt17integral_constantIbLb0EES1D_EEDaS18_S19_EUlS18_E_NS1_11comp_targetILNS1_3genE5ELNS1_11target_archE942ELNS1_3gpuE9ELNS1_3repE0EEENS1_30default_config_static_selectorELNS0_4arch9wavefront6targetE0EEEvT1_
	.globl	_ZN7rocprim17ROCPRIM_400000_NS6detail17trampoline_kernelINS0_14default_configENS1_25partition_config_selectorILNS1_17partition_subalgoE9EijbEEZZNS1_14partition_implILS5_9ELb0ES3_jN6thrust23THRUST_200600_302600_NS6detail15normal_iteratorINS9_10device_ptrIiEEEENSB_INSC_IjEEEEPNS0_10empty_typeENS0_5tupleIJSE_SH_EEENSJ_IJNS9_16discard_iteratorINS9_11use_defaultEEESI_EEENS0_18inequality_wrapperINS9_8equal_toIiEEEEPmJSH_EEE10hipError_tPvRmT3_T4_T5_T6_T7_T9_mT8_P12ihipStream_tbDpT10_ENKUlT_T0_E_clISt17integral_constantIbLb0EES1D_EEDaS18_S19_EUlS18_E_NS1_11comp_targetILNS1_3genE5ELNS1_11target_archE942ELNS1_3gpuE9ELNS1_3repE0EEENS1_30default_config_static_selectorELNS0_4arch9wavefront6targetE0EEEvT1_
	.p2align	8
	.type	_ZN7rocprim17ROCPRIM_400000_NS6detail17trampoline_kernelINS0_14default_configENS1_25partition_config_selectorILNS1_17partition_subalgoE9EijbEEZZNS1_14partition_implILS5_9ELb0ES3_jN6thrust23THRUST_200600_302600_NS6detail15normal_iteratorINS9_10device_ptrIiEEEENSB_INSC_IjEEEEPNS0_10empty_typeENS0_5tupleIJSE_SH_EEENSJ_IJNS9_16discard_iteratorINS9_11use_defaultEEESI_EEENS0_18inequality_wrapperINS9_8equal_toIiEEEEPmJSH_EEE10hipError_tPvRmT3_T4_T5_T6_T7_T9_mT8_P12ihipStream_tbDpT10_ENKUlT_T0_E_clISt17integral_constantIbLb0EES1D_EEDaS18_S19_EUlS18_E_NS1_11comp_targetILNS1_3genE5ELNS1_11target_archE942ELNS1_3gpuE9ELNS1_3repE0EEENS1_30default_config_static_selectorELNS0_4arch9wavefront6targetE0EEEvT1_,@function
_ZN7rocprim17ROCPRIM_400000_NS6detail17trampoline_kernelINS0_14default_configENS1_25partition_config_selectorILNS1_17partition_subalgoE9EijbEEZZNS1_14partition_implILS5_9ELb0ES3_jN6thrust23THRUST_200600_302600_NS6detail15normal_iteratorINS9_10device_ptrIiEEEENSB_INSC_IjEEEEPNS0_10empty_typeENS0_5tupleIJSE_SH_EEENSJ_IJNS9_16discard_iteratorINS9_11use_defaultEEESI_EEENS0_18inequality_wrapperINS9_8equal_toIiEEEEPmJSH_EEE10hipError_tPvRmT3_T4_T5_T6_T7_T9_mT8_P12ihipStream_tbDpT10_ENKUlT_T0_E_clISt17integral_constantIbLb0EES1D_EEDaS18_S19_EUlS18_E_NS1_11comp_targetILNS1_3genE5ELNS1_11target_archE942ELNS1_3gpuE9ELNS1_3repE0EEENS1_30default_config_static_selectorELNS0_4arch9wavefront6targetE0EEEvT1_: ; @_ZN7rocprim17ROCPRIM_400000_NS6detail17trampoline_kernelINS0_14default_configENS1_25partition_config_selectorILNS1_17partition_subalgoE9EijbEEZZNS1_14partition_implILS5_9ELb0ES3_jN6thrust23THRUST_200600_302600_NS6detail15normal_iteratorINS9_10device_ptrIiEEEENSB_INSC_IjEEEEPNS0_10empty_typeENS0_5tupleIJSE_SH_EEENSJ_IJNS9_16discard_iteratorINS9_11use_defaultEEESI_EEENS0_18inequality_wrapperINS9_8equal_toIiEEEEPmJSH_EEE10hipError_tPvRmT3_T4_T5_T6_T7_T9_mT8_P12ihipStream_tbDpT10_ENKUlT_T0_E_clISt17integral_constantIbLb0EES1D_EEDaS18_S19_EUlS18_E_NS1_11comp_targetILNS1_3genE5ELNS1_11target_archE942ELNS1_3gpuE9ELNS1_3repE0EEENS1_30default_config_static_selectorELNS0_4arch9wavefront6targetE0EEEvT1_
; %bb.0:
	.section	.rodata,"a",@progbits
	.p2align	6, 0x0
	.amdhsa_kernel _ZN7rocprim17ROCPRIM_400000_NS6detail17trampoline_kernelINS0_14default_configENS1_25partition_config_selectorILNS1_17partition_subalgoE9EijbEEZZNS1_14partition_implILS5_9ELb0ES3_jN6thrust23THRUST_200600_302600_NS6detail15normal_iteratorINS9_10device_ptrIiEEEENSB_INSC_IjEEEEPNS0_10empty_typeENS0_5tupleIJSE_SH_EEENSJ_IJNS9_16discard_iteratorINS9_11use_defaultEEESI_EEENS0_18inequality_wrapperINS9_8equal_toIiEEEEPmJSH_EEE10hipError_tPvRmT3_T4_T5_T6_T7_T9_mT8_P12ihipStream_tbDpT10_ENKUlT_T0_E_clISt17integral_constantIbLb0EES1D_EEDaS18_S19_EUlS18_E_NS1_11comp_targetILNS1_3genE5ELNS1_11target_archE942ELNS1_3gpuE9ELNS1_3repE0EEENS1_30default_config_static_selectorELNS0_4arch9wavefront6targetE0EEEvT1_
		.amdhsa_group_segment_fixed_size 0
		.amdhsa_private_segment_fixed_size 0
		.amdhsa_kernarg_size 120
		.amdhsa_user_sgpr_count 15
		.amdhsa_user_sgpr_dispatch_ptr 0
		.amdhsa_user_sgpr_queue_ptr 0
		.amdhsa_user_sgpr_kernarg_segment_ptr 1
		.amdhsa_user_sgpr_dispatch_id 0
		.amdhsa_user_sgpr_private_segment_size 0
		.amdhsa_wavefront_size32 1
		.amdhsa_uses_dynamic_stack 0
		.amdhsa_enable_private_segment 0
		.amdhsa_system_sgpr_workgroup_id_x 1
		.amdhsa_system_sgpr_workgroup_id_y 0
		.amdhsa_system_sgpr_workgroup_id_z 0
		.amdhsa_system_sgpr_workgroup_info 0
		.amdhsa_system_vgpr_workitem_id 0
		.amdhsa_next_free_vgpr 1
		.amdhsa_next_free_sgpr 1
		.amdhsa_reserve_vcc 0
		.amdhsa_float_round_mode_32 0
		.amdhsa_float_round_mode_16_64 0
		.amdhsa_float_denorm_mode_32 3
		.amdhsa_float_denorm_mode_16_64 3
		.amdhsa_dx10_clamp 1
		.amdhsa_ieee_mode 1
		.amdhsa_fp16_overflow 0
		.amdhsa_workgroup_processor_mode 1
		.amdhsa_memory_ordered 1
		.amdhsa_forward_progress 0
		.amdhsa_shared_vgpr_count 0
		.amdhsa_exception_fp_ieee_invalid_op 0
		.amdhsa_exception_fp_denorm_src 0
		.amdhsa_exception_fp_ieee_div_zero 0
		.amdhsa_exception_fp_ieee_overflow 0
		.amdhsa_exception_fp_ieee_underflow 0
		.amdhsa_exception_fp_ieee_inexact 0
		.amdhsa_exception_int_div_zero 0
	.end_amdhsa_kernel
	.section	.text._ZN7rocprim17ROCPRIM_400000_NS6detail17trampoline_kernelINS0_14default_configENS1_25partition_config_selectorILNS1_17partition_subalgoE9EijbEEZZNS1_14partition_implILS5_9ELb0ES3_jN6thrust23THRUST_200600_302600_NS6detail15normal_iteratorINS9_10device_ptrIiEEEENSB_INSC_IjEEEEPNS0_10empty_typeENS0_5tupleIJSE_SH_EEENSJ_IJNS9_16discard_iteratorINS9_11use_defaultEEESI_EEENS0_18inequality_wrapperINS9_8equal_toIiEEEEPmJSH_EEE10hipError_tPvRmT3_T4_T5_T6_T7_T9_mT8_P12ihipStream_tbDpT10_ENKUlT_T0_E_clISt17integral_constantIbLb0EES1D_EEDaS18_S19_EUlS18_E_NS1_11comp_targetILNS1_3genE5ELNS1_11target_archE942ELNS1_3gpuE9ELNS1_3repE0EEENS1_30default_config_static_selectorELNS0_4arch9wavefront6targetE0EEEvT1_,"axG",@progbits,_ZN7rocprim17ROCPRIM_400000_NS6detail17trampoline_kernelINS0_14default_configENS1_25partition_config_selectorILNS1_17partition_subalgoE9EijbEEZZNS1_14partition_implILS5_9ELb0ES3_jN6thrust23THRUST_200600_302600_NS6detail15normal_iteratorINS9_10device_ptrIiEEEENSB_INSC_IjEEEEPNS0_10empty_typeENS0_5tupleIJSE_SH_EEENSJ_IJNS9_16discard_iteratorINS9_11use_defaultEEESI_EEENS0_18inequality_wrapperINS9_8equal_toIiEEEEPmJSH_EEE10hipError_tPvRmT3_T4_T5_T6_T7_T9_mT8_P12ihipStream_tbDpT10_ENKUlT_T0_E_clISt17integral_constantIbLb0EES1D_EEDaS18_S19_EUlS18_E_NS1_11comp_targetILNS1_3genE5ELNS1_11target_archE942ELNS1_3gpuE9ELNS1_3repE0EEENS1_30default_config_static_selectorELNS0_4arch9wavefront6targetE0EEEvT1_,comdat
.Lfunc_end1110:
	.size	_ZN7rocprim17ROCPRIM_400000_NS6detail17trampoline_kernelINS0_14default_configENS1_25partition_config_selectorILNS1_17partition_subalgoE9EijbEEZZNS1_14partition_implILS5_9ELb0ES3_jN6thrust23THRUST_200600_302600_NS6detail15normal_iteratorINS9_10device_ptrIiEEEENSB_INSC_IjEEEEPNS0_10empty_typeENS0_5tupleIJSE_SH_EEENSJ_IJNS9_16discard_iteratorINS9_11use_defaultEEESI_EEENS0_18inequality_wrapperINS9_8equal_toIiEEEEPmJSH_EEE10hipError_tPvRmT3_T4_T5_T6_T7_T9_mT8_P12ihipStream_tbDpT10_ENKUlT_T0_E_clISt17integral_constantIbLb0EES1D_EEDaS18_S19_EUlS18_E_NS1_11comp_targetILNS1_3genE5ELNS1_11target_archE942ELNS1_3gpuE9ELNS1_3repE0EEENS1_30default_config_static_selectorELNS0_4arch9wavefront6targetE0EEEvT1_, .Lfunc_end1110-_ZN7rocprim17ROCPRIM_400000_NS6detail17trampoline_kernelINS0_14default_configENS1_25partition_config_selectorILNS1_17partition_subalgoE9EijbEEZZNS1_14partition_implILS5_9ELb0ES3_jN6thrust23THRUST_200600_302600_NS6detail15normal_iteratorINS9_10device_ptrIiEEEENSB_INSC_IjEEEEPNS0_10empty_typeENS0_5tupleIJSE_SH_EEENSJ_IJNS9_16discard_iteratorINS9_11use_defaultEEESI_EEENS0_18inequality_wrapperINS9_8equal_toIiEEEEPmJSH_EEE10hipError_tPvRmT3_T4_T5_T6_T7_T9_mT8_P12ihipStream_tbDpT10_ENKUlT_T0_E_clISt17integral_constantIbLb0EES1D_EEDaS18_S19_EUlS18_E_NS1_11comp_targetILNS1_3genE5ELNS1_11target_archE942ELNS1_3gpuE9ELNS1_3repE0EEENS1_30default_config_static_selectorELNS0_4arch9wavefront6targetE0EEEvT1_
                                        ; -- End function
	.section	.AMDGPU.csdata,"",@progbits
; Kernel info:
; codeLenInByte = 0
; NumSgprs: 0
; NumVgprs: 0
; ScratchSize: 0
; MemoryBound: 0
; FloatMode: 240
; IeeeMode: 1
; LDSByteSize: 0 bytes/workgroup (compile time only)
; SGPRBlocks: 0
; VGPRBlocks: 0
; NumSGPRsForWavesPerEU: 1
; NumVGPRsForWavesPerEU: 1
; Occupancy: 16
; WaveLimiterHint : 0
; COMPUTE_PGM_RSRC2:SCRATCH_EN: 0
; COMPUTE_PGM_RSRC2:USER_SGPR: 15
; COMPUTE_PGM_RSRC2:TRAP_HANDLER: 0
; COMPUTE_PGM_RSRC2:TGID_X_EN: 1
; COMPUTE_PGM_RSRC2:TGID_Y_EN: 0
; COMPUTE_PGM_RSRC2:TGID_Z_EN: 0
; COMPUTE_PGM_RSRC2:TIDIG_COMP_CNT: 0
	.section	.text._ZN7rocprim17ROCPRIM_400000_NS6detail17trampoline_kernelINS0_14default_configENS1_25partition_config_selectorILNS1_17partition_subalgoE9EijbEEZZNS1_14partition_implILS5_9ELb0ES3_jN6thrust23THRUST_200600_302600_NS6detail15normal_iteratorINS9_10device_ptrIiEEEENSB_INSC_IjEEEEPNS0_10empty_typeENS0_5tupleIJSE_SH_EEENSJ_IJNS9_16discard_iteratorINS9_11use_defaultEEESI_EEENS0_18inequality_wrapperINS9_8equal_toIiEEEEPmJSH_EEE10hipError_tPvRmT3_T4_T5_T6_T7_T9_mT8_P12ihipStream_tbDpT10_ENKUlT_T0_E_clISt17integral_constantIbLb0EES1D_EEDaS18_S19_EUlS18_E_NS1_11comp_targetILNS1_3genE4ELNS1_11target_archE910ELNS1_3gpuE8ELNS1_3repE0EEENS1_30default_config_static_selectorELNS0_4arch9wavefront6targetE0EEEvT1_,"axG",@progbits,_ZN7rocprim17ROCPRIM_400000_NS6detail17trampoline_kernelINS0_14default_configENS1_25partition_config_selectorILNS1_17partition_subalgoE9EijbEEZZNS1_14partition_implILS5_9ELb0ES3_jN6thrust23THRUST_200600_302600_NS6detail15normal_iteratorINS9_10device_ptrIiEEEENSB_INSC_IjEEEEPNS0_10empty_typeENS0_5tupleIJSE_SH_EEENSJ_IJNS9_16discard_iteratorINS9_11use_defaultEEESI_EEENS0_18inequality_wrapperINS9_8equal_toIiEEEEPmJSH_EEE10hipError_tPvRmT3_T4_T5_T6_T7_T9_mT8_P12ihipStream_tbDpT10_ENKUlT_T0_E_clISt17integral_constantIbLb0EES1D_EEDaS18_S19_EUlS18_E_NS1_11comp_targetILNS1_3genE4ELNS1_11target_archE910ELNS1_3gpuE8ELNS1_3repE0EEENS1_30default_config_static_selectorELNS0_4arch9wavefront6targetE0EEEvT1_,comdat
	.protected	_ZN7rocprim17ROCPRIM_400000_NS6detail17trampoline_kernelINS0_14default_configENS1_25partition_config_selectorILNS1_17partition_subalgoE9EijbEEZZNS1_14partition_implILS5_9ELb0ES3_jN6thrust23THRUST_200600_302600_NS6detail15normal_iteratorINS9_10device_ptrIiEEEENSB_INSC_IjEEEEPNS0_10empty_typeENS0_5tupleIJSE_SH_EEENSJ_IJNS9_16discard_iteratorINS9_11use_defaultEEESI_EEENS0_18inequality_wrapperINS9_8equal_toIiEEEEPmJSH_EEE10hipError_tPvRmT3_T4_T5_T6_T7_T9_mT8_P12ihipStream_tbDpT10_ENKUlT_T0_E_clISt17integral_constantIbLb0EES1D_EEDaS18_S19_EUlS18_E_NS1_11comp_targetILNS1_3genE4ELNS1_11target_archE910ELNS1_3gpuE8ELNS1_3repE0EEENS1_30default_config_static_selectorELNS0_4arch9wavefront6targetE0EEEvT1_ ; -- Begin function _ZN7rocprim17ROCPRIM_400000_NS6detail17trampoline_kernelINS0_14default_configENS1_25partition_config_selectorILNS1_17partition_subalgoE9EijbEEZZNS1_14partition_implILS5_9ELb0ES3_jN6thrust23THRUST_200600_302600_NS6detail15normal_iteratorINS9_10device_ptrIiEEEENSB_INSC_IjEEEEPNS0_10empty_typeENS0_5tupleIJSE_SH_EEENSJ_IJNS9_16discard_iteratorINS9_11use_defaultEEESI_EEENS0_18inequality_wrapperINS9_8equal_toIiEEEEPmJSH_EEE10hipError_tPvRmT3_T4_T5_T6_T7_T9_mT8_P12ihipStream_tbDpT10_ENKUlT_T0_E_clISt17integral_constantIbLb0EES1D_EEDaS18_S19_EUlS18_E_NS1_11comp_targetILNS1_3genE4ELNS1_11target_archE910ELNS1_3gpuE8ELNS1_3repE0EEENS1_30default_config_static_selectorELNS0_4arch9wavefront6targetE0EEEvT1_
	.globl	_ZN7rocprim17ROCPRIM_400000_NS6detail17trampoline_kernelINS0_14default_configENS1_25partition_config_selectorILNS1_17partition_subalgoE9EijbEEZZNS1_14partition_implILS5_9ELb0ES3_jN6thrust23THRUST_200600_302600_NS6detail15normal_iteratorINS9_10device_ptrIiEEEENSB_INSC_IjEEEEPNS0_10empty_typeENS0_5tupleIJSE_SH_EEENSJ_IJNS9_16discard_iteratorINS9_11use_defaultEEESI_EEENS0_18inequality_wrapperINS9_8equal_toIiEEEEPmJSH_EEE10hipError_tPvRmT3_T4_T5_T6_T7_T9_mT8_P12ihipStream_tbDpT10_ENKUlT_T0_E_clISt17integral_constantIbLb0EES1D_EEDaS18_S19_EUlS18_E_NS1_11comp_targetILNS1_3genE4ELNS1_11target_archE910ELNS1_3gpuE8ELNS1_3repE0EEENS1_30default_config_static_selectorELNS0_4arch9wavefront6targetE0EEEvT1_
	.p2align	8
	.type	_ZN7rocprim17ROCPRIM_400000_NS6detail17trampoline_kernelINS0_14default_configENS1_25partition_config_selectorILNS1_17partition_subalgoE9EijbEEZZNS1_14partition_implILS5_9ELb0ES3_jN6thrust23THRUST_200600_302600_NS6detail15normal_iteratorINS9_10device_ptrIiEEEENSB_INSC_IjEEEEPNS0_10empty_typeENS0_5tupleIJSE_SH_EEENSJ_IJNS9_16discard_iteratorINS9_11use_defaultEEESI_EEENS0_18inequality_wrapperINS9_8equal_toIiEEEEPmJSH_EEE10hipError_tPvRmT3_T4_T5_T6_T7_T9_mT8_P12ihipStream_tbDpT10_ENKUlT_T0_E_clISt17integral_constantIbLb0EES1D_EEDaS18_S19_EUlS18_E_NS1_11comp_targetILNS1_3genE4ELNS1_11target_archE910ELNS1_3gpuE8ELNS1_3repE0EEENS1_30default_config_static_selectorELNS0_4arch9wavefront6targetE0EEEvT1_,@function
_ZN7rocprim17ROCPRIM_400000_NS6detail17trampoline_kernelINS0_14default_configENS1_25partition_config_selectorILNS1_17partition_subalgoE9EijbEEZZNS1_14partition_implILS5_9ELb0ES3_jN6thrust23THRUST_200600_302600_NS6detail15normal_iteratorINS9_10device_ptrIiEEEENSB_INSC_IjEEEEPNS0_10empty_typeENS0_5tupleIJSE_SH_EEENSJ_IJNS9_16discard_iteratorINS9_11use_defaultEEESI_EEENS0_18inequality_wrapperINS9_8equal_toIiEEEEPmJSH_EEE10hipError_tPvRmT3_T4_T5_T6_T7_T9_mT8_P12ihipStream_tbDpT10_ENKUlT_T0_E_clISt17integral_constantIbLb0EES1D_EEDaS18_S19_EUlS18_E_NS1_11comp_targetILNS1_3genE4ELNS1_11target_archE910ELNS1_3gpuE8ELNS1_3repE0EEENS1_30default_config_static_selectorELNS0_4arch9wavefront6targetE0EEEvT1_: ; @_ZN7rocprim17ROCPRIM_400000_NS6detail17trampoline_kernelINS0_14default_configENS1_25partition_config_selectorILNS1_17partition_subalgoE9EijbEEZZNS1_14partition_implILS5_9ELb0ES3_jN6thrust23THRUST_200600_302600_NS6detail15normal_iteratorINS9_10device_ptrIiEEEENSB_INSC_IjEEEEPNS0_10empty_typeENS0_5tupleIJSE_SH_EEENSJ_IJNS9_16discard_iteratorINS9_11use_defaultEEESI_EEENS0_18inequality_wrapperINS9_8equal_toIiEEEEPmJSH_EEE10hipError_tPvRmT3_T4_T5_T6_T7_T9_mT8_P12ihipStream_tbDpT10_ENKUlT_T0_E_clISt17integral_constantIbLb0EES1D_EEDaS18_S19_EUlS18_E_NS1_11comp_targetILNS1_3genE4ELNS1_11target_archE910ELNS1_3gpuE8ELNS1_3repE0EEENS1_30default_config_static_selectorELNS0_4arch9wavefront6targetE0EEEvT1_
; %bb.0:
	.section	.rodata,"a",@progbits
	.p2align	6, 0x0
	.amdhsa_kernel _ZN7rocprim17ROCPRIM_400000_NS6detail17trampoline_kernelINS0_14default_configENS1_25partition_config_selectorILNS1_17partition_subalgoE9EijbEEZZNS1_14partition_implILS5_9ELb0ES3_jN6thrust23THRUST_200600_302600_NS6detail15normal_iteratorINS9_10device_ptrIiEEEENSB_INSC_IjEEEEPNS0_10empty_typeENS0_5tupleIJSE_SH_EEENSJ_IJNS9_16discard_iteratorINS9_11use_defaultEEESI_EEENS0_18inequality_wrapperINS9_8equal_toIiEEEEPmJSH_EEE10hipError_tPvRmT3_T4_T5_T6_T7_T9_mT8_P12ihipStream_tbDpT10_ENKUlT_T0_E_clISt17integral_constantIbLb0EES1D_EEDaS18_S19_EUlS18_E_NS1_11comp_targetILNS1_3genE4ELNS1_11target_archE910ELNS1_3gpuE8ELNS1_3repE0EEENS1_30default_config_static_selectorELNS0_4arch9wavefront6targetE0EEEvT1_
		.amdhsa_group_segment_fixed_size 0
		.amdhsa_private_segment_fixed_size 0
		.amdhsa_kernarg_size 120
		.amdhsa_user_sgpr_count 15
		.amdhsa_user_sgpr_dispatch_ptr 0
		.amdhsa_user_sgpr_queue_ptr 0
		.amdhsa_user_sgpr_kernarg_segment_ptr 1
		.amdhsa_user_sgpr_dispatch_id 0
		.amdhsa_user_sgpr_private_segment_size 0
		.amdhsa_wavefront_size32 1
		.amdhsa_uses_dynamic_stack 0
		.amdhsa_enable_private_segment 0
		.amdhsa_system_sgpr_workgroup_id_x 1
		.amdhsa_system_sgpr_workgroup_id_y 0
		.amdhsa_system_sgpr_workgroup_id_z 0
		.amdhsa_system_sgpr_workgroup_info 0
		.amdhsa_system_vgpr_workitem_id 0
		.amdhsa_next_free_vgpr 1
		.amdhsa_next_free_sgpr 1
		.amdhsa_reserve_vcc 0
		.amdhsa_float_round_mode_32 0
		.amdhsa_float_round_mode_16_64 0
		.amdhsa_float_denorm_mode_32 3
		.amdhsa_float_denorm_mode_16_64 3
		.amdhsa_dx10_clamp 1
		.amdhsa_ieee_mode 1
		.amdhsa_fp16_overflow 0
		.amdhsa_workgroup_processor_mode 1
		.amdhsa_memory_ordered 1
		.amdhsa_forward_progress 0
		.amdhsa_shared_vgpr_count 0
		.amdhsa_exception_fp_ieee_invalid_op 0
		.amdhsa_exception_fp_denorm_src 0
		.amdhsa_exception_fp_ieee_div_zero 0
		.amdhsa_exception_fp_ieee_overflow 0
		.amdhsa_exception_fp_ieee_underflow 0
		.amdhsa_exception_fp_ieee_inexact 0
		.amdhsa_exception_int_div_zero 0
	.end_amdhsa_kernel
	.section	.text._ZN7rocprim17ROCPRIM_400000_NS6detail17trampoline_kernelINS0_14default_configENS1_25partition_config_selectorILNS1_17partition_subalgoE9EijbEEZZNS1_14partition_implILS5_9ELb0ES3_jN6thrust23THRUST_200600_302600_NS6detail15normal_iteratorINS9_10device_ptrIiEEEENSB_INSC_IjEEEEPNS0_10empty_typeENS0_5tupleIJSE_SH_EEENSJ_IJNS9_16discard_iteratorINS9_11use_defaultEEESI_EEENS0_18inequality_wrapperINS9_8equal_toIiEEEEPmJSH_EEE10hipError_tPvRmT3_T4_T5_T6_T7_T9_mT8_P12ihipStream_tbDpT10_ENKUlT_T0_E_clISt17integral_constantIbLb0EES1D_EEDaS18_S19_EUlS18_E_NS1_11comp_targetILNS1_3genE4ELNS1_11target_archE910ELNS1_3gpuE8ELNS1_3repE0EEENS1_30default_config_static_selectorELNS0_4arch9wavefront6targetE0EEEvT1_,"axG",@progbits,_ZN7rocprim17ROCPRIM_400000_NS6detail17trampoline_kernelINS0_14default_configENS1_25partition_config_selectorILNS1_17partition_subalgoE9EijbEEZZNS1_14partition_implILS5_9ELb0ES3_jN6thrust23THRUST_200600_302600_NS6detail15normal_iteratorINS9_10device_ptrIiEEEENSB_INSC_IjEEEEPNS0_10empty_typeENS0_5tupleIJSE_SH_EEENSJ_IJNS9_16discard_iteratorINS9_11use_defaultEEESI_EEENS0_18inequality_wrapperINS9_8equal_toIiEEEEPmJSH_EEE10hipError_tPvRmT3_T4_T5_T6_T7_T9_mT8_P12ihipStream_tbDpT10_ENKUlT_T0_E_clISt17integral_constantIbLb0EES1D_EEDaS18_S19_EUlS18_E_NS1_11comp_targetILNS1_3genE4ELNS1_11target_archE910ELNS1_3gpuE8ELNS1_3repE0EEENS1_30default_config_static_selectorELNS0_4arch9wavefront6targetE0EEEvT1_,comdat
.Lfunc_end1111:
	.size	_ZN7rocprim17ROCPRIM_400000_NS6detail17trampoline_kernelINS0_14default_configENS1_25partition_config_selectorILNS1_17partition_subalgoE9EijbEEZZNS1_14partition_implILS5_9ELb0ES3_jN6thrust23THRUST_200600_302600_NS6detail15normal_iteratorINS9_10device_ptrIiEEEENSB_INSC_IjEEEEPNS0_10empty_typeENS0_5tupleIJSE_SH_EEENSJ_IJNS9_16discard_iteratorINS9_11use_defaultEEESI_EEENS0_18inequality_wrapperINS9_8equal_toIiEEEEPmJSH_EEE10hipError_tPvRmT3_T4_T5_T6_T7_T9_mT8_P12ihipStream_tbDpT10_ENKUlT_T0_E_clISt17integral_constantIbLb0EES1D_EEDaS18_S19_EUlS18_E_NS1_11comp_targetILNS1_3genE4ELNS1_11target_archE910ELNS1_3gpuE8ELNS1_3repE0EEENS1_30default_config_static_selectorELNS0_4arch9wavefront6targetE0EEEvT1_, .Lfunc_end1111-_ZN7rocprim17ROCPRIM_400000_NS6detail17trampoline_kernelINS0_14default_configENS1_25partition_config_selectorILNS1_17partition_subalgoE9EijbEEZZNS1_14partition_implILS5_9ELb0ES3_jN6thrust23THRUST_200600_302600_NS6detail15normal_iteratorINS9_10device_ptrIiEEEENSB_INSC_IjEEEEPNS0_10empty_typeENS0_5tupleIJSE_SH_EEENSJ_IJNS9_16discard_iteratorINS9_11use_defaultEEESI_EEENS0_18inequality_wrapperINS9_8equal_toIiEEEEPmJSH_EEE10hipError_tPvRmT3_T4_T5_T6_T7_T9_mT8_P12ihipStream_tbDpT10_ENKUlT_T0_E_clISt17integral_constantIbLb0EES1D_EEDaS18_S19_EUlS18_E_NS1_11comp_targetILNS1_3genE4ELNS1_11target_archE910ELNS1_3gpuE8ELNS1_3repE0EEENS1_30default_config_static_selectorELNS0_4arch9wavefront6targetE0EEEvT1_
                                        ; -- End function
	.section	.AMDGPU.csdata,"",@progbits
; Kernel info:
; codeLenInByte = 0
; NumSgprs: 0
; NumVgprs: 0
; ScratchSize: 0
; MemoryBound: 0
; FloatMode: 240
; IeeeMode: 1
; LDSByteSize: 0 bytes/workgroup (compile time only)
; SGPRBlocks: 0
; VGPRBlocks: 0
; NumSGPRsForWavesPerEU: 1
; NumVGPRsForWavesPerEU: 1
; Occupancy: 15
; WaveLimiterHint : 0
; COMPUTE_PGM_RSRC2:SCRATCH_EN: 0
; COMPUTE_PGM_RSRC2:USER_SGPR: 15
; COMPUTE_PGM_RSRC2:TRAP_HANDLER: 0
; COMPUTE_PGM_RSRC2:TGID_X_EN: 1
; COMPUTE_PGM_RSRC2:TGID_Y_EN: 0
; COMPUTE_PGM_RSRC2:TGID_Z_EN: 0
; COMPUTE_PGM_RSRC2:TIDIG_COMP_CNT: 0
	.section	.text._ZN7rocprim17ROCPRIM_400000_NS6detail17trampoline_kernelINS0_14default_configENS1_25partition_config_selectorILNS1_17partition_subalgoE9EijbEEZZNS1_14partition_implILS5_9ELb0ES3_jN6thrust23THRUST_200600_302600_NS6detail15normal_iteratorINS9_10device_ptrIiEEEENSB_INSC_IjEEEEPNS0_10empty_typeENS0_5tupleIJSE_SH_EEENSJ_IJNS9_16discard_iteratorINS9_11use_defaultEEESI_EEENS0_18inequality_wrapperINS9_8equal_toIiEEEEPmJSH_EEE10hipError_tPvRmT3_T4_T5_T6_T7_T9_mT8_P12ihipStream_tbDpT10_ENKUlT_T0_E_clISt17integral_constantIbLb0EES1D_EEDaS18_S19_EUlS18_E_NS1_11comp_targetILNS1_3genE3ELNS1_11target_archE908ELNS1_3gpuE7ELNS1_3repE0EEENS1_30default_config_static_selectorELNS0_4arch9wavefront6targetE0EEEvT1_,"axG",@progbits,_ZN7rocprim17ROCPRIM_400000_NS6detail17trampoline_kernelINS0_14default_configENS1_25partition_config_selectorILNS1_17partition_subalgoE9EijbEEZZNS1_14partition_implILS5_9ELb0ES3_jN6thrust23THRUST_200600_302600_NS6detail15normal_iteratorINS9_10device_ptrIiEEEENSB_INSC_IjEEEEPNS0_10empty_typeENS0_5tupleIJSE_SH_EEENSJ_IJNS9_16discard_iteratorINS9_11use_defaultEEESI_EEENS0_18inequality_wrapperINS9_8equal_toIiEEEEPmJSH_EEE10hipError_tPvRmT3_T4_T5_T6_T7_T9_mT8_P12ihipStream_tbDpT10_ENKUlT_T0_E_clISt17integral_constantIbLb0EES1D_EEDaS18_S19_EUlS18_E_NS1_11comp_targetILNS1_3genE3ELNS1_11target_archE908ELNS1_3gpuE7ELNS1_3repE0EEENS1_30default_config_static_selectorELNS0_4arch9wavefront6targetE0EEEvT1_,comdat
	.protected	_ZN7rocprim17ROCPRIM_400000_NS6detail17trampoline_kernelINS0_14default_configENS1_25partition_config_selectorILNS1_17partition_subalgoE9EijbEEZZNS1_14partition_implILS5_9ELb0ES3_jN6thrust23THRUST_200600_302600_NS6detail15normal_iteratorINS9_10device_ptrIiEEEENSB_INSC_IjEEEEPNS0_10empty_typeENS0_5tupleIJSE_SH_EEENSJ_IJNS9_16discard_iteratorINS9_11use_defaultEEESI_EEENS0_18inequality_wrapperINS9_8equal_toIiEEEEPmJSH_EEE10hipError_tPvRmT3_T4_T5_T6_T7_T9_mT8_P12ihipStream_tbDpT10_ENKUlT_T0_E_clISt17integral_constantIbLb0EES1D_EEDaS18_S19_EUlS18_E_NS1_11comp_targetILNS1_3genE3ELNS1_11target_archE908ELNS1_3gpuE7ELNS1_3repE0EEENS1_30default_config_static_selectorELNS0_4arch9wavefront6targetE0EEEvT1_ ; -- Begin function _ZN7rocprim17ROCPRIM_400000_NS6detail17trampoline_kernelINS0_14default_configENS1_25partition_config_selectorILNS1_17partition_subalgoE9EijbEEZZNS1_14partition_implILS5_9ELb0ES3_jN6thrust23THRUST_200600_302600_NS6detail15normal_iteratorINS9_10device_ptrIiEEEENSB_INSC_IjEEEEPNS0_10empty_typeENS0_5tupleIJSE_SH_EEENSJ_IJNS9_16discard_iteratorINS9_11use_defaultEEESI_EEENS0_18inequality_wrapperINS9_8equal_toIiEEEEPmJSH_EEE10hipError_tPvRmT3_T4_T5_T6_T7_T9_mT8_P12ihipStream_tbDpT10_ENKUlT_T0_E_clISt17integral_constantIbLb0EES1D_EEDaS18_S19_EUlS18_E_NS1_11comp_targetILNS1_3genE3ELNS1_11target_archE908ELNS1_3gpuE7ELNS1_3repE0EEENS1_30default_config_static_selectorELNS0_4arch9wavefront6targetE0EEEvT1_
	.globl	_ZN7rocprim17ROCPRIM_400000_NS6detail17trampoline_kernelINS0_14default_configENS1_25partition_config_selectorILNS1_17partition_subalgoE9EijbEEZZNS1_14partition_implILS5_9ELb0ES3_jN6thrust23THRUST_200600_302600_NS6detail15normal_iteratorINS9_10device_ptrIiEEEENSB_INSC_IjEEEEPNS0_10empty_typeENS0_5tupleIJSE_SH_EEENSJ_IJNS9_16discard_iteratorINS9_11use_defaultEEESI_EEENS0_18inequality_wrapperINS9_8equal_toIiEEEEPmJSH_EEE10hipError_tPvRmT3_T4_T5_T6_T7_T9_mT8_P12ihipStream_tbDpT10_ENKUlT_T0_E_clISt17integral_constantIbLb0EES1D_EEDaS18_S19_EUlS18_E_NS1_11comp_targetILNS1_3genE3ELNS1_11target_archE908ELNS1_3gpuE7ELNS1_3repE0EEENS1_30default_config_static_selectorELNS0_4arch9wavefront6targetE0EEEvT1_
	.p2align	8
	.type	_ZN7rocprim17ROCPRIM_400000_NS6detail17trampoline_kernelINS0_14default_configENS1_25partition_config_selectorILNS1_17partition_subalgoE9EijbEEZZNS1_14partition_implILS5_9ELb0ES3_jN6thrust23THRUST_200600_302600_NS6detail15normal_iteratorINS9_10device_ptrIiEEEENSB_INSC_IjEEEEPNS0_10empty_typeENS0_5tupleIJSE_SH_EEENSJ_IJNS9_16discard_iteratorINS9_11use_defaultEEESI_EEENS0_18inequality_wrapperINS9_8equal_toIiEEEEPmJSH_EEE10hipError_tPvRmT3_T4_T5_T6_T7_T9_mT8_P12ihipStream_tbDpT10_ENKUlT_T0_E_clISt17integral_constantIbLb0EES1D_EEDaS18_S19_EUlS18_E_NS1_11comp_targetILNS1_3genE3ELNS1_11target_archE908ELNS1_3gpuE7ELNS1_3repE0EEENS1_30default_config_static_selectorELNS0_4arch9wavefront6targetE0EEEvT1_,@function
_ZN7rocprim17ROCPRIM_400000_NS6detail17trampoline_kernelINS0_14default_configENS1_25partition_config_selectorILNS1_17partition_subalgoE9EijbEEZZNS1_14partition_implILS5_9ELb0ES3_jN6thrust23THRUST_200600_302600_NS6detail15normal_iteratorINS9_10device_ptrIiEEEENSB_INSC_IjEEEEPNS0_10empty_typeENS0_5tupleIJSE_SH_EEENSJ_IJNS9_16discard_iteratorINS9_11use_defaultEEESI_EEENS0_18inequality_wrapperINS9_8equal_toIiEEEEPmJSH_EEE10hipError_tPvRmT3_T4_T5_T6_T7_T9_mT8_P12ihipStream_tbDpT10_ENKUlT_T0_E_clISt17integral_constantIbLb0EES1D_EEDaS18_S19_EUlS18_E_NS1_11comp_targetILNS1_3genE3ELNS1_11target_archE908ELNS1_3gpuE7ELNS1_3repE0EEENS1_30default_config_static_selectorELNS0_4arch9wavefront6targetE0EEEvT1_: ; @_ZN7rocprim17ROCPRIM_400000_NS6detail17trampoline_kernelINS0_14default_configENS1_25partition_config_selectorILNS1_17partition_subalgoE9EijbEEZZNS1_14partition_implILS5_9ELb0ES3_jN6thrust23THRUST_200600_302600_NS6detail15normal_iteratorINS9_10device_ptrIiEEEENSB_INSC_IjEEEEPNS0_10empty_typeENS0_5tupleIJSE_SH_EEENSJ_IJNS9_16discard_iteratorINS9_11use_defaultEEESI_EEENS0_18inequality_wrapperINS9_8equal_toIiEEEEPmJSH_EEE10hipError_tPvRmT3_T4_T5_T6_T7_T9_mT8_P12ihipStream_tbDpT10_ENKUlT_T0_E_clISt17integral_constantIbLb0EES1D_EEDaS18_S19_EUlS18_E_NS1_11comp_targetILNS1_3genE3ELNS1_11target_archE908ELNS1_3gpuE7ELNS1_3repE0EEENS1_30default_config_static_selectorELNS0_4arch9wavefront6targetE0EEEvT1_
; %bb.0:
	.section	.rodata,"a",@progbits
	.p2align	6, 0x0
	.amdhsa_kernel _ZN7rocprim17ROCPRIM_400000_NS6detail17trampoline_kernelINS0_14default_configENS1_25partition_config_selectorILNS1_17partition_subalgoE9EijbEEZZNS1_14partition_implILS5_9ELb0ES3_jN6thrust23THRUST_200600_302600_NS6detail15normal_iteratorINS9_10device_ptrIiEEEENSB_INSC_IjEEEEPNS0_10empty_typeENS0_5tupleIJSE_SH_EEENSJ_IJNS9_16discard_iteratorINS9_11use_defaultEEESI_EEENS0_18inequality_wrapperINS9_8equal_toIiEEEEPmJSH_EEE10hipError_tPvRmT3_T4_T5_T6_T7_T9_mT8_P12ihipStream_tbDpT10_ENKUlT_T0_E_clISt17integral_constantIbLb0EES1D_EEDaS18_S19_EUlS18_E_NS1_11comp_targetILNS1_3genE3ELNS1_11target_archE908ELNS1_3gpuE7ELNS1_3repE0EEENS1_30default_config_static_selectorELNS0_4arch9wavefront6targetE0EEEvT1_
		.amdhsa_group_segment_fixed_size 0
		.amdhsa_private_segment_fixed_size 0
		.amdhsa_kernarg_size 120
		.amdhsa_user_sgpr_count 15
		.amdhsa_user_sgpr_dispatch_ptr 0
		.amdhsa_user_sgpr_queue_ptr 0
		.amdhsa_user_sgpr_kernarg_segment_ptr 1
		.amdhsa_user_sgpr_dispatch_id 0
		.amdhsa_user_sgpr_private_segment_size 0
		.amdhsa_wavefront_size32 1
		.amdhsa_uses_dynamic_stack 0
		.amdhsa_enable_private_segment 0
		.amdhsa_system_sgpr_workgroup_id_x 1
		.amdhsa_system_sgpr_workgroup_id_y 0
		.amdhsa_system_sgpr_workgroup_id_z 0
		.amdhsa_system_sgpr_workgroup_info 0
		.amdhsa_system_vgpr_workitem_id 0
		.amdhsa_next_free_vgpr 1
		.amdhsa_next_free_sgpr 1
		.amdhsa_reserve_vcc 0
		.amdhsa_float_round_mode_32 0
		.amdhsa_float_round_mode_16_64 0
		.amdhsa_float_denorm_mode_32 3
		.amdhsa_float_denorm_mode_16_64 3
		.amdhsa_dx10_clamp 1
		.amdhsa_ieee_mode 1
		.amdhsa_fp16_overflow 0
		.amdhsa_workgroup_processor_mode 1
		.amdhsa_memory_ordered 1
		.amdhsa_forward_progress 0
		.amdhsa_shared_vgpr_count 0
		.amdhsa_exception_fp_ieee_invalid_op 0
		.amdhsa_exception_fp_denorm_src 0
		.amdhsa_exception_fp_ieee_div_zero 0
		.amdhsa_exception_fp_ieee_overflow 0
		.amdhsa_exception_fp_ieee_underflow 0
		.amdhsa_exception_fp_ieee_inexact 0
		.amdhsa_exception_int_div_zero 0
	.end_amdhsa_kernel
	.section	.text._ZN7rocprim17ROCPRIM_400000_NS6detail17trampoline_kernelINS0_14default_configENS1_25partition_config_selectorILNS1_17partition_subalgoE9EijbEEZZNS1_14partition_implILS5_9ELb0ES3_jN6thrust23THRUST_200600_302600_NS6detail15normal_iteratorINS9_10device_ptrIiEEEENSB_INSC_IjEEEEPNS0_10empty_typeENS0_5tupleIJSE_SH_EEENSJ_IJNS9_16discard_iteratorINS9_11use_defaultEEESI_EEENS0_18inequality_wrapperINS9_8equal_toIiEEEEPmJSH_EEE10hipError_tPvRmT3_T4_T5_T6_T7_T9_mT8_P12ihipStream_tbDpT10_ENKUlT_T0_E_clISt17integral_constantIbLb0EES1D_EEDaS18_S19_EUlS18_E_NS1_11comp_targetILNS1_3genE3ELNS1_11target_archE908ELNS1_3gpuE7ELNS1_3repE0EEENS1_30default_config_static_selectorELNS0_4arch9wavefront6targetE0EEEvT1_,"axG",@progbits,_ZN7rocprim17ROCPRIM_400000_NS6detail17trampoline_kernelINS0_14default_configENS1_25partition_config_selectorILNS1_17partition_subalgoE9EijbEEZZNS1_14partition_implILS5_9ELb0ES3_jN6thrust23THRUST_200600_302600_NS6detail15normal_iteratorINS9_10device_ptrIiEEEENSB_INSC_IjEEEEPNS0_10empty_typeENS0_5tupleIJSE_SH_EEENSJ_IJNS9_16discard_iteratorINS9_11use_defaultEEESI_EEENS0_18inequality_wrapperINS9_8equal_toIiEEEEPmJSH_EEE10hipError_tPvRmT3_T4_T5_T6_T7_T9_mT8_P12ihipStream_tbDpT10_ENKUlT_T0_E_clISt17integral_constantIbLb0EES1D_EEDaS18_S19_EUlS18_E_NS1_11comp_targetILNS1_3genE3ELNS1_11target_archE908ELNS1_3gpuE7ELNS1_3repE0EEENS1_30default_config_static_selectorELNS0_4arch9wavefront6targetE0EEEvT1_,comdat
.Lfunc_end1112:
	.size	_ZN7rocprim17ROCPRIM_400000_NS6detail17trampoline_kernelINS0_14default_configENS1_25partition_config_selectorILNS1_17partition_subalgoE9EijbEEZZNS1_14partition_implILS5_9ELb0ES3_jN6thrust23THRUST_200600_302600_NS6detail15normal_iteratorINS9_10device_ptrIiEEEENSB_INSC_IjEEEEPNS0_10empty_typeENS0_5tupleIJSE_SH_EEENSJ_IJNS9_16discard_iteratorINS9_11use_defaultEEESI_EEENS0_18inequality_wrapperINS9_8equal_toIiEEEEPmJSH_EEE10hipError_tPvRmT3_T4_T5_T6_T7_T9_mT8_P12ihipStream_tbDpT10_ENKUlT_T0_E_clISt17integral_constantIbLb0EES1D_EEDaS18_S19_EUlS18_E_NS1_11comp_targetILNS1_3genE3ELNS1_11target_archE908ELNS1_3gpuE7ELNS1_3repE0EEENS1_30default_config_static_selectorELNS0_4arch9wavefront6targetE0EEEvT1_, .Lfunc_end1112-_ZN7rocprim17ROCPRIM_400000_NS6detail17trampoline_kernelINS0_14default_configENS1_25partition_config_selectorILNS1_17partition_subalgoE9EijbEEZZNS1_14partition_implILS5_9ELb0ES3_jN6thrust23THRUST_200600_302600_NS6detail15normal_iteratorINS9_10device_ptrIiEEEENSB_INSC_IjEEEEPNS0_10empty_typeENS0_5tupleIJSE_SH_EEENSJ_IJNS9_16discard_iteratorINS9_11use_defaultEEESI_EEENS0_18inequality_wrapperINS9_8equal_toIiEEEEPmJSH_EEE10hipError_tPvRmT3_T4_T5_T6_T7_T9_mT8_P12ihipStream_tbDpT10_ENKUlT_T0_E_clISt17integral_constantIbLb0EES1D_EEDaS18_S19_EUlS18_E_NS1_11comp_targetILNS1_3genE3ELNS1_11target_archE908ELNS1_3gpuE7ELNS1_3repE0EEENS1_30default_config_static_selectorELNS0_4arch9wavefront6targetE0EEEvT1_
                                        ; -- End function
	.section	.AMDGPU.csdata,"",@progbits
; Kernel info:
; codeLenInByte = 0
; NumSgprs: 0
; NumVgprs: 0
; ScratchSize: 0
; MemoryBound: 0
; FloatMode: 240
; IeeeMode: 1
; LDSByteSize: 0 bytes/workgroup (compile time only)
; SGPRBlocks: 0
; VGPRBlocks: 0
; NumSGPRsForWavesPerEU: 1
; NumVGPRsForWavesPerEU: 1
; Occupancy: 16
; WaveLimiterHint : 0
; COMPUTE_PGM_RSRC2:SCRATCH_EN: 0
; COMPUTE_PGM_RSRC2:USER_SGPR: 15
; COMPUTE_PGM_RSRC2:TRAP_HANDLER: 0
; COMPUTE_PGM_RSRC2:TGID_X_EN: 1
; COMPUTE_PGM_RSRC2:TGID_Y_EN: 0
; COMPUTE_PGM_RSRC2:TGID_Z_EN: 0
; COMPUTE_PGM_RSRC2:TIDIG_COMP_CNT: 0
	.section	.text._ZN7rocprim17ROCPRIM_400000_NS6detail17trampoline_kernelINS0_14default_configENS1_25partition_config_selectorILNS1_17partition_subalgoE9EijbEEZZNS1_14partition_implILS5_9ELb0ES3_jN6thrust23THRUST_200600_302600_NS6detail15normal_iteratorINS9_10device_ptrIiEEEENSB_INSC_IjEEEEPNS0_10empty_typeENS0_5tupleIJSE_SH_EEENSJ_IJNS9_16discard_iteratorINS9_11use_defaultEEESI_EEENS0_18inequality_wrapperINS9_8equal_toIiEEEEPmJSH_EEE10hipError_tPvRmT3_T4_T5_T6_T7_T9_mT8_P12ihipStream_tbDpT10_ENKUlT_T0_E_clISt17integral_constantIbLb0EES1D_EEDaS18_S19_EUlS18_E_NS1_11comp_targetILNS1_3genE2ELNS1_11target_archE906ELNS1_3gpuE6ELNS1_3repE0EEENS1_30default_config_static_selectorELNS0_4arch9wavefront6targetE0EEEvT1_,"axG",@progbits,_ZN7rocprim17ROCPRIM_400000_NS6detail17trampoline_kernelINS0_14default_configENS1_25partition_config_selectorILNS1_17partition_subalgoE9EijbEEZZNS1_14partition_implILS5_9ELb0ES3_jN6thrust23THRUST_200600_302600_NS6detail15normal_iteratorINS9_10device_ptrIiEEEENSB_INSC_IjEEEEPNS0_10empty_typeENS0_5tupleIJSE_SH_EEENSJ_IJNS9_16discard_iteratorINS9_11use_defaultEEESI_EEENS0_18inequality_wrapperINS9_8equal_toIiEEEEPmJSH_EEE10hipError_tPvRmT3_T4_T5_T6_T7_T9_mT8_P12ihipStream_tbDpT10_ENKUlT_T0_E_clISt17integral_constantIbLb0EES1D_EEDaS18_S19_EUlS18_E_NS1_11comp_targetILNS1_3genE2ELNS1_11target_archE906ELNS1_3gpuE6ELNS1_3repE0EEENS1_30default_config_static_selectorELNS0_4arch9wavefront6targetE0EEEvT1_,comdat
	.protected	_ZN7rocprim17ROCPRIM_400000_NS6detail17trampoline_kernelINS0_14default_configENS1_25partition_config_selectorILNS1_17partition_subalgoE9EijbEEZZNS1_14partition_implILS5_9ELb0ES3_jN6thrust23THRUST_200600_302600_NS6detail15normal_iteratorINS9_10device_ptrIiEEEENSB_INSC_IjEEEEPNS0_10empty_typeENS0_5tupleIJSE_SH_EEENSJ_IJNS9_16discard_iteratorINS9_11use_defaultEEESI_EEENS0_18inequality_wrapperINS9_8equal_toIiEEEEPmJSH_EEE10hipError_tPvRmT3_T4_T5_T6_T7_T9_mT8_P12ihipStream_tbDpT10_ENKUlT_T0_E_clISt17integral_constantIbLb0EES1D_EEDaS18_S19_EUlS18_E_NS1_11comp_targetILNS1_3genE2ELNS1_11target_archE906ELNS1_3gpuE6ELNS1_3repE0EEENS1_30default_config_static_selectorELNS0_4arch9wavefront6targetE0EEEvT1_ ; -- Begin function _ZN7rocprim17ROCPRIM_400000_NS6detail17trampoline_kernelINS0_14default_configENS1_25partition_config_selectorILNS1_17partition_subalgoE9EijbEEZZNS1_14partition_implILS5_9ELb0ES3_jN6thrust23THRUST_200600_302600_NS6detail15normal_iteratorINS9_10device_ptrIiEEEENSB_INSC_IjEEEEPNS0_10empty_typeENS0_5tupleIJSE_SH_EEENSJ_IJNS9_16discard_iteratorINS9_11use_defaultEEESI_EEENS0_18inequality_wrapperINS9_8equal_toIiEEEEPmJSH_EEE10hipError_tPvRmT3_T4_T5_T6_T7_T9_mT8_P12ihipStream_tbDpT10_ENKUlT_T0_E_clISt17integral_constantIbLb0EES1D_EEDaS18_S19_EUlS18_E_NS1_11comp_targetILNS1_3genE2ELNS1_11target_archE906ELNS1_3gpuE6ELNS1_3repE0EEENS1_30default_config_static_selectorELNS0_4arch9wavefront6targetE0EEEvT1_
	.globl	_ZN7rocprim17ROCPRIM_400000_NS6detail17trampoline_kernelINS0_14default_configENS1_25partition_config_selectorILNS1_17partition_subalgoE9EijbEEZZNS1_14partition_implILS5_9ELb0ES3_jN6thrust23THRUST_200600_302600_NS6detail15normal_iteratorINS9_10device_ptrIiEEEENSB_INSC_IjEEEEPNS0_10empty_typeENS0_5tupleIJSE_SH_EEENSJ_IJNS9_16discard_iteratorINS9_11use_defaultEEESI_EEENS0_18inequality_wrapperINS9_8equal_toIiEEEEPmJSH_EEE10hipError_tPvRmT3_T4_T5_T6_T7_T9_mT8_P12ihipStream_tbDpT10_ENKUlT_T0_E_clISt17integral_constantIbLb0EES1D_EEDaS18_S19_EUlS18_E_NS1_11comp_targetILNS1_3genE2ELNS1_11target_archE906ELNS1_3gpuE6ELNS1_3repE0EEENS1_30default_config_static_selectorELNS0_4arch9wavefront6targetE0EEEvT1_
	.p2align	8
	.type	_ZN7rocprim17ROCPRIM_400000_NS6detail17trampoline_kernelINS0_14default_configENS1_25partition_config_selectorILNS1_17partition_subalgoE9EijbEEZZNS1_14partition_implILS5_9ELb0ES3_jN6thrust23THRUST_200600_302600_NS6detail15normal_iteratorINS9_10device_ptrIiEEEENSB_INSC_IjEEEEPNS0_10empty_typeENS0_5tupleIJSE_SH_EEENSJ_IJNS9_16discard_iteratorINS9_11use_defaultEEESI_EEENS0_18inequality_wrapperINS9_8equal_toIiEEEEPmJSH_EEE10hipError_tPvRmT3_T4_T5_T6_T7_T9_mT8_P12ihipStream_tbDpT10_ENKUlT_T0_E_clISt17integral_constantIbLb0EES1D_EEDaS18_S19_EUlS18_E_NS1_11comp_targetILNS1_3genE2ELNS1_11target_archE906ELNS1_3gpuE6ELNS1_3repE0EEENS1_30default_config_static_selectorELNS0_4arch9wavefront6targetE0EEEvT1_,@function
_ZN7rocprim17ROCPRIM_400000_NS6detail17trampoline_kernelINS0_14default_configENS1_25partition_config_selectorILNS1_17partition_subalgoE9EijbEEZZNS1_14partition_implILS5_9ELb0ES3_jN6thrust23THRUST_200600_302600_NS6detail15normal_iteratorINS9_10device_ptrIiEEEENSB_INSC_IjEEEEPNS0_10empty_typeENS0_5tupleIJSE_SH_EEENSJ_IJNS9_16discard_iteratorINS9_11use_defaultEEESI_EEENS0_18inequality_wrapperINS9_8equal_toIiEEEEPmJSH_EEE10hipError_tPvRmT3_T4_T5_T6_T7_T9_mT8_P12ihipStream_tbDpT10_ENKUlT_T0_E_clISt17integral_constantIbLb0EES1D_EEDaS18_S19_EUlS18_E_NS1_11comp_targetILNS1_3genE2ELNS1_11target_archE906ELNS1_3gpuE6ELNS1_3repE0EEENS1_30default_config_static_selectorELNS0_4arch9wavefront6targetE0EEEvT1_: ; @_ZN7rocprim17ROCPRIM_400000_NS6detail17trampoline_kernelINS0_14default_configENS1_25partition_config_selectorILNS1_17partition_subalgoE9EijbEEZZNS1_14partition_implILS5_9ELb0ES3_jN6thrust23THRUST_200600_302600_NS6detail15normal_iteratorINS9_10device_ptrIiEEEENSB_INSC_IjEEEEPNS0_10empty_typeENS0_5tupleIJSE_SH_EEENSJ_IJNS9_16discard_iteratorINS9_11use_defaultEEESI_EEENS0_18inequality_wrapperINS9_8equal_toIiEEEEPmJSH_EEE10hipError_tPvRmT3_T4_T5_T6_T7_T9_mT8_P12ihipStream_tbDpT10_ENKUlT_T0_E_clISt17integral_constantIbLb0EES1D_EEDaS18_S19_EUlS18_E_NS1_11comp_targetILNS1_3genE2ELNS1_11target_archE906ELNS1_3gpuE6ELNS1_3repE0EEENS1_30default_config_static_selectorELNS0_4arch9wavefront6targetE0EEEvT1_
; %bb.0:
	.section	.rodata,"a",@progbits
	.p2align	6, 0x0
	.amdhsa_kernel _ZN7rocprim17ROCPRIM_400000_NS6detail17trampoline_kernelINS0_14default_configENS1_25partition_config_selectorILNS1_17partition_subalgoE9EijbEEZZNS1_14partition_implILS5_9ELb0ES3_jN6thrust23THRUST_200600_302600_NS6detail15normal_iteratorINS9_10device_ptrIiEEEENSB_INSC_IjEEEEPNS0_10empty_typeENS0_5tupleIJSE_SH_EEENSJ_IJNS9_16discard_iteratorINS9_11use_defaultEEESI_EEENS0_18inequality_wrapperINS9_8equal_toIiEEEEPmJSH_EEE10hipError_tPvRmT3_T4_T5_T6_T7_T9_mT8_P12ihipStream_tbDpT10_ENKUlT_T0_E_clISt17integral_constantIbLb0EES1D_EEDaS18_S19_EUlS18_E_NS1_11comp_targetILNS1_3genE2ELNS1_11target_archE906ELNS1_3gpuE6ELNS1_3repE0EEENS1_30default_config_static_selectorELNS0_4arch9wavefront6targetE0EEEvT1_
		.amdhsa_group_segment_fixed_size 0
		.amdhsa_private_segment_fixed_size 0
		.amdhsa_kernarg_size 120
		.amdhsa_user_sgpr_count 15
		.amdhsa_user_sgpr_dispatch_ptr 0
		.amdhsa_user_sgpr_queue_ptr 0
		.amdhsa_user_sgpr_kernarg_segment_ptr 1
		.amdhsa_user_sgpr_dispatch_id 0
		.amdhsa_user_sgpr_private_segment_size 0
		.amdhsa_wavefront_size32 1
		.amdhsa_uses_dynamic_stack 0
		.amdhsa_enable_private_segment 0
		.amdhsa_system_sgpr_workgroup_id_x 1
		.amdhsa_system_sgpr_workgroup_id_y 0
		.amdhsa_system_sgpr_workgroup_id_z 0
		.amdhsa_system_sgpr_workgroup_info 0
		.amdhsa_system_vgpr_workitem_id 0
		.amdhsa_next_free_vgpr 1
		.amdhsa_next_free_sgpr 1
		.amdhsa_reserve_vcc 0
		.amdhsa_float_round_mode_32 0
		.amdhsa_float_round_mode_16_64 0
		.amdhsa_float_denorm_mode_32 3
		.amdhsa_float_denorm_mode_16_64 3
		.amdhsa_dx10_clamp 1
		.amdhsa_ieee_mode 1
		.amdhsa_fp16_overflow 0
		.amdhsa_workgroup_processor_mode 1
		.amdhsa_memory_ordered 1
		.amdhsa_forward_progress 0
		.amdhsa_shared_vgpr_count 0
		.amdhsa_exception_fp_ieee_invalid_op 0
		.amdhsa_exception_fp_denorm_src 0
		.amdhsa_exception_fp_ieee_div_zero 0
		.amdhsa_exception_fp_ieee_overflow 0
		.amdhsa_exception_fp_ieee_underflow 0
		.amdhsa_exception_fp_ieee_inexact 0
		.amdhsa_exception_int_div_zero 0
	.end_amdhsa_kernel
	.section	.text._ZN7rocprim17ROCPRIM_400000_NS6detail17trampoline_kernelINS0_14default_configENS1_25partition_config_selectorILNS1_17partition_subalgoE9EijbEEZZNS1_14partition_implILS5_9ELb0ES3_jN6thrust23THRUST_200600_302600_NS6detail15normal_iteratorINS9_10device_ptrIiEEEENSB_INSC_IjEEEEPNS0_10empty_typeENS0_5tupleIJSE_SH_EEENSJ_IJNS9_16discard_iteratorINS9_11use_defaultEEESI_EEENS0_18inequality_wrapperINS9_8equal_toIiEEEEPmJSH_EEE10hipError_tPvRmT3_T4_T5_T6_T7_T9_mT8_P12ihipStream_tbDpT10_ENKUlT_T0_E_clISt17integral_constantIbLb0EES1D_EEDaS18_S19_EUlS18_E_NS1_11comp_targetILNS1_3genE2ELNS1_11target_archE906ELNS1_3gpuE6ELNS1_3repE0EEENS1_30default_config_static_selectorELNS0_4arch9wavefront6targetE0EEEvT1_,"axG",@progbits,_ZN7rocprim17ROCPRIM_400000_NS6detail17trampoline_kernelINS0_14default_configENS1_25partition_config_selectorILNS1_17partition_subalgoE9EijbEEZZNS1_14partition_implILS5_9ELb0ES3_jN6thrust23THRUST_200600_302600_NS6detail15normal_iteratorINS9_10device_ptrIiEEEENSB_INSC_IjEEEEPNS0_10empty_typeENS0_5tupleIJSE_SH_EEENSJ_IJNS9_16discard_iteratorINS9_11use_defaultEEESI_EEENS0_18inequality_wrapperINS9_8equal_toIiEEEEPmJSH_EEE10hipError_tPvRmT3_T4_T5_T6_T7_T9_mT8_P12ihipStream_tbDpT10_ENKUlT_T0_E_clISt17integral_constantIbLb0EES1D_EEDaS18_S19_EUlS18_E_NS1_11comp_targetILNS1_3genE2ELNS1_11target_archE906ELNS1_3gpuE6ELNS1_3repE0EEENS1_30default_config_static_selectorELNS0_4arch9wavefront6targetE0EEEvT1_,comdat
.Lfunc_end1113:
	.size	_ZN7rocprim17ROCPRIM_400000_NS6detail17trampoline_kernelINS0_14default_configENS1_25partition_config_selectorILNS1_17partition_subalgoE9EijbEEZZNS1_14partition_implILS5_9ELb0ES3_jN6thrust23THRUST_200600_302600_NS6detail15normal_iteratorINS9_10device_ptrIiEEEENSB_INSC_IjEEEEPNS0_10empty_typeENS0_5tupleIJSE_SH_EEENSJ_IJNS9_16discard_iteratorINS9_11use_defaultEEESI_EEENS0_18inequality_wrapperINS9_8equal_toIiEEEEPmJSH_EEE10hipError_tPvRmT3_T4_T5_T6_T7_T9_mT8_P12ihipStream_tbDpT10_ENKUlT_T0_E_clISt17integral_constantIbLb0EES1D_EEDaS18_S19_EUlS18_E_NS1_11comp_targetILNS1_3genE2ELNS1_11target_archE906ELNS1_3gpuE6ELNS1_3repE0EEENS1_30default_config_static_selectorELNS0_4arch9wavefront6targetE0EEEvT1_, .Lfunc_end1113-_ZN7rocprim17ROCPRIM_400000_NS6detail17trampoline_kernelINS0_14default_configENS1_25partition_config_selectorILNS1_17partition_subalgoE9EijbEEZZNS1_14partition_implILS5_9ELb0ES3_jN6thrust23THRUST_200600_302600_NS6detail15normal_iteratorINS9_10device_ptrIiEEEENSB_INSC_IjEEEEPNS0_10empty_typeENS0_5tupleIJSE_SH_EEENSJ_IJNS9_16discard_iteratorINS9_11use_defaultEEESI_EEENS0_18inequality_wrapperINS9_8equal_toIiEEEEPmJSH_EEE10hipError_tPvRmT3_T4_T5_T6_T7_T9_mT8_P12ihipStream_tbDpT10_ENKUlT_T0_E_clISt17integral_constantIbLb0EES1D_EEDaS18_S19_EUlS18_E_NS1_11comp_targetILNS1_3genE2ELNS1_11target_archE906ELNS1_3gpuE6ELNS1_3repE0EEENS1_30default_config_static_selectorELNS0_4arch9wavefront6targetE0EEEvT1_
                                        ; -- End function
	.section	.AMDGPU.csdata,"",@progbits
; Kernel info:
; codeLenInByte = 0
; NumSgprs: 0
; NumVgprs: 0
; ScratchSize: 0
; MemoryBound: 0
; FloatMode: 240
; IeeeMode: 1
; LDSByteSize: 0 bytes/workgroup (compile time only)
; SGPRBlocks: 0
; VGPRBlocks: 0
; NumSGPRsForWavesPerEU: 1
; NumVGPRsForWavesPerEU: 1
; Occupancy: 16
; WaveLimiterHint : 0
; COMPUTE_PGM_RSRC2:SCRATCH_EN: 0
; COMPUTE_PGM_RSRC2:USER_SGPR: 15
; COMPUTE_PGM_RSRC2:TRAP_HANDLER: 0
; COMPUTE_PGM_RSRC2:TGID_X_EN: 1
; COMPUTE_PGM_RSRC2:TGID_Y_EN: 0
; COMPUTE_PGM_RSRC2:TGID_Z_EN: 0
; COMPUTE_PGM_RSRC2:TIDIG_COMP_CNT: 0
	.section	.text._ZN7rocprim17ROCPRIM_400000_NS6detail17trampoline_kernelINS0_14default_configENS1_25partition_config_selectorILNS1_17partition_subalgoE9EijbEEZZNS1_14partition_implILS5_9ELb0ES3_jN6thrust23THRUST_200600_302600_NS6detail15normal_iteratorINS9_10device_ptrIiEEEENSB_INSC_IjEEEEPNS0_10empty_typeENS0_5tupleIJSE_SH_EEENSJ_IJNS9_16discard_iteratorINS9_11use_defaultEEESI_EEENS0_18inequality_wrapperINS9_8equal_toIiEEEEPmJSH_EEE10hipError_tPvRmT3_T4_T5_T6_T7_T9_mT8_P12ihipStream_tbDpT10_ENKUlT_T0_E_clISt17integral_constantIbLb0EES1D_EEDaS18_S19_EUlS18_E_NS1_11comp_targetILNS1_3genE10ELNS1_11target_archE1200ELNS1_3gpuE4ELNS1_3repE0EEENS1_30default_config_static_selectorELNS0_4arch9wavefront6targetE0EEEvT1_,"axG",@progbits,_ZN7rocprim17ROCPRIM_400000_NS6detail17trampoline_kernelINS0_14default_configENS1_25partition_config_selectorILNS1_17partition_subalgoE9EijbEEZZNS1_14partition_implILS5_9ELb0ES3_jN6thrust23THRUST_200600_302600_NS6detail15normal_iteratorINS9_10device_ptrIiEEEENSB_INSC_IjEEEEPNS0_10empty_typeENS0_5tupleIJSE_SH_EEENSJ_IJNS9_16discard_iteratorINS9_11use_defaultEEESI_EEENS0_18inequality_wrapperINS9_8equal_toIiEEEEPmJSH_EEE10hipError_tPvRmT3_T4_T5_T6_T7_T9_mT8_P12ihipStream_tbDpT10_ENKUlT_T0_E_clISt17integral_constantIbLb0EES1D_EEDaS18_S19_EUlS18_E_NS1_11comp_targetILNS1_3genE10ELNS1_11target_archE1200ELNS1_3gpuE4ELNS1_3repE0EEENS1_30default_config_static_selectorELNS0_4arch9wavefront6targetE0EEEvT1_,comdat
	.protected	_ZN7rocprim17ROCPRIM_400000_NS6detail17trampoline_kernelINS0_14default_configENS1_25partition_config_selectorILNS1_17partition_subalgoE9EijbEEZZNS1_14partition_implILS5_9ELb0ES3_jN6thrust23THRUST_200600_302600_NS6detail15normal_iteratorINS9_10device_ptrIiEEEENSB_INSC_IjEEEEPNS0_10empty_typeENS0_5tupleIJSE_SH_EEENSJ_IJNS9_16discard_iteratorINS9_11use_defaultEEESI_EEENS0_18inequality_wrapperINS9_8equal_toIiEEEEPmJSH_EEE10hipError_tPvRmT3_T4_T5_T6_T7_T9_mT8_P12ihipStream_tbDpT10_ENKUlT_T0_E_clISt17integral_constantIbLb0EES1D_EEDaS18_S19_EUlS18_E_NS1_11comp_targetILNS1_3genE10ELNS1_11target_archE1200ELNS1_3gpuE4ELNS1_3repE0EEENS1_30default_config_static_selectorELNS0_4arch9wavefront6targetE0EEEvT1_ ; -- Begin function _ZN7rocprim17ROCPRIM_400000_NS6detail17trampoline_kernelINS0_14default_configENS1_25partition_config_selectorILNS1_17partition_subalgoE9EijbEEZZNS1_14partition_implILS5_9ELb0ES3_jN6thrust23THRUST_200600_302600_NS6detail15normal_iteratorINS9_10device_ptrIiEEEENSB_INSC_IjEEEEPNS0_10empty_typeENS0_5tupleIJSE_SH_EEENSJ_IJNS9_16discard_iteratorINS9_11use_defaultEEESI_EEENS0_18inequality_wrapperINS9_8equal_toIiEEEEPmJSH_EEE10hipError_tPvRmT3_T4_T5_T6_T7_T9_mT8_P12ihipStream_tbDpT10_ENKUlT_T0_E_clISt17integral_constantIbLb0EES1D_EEDaS18_S19_EUlS18_E_NS1_11comp_targetILNS1_3genE10ELNS1_11target_archE1200ELNS1_3gpuE4ELNS1_3repE0EEENS1_30default_config_static_selectorELNS0_4arch9wavefront6targetE0EEEvT1_
	.globl	_ZN7rocprim17ROCPRIM_400000_NS6detail17trampoline_kernelINS0_14default_configENS1_25partition_config_selectorILNS1_17partition_subalgoE9EijbEEZZNS1_14partition_implILS5_9ELb0ES3_jN6thrust23THRUST_200600_302600_NS6detail15normal_iteratorINS9_10device_ptrIiEEEENSB_INSC_IjEEEEPNS0_10empty_typeENS0_5tupleIJSE_SH_EEENSJ_IJNS9_16discard_iteratorINS9_11use_defaultEEESI_EEENS0_18inequality_wrapperINS9_8equal_toIiEEEEPmJSH_EEE10hipError_tPvRmT3_T4_T5_T6_T7_T9_mT8_P12ihipStream_tbDpT10_ENKUlT_T0_E_clISt17integral_constantIbLb0EES1D_EEDaS18_S19_EUlS18_E_NS1_11comp_targetILNS1_3genE10ELNS1_11target_archE1200ELNS1_3gpuE4ELNS1_3repE0EEENS1_30default_config_static_selectorELNS0_4arch9wavefront6targetE0EEEvT1_
	.p2align	8
	.type	_ZN7rocprim17ROCPRIM_400000_NS6detail17trampoline_kernelINS0_14default_configENS1_25partition_config_selectorILNS1_17partition_subalgoE9EijbEEZZNS1_14partition_implILS5_9ELb0ES3_jN6thrust23THRUST_200600_302600_NS6detail15normal_iteratorINS9_10device_ptrIiEEEENSB_INSC_IjEEEEPNS0_10empty_typeENS0_5tupleIJSE_SH_EEENSJ_IJNS9_16discard_iteratorINS9_11use_defaultEEESI_EEENS0_18inequality_wrapperINS9_8equal_toIiEEEEPmJSH_EEE10hipError_tPvRmT3_T4_T5_T6_T7_T9_mT8_P12ihipStream_tbDpT10_ENKUlT_T0_E_clISt17integral_constantIbLb0EES1D_EEDaS18_S19_EUlS18_E_NS1_11comp_targetILNS1_3genE10ELNS1_11target_archE1200ELNS1_3gpuE4ELNS1_3repE0EEENS1_30default_config_static_selectorELNS0_4arch9wavefront6targetE0EEEvT1_,@function
_ZN7rocprim17ROCPRIM_400000_NS6detail17trampoline_kernelINS0_14default_configENS1_25partition_config_selectorILNS1_17partition_subalgoE9EijbEEZZNS1_14partition_implILS5_9ELb0ES3_jN6thrust23THRUST_200600_302600_NS6detail15normal_iteratorINS9_10device_ptrIiEEEENSB_INSC_IjEEEEPNS0_10empty_typeENS0_5tupleIJSE_SH_EEENSJ_IJNS9_16discard_iteratorINS9_11use_defaultEEESI_EEENS0_18inequality_wrapperINS9_8equal_toIiEEEEPmJSH_EEE10hipError_tPvRmT3_T4_T5_T6_T7_T9_mT8_P12ihipStream_tbDpT10_ENKUlT_T0_E_clISt17integral_constantIbLb0EES1D_EEDaS18_S19_EUlS18_E_NS1_11comp_targetILNS1_3genE10ELNS1_11target_archE1200ELNS1_3gpuE4ELNS1_3repE0EEENS1_30default_config_static_selectorELNS0_4arch9wavefront6targetE0EEEvT1_: ; @_ZN7rocprim17ROCPRIM_400000_NS6detail17trampoline_kernelINS0_14default_configENS1_25partition_config_selectorILNS1_17partition_subalgoE9EijbEEZZNS1_14partition_implILS5_9ELb0ES3_jN6thrust23THRUST_200600_302600_NS6detail15normal_iteratorINS9_10device_ptrIiEEEENSB_INSC_IjEEEEPNS0_10empty_typeENS0_5tupleIJSE_SH_EEENSJ_IJNS9_16discard_iteratorINS9_11use_defaultEEESI_EEENS0_18inequality_wrapperINS9_8equal_toIiEEEEPmJSH_EEE10hipError_tPvRmT3_T4_T5_T6_T7_T9_mT8_P12ihipStream_tbDpT10_ENKUlT_T0_E_clISt17integral_constantIbLb0EES1D_EEDaS18_S19_EUlS18_E_NS1_11comp_targetILNS1_3genE10ELNS1_11target_archE1200ELNS1_3gpuE4ELNS1_3repE0EEENS1_30default_config_static_selectorELNS0_4arch9wavefront6targetE0EEEvT1_
; %bb.0:
	.section	.rodata,"a",@progbits
	.p2align	6, 0x0
	.amdhsa_kernel _ZN7rocprim17ROCPRIM_400000_NS6detail17trampoline_kernelINS0_14default_configENS1_25partition_config_selectorILNS1_17partition_subalgoE9EijbEEZZNS1_14partition_implILS5_9ELb0ES3_jN6thrust23THRUST_200600_302600_NS6detail15normal_iteratorINS9_10device_ptrIiEEEENSB_INSC_IjEEEEPNS0_10empty_typeENS0_5tupleIJSE_SH_EEENSJ_IJNS9_16discard_iteratorINS9_11use_defaultEEESI_EEENS0_18inequality_wrapperINS9_8equal_toIiEEEEPmJSH_EEE10hipError_tPvRmT3_T4_T5_T6_T7_T9_mT8_P12ihipStream_tbDpT10_ENKUlT_T0_E_clISt17integral_constantIbLb0EES1D_EEDaS18_S19_EUlS18_E_NS1_11comp_targetILNS1_3genE10ELNS1_11target_archE1200ELNS1_3gpuE4ELNS1_3repE0EEENS1_30default_config_static_selectorELNS0_4arch9wavefront6targetE0EEEvT1_
		.amdhsa_group_segment_fixed_size 0
		.amdhsa_private_segment_fixed_size 0
		.amdhsa_kernarg_size 120
		.amdhsa_user_sgpr_count 15
		.amdhsa_user_sgpr_dispatch_ptr 0
		.amdhsa_user_sgpr_queue_ptr 0
		.amdhsa_user_sgpr_kernarg_segment_ptr 1
		.amdhsa_user_sgpr_dispatch_id 0
		.amdhsa_user_sgpr_private_segment_size 0
		.amdhsa_wavefront_size32 1
		.amdhsa_uses_dynamic_stack 0
		.amdhsa_enable_private_segment 0
		.amdhsa_system_sgpr_workgroup_id_x 1
		.amdhsa_system_sgpr_workgroup_id_y 0
		.amdhsa_system_sgpr_workgroup_id_z 0
		.amdhsa_system_sgpr_workgroup_info 0
		.amdhsa_system_vgpr_workitem_id 0
		.amdhsa_next_free_vgpr 1
		.amdhsa_next_free_sgpr 1
		.amdhsa_reserve_vcc 0
		.amdhsa_float_round_mode_32 0
		.amdhsa_float_round_mode_16_64 0
		.amdhsa_float_denorm_mode_32 3
		.amdhsa_float_denorm_mode_16_64 3
		.amdhsa_dx10_clamp 1
		.amdhsa_ieee_mode 1
		.amdhsa_fp16_overflow 0
		.amdhsa_workgroup_processor_mode 1
		.amdhsa_memory_ordered 1
		.amdhsa_forward_progress 0
		.amdhsa_shared_vgpr_count 0
		.amdhsa_exception_fp_ieee_invalid_op 0
		.amdhsa_exception_fp_denorm_src 0
		.amdhsa_exception_fp_ieee_div_zero 0
		.amdhsa_exception_fp_ieee_overflow 0
		.amdhsa_exception_fp_ieee_underflow 0
		.amdhsa_exception_fp_ieee_inexact 0
		.amdhsa_exception_int_div_zero 0
	.end_amdhsa_kernel
	.section	.text._ZN7rocprim17ROCPRIM_400000_NS6detail17trampoline_kernelINS0_14default_configENS1_25partition_config_selectorILNS1_17partition_subalgoE9EijbEEZZNS1_14partition_implILS5_9ELb0ES3_jN6thrust23THRUST_200600_302600_NS6detail15normal_iteratorINS9_10device_ptrIiEEEENSB_INSC_IjEEEEPNS0_10empty_typeENS0_5tupleIJSE_SH_EEENSJ_IJNS9_16discard_iteratorINS9_11use_defaultEEESI_EEENS0_18inequality_wrapperINS9_8equal_toIiEEEEPmJSH_EEE10hipError_tPvRmT3_T4_T5_T6_T7_T9_mT8_P12ihipStream_tbDpT10_ENKUlT_T0_E_clISt17integral_constantIbLb0EES1D_EEDaS18_S19_EUlS18_E_NS1_11comp_targetILNS1_3genE10ELNS1_11target_archE1200ELNS1_3gpuE4ELNS1_3repE0EEENS1_30default_config_static_selectorELNS0_4arch9wavefront6targetE0EEEvT1_,"axG",@progbits,_ZN7rocprim17ROCPRIM_400000_NS6detail17trampoline_kernelINS0_14default_configENS1_25partition_config_selectorILNS1_17partition_subalgoE9EijbEEZZNS1_14partition_implILS5_9ELb0ES3_jN6thrust23THRUST_200600_302600_NS6detail15normal_iteratorINS9_10device_ptrIiEEEENSB_INSC_IjEEEEPNS0_10empty_typeENS0_5tupleIJSE_SH_EEENSJ_IJNS9_16discard_iteratorINS9_11use_defaultEEESI_EEENS0_18inequality_wrapperINS9_8equal_toIiEEEEPmJSH_EEE10hipError_tPvRmT3_T4_T5_T6_T7_T9_mT8_P12ihipStream_tbDpT10_ENKUlT_T0_E_clISt17integral_constantIbLb0EES1D_EEDaS18_S19_EUlS18_E_NS1_11comp_targetILNS1_3genE10ELNS1_11target_archE1200ELNS1_3gpuE4ELNS1_3repE0EEENS1_30default_config_static_selectorELNS0_4arch9wavefront6targetE0EEEvT1_,comdat
.Lfunc_end1114:
	.size	_ZN7rocprim17ROCPRIM_400000_NS6detail17trampoline_kernelINS0_14default_configENS1_25partition_config_selectorILNS1_17partition_subalgoE9EijbEEZZNS1_14partition_implILS5_9ELb0ES3_jN6thrust23THRUST_200600_302600_NS6detail15normal_iteratorINS9_10device_ptrIiEEEENSB_INSC_IjEEEEPNS0_10empty_typeENS0_5tupleIJSE_SH_EEENSJ_IJNS9_16discard_iteratorINS9_11use_defaultEEESI_EEENS0_18inequality_wrapperINS9_8equal_toIiEEEEPmJSH_EEE10hipError_tPvRmT3_T4_T5_T6_T7_T9_mT8_P12ihipStream_tbDpT10_ENKUlT_T0_E_clISt17integral_constantIbLb0EES1D_EEDaS18_S19_EUlS18_E_NS1_11comp_targetILNS1_3genE10ELNS1_11target_archE1200ELNS1_3gpuE4ELNS1_3repE0EEENS1_30default_config_static_selectorELNS0_4arch9wavefront6targetE0EEEvT1_, .Lfunc_end1114-_ZN7rocprim17ROCPRIM_400000_NS6detail17trampoline_kernelINS0_14default_configENS1_25partition_config_selectorILNS1_17partition_subalgoE9EijbEEZZNS1_14partition_implILS5_9ELb0ES3_jN6thrust23THRUST_200600_302600_NS6detail15normal_iteratorINS9_10device_ptrIiEEEENSB_INSC_IjEEEEPNS0_10empty_typeENS0_5tupleIJSE_SH_EEENSJ_IJNS9_16discard_iteratorINS9_11use_defaultEEESI_EEENS0_18inequality_wrapperINS9_8equal_toIiEEEEPmJSH_EEE10hipError_tPvRmT3_T4_T5_T6_T7_T9_mT8_P12ihipStream_tbDpT10_ENKUlT_T0_E_clISt17integral_constantIbLb0EES1D_EEDaS18_S19_EUlS18_E_NS1_11comp_targetILNS1_3genE10ELNS1_11target_archE1200ELNS1_3gpuE4ELNS1_3repE0EEENS1_30default_config_static_selectorELNS0_4arch9wavefront6targetE0EEEvT1_
                                        ; -- End function
	.section	.AMDGPU.csdata,"",@progbits
; Kernel info:
; codeLenInByte = 0
; NumSgprs: 0
; NumVgprs: 0
; ScratchSize: 0
; MemoryBound: 0
; FloatMode: 240
; IeeeMode: 1
; LDSByteSize: 0 bytes/workgroup (compile time only)
; SGPRBlocks: 0
; VGPRBlocks: 0
; NumSGPRsForWavesPerEU: 1
; NumVGPRsForWavesPerEU: 1
; Occupancy: 15
; WaveLimiterHint : 0
; COMPUTE_PGM_RSRC2:SCRATCH_EN: 0
; COMPUTE_PGM_RSRC2:USER_SGPR: 15
; COMPUTE_PGM_RSRC2:TRAP_HANDLER: 0
; COMPUTE_PGM_RSRC2:TGID_X_EN: 1
; COMPUTE_PGM_RSRC2:TGID_Y_EN: 0
; COMPUTE_PGM_RSRC2:TGID_Z_EN: 0
; COMPUTE_PGM_RSRC2:TIDIG_COMP_CNT: 0
	.section	.text._ZN7rocprim17ROCPRIM_400000_NS6detail17trampoline_kernelINS0_14default_configENS1_25partition_config_selectorILNS1_17partition_subalgoE9EijbEEZZNS1_14partition_implILS5_9ELb0ES3_jN6thrust23THRUST_200600_302600_NS6detail15normal_iteratorINS9_10device_ptrIiEEEENSB_INSC_IjEEEEPNS0_10empty_typeENS0_5tupleIJSE_SH_EEENSJ_IJNS9_16discard_iteratorINS9_11use_defaultEEESI_EEENS0_18inequality_wrapperINS9_8equal_toIiEEEEPmJSH_EEE10hipError_tPvRmT3_T4_T5_T6_T7_T9_mT8_P12ihipStream_tbDpT10_ENKUlT_T0_E_clISt17integral_constantIbLb0EES1D_EEDaS18_S19_EUlS18_E_NS1_11comp_targetILNS1_3genE9ELNS1_11target_archE1100ELNS1_3gpuE3ELNS1_3repE0EEENS1_30default_config_static_selectorELNS0_4arch9wavefront6targetE0EEEvT1_,"axG",@progbits,_ZN7rocprim17ROCPRIM_400000_NS6detail17trampoline_kernelINS0_14default_configENS1_25partition_config_selectorILNS1_17partition_subalgoE9EijbEEZZNS1_14partition_implILS5_9ELb0ES3_jN6thrust23THRUST_200600_302600_NS6detail15normal_iteratorINS9_10device_ptrIiEEEENSB_INSC_IjEEEEPNS0_10empty_typeENS0_5tupleIJSE_SH_EEENSJ_IJNS9_16discard_iteratorINS9_11use_defaultEEESI_EEENS0_18inequality_wrapperINS9_8equal_toIiEEEEPmJSH_EEE10hipError_tPvRmT3_T4_T5_T6_T7_T9_mT8_P12ihipStream_tbDpT10_ENKUlT_T0_E_clISt17integral_constantIbLb0EES1D_EEDaS18_S19_EUlS18_E_NS1_11comp_targetILNS1_3genE9ELNS1_11target_archE1100ELNS1_3gpuE3ELNS1_3repE0EEENS1_30default_config_static_selectorELNS0_4arch9wavefront6targetE0EEEvT1_,comdat
	.protected	_ZN7rocprim17ROCPRIM_400000_NS6detail17trampoline_kernelINS0_14default_configENS1_25partition_config_selectorILNS1_17partition_subalgoE9EijbEEZZNS1_14partition_implILS5_9ELb0ES3_jN6thrust23THRUST_200600_302600_NS6detail15normal_iteratorINS9_10device_ptrIiEEEENSB_INSC_IjEEEEPNS0_10empty_typeENS0_5tupleIJSE_SH_EEENSJ_IJNS9_16discard_iteratorINS9_11use_defaultEEESI_EEENS0_18inequality_wrapperINS9_8equal_toIiEEEEPmJSH_EEE10hipError_tPvRmT3_T4_T5_T6_T7_T9_mT8_P12ihipStream_tbDpT10_ENKUlT_T0_E_clISt17integral_constantIbLb0EES1D_EEDaS18_S19_EUlS18_E_NS1_11comp_targetILNS1_3genE9ELNS1_11target_archE1100ELNS1_3gpuE3ELNS1_3repE0EEENS1_30default_config_static_selectorELNS0_4arch9wavefront6targetE0EEEvT1_ ; -- Begin function _ZN7rocprim17ROCPRIM_400000_NS6detail17trampoline_kernelINS0_14default_configENS1_25partition_config_selectorILNS1_17partition_subalgoE9EijbEEZZNS1_14partition_implILS5_9ELb0ES3_jN6thrust23THRUST_200600_302600_NS6detail15normal_iteratorINS9_10device_ptrIiEEEENSB_INSC_IjEEEEPNS0_10empty_typeENS0_5tupleIJSE_SH_EEENSJ_IJNS9_16discard_iteratorINS9_11use_defaultEEESI_EEENS0_18inequality_wrapperINS9_8equal_toIiEEEEPmJSH_EEE10hipError_tPvRmT3_T4_T5_T6_T7_T9_mT8_P12ihipStream_tbDpT10_ENKUlT_T0_E_clISt17integral_constantIbLb0EES1D_EEDaS18_S19_EUlS18_E_NS1_11comp_targetILNS1_3genE9ELNS1_11target_archE1100ELNS1_3gpuE3ELNS1_3repE0EEENS1_30default_config_static_selectorELNS0_4arch9wavefront6targetE0EEEvT1_
	.globl	_ZN7rocprim17ROCPRIM_400000_NS6detail17trampoline_kernelINS0_14default_configENS1_25partition_config_selectorILNS1_17partition_subalgoE9EijbEEZZNS1_14partition_implILS5_9ELb0ES3_jN6thrust23THRUST_200600_302600_NS6detail15normal_iteratorINS9_10device_ptrIiEEEENSB_INSC_IjEEEEPNS0_10empty_typeENS0_5tupleIJSE_SH_EEENSJ_IJNS9_16discard_iteratorINS9_11use_defaultEEESI_EEENS0_18inequality_wrapperINS9_8equal_toIiEEEEPmJSH_EEE10hipError_tPvRmT3_T4_T5_T6_T7_T9_mT8_P12ihipStream_tbDpT10_ENKUlT_T0_E_clISt17integral_constantIbLb0EES1D_EEDaS18_S19_EUlS18_E_NS1_11comp_targetILNS1_3genE9ELNS1_11target_archE1100ELNS1_3gpuE3ELNS1_3repE0EEENS1_30default_config_static_selectorELNS0_4arch9wavefront6targetE0EEEvT1_
	.p2align	8
	.type	_ZN7rocprim17ROCPRIM_400000_NS6detail17trampoline_kernelINS0_14default_configENS1_25partition_config_selectorILNS1_17partition_subalgoE9EijbEEZZNS1_14partition_implILS5_9ELb0ES3_jN6thrust23THRUST_200600_302600_NS6detail15normal_iteratorINS9_10device_ptrIiEEEENSB_INSC_IjEEEEPNS0_10empty_typeENS0_5tupleIJSE_SH_EEENSJ_IJNS9_16discard_iteratorINS9_11use_defaultEEESI_EEENS0_18inequality_wrapperINS9_8equal_toIiEEEEPmJSH_EEE10hipError_tPvRmT3_T4_T5_T6_T7_T9_mT8_P12ihipStream_tbDpT10_ENKUlT_T0_E_clISt17integral_constantIbLb0EES1D_EEDaS18_S19_EUlS18_E_NS1_11comp_targetILNS1_3genE9ELNS1_11target_archE1100ELNS1_3gpuE3ELNS1_3repE0EEENS1_30default_config_static_selectorELNS0_4arch9wavefront6targetE0EEEvT1_,@function
_ZN7rocprim17ROCPRIM_400000_NS6detail17trampoline_kernelINS0_14default_configENS1_25partition_config_selectorILNS1_17partition_subalgoE9EijbEEZZNS1_14partition_implILS5_9ELb0ES3_jN6thrust23THRUST_200600_302600_NS6detail15normal_iteratorINS9_10device_ptrIiEEEENSB_INSC_IjEEEEPNS0_10empty_typeENS0_5tupleIJSE_SH_EEENSJ_IJNS9_16discard_iteratorINS9_11use_defaultEEESI_EEENS0_18inequality_wrapperINS9_8equal_toIiEEEEPmJSH_EEE10hipError_tPvRmT3_T4_T5_T6_T7_T9_mT8_P12ihipStream_tbDpT10_ENKUlT_T0_E_clISt17integral_constantIbLb0EES1D_EEDaS18_S19_EUlS18_E_NS1_11comp_targetILNS1_3genE9ELNS1_11target_archE1100ELNS1_3gpuE3ELNS1_3repE0EEENS1_30default_config_static_selectorELNS0_4arch9wavefront6targetE0EEEvT1_: ; @_ZN7rocprim17ROCPRIM_400000_NS6detail17trampoline_kernelINS0_14default_configENS1_25partition_config_selectorILNS1_17partition_subalgoE9EijbEEZZNS1_14partition_implILS5_9ELb0ES3_jN6thrust23THRUST_200600_302600_NS6detail15normal_iteratorINS9_10device_ptrIiEEEENSB_INSC_IjEEEEPNS0_10empty_typeENS0_5tupleIJSE_SH_EEENSJ_IJNS9_16discard_iteratorINS9_11use_defaultEEESI_EEENS0_18inequality_wrapperINS9_8equal_toIiEEEEPmJSH_EEE10hipError_tPvRmT3_T4_T5_T6_T7_T9_mT8_P12ihipStream_tbDpT10_ENKUlT_T0_E_clISt17integral_constantIbLb0EES1D_EEDaS18_S19_EUlS18_E_NS1_11comp_targetILNS1_3genE9ELNS1_11target_archE1100ELNS1_3gpuE3ELNS1_3repE0EEENS1_30default_config_static_selectorELNS0_4arch9wavefront6targetE0EEEvT1_
; %bb.0:
	s_clause 0x4
	s_load_b128 s[4:7], s[0:1], 0x8
	s_load_b32 s14, s[0:1], 0x70
	s_load_b128 s[16:19], s[0:1], 0x48
	s_load_b64 s[2:3], s[0:1], 0x58
	s_load_b64 s[8:9], s[0:1], 0x18
	s_mov_b32 s23, 0
	s_mul_i32 s22, s15, 0xc00
	v_lshrrev_b32_e32 v10, 3, v0
	v_add_nc_u32_e32 v14, 0x180, v0
	v_add_nc_u32_e32 v13, 0x300, v0
	;; [unrolled: 1-line block ×3, first 2 shown]
	v_or_b32_e32 v15, 0x600, v0
	v_add_nc_u32_e32 v11, 0x780, v0
	v_add_nc_u32_e32 v9, 0x900, v0
	;; [unrolled: 1-line block ×3, first 2 shown]
	s_waitcnt lgkmcnt(0)
	s_lshl_b64 s[12:13], s[6:7], 2
	s_mul_i32 s20, s14, 0xc00
	s_add_u32 s21, s4, s12
	s_addc_u32 s24, s5, s13
	s_add_i32 s4, s20, s6
	s_load_b64 s[10:11], s[18:19], 0x0
	s_sub_i32 s19, s2, s4
	s_add_i32 s14, s14, -1
	s_addk_i32 s19, 0xc00
	s_add_u32 s4, s6, s20
	s_addc_u32 s5, s7, 0
	s_cmp_eq_u32 s15, s14
	v_cmp_ge_u64_e64 s2, s[4:5], s[2:3]
	s_cselect_b32 s14, -1, 0
	s_lshl_b64 s[4:5], s[22:23], 2
	s_mov_b32 s22, -1
	s_delay_alu instid0(VALU_DEP_1) | instskip(NEXT) | instid1(SALU_CYCLE_1)
	s_and_b32 s20, s14, s2
	s_xor_b32 s18, s20, -1
	s_add_u32 s21, s21, s4
	s_addc_u32 s3, s24, s5
	s_and_b32 vcc_lo, exec_lo, s18
	s_cbranch_vccz .LBB1115_2
; %bb.1:
	v_lshlrev_b32_e32 v7, 2, v0
	v_lshrrev_b32_e32 v19, 3, v14
	v_lshrrev_b32_e32 v20, 3, v13
	;; [unrolled: 1-line block ×4, first 2 shown]
	v_add_co_u32 v1, s2, s21, v7
	s_delay_alu instid0(VALU_DEP_1) | instskip(SKIP_1) | instid1(VALU_DEP_3)
	v_add_co_ci_u32_e64 v2, null, s3, 0, s2
	v_lshrrev_b32_e32 v23, 3, v11
	v_add_co_u32 v3, vcc_lo, 0x1000, v1
	s_delay_alu instid0(VALU_DEP_3)
	v_add_co_ci_u32_e32 v4, vcc_lo, 0, v2, vcc_lo
	v_add_co_u32 v5, vcc_lo, 0x2000, v1
	v_add_co_ci_u32_e32 v6, vcc_lo, 0, v2, vcc_lo
	s_clause 0x7
	flat_load_b32 v8, v[1:2]
	flat_load_b32 v17, v[1:2] offset:1536
	flat_load_b32 v1, v[1:2] offset:3072
	;; [unrolled: 1-line block ×7, first 2 shown]
	v_and_b32_e32 v6, 60, v10
	v_lshrrev_b32_e32 v24, 3, v9
	v_lshrrev_b32_e32 v25, 3, v12
	v_and_b32_e32 v19, 0x7c, v19
	v_and_b32_e32 v20, 0xfc, v20
	v_and_b32_e32 v21, 0xfc, v21
	v_and_b32_e32 v22, 0xfc, v22
	v_add_nc_u32_e32 v6, v6, v7
	v_and_b32_e32 v23, 0x1fc, v23
	v_and_b32_e32 v24, 0x17c, v24
	;; [unrolled: 1-line block ×3, first 2 shown]
	v_add_nc_u32_e32 v19, v19, v7
	v_add_nc_u32_e32 v20, v20, v7
	;; [unrolled: 1-line block ×4, first 2 shown]
	s_mov_b32 s22, 0
	v_add_nc_u32_e32 v23, v23, v7
	v_add_nc_u32_e32 v24, v24, v7
	;; [unrolled: 1-line block ×3, first 2 shown]
	s_waitcnt vmcnt(7) lgkmcnt(0)
	ds_store_b32 v6, v8
	s_waitcnt vmcnt(6)
	ds_store_b32 v19, v17 offset:1536
	s_waitcnt vmcnt(5)
	ds_store_b32 v20, v1 offset:3072
	;; [unrolled: 2-line block ×7, first 2 shown]
	s_waitcnt lgkmcnt(0)
	s_barrier
.LBB1115_2:
	v_cmp_gt_u32_e64 s2, s19, v0
	s_and_not1_b32 vcc_lo, exec_lo, s22
	s_cbranch_vccnz .LBB1115_20
; %bb.3:
                                        ; implicit-def: $vgpr1_vgpr2_vgpr3_vgpr4_vgpr5_vgpr6_vgpr7_vgpr8
	s_delay_alu instid0(VALU_DEP_1)
	s_and_saveexec_b32 s22, s2
	s_cbranch_execz .LBB1115_11
; %bb.4:
	v_lshlrev_b32_e32 v1, 2, v0
	s_delay_alu instid0(VALU_DEP_1) | instskip(NEXT) | instid1(VALU_DEP_1)
	v_add_co_u32 v1, s2, s21, v1
	v_add_co_ci_u32_e64 v2, null, s3, 0, s2
	flat_load_b32 v1, v[1:2]
	s_or_b32 exec_lo, exec_lo, s22
	s_delay_alu instid0(SALU_CYCLE_1)
	s_mov_b32 s2, exec_lo
	v_cmpx_gt_u32_e64 s19, v14
	s_cbranch_execnz .LBB1115_12
.LBB1115_5:
	s_or_b32 exec_lo, exec_lo, s2
	s_delay_alu instid0(SALU_CYCLE_1)
	s_mov_b32 s2, exec_lo
	v_cmpx_gt_u32_e64 s19, v13
	s_cbranch_execz .LBB1115_13
.LBB1115_6:
	v_lshlrev_b32_e32 v3, 2, v0
	s_delay_alu instid0(VALU_DEP_1) | instskip(NEXT) | instid1(VALU_DEP_1)
	v_add_co_u32 v17, s22, s21, v3
	v_add_co_ci_u32_e64 v18, null, s3, 0, s22
	flat_load_b32 v3, v[17:18] offset:3072
	s_or_b32 exec_lo, exec_lo, s2
	s_delay_alu instid0(SALU_CYCLE_1)
	s_mov_b32 s2, exec_lo
	v_cmpx_gt_u32_e64 s19, v16
	s_cbranch_execnz .LBB1115_14
.LBB1115_7:
	s_or_b32 exec_lo, exec_lo, s2
	s_delay_alu instid0(SALU_CYCLE_1)
	s_mov_b32 s2, exec_lo
	v_cmpx_gt_u32_e64 s19, v15
	s_cbranch_execz .LBB1115_15
.LBB1115_8:
	v_lshlrev_b32_e32 v5, 2, v15
	s_delay_alu instid0(VALU_DEP_1) | instskip(NEXT) | instid1(VALU_DEP_1)
	v_add_co_u32 v17, s22, s21, v5
	v_add_co_ci_u32_e64 v18, null, s3, 0, s22
	flat_load_b32 v5, v[17:18]
	s_or_b32 exec_lo, exec_lo, s2
	s_delay_alu instid0(SALU_CYCLE_1)
	s_mov_b32 s2, exec_lo
	v_cmpx_gt_u32_e64 s19, v11
	s_cbranch_execnz .LBB1115_16
.LBB1115_9:
	s_or_b32 exec_lo, exec_lo, s2
	s_delay_alu instid0(SALU_CYCLE_1)
	s_mov_b32 s2, exec_lo
	v_cmpx_gt_u32_e64 s19, v9
	s_cbranch_execz .LBB1115_17
.LBB1115_10:
	v_lshlrev_b32_e32 v7, 2, v9
	s_delay_alu instid0(VALU_DEP_1) | instskip(NEXT) | instid1(VALU_DEP_1)
	v_add_co_u32 v17, s22, s21, v7
	v_add_co_ci_u32_e64 v18, null, s3, 0, s22
	flat_load_b32 v7, v[17:18]
	s_or_b32 exec_lo, exec_lo, s2
	s_delay_alu instid0(SALU_CYCLE_1)
	s_mov_b32 s2, exec_lo
	v_cmpx_gt_u32_e64 s19, v12
	s_cbranch_execnz .LBB1115_18
	s_branch .LBB1115_19
.LBB1115_11:
	s_or_b32 exec_lo, exec_lo, s22
	s_delay_alu instid0(SALU_CYCLE_1)
	s_mov_b32 s2, exec_lo
	v_cmpx_gt_u32_e64 s19, v14
	s_cbranch_execz .LBB1115_5
.LBB1115_12:
	v_lshlrev_b32_e32 v2, 2, v0
	s_delay_alu instid0(VALU_DEP_1) | instskip(NEXT) | instid1(VALU_DEP_1)
	v_add_co_u32 v17, s22, s21, v2
	v_add_co_ci_u32_e64 v18, null, s3, 0, s22
	flat_load_b32 v2, v[17:18] offset:1536
	s_or_b32 exec_lo, exec_lo, s2
	s_delay_alu instid0(SALU_CYCLE_1)
	s_mov_b32 s2, exec_lo
	v_cmpx_gt_u32_e64 s19, v13
	s_cbranch_execnz .LBB1115_6
.LBB1115_13:
	s_or_b32 exec_lo, exec_lo, s2
	s_delay_alu instid0(SALU_CYCLE_1)
	s_mov_b32 s2, exec_lo
	v_cmpx_gt_u32_e64 s19, v16
	s_cbranch_execz .LBB1115_7
.LBB1115_14:
	v_lshlrev_b32_e32 v4, 2, v16
	s_delay_alu instid0(VALU_DEP_1) | instskip(NEXT) | instid1(VALU_DEP_1)
	v_add_co_u32 v17, s22, s21, v4
	v_add_co_ci_u32_e64 v18, null, s3, 0, s22
	flat_load_b32 v4, v[17:18]
	s_or_b32 exec_lo, exec_lo, s2
	s_delay_alu instid0(SALU_CYCLE_1)
	s_mov_b32 s2, exec_lo
	v_cmpx_gt_u32_e64 s19, v15
	s_cbranch_execnz .LBB1115_8
.LBB1115_15:
	s_or_b32 exec_lo, exec_lo, s2
	s_delay_alu instid0(SALU_CYCLE_1)
	s_mov_b32 s2, exec_lo
	v_cmpx_gt_u32_e64 s19, v11
	s_cbranch_execz .LBB1115_9
.LBB1115_16:
	v_lshlrev_b32_e32 v6, 2, v11
	s_delay_alu instid0(VALU_DEP_1) | instskip(NEXT) | instid1(VALU_DEP_1)
	v_add_co_u32 v17, s22, s21, v6
	v_add_co_ci_u32_e64 v18, null, s3, 0, s22
	flat_load_b32 v6, v[17:18]
	s_or_b32 exec_lo, exec_lo, s2
	s_delay_alu instid0(SALU_CYCLE_1)
	s_mov_b32 s2, exec_lo
	v_cmpx_gt_u32_e64 s19, v9
	s_cbranch_execnz .LBB1115_10
.LBB1115_17:
	s_or_b32 exec_lo, exec_lo, s2
	s_delay_alu instid0(SALU_CYCLE_1)
	s_mov_b32 s2, exec_lo
	v_cmpx_gt_u32_e64 s19, v12
	s_cbranch_execz .LBB1115_19
.LBB1115_18:
	v_lshlrev_b32_e32 v8, 2, v12
	s_delay_alu instid0(VALU_DEP_1) | instskip(NEXT) | instid1(VALU_DEP_1)
	v_add_co_u32 v17, s22, s21, v8
	v_add_co_ci_u32_e64 v18, null, s3, 0, s22
	flat_load_b32 v8, v[17:18]
.LBB1115_19:
	s_or_b32 exec_lo, exec_lo, s2
	v_lshrrev_b32_e32 v17, 3, v14
	v_lshrrev_b32_e32 v18, 3, v13
	;; [unrolled: 1-line block ×4, first 2 shown]
	v_and_b32_e32 v19, 60, v10
	v_lshlrev_b32_e32 v20, 2, v0
	v_lshrrev_b32_e32 v23, 3, v11
	v_lshrrev_b32_e32 v24, 3, v9
	;; [unrolled: 1-line block ×3, first 2 shown]
	v_and_b32_e32 v17, 0x7c, v17
	v_and_b32_e32 v18, 0xfc, v18
	;; [unrolled: 1-line block ×4, first 2 shown]
	v_add_nc_u32_e32 v19, v19, v20
	v_and_b32_e32 v23, 0x1fc, v23
	v_and_b32_e32 v24, 0x1fc, v24
	;; [unrolled: 1-line block ×3, first 2 shown]
	v_add_nc_u32_e32 v17, v17, v20
	v_add_nc_u32_e32 v18, v18, v20
	;; [unrolled: 1-line block ×7, first 2 shown]
	s_waitcnt vmcnt(0) lgkmcnt(0)
	ds_store_b32 v19, v1
	ds_store_b32 v17, v2 offset:1536
	ds_store_b32 v18, v3 offset:3072
	;; [unrolled: 1-line block ×7, first 2 shown]
	s_waitcnt lgkmcnt(0)
	s_barrier
.LBB1115_20:
	v_lshlrev_b32_e32 v19, 3, v0
	v_lshrrev_b32_e32 v1, 2, v0
	s_waitcnt lgkmcnt(0)
	buffer_gl0_inv
	s_add_u32 s2, s8, s12
	s_addc_u32 s8, s9, s13
	s_add_u32 s2, s2, s4
	v_add_lshl_u32 v17, v1, v19, 2
	s_addc_u32 s4, s8, s5
	s_and_b32 vcc_lo, exec_lo, s18
	s_mov_b32 s5, -1
	ds_load_2addr_b32 v[7:8], v17 offset1:1
	ds_load_2addr_b32 v[5:6], v17 offset0:2 offset1:3
	ds_load_2addr_b32 v[3:4], v17 offset0:4 offset1:5
	;; [unrolled: 1-line block ×3, first 2 shown]
	s_waitcnt lgkmcnt(0)
	s_barrier
	buffer_gl0_inv
	s_cbranch_vccz .LBB1115_22
; %bb.21:
	v_lshlrev_b32_e32 v18, 2, v0
	v_lshrrev_b32_e32 v29, 3, v14
	v_lshrrev_b32_e32 v30, 3, v13
	;; [unrolled: 1-line block ×4, first 2 shown]
	v_add_co_u32 v20, s5, s2, v18
	s_delay_alu instid0(VALU_DEP_1) | instskip(SKIP_1) | instid1(VALU_DEP_3)
	v_add_co_ci_u32_e64 v21, null, s4, 0, s5
	v_lshrrev_b32_e32 v33, 3, v11
	v_add_co_u32 v22, vcc_lo, 0x1000, v20
	s_delay_alu instid0(VALU_DEP_3)
	v_add_co_ci_u32_e32 v23, vcc_lo, 0, v21, vcc_lo
	v_add_co_u32 v24, vcc_lo, 0x2000, v20
	v_add_co_ci_u32_e32 v25, vcc_lo, 0, v21, vcc_lo
	s_clause 0x7
	flat_load_b32 v26, v[20:21]
	flat_load_b32 v27, v[20:21] offset:1536
	flat_load_b32 v20, v[20:21] offset:3072
	;; [unrolled: 1-line block ×7, first 2 shown]
	v_and_b32_e32 v25, 60, v10
	v_lshrrev_b32_e32 v34, 3, v9
	v_lshrrev_b32_e32 v35, 3, v12
	v_and_b32_e32 v29, 0x7c, v29
	v_and_b32_e32 v30, 0xfc, v30
	;; [unrolled: 1-line block ×4, first 2 shown]
	v_add_nc_u32_e32 v25, v25, v18
	v_and_b32_e32 v33, 0x1fc, v33
	v_and_b32_e32 v34, 0x17c, v34
	;; [unrolled: 1-line block ×3, first 2 shown]
	v_add_nc_u32_e32 v29, v29, v18
	v_add_nc_u32_e32 v30, v30, v18
	;; [unrolled: 1-line block ×4, first 2 shown]
	s_mov_b32 s5, 0
	v_add_nc_u32_e32 v33, v33, v18
	v_add_nc_u32_e32 v34, v34, v18
	v_add_nc_u32_e32 v18, v35, v18
	s_waitcnt vmcnt(7) lgkmcnt(7)
	ds_store_b32 v25, v26
	s_waitcnt vmcnt(6) lgkmcnt(7)
	ds_store_b32 v29, v27 offset:1536
	s_waitcnt vmcnt(5) lgkmcnt(7)
	ds_store_b32 v30, v20 offset:3072
	;; [unrolled: 2-line block ×7, first 2 shown]
	s_waitcnt lgkmcnt(0)
	s_barrier
.LBB1115_22:
	s_and_not1_b32 vcc_lo, exec_lo, s5
	s_cbranch_vccnz .LBB1115_40
; %bb.23:
	s_mov_b32 s5, exec_lo
                                        ; implicit-def: $vgpr18
	v_cmpx_gt_u32_e64 s19, v0
	s_cbranch_execz .LBB1115_25
; %bb.24:
	v_lshlrev_b32_e32 v18, 2, v0
	s_delay_alu instid0(VALU_DEP_1) | instskip(NEXT) | instid1(VALU_DEP_1)
	v_add_co_u32 v20, s8, s2, v18
	v_add_co_ci_u32_e64 v21, null, s4, 0, s8
	flat_load_b32 v18, v[20:21]
.LBB1115_25:
	s_or_b32 exec_lo, exec_lo, s5
	s_delay_alu instid0(SALU_CYCLE_1)
	s_mov_b32 s5, exec_lo
                                        ; implicit-def: $vgpr20
	v_cmpx_gt_u32_e64 s19, v14
	s_cbranch_execz .LBB1115_27
; %bb.26:
	v_lshlrev_b32_e32 v20, 2, v0
	s_delay_alu instid0(VALU_DEP_1) | instskip(NEXT) | instid1(VALU_DEP_1)
	v_add_co_u32 v20, s8, s2, v20
	v_add_co_ci_u32_e64 v21, null, s4, 0, s8
	flat_load_b32 v20, v[20:21] offset:1536
.LBB1115_27:
	s_or_b32 exec_lo, exec_lo, s5
	s_delay_alu instid0(SALU_CYCLE_1)
	s_mov_b32 s5, exec_lo
                                        ; implicit-def: $vgpr21
	v_cmpx_gt_u32_e64 s19, v13
	s_cbranch_execz .LBB1115_29
; %bb.28:
	v_lshlrev_b32_e32 v21, 2, v0
	s_delay_alu instid0(VALU_DEP_1) | instskip(NEXT) | instid1(VALU_DEP_1)
	v_add_co_u32 v21, s8, s2, v21
	v_add_co_ci_u32_e64 v22, null, s4, 0, s8
	flat_load_b32 v21, v[21:22] offset:3072
.LBB1115_29:
	s_or_b32 exec_lo, exec_lo, s5
	s_delay_alu instid0(SALU_CYCLE_1)
	s_mov_b32 s5, exec_lo
                                        ; implicit-def: $vgpr22
	v_cmpx_gt_u32_e64 s19, v16
	s_cbranch_execz .LBB1115_31
; %bb.30:
	v_lshlrev_b32_e32 v22, 2, v16
	s_delay_alu instid0(VALU_DEP_1) | instskip(NEXT) | instid1(VALU_DEP_1)
	v_add_co_u32 v22, s8, s2, v22
	v_add_co_ci_u32_e64 v23, null, s4, 0, s8
	flat_load_b32 v22, v[22:23]
.LBB1115_31:
	s_or_b32 exec_lo, exec_lo, s5
	s_delay_alu instid0(SALU_CYCLE_1)
	s_mov_b32 s5, exec_lo
                                        ; implicit-def: $vgpr23
	v_cmpx_gt_u32_e64 s19, v15
	s_cbranch_execz .LBB1115_33
; %bb.32:
	v_lshlrev_b32_e32 v23, 2, v15
	s_delay_alu instid0(VALU_DEP_1) | instskip(NEXT) | instid1(VALU_DEP_1)
	v_add_co_u32 v23, s8, s2, v23
	v_add_co_ci_u32_e64 v24, null, s4, 0, s8
	flat_load_b32 v23, v[23:24]
.LBB1115_33:
	s_or_b32 exec_lo, exec_lo, s5
	s_delay_alu instid0(SALU_CYCLE_1)
	s_mov_b32 s5, exec_lo
                                        ; implicit-def: $vgpr24
	v_cmpx_gt_u32_e64 s19, v11
	s_cbranch_execz .LBB1115_35
; %bb.34:
	v_lshlrev_b32_e32 v24, 2, v11
	s_delay_alu instid0(VALU_DEP_1) | instskip(NEXT) | instid1(VALU_DEP_1)
	v_add_co_u32 v24, s8, s2, v24
	v_add_co_ci_u32_e64 v25, null, s4, 0, s8
	flat_load_b32 v24, v[24:25]
.LBB1115_35:
	s_or_b32 exec_lo, exec_lo, s5
	s_delay_alu instid0(SALU_CYCLE_1)
	s_mov_b32 s5, exec_lo
                                        ; implicit-def: $vgpr25
	v_cmpx_gt_u32_e64 s19, v9
	s_cbranch_execz .LBB1115_37
; %bb.36:
	v_lshlrev_b32_e32 v25, 2, v9
	s_delay_alu instid0(VALU_DEP_1) | instskip(NEXT) | instid1(VALU_DEP_1)
	v_add_co_u32 v25, s8, s2, v25
	v_add_co_ci_u32_e64 v26, null, s4, 0, s8
	flat_load_b32 v25, v[25:26]
.LBB1115_37:
	s_or_b32 exec_lo, exec_lo, s5
	s_delay_alu instid0(SALU_CYCLE_1)
	s_mov_b32 s5, exec_lo
                                        ; implicit-def: $vgpr26
	v_cmpx_gt_u32_e64 s19, v12
	s_cbranch_execz .LBB1115_39
; %bb.38:
	v_lshlrev_b32_e32 v26, 2, v12
	s_delay_alu instid0(VALU_DEP_1) | instskip(NEXT) | instid1(VALU_DEP_1)
	v_add_co_u32 v26, s2, s2, v26
	v_add_co_ci_u32_e64 v27, null, s4, 0, s2
	flat_load_b32 v26, v[26:27]
.LBB1115_39:
	s_or_b32 exec_lo, exec_lo, s5
	v_lshrrev_b32_e32 v14, 3, v14
	v_lshrrev_b32_e32 v13, 3, v13
	;; [unrolled: 1-line block ×4, first 2 shown]
	v_and_b32_e32 v10, 60, v10
	v_lshlrev_b32_e32 v27, 2, v0
	v_lshrrev_b32_e32 v11, 3, v11
	v_lshrrev_b32_e32 v9, 3, v9
	;; [unrolled: 1-line block ×3, first 2 shown]
	v_and_b32_e32 v14, 0x7c, v14
	v_and_b32_e32 v13, 0xfc, v13
	;; [unrolled: 1-line block ×4, first 2 shown]
	v_add_nc_u32_e32 v10, v10, v27
	v_and_b32_e32 v11, 0x1fc, v11
	v_and_b32_e32 v9, 0x1fc, v9
	;; [unrolled: 1-line block ×3, first 2 shown]
	v_add_nc_u32_e32 v14, v14, v27
	v_add_nc_u32_e32 v13, v13, v27
	;; [unrolled: 1-line block ×7, first 2 shown]
	s_waitcnt vmcnt(0) lgkmcnt(0)
	ds_store_b32 v10, v18
	ds_store_b32 v14, v20 offset:1536
	ds_store_b32 v13, v21 offset:3072
	;; [unrolled: 1-line block ×7, first 2 shown]
	s_waitcnt lgkmcnt(0)
	s_barrier
.LBB1115_40:
	buffer_gl0_inv
	ds_load_2addr_b32 v[15:16], v17 offset1:1
	ds_load_2addr_b32 v[13:14], v17 offset0:2 offset1:3
	ds_load_2addr_b32 v[11:12], v17 offset0:4 offset1:5
	;; [unrolled: 1-line block ×3, first 2 shown]
	s_cmp_lg_u32 s15, 0
	s_mov_b32 s12, 0
	s_cselect_b32 s9, -1, 0
	s_cmp_lg_u64 s[6:7], 0
	s_waitcnt lgkmcnt(0)
	s_cselect_b32 s2, -1, 0
	s_barrier
	s_or_b32 s2, s9, s2
	buffer_gl0_inv
	s_and_b32 vcc_lo, exec_lo, s2
	s_cbranch_vccz .LBB1115_45
; %bb.41:
	v_add_co_u32 v17, s2, -4, s21
	s_delay_alu instid0(VALU_DEP_1)
	v_add_co_ci_u32_e64 v18, null, -1, s3, s2
	v_lshlrev_b32_e32 v21, 2, v0
	s_mov_b32 s3, -1
	s_and_b32 vcc_lo, exec_lo, s18
	flat_load_b32 v20, v[17:18]
	ds_store_b32 v21, v2
	s_cbranch_vccz .LBB1115_46
; %bb.42:
	s_waitcnt vmcnt(0) lgkmcnt(1)
	v_mov_b32_e32 v17, v20
	s_mov_b32 s3, 0
	s_mov_b32 s2, exec_lo
	s_waitcnt lgkmcnt(0)
	s_barrier
	buffer_gl0_inv
	v_cmpx_ne_u32_e32 0, v0
	s_cbranch_execz .LBB1115_44
; %bb.43:
	v_add_nc_u32_e32 v17, -4, v21
	ds_load_b32 v17, v17
.LBB1115_44:
	s_or_b32 exec_lo, exec_lo, s2
	v_cmp_ne_u32_e32 vcc_lo, v1, v2
	s_waitcnt lgkmcnt(0)
	v_cmp_ne_u32_e64 s2, v17, v7
	v_cndmask_b32_e64 v18, 0, 1, vcc_lo
	v_cmp_ne_u32_e32 vcc_lo, v4, v1
	s_delay_alu instid0(VALU_DEP_2) | instskip(SKIP_2) | instid1(VALU_DEP_2)
	v_lshlrev_b16 v18, 8, v18
	v_cndmask_b32_e64 v22, 0, 1, vcc_lo
	v_cmp_ne_u32_e32 vcc_lo, v3, v4
	v_or_b32_e32 v18, v22, v18
	v_cndmask_b32_e64 v23, 0, 1, vcc_lo
	v_cmp_ne_u32_e32 vcc_lo, v5, v6
	s_delay_alu instid0(VALU_DEP_3) | instskip(NEXT) | instid1(VALU_DEP_3)
	v_lshlrev_b32_e32 v18, 16, v18
	v_lshlrev_b16 v23, 8, v23
	v_cndmask_b32_e64 v24, 0, 1, vcc_lo
	v_cmp_ne_u32_e32 vcc_lo, v6, v3
	s_delay_alu instid0(VALU_DEP_2) | instskip(SKIP_2) | instid1(VALU_DEP_2)
	v_lshlrev_b16 v24, 8, v24
	v_cndmask_b32_e64 v25, 0, 1, vcc_lo
	v_cmp_ne_u32_e32 vcc_lo, v8, v5
	v_or_b32_e32 v23, v25, v23
	v_cndmask_b32_e64 v26, 0, 1, vcc_lo
	v_cmp_ne_u32_e32 vcc_lo, v7, v8
	s_delay_alu instid0(VALU_DEP_3) | instskip(NEXT) | instid1(VALU_DEP_3)
	v_and_b32_e32 v23, 0xffff, v23
	v_or_b32_e32 v24, v26, v24
	v_cndmask_b32_e64 v27, 0, 1, vcc_lo
	s_delay_alu instid0(VALU_DEP_3) | instskip(NEXT) | instid1(VALU_DEP_3)
	v_or_b32_e32 v18, v23, v18
	v_lshlrev_b32_e32 v22, 16, v24
	s_delay_alu instid0(VALU_DEP_3) | instskip(NEXT) | instid1(VALU_DEP_1)
	v_lshlrev_b16 v26, 8, v27
	v_and_b32_e32 v24, 0xffff, v26
	s_delay_alu instid0(VALU_DEP_1)
	v_or_b32_e32 v17, v24, v22
	s_and_b32 vcc_lo, exec_lo, s3
	s_cbranch_vccnz .LBB1115_47
	s_branch .LBB1115_50
.LBB1115_45:
                                        ; implicit-def: $sgpr2
                                        ; implicit-def: $vgpr18
	s_branch .LBB1115_51
.LBB1115_46:
                                        ; implicit-def: $sgpr2
                                        ; implicit-def: $vgpr18
	s_and_b32 vcc_lo, exec_lo, s3
	s_cbranch_vccz .LBB1115_50
.LBB1115_47:
	s_mov_b32 s2, exec_lo
	s_waitcnt vmcnt(0) lgkmcnt(0)
	s_barrier
	buffer_gl0_inv
	v_cmpx_ne_u32_e32 0, v0
	s_cbranch_execz .LBB1115_49
; %bb.48:
	v_add_nc_u32_e32 v17, -4, v21
	ds_load_b32 v20, v17
.LBB1115_49:
	s_or_b32 exec_lo, exec_lo, s2
	v_or_b32_e32 v17, 7, v19
	v_or_b32_e32 v18, 6, v19
	;; [unrolled: 1-line block ×3, first 2 shown]
	v_cmp_ne_u32_e32 vcc_lo, v1, v2
	v_cmp_ne_u32_e64 s3, v4, v1
	v_cmp_gt_u32_e64 s2, s19, v17
	v_cmp_gt_u32_e64 s5, s19, v18
	v_cmp_ne_u32_e64 s4, v3, v4
	v_cmp_gt_u32_e64 s6, s19, v21
	v_or_b32_e32 v18, 3, v19
	s_and_b32 s2, s2, vcc_lo
	v_or_b32_e32 v22, 4, v19
	v_cndmask_b32_e64 v17, 0, 1, s2
	s_and_b32 s2, s5, s3
	v_cmp_gt_u32_e32 vcc_lo, s19, v18
	v_cndmask_b32_e64 v21, 0, 1, s2
	s_and_b32 s2, s6, s4
	v_or_b32_e32 v18, 2, v19
	v_cndmask_b32_e64 v23, 0, 1, s2
	v_cmp_ne_u32_e64 s2, v5, v6
	v_cmp_gt_u32_e64 s3, s19, v22
	v_or_b32_e32 v22, 1, v19
	v_cmp_ne_u32_e64 s4, v6, v3
	v_cmp_ne_u32_e64 s6, v7, v8
	s_and_b32 s2, vcc_lo, s2
	v_cmp_gt_u32_e32 vcc_lo, s19, v18
	v_cndmask_b32_e64 v24, 0, 1, s2
	v_cmp_ne_u32_e64 s2, v8, v5
	v_cmp_gt_u32_e64 s5, s19, v22
	s_and_b32 s3, s3, s4
	v_lshlrev_b16 v23, 8, v23
	v_cndmask_b32_e64 v18, 0, 1, s3
	s_and_b32 s2, vcc_lo, s2
	v_lshlrev_b16 v24, 8, v24
	v_cndmask_b32_e64 v22, 0, 1, s2
	s_and_b32 s2, s5, s6
	v_lshlrev_b16 v17, 8, v17
	v_cndmask_b32_e64 v25, 0, 1, s2
	v_or_b32_e32 v18, v18, v23
	v_or_b32_e32 v22, v22, v24
	v_cmp_gt_u32_e32 vcc_lo, s19, v19
	v_or_b32_e32 v17, v21, v17
	v_lshlrev_b16 v24, 8, v25
	v_and_b32_e32 v18, 0xffff, v18
	v_lshlrev_b32_e32 v21, 16, v22
	s_waitcnt lgkmcnt(0)
	v_cmp_ne_u32_e64 s2, v20, v7
	v_lshlrev_b32_e32 v23, 16, v17
	v_and_b32_e32 v22, 0xffff, v24
	s_delay_alu instid0(VALU_DEP_3) | instskip(NEXT) | instid1(VALU_DEP_2)
	s_and_b32 s2, vcc_lo, s2
	v_or_b32_e32 v18, v18, v23
	s_delay_alu instid0(VALU_DEP_2)
	v_or_b32_e32 v17, v22, v21
.LBB1115_50:
	s_mov_b32 s12, -1
	s_cbranch_execnz .LBB1115_59
.LBB1115_51:
	s_waitcnt vmcnt(0) lgkmcnt(1)
	v_lshlrev_b32_e32 v20, 2, v0
	v_cmp_ne_u32_e64 s3, v1, v2
	v_cmp_ne_u32_e64 s4, v4, v1
	;; [unrolled: 1-line block ×7, first 2 shown]
	s_and_b32 vcc_lo, exec_lo, s18
	ds_store_b32 v20, v2
	s_cbranch_vccz .LBB1115_55
; %bb.52:
	v_cndmask_b32_e64 v17, 0, 1, s3
	v_cndmask_b32_e64 v21, 0, 1, s5
	;; [unrolled: 1-line block ×7, first 2 shown]
	v_lshlrev_b16 v21, 8, v21
	v_lshlrev_b16 v17, 8, v17
	;; [unrolled: 1-line block ×4, first 2 shown]
	s_mov_b32 s3, 0
	v_or_b32_e32 v21, v22, v21
	v_or_b32_e32 v17, v18, v17
	v_or_b32_e32 v18, v25, v23
	v_or_b32_e32 v22, 1, v24
	s_mov_b32 s4, exec_lo
	v_and_b32_e32 v21, 0xffff, v21
	v_lshlrev_b32_e32 v17, 16, v17
	v_lshlrev_b32_e32 v23, 16, v18
	v_and_b32_e32 v22, 0xffff, v22
	s_waitcnt lgkmcnt(0)
	s_barrier
	v_or_b32_e32 v18, v21, v17
	buffer_gl0_inv
	v_or_b32_e32 v17, v22, v23
                                        ; implicit-def: $sgpr2
	v_cmpx_ne_u32_e32 0, v0
	s_xor_b32 s4, exec_lo, s4
	s_cbranch_execz .LBB1115_54
; %bb.53:
	v_add_nc_u32_e32 v21, -4, v20
	s_or_b32 s12, s12, exec_lo
	ds_load_b32 v21, v21
	s_waitcnt lgkmcnt(0)
	v_cmp_ne_u32_e32 vcc_lo, v21, v7
	s_and_b32 s2, vcc_lo, exec_lo
.LBB1115_54:
	s_or_b32 exec_lo, exec_lo, s4
	s_delay_alu instid0(SALU_CYCLE_1)
	s_and_b32 vcc_lo, exec_lo, s3
	s_cbranch_vccnz .LBB1115_56
	s_branch .LBB1115_59
.LBB1115_55:
                                        ; implicit-def: $sgpr2
                                        ; implicit-def: $vgpr18
	s_cbranch_execz .LBB1115_59
.LBB1115_56:
	v_or_b32_e32 v17, 7, v19
	v_or_b32_e32 v18, 6, v19
	v_cmp_ne_u32_e32 vcc_lo, v1, v2
	v_cmp_ne_u32_e64 s3, v4, v1
	v_or_b32_e32 v21, 5, v19
	v_cmp_gt_u32_e64 s2, s19, v17
	v_cmp_gt_u32_e64 s4, s19, v18
	v_or_b32_e32 v17, 4, v19
	v_or_b32_e32 v22, 3, v19
	v_cmp_gt_u32_e64 s5, s19, v21
	s_and_b32 s2, s2, vcc_lo
	v_cmp_ne_u32_e32 vcc_lo, v3, v4
	v_cndmask_b32_e64 v18, 0, 1, s2
	s_and_b32 s2, s4, s3
	v_cmp_ne_u32_e64 s3, v6, v3
	v_cndmask_b32_e64 v21, 0, 1, s2
	v_cmp_gt_u32_e64 s2, s19, v17
	v_or_b32_e32 v23, 1, v19
	s_and_b32 s4, s5, vcc_lo
	v_cmp_gt_u32_e32 vcc_lo, s19, v22
	v_cndmask_b32_e64 v17, 0, 1, s4
	s_and_b32 s2, s2, s3
	v_or_b32_e32 v25, 2, v19
	v_cndmask_b32_e64 v24, 0, 1, s2
	v_cmp_ne_u32_e64 s2, v5, v6
	v_cmp_gt_u32_e64 s3, s19, v23
	v_cmp_ne_u32_e64 s4, v7, v8
	v_cmp_gt_u32_e64 s5, s19, v25
	v_cmp_ne_u32_e64 s6, v8, v5
	s_and_b32 s2, vcc_lo, s2
	v_lshlrev_b16 v17, 8, v17
	v_cndmask_b32_e64 v22, 0, 1, s2
	s_and_b32 s2, s3, s4
	v_lshlrev_b16 v18, 8, v18
	v_cndmask_b32_e64 v23, 0, 1, s2
	s_and_b32 s2, s5, s6
	v_lshlrev_b16 v22, 8, v22
	v_cndmask_b32_e64 v25, 0, 1, s2
	v_or_b32_e32 v17, v24, v17
	v_lshlrev_b16 v23, 8, v23
	v_or_b32_e32 v18, v21, v18
	s_mov_b32 s3, exec_lo
	v_or_b32_e32 v21, v25, v22
	v_and_b32_e32 v17, 0xffff, v17
	v_or_b32_e32 v22, 1, v23
	v_lshlrev_b32_e32 v18, 16, v18
	s_waitcnt lgkmcnt(0)
	v_lshlrev_b32_e32 v21, 16, v21
	s_barrier
	v_and_b32_e32 v22, 0xffff, v22
	v_or_b32_e32 v18, v17, v18
	buffer_gl0_inv
                                        ; implicit-def: $sgpr2
	v_or_b32_e32 v17, v22, v21
	v_cmpx_ne_u32_e32 0, v0
	s_cbranch_execz .LBB1115_58
; %bb.57:
	v_add_nc_u32_e32 v20, -4, v20
	v_cmp_gt_u32_e32 vcc_lo, s19, v19
	s_or_b32 s12, s12, exec_lo
	ds_load_b32 v20, v20
	s_waitcnt lgkmcnt(0)
	v_cmp_ne_u32_e64 s2, v20, v7
	s_delay_alu instid0(VALU_DEP_1) | instskip(NEXT) | instid1(SALU_CYCLE_1)
	s_and_b32 s2, vcc_lo, s2
	s_and_b32 s2, s2, exec_lo
.LBB1115_58:
	s_or_b32 exec_lo, exec_lo, s3
.LBB1115_59:
	s_and_saveexec_b32 s3, s12
	s_cbranch_execz .LBB1115_61
; %bb.60:
	s_waitcnt vmcnt(0) lgkmcnt(1)
	v_and_b32_e32 v20, 0xffffff00, v17
	v_cndmask_b32_e64 v21, 0, 1, s2
	s_delay_alu instid0(VALU_DEP_1) | instskip(NEXT) | instid1(VALU_DEP_1)
	v_or_b32_e32 v20, v21, v20
	v_and_b32_e32 v20, 0xffff, v20
	s_delay_alu instid0(VALU_DEP_1)
	v_and_or_b32 v17, 0xffff0000, v17, v20
.LBB1115_61:
	s_or_b32 exec_lo, exec_lo, s3
	s_load_b64 s[12:13], s[0:1], 0x68
	s_and_not1_b32 vcc_lo, exec_lo, s20
	s_cbranch_vccnz .LBB1115_63
; %bb.62:
	v_cmp_gt_u32_e32 vcc_lo, s19, v19
	v_or_b32_e32 v21, 1, v19
	v_and_b32_e32 v22, 0xffffff00, v18
	v_or_b32_e32 v23, 2, v19
	s_waitcnt vmcnt(0) lgkmcnt(0)
	v_cndmask_b32_e32 v20, 0, v17, vcc_lo
	v_cmp_gt_u32_e32 vcc_lo, s19, v21
	v_or_b32_e32 v21, 4, v19
	v_cmp_gt_u32_e64 s2, s19, v23
	v_or_b32_e32 v23, 3, v19
	v_and_b32_e32 v20, 0xff, v20
	s_delay_alu instid0(VALU_DEP_2) | instskip(NEXT) | instid1(VALU_DEP_2)
	v_cmp_gt_u32_e64 s3, s19, v23
	v_cndmask_b32_e32 v20, v20, v17, vcc_lo
	v_cmp_gt_u32_e32 vcc_lo, s19, v21
	s_delay_alu instid0(VALU_DEP_2) | instskip(SKIP_1) | instid1(VALU_DEP_2)
	v_dual_cndmask_b32 v21, v22, v18 :: v_dual_and_b32 v20, 0xffff, v20
	v_or_b32_e32 v22, 5, v19
	v_cndmask_b32_e64 v20, v20, v17, s2
	s_delay_alu instid0(VALU_DEP_3) | instskip(NEXT) | instid1(VALU_DEP_3)
	v_and_b32_e32 v21, 0xffff00ff, v21
	v_cmp_gt_u32_e64 s2, s19, v22
	v_or_b32_e32 v22, 6, v19
	v_or_b32_e32 v19, 7, v19
	v_and_b32_e32 v20, 0xffffff, v20
	s_delay_alu instid0(VALU_DEP_4) | instskip(NEXT) | instid1(VALU_DEP_2)
	v_cndmask_b32_e64 v21, v21, v18, s2
	v_cndmask_b32_e64 v20, v20, v17, s3
	s_delay_alu instid0(VALU_DEP_2) | instskip(NEXT) | instid1(VALU_DEP_2)
	v_and_b32_e32 v21, 0xff00ffff, v21
	v_cndmask_b32_e32 v20, v20, v17, vcc_lo
	v_cmp_gt_u32_e32 vcc_lo, s19, v22
	s_delay_alu instid0(VALU_DEP_2) | instskip(NEXT) | instid1(VALU_DEP_1)
	v_cndmask_b32_e64 v20, v20, v17, s2
	v_dual_cndmask_b32 v21, v21, v18 :: v_dual_cndmask_b32 v20, v20, v17
	s_delay_alu instid0(VALU_DEP_1) | instskip(SKIP_1) | instid1(VALU_DEP_2)
	v_and_b32_e32 v21, 0xffffff, v21
	v_cmp_gt_u32_e32 vcc_lo, s19, v19
	v_dual_cndmask_b32 v18, v21, v18 :: v_dual_cndmask_b32 v17, v20, v17
.LBB1115_63:
	s_delay_alu instid0(VALU_DEP_1) | instskip(NEXT) | instid1(VALU_DEP_2)
	v_and_b32_e32 v28, 0xff, v17
	v_alignbit_b32 v19, v18, v17, 24
	v_bfe_u32 v30, v17, 8, 8
	v_bfe_u32 v32, v17, 16, 8
	v_and_b32_e32 v36, 0xff, v18
	v_bfe_u32 v38, v18, 8, 8
	v_and_b32_e32 v34, 0xff, v19
	v_add_nc_u32_e32 v19, v30, v28
	s_waitcnt vmcnt(0) lgkmcnt(0)
	v_and_b32_e32 v20, 0x1e0, v0
	v_mbcnt_lo_u32_b32 v41, -1, 0
	v_bfe_u32 v40, v18, 16, 8
	v_lshrrev_b32_e32 v39, 24, v18
	v_add3_u32 v19, v19, v32, v34
	v_min_u32_e32 v20, 0x160, v20
	v_and_b32_e32 v21, 15, v41
	v_lshrrev_b32_e32 v42, 5, v0
	s_and_b32 vcc_lo, exec_lo, s9
	v_add3_u32 v19, v19, v36, v38
	v_or_b32_e32 v20, 31, v20
	v_cmp_eq_u32_e64 s4, 0, v21
	v_cmp_lt_u32_e64 s5, 1, v21
	v_cmp_lt_u32_e64 s3, 3, v21
	v_add3_u32 v43, v19, v40, v39
	v_and_b32_e32 v19, 16, v41
	v_cmp_lt_u32_e64 s2, 7, v21
	v_cmp_eq_u32_e64 s6, v20, v0
	s_mov_b32 s19, -1
	s_delay_alu instid0(VALU_DEP_3)
	v_cmp_eq_u32_e64 s7, 0, v19
	s_barrier
	buffer_gl0_inv
	s_cbranch_vccz .LBB1115_89
; %bb.64:
	v_mov_b32_dpp v19, v43 row_shr:1 row_mask:0xf bank_mask:0xf
	s_delay_alu instid0(VALU_DEP_1) | instskip(NEXT) | instid1(VALU_DEP_1)
	v_cndmask_b32_e64 v19, v19, 0, s4
	v_add_nc_u32_e32 v19, v19, v43
	s_delay_alu instid0(VALU_DEP_1) | instskip(NEXT) | instid1(VALU_DEP_1)
	v_mov_b32_dpp v20, v19 row_shr:2 row_mask:0xf bank_mask:0xf
	v_cndmask_b32_e64 v20, 0, v20, s5
	s_delay_alu instid0(VALU_DEP_1) | instskip(NEXT) | instid1(VALU_DEP_1)
	v_add_nc_u32_e32 v19, v19, v20
	v_mov_b32_dpp v20, v19 row_shr:4 row_mask:0xf bank_mask:0xf
	s_delay_alu instid0(VALU_DEP_1) | instskip(NEXT) | instid1(VALU_DEP_1)
	v_cndmask_b32_e64 v20, 0, v20, s3
	v_add_nc_u32_e32 v19, v19, v20
	s_delay_alu instid0(VALU_DEP_1) | instskip(NEXT) | instid1(VALU_DEP_1)
	v_mov_b32_dpp v20, v19 row_shr:8 row_mask:0xf bank_mask:0xf
	v_cndmask_b32_e64 v20, 0, v20, s2
	s_delay_alu instid0(VALU_DEP_1) | instskip(SKIP_3) | instid1(VALU_DEP_1)
	v_add_nc_u32_e32 v19, v19, v20
	ds_swizzle_b32 v20, v19 offset:swizzle(BROADCAST,32,15)
	s_waitcnt lgkmcnt(0)
	v_cndmask_b32_e64 v20, v20, 0, s7
	v_add_nc_u32_e32 v19, v19, v20
	s_and_saveexec_b32 s8, s6
	s_cbranch_execz .LBB1115_66
; %bb.65:
	v_lshlrev_b32_e32 v20, 2, v42
	ds_store_b32 v20, v19
.LBB1115_66:
	s_or_b32 exec_lo, exec_lo, s8
	s_delay_alu instid0(SALU_CYCLE_1)
	s_mov_b32 s8, exec_lo
	s_waitcnt lgkmcnt(0)
	s_barrier
	buffer_gl0_inv
	v_cmpx_gt_u32_e32 12, v0
	s_cbranch_execz .LBB1115_68
; %bb.67:
	v_lshlrev_b32_e32 v20, 2, v0
	ds_load_b32 v21, v20
	s_waitcnt lgkmcnt(0)
	v_mov_b32_dpp v22, v21 row_shr:1 row_mask:0xf bank_mask:0xf
	s_delay_alu instid0(VALU_DEP_1) | instskip(NEXT) | instid1(VALU_DEP_1)
	v_cndmask_b32_e64 v22, v22, 0, s4
	v_add_nc_u32_e32 v21, v22, v21
	s_delay_alu instid0(VALU_DEP_1) | instskip(NEXT) | instid1(VALU_DEP_1)
	v_mov_b32_dpp v22, v21 row_shr:2 row_mask:0xf bank_mask:0xf
	v_cndmask_b32_e64 v22, 0, v22, s5
	s_delay_alu instid0(VALU_DEP_1) | instskip(NEXT) | instid1(VALU_DEP_1)
	v_add_nc_u32_e32 v21, v21, v22
	v_mov_b32_dpp v22, v21 row_shr:4 row_mask:0xf bank_mask:0xf
	s_delay_alu instid0(VALU_DEP_1) | instskip(NEXT) | instid1(VALU_DEP_1)
	v_cndmask_b32_e64 v22, 0, v22, s3
	v_add_nc_u32_e32 v21, v21, v22
	s_delay_alu instid0(VALU_DEP_1) | instskip(NEXT) | instid1(VALU_DEP_1)
	v_mov_b32_dpp v22, v21 row_shr:8 row_mask:0xf bank_mask:0xf
	v_cndmask_b32_e64 v22, 0, v22, s2
	s_delay_alu instid0(VALU_DEP_1)
	v_add_nc_u32_e32 v21, v21, v22
	ds_store_b32 v20, v21
.LBB1115_68:
	s_or_b32 exec_lo, exec_lo, s8
	v_cmp_gt_u32_e32 vcc_lo, 32, v0
	s_mov_b32 s9, exec_lo
	s_waitcnt lgkmcnt(0)
	s_barrier
	buffer_gl0_inv
                                        ; implicit-def: $vgpr27
	v_cmpx_lt_u32_e32 31, v0
	s_cbranch_execz .LBB1115_70
; %bb.69:
	v_lshl_add_u32 v20, v42, 2, -4
	ds_load_b32 v27, v20
	s_waitcnt lgkmcnt(0)
	v_add_nc_u32_e32 v19, v27, v19
.LBB1115_70:
	s_or_b32 exec_lo, exec_lo, s9
	v_add_nc_u32_e32 v20, -1, v41
	s_delay_alu instid0(VALU_DEP_1) | instskip(NEXT) | instid1(VALU_DEP_1)
	v_cmp_gt_i32_e64 s8, 0, v20
	v_cndmask_b32_e64 v20, v20, v41, s8
	v_cmp_eq_u32_e64 s8, 0, v41
	s_delay_alu instid0(VALU_DEP_2)
	v_lshlrev_b32_e32 v20, 2, v20
	ds_bpermute_b32 v29, v20, v19
	s_and_saveexec_b32 s9, vcc_lo
	s_cbranch_execz .LBB1115_88
; %bb.71:
	v_mov_b32_e32 v23, 0
	ds_load_b32 v19, v23 offset:44
	s_and_saveexec_b32 s19, s8
	s_cbranch_execz .LBB1115_73
; %bb.72:
	s_add_i32 s20, s15, 32
	s_mov_b32 s21, 0
	v_mov_b32_e32 v20, 1
	s_lshl_b64 s[20:21], s[20:21], 3
	s_delay_alu instid0(SALU_CYCLE_1)
	s_add_u32 s20, s12, s20
	s_addc_u32 s21, s13, s21
	s_waitcnt lgkmcnt(0)
	global_store_b64 v23, v[19:20], s[20:21]
.LBB1115_73:
	s_or_b32 exec_lo, exec_lo, s19
	v_xad_u32 v21, v41, -1, s15
	s_mov_b32 s20, 0
	s_mov_b32 s19, exec_lo
	s_delay_alu instid0(VALU_DEP_1) | instskip(NEXT) | instid1(VALU_DEP_1)
	v_add_nc_u32_e32 v22, 32, v21
	v_lshlrev_b64 v[22:23], 3, v[22:23]
	s_delay_alu instid0(VALU_DEP_1) | instskip(NEXT) | instid1(VALU_DEP_2)
	v_add_co_u32 v25, vcc_lo, s12, v22
	v_add_co_ci_u32_e32 v26, vcc_lo, s13, v23, vcc_lo
	global_load_b64 v[23:24], v[25:26], off glc
	s_waitcnt vmcnt(0)
	v_and_b32_e32 v20, 0xff, v24
	s_delay_alu instid0(VALU_DEP_1)
	v_cmpx_eq_u16_e32 0, v20
	s_cbranch_execz .LBB1115_76
.LBB1115_74:                            ; =>This Inner Loop Header: Depth=1
	global_load_b64 v[23:24], v[25:26], off glc
	s_waitcnt vmcnt(0)
	v_and_b32_e32 v20, 0xff, v24
	s_delay_alu instid0(VALU_DEP_1) | instskip(SKIP_1) | instid1(SALU_CYCLE_1)
	v_cmp_ne_u16_e32 vcc_lo, 0, v20
	s_or_b32 s20, vcc_lo, s20
	s_and_not1_b32 exec_lo, exec_lo, s20
	s_cbranch_execnz .LBB1115_74
; %bb.75:
	s_or_b32 exec_lo, exec_lo, s20
.LBB1115_76:
	s_delay_alu instid0(SALU_CYCLE_1)
	s_or_b32 exec_lo, exec_lo, s19
	v_cmp_ne_u32_e32 vcc_lo, 31, v41
	v_lshlrev_b32_e64 v33, v41, -1
	v_add_nc_u32_e32 v37, 2, v41
	v_add_nc_u32_e32 v45, 4, v41
	;; [unrolled: 1-line block ×3, first 2 shown]
	v_add_co_ci_u32_e32 v20, vcc_lo, 0, v41, vcc_lo
	v_add_nc_u32_e32 v49, 16, v41
	s_delay_alu instid0(VALU_DEP_2)
	v_lshlrev_b32_e32 v31, 2, v20
	v_and_b32_e32 v20, 0xff, v24
	ds_bpermute_b32 v22, v31, v23
	v_cmp_eq_u16_e32 vcc_lo, 2, v20
	v_and_or_b32 v20, vcc_lo, v33, 0x80000000
	v_cmp_gt_u32_e32 vcc_lo, 30, v41
	s_delay_alu instid0(VALU_DEP_2) | instskip(SKIP_1) | instid1(VALU_DEP_2)
	v_ctz_i32_b32_e32 v20, v20
	v_cndmask_b32_e64 v25, 0, 1, vcc_lo
	v_cmp_lt_u32_e32 vcc_lo, v41, v20
	s_waitcnt lgkmcnt(0)
	s_delay_alu instid0(VALU_DEP_2) | instskip(NEXT) | instid1(VALU_DEP_1)
	v_dual_cndmask_b32 v22, 0, v22 :: v_dual_lshlrev_b32 v25, 1, v25
	v_add_lshl_u32 v35, v25, v41, 2
	v_cmp_gt_u32_e32 vcc_lo, 28, v41
	s_delay_alu instid0(VALU_DEP_3) | instskip(SKIP_4) | instid1(VALU_DEP_1)
	v_add_nc_u32_e32 v22, v22, v23
	v_cndmask_b32_e64 v25, 0, 1, vcc_lo
	v_cmp_le_u32_e32 vcc_lo, v37, v20
	ds_bpermute_b32 v23, v35, v22
	v_lshlrev_b32_e32 v25, 2, v25
	v_add_lshl_u32 v44, v25, v41, 2
	s_waitcnt lgkmcnt(0)
	v_cndmask_b32_e32 v23, 0, v23, vcc_lo
	v_cmp_gt_u32_e32 vcc_lo, 24, v41
	s_delay_alu instid0(VALU_DEP_2) | instskip(SKIP_4) | instid1(VALU_DEP_1)
	v_add_nc_u32_e32 v22, v22, v23
	v_cndmask_b32_e64 v25, 0, 1, vcc_lo
	v_cmp_le_u32_e32 vcc_lo, v45, v20
	ds_bpermute_b32 v23, v44, v22
	v_lshlrev_b32_e32 v25, 3, v25
	v_add_lshl_u32 v46, v25, v41, 2
	s_waitcnt lgkmcnt(0)
	v_cndmask_b32_e32 v23, 0, v23, vcc_lo
	v_cmp_gt_u32_e32 vcc_lo, 16, v41
	s_delay_alu instid0(VALU_DEP_2) | instskip(SKIP_4) | instid1(VALU_DEP_1)
	v_add_nc_u32_e32 v22, v22, v23
	v_cndmask_b32_e64 v25, 0, 1, vcc_lo
	v_cmp_le_u32_e32 vcc_lo, v47, v20
	ds_bpermute_b32 v23, v46, v22
	v_lshlrev_b32_e32 v25, 4, v25
	v_add_lshl_u32 v48, v25, v41, 2
	s_waitcnt lgkmcnt(0)
	v_cndmask_b32_e32 v23, 0, v23, vcc_lo
	v_cmp_le_u32_e32 vcc_lo, v49, v20
	s_delay_alu instid0(VALU_DEP_2) | instskip(SKIP_3) | instid1(VALU_DEP_1)
	v_add_nc_u32_e32 v22, v22, v23
	ds_bpermute_b32 v23, v48, v22
	s_waitcnt lgkmcnt(0)
	v_cndmask_b32_e32 v20, 0, v23, vcc_lo
	v_dual_mov_b32 v22, 0 :: v_dual_add_nc_u32 v23, v22, v20
	s_branch .LBB1115_78
.LBB1115_77:                            ;   in Loop: Header=BB1115_78 Depth=1
	s_or_b32 exec_lo, exec_lo, s19
	ds_bpermute_b32 v26, v31, v23
	v_and_b32_e32 v25, 0xff, v24
	v_subrev_nc_u32_e32 v21, 32, v21
	s_delay_alu instid0(VALU_DEP_2) | instskip(SKIP_1) | instid1(VALU_DEP_1)
	v_cmp_eq_u16_e32 vcc_lo, 2, v25
	v_and_or_b32 v25, vcc_lo, v33, 0x80000000
	v_ctz_i32_b32_e32 v25, v25
	s_delay_alu instid0(VALU_DEP_1) | instskip(SKIP_3) | instid1(VALU_DEP_2)
	v_cmp_lt_u32_e32 vcc_lo, v41, v25
	s_waitcnt lgkmcnt(0)
	v_cndmask_b32_e32 v26, 0, v26, vcc_lo
	v_cmp_le_u32_e32 vcc_lo, v37, v25
	v_add_nc_u32_e32 v23, v26, v23
	ds_bpermute_b32 v26, v35, v23
	s_waitcnt lgkmcnt(0)
	v_cndmask_b32_e32 v26, 0, v26, vcc_lo
	v_cmp_le_u32_e32 vcc_lo, v45, v25
	s_delay_alu instid0(VALU_DEP_2) | instskip(SKIP_4) | instid1(VALU_DEP_2)
	v_add_nc_u32_e32 v23, v23, v26
	ds_bpermute_b32 v26, v44, v23
	s_waitcnt lgkmcnt(0)
	v_cndmask_b32_e32 v26, 0, v26, vcc_lo
	v_cmp_le_u32_e32 vcc_lo, v47, v25
	v_add_nc_u32_e32 v23, v23, v26
	ds_bpermute_b32 v26, v46, v23
	s_waitcnt lgkmcnt(0)
	v_cndmask_b32_e32 v26, 0, v26, vcc_lo
	v_cmp_le_u32_e32 vcc_lo, v49, v25
	s_delay_alu instid0(VALU_DEP_2) | instskip(SKIP_3) | instid1(VALU_DEP_1)
	v_add_nc_u32_e32 v23, v23, v26
	ds_bpermute_b32 v26, v48, v23
	s_waitcnt lgkmcnt(0)
	v_cndmask_b32_e32 v25, 0, v26, vcc_lo
	v_add3_u32 v23, v25, v20, v23
.LBB1115_78:                            ; =>This Loop Header: Depth=1
                                        ;     Child Loop BB1115_81 Depth 2
	v_and_b32_e32 v20, 0xff, v24
	s_delay_alu instid0(VALU_DEP_1) | instskip(SKIP_2) | instid1(VALU_DEP_1)
	v_cmp_ne_u16_e32 vcc_lo, 2, v20
	v_cndmask_b32_e64 v20, 0, 1, vcc_lo
	;;#ASMSTART
	;;#ASMEND
	v_cmp_ne_u32_e32 vcc_lo, 0, v20
	v_mov_b32_e32 v20, v23
	s_cmp_lg_u32 vcc_lo, exec_lo
	s_cbranch_scc1 .LBB1115_83
; %bb.79:                               ;   in Loop: Header=BB1115_78 Depth=1
	v_lshlrev_b64 v[23:24], 3, v[21:22]
	s_mov_b32 s19, exec_lo
	s_delay_alu instid0(VALU_DEP_1) | instskip(NEXT) | instid1(VALU_DEP_2)
	v_add_co_u32 v25, vcc_lo, s12, v23
	v_add_co_ci_u32_e32 v26, vcc_lo, s13, v24, vcc_lo
	global_load_b64 v[23:24], v[25:26], off glc
	s_waitcnt vmcnt(0)
	v_and_b32_e32 v50, 0xff, v24
	s_delay_alu instid0(VALU_DEP_1)
	v_cmpx_eq_u16_e32 0, v50
	s_cbranch_execz .LBB1115_77
; %bb.80:                               ;   in Loop: Header=BB1115_78 Depth=1
	s_mov_b32 s20, 0
.LBB1115_81:                            ;   Parent Loop BB1115_78 Depth=1
                                        ; =>  This Inner Loop Header: Depth=2
	global_load_b64 v[23:24], v[25:26], off glc
	s_waitcnt vmcnt(0)
	v_and_b32_e32 v50, 0xff, v24
	s_delay_alu instid0(VALU_DEP_1) | instskip(SKIP_1) | instid1(SALU_CYCLE_1)
	v_cmp_ne_u16_e32 vcc_lo, 0, v50
	s_or_b32 s20, vcc_lo, s20
	s_and_not1_b32 exec_lo, exec_lo, s20
	s_cbranch_execnz .LBB1115_81
; %bb.82:                               ;   in Loop: Header=BB1115_78 Depth=1
	s_or_b32 exec_lo, exec_lo, s20
	s_branch .LBB1115_77
.LBB1115_83:                            ;   in Loop: Header=BB1115_78 Depth=1
                                        ; implicit-def: $vgpr23
                                        ; implicit-def: $vgpr24
	s_cbranch_execz .LBB1115_78
; %bb.84:
	s_and_saveexec_b32 s19, s8
	s_cbranch_execz .LBB1115_86
; %bb.85:
	s_add_i32 s20, s15, 32
	s_mov_b32 s21, 0
	v_dual_mov_b32 v22, 2 :: v_dual_add_nc_u32 v21, v20, v19
	s_lshl_b64 s[20:21], s[20:21], 3
	v_mov_b32_e32 v23, 0
	s_add_u32 s20, s12, s20
	s_addc_u32 s21, s13, s21
	global_store_b64 v23, v[21:22], s[20:21]
	ds_store_b64 v23, v[19:20] offset:12672
.LBB1115_86:
	s_or_b32 exec_lo, exec_lo, s19
	v_cmp_eq_u32_e32 vcc_lo, 0, v0
	s_and_b32 exec_lo, exec_lo, vcc_lo
	s_cbranch_execz .LBB1115_88
; %bb.87:
	v_mov_b32_e32 v19, 0
	ds_store_b32 v19, v20 offset:44
.LBB1115_88:
	s_or_b32 exec_lo, exec_lo, s9
	v_mov_b32_e32 v19, 0
	s_waitcnt lgkmcnt(0)
	s_waitcnt_vscnt null, 0x0
	s_barrier
	buffer_gl0_inv
	v_cndmask_b32_e64 v21, v29, v27, s8
	ds_load_b32 v20, v19 offset:44
	v_cmp_ne_u32_e32 vcc_lo, 0, v0
	s_waitcnt lgkmcnt(0)
	s_barrier
	buffer_gl0_inv
	v_cndmask_b32_e32 v21, 0, v21, vcc_lo
	s_delay_alu instid0(VALU_DEP_1) | instskip(SKIP_2) | instid1(VALU_DEP_1)
	v_add_nc_u32_e32 v37, v20, v21
	ds_load_b64 v[19:20], v19 offset:12672
	v_add_nc_u32_e32 v35, v37, v28
	v_add_nc_u32_e32 v33, v35, v30
	s_delay_alu instid0(VALU_DEP_1) | instskip(NEXT) | instid1(VALU_DEP_1)
	v_add_nc_u32_e32 v31, v33, v32
	v_add_nc_u32_e32 v29, v31, v34
	s_delay_alu instid0(VALU_DEP_1) | instskip(NEXT) | instid1(VALU_DEP_1)
	v_add_nc_u32_e32 v27, v29, v36
	v_add_nc_u32_e32 v25, v27, v38
	s_delay_alu instid0(VALU_DEP_1)
	v_add_nc_u32_e32 v23, v25, v40
	s_load_b64 s[8:9], s[0:1], 0x28
	v_lshrrev_b64 v[21:22], 24, v[17:18]
	s_branch .LBB1115_99
.LBB1115_89:
                                        ; implicit-def: $vgpr23
                                        ; implicit-def: $vgpr25
                                        ; implicit-def: $vgpr27
                                        ; implicit-def: $vgpr29
                                        ; implicit-def: $vgpr31
                                        ; implicit-def: $vgpr33
                                        ; implicit-def: $vgpr35
                                        ; implicit-def: $vgpr37
                                        ; implicit-def: $vgpr20
	s_load_b64 s[8:9], s[0:1], 0x28
	v_lshrrev_b64 v[21:22], 24, v[17:18]
	s_and_b32 vcc_lo, exec_lo, s19
	s_cbranch_vccz .LBB1115_99
; %bb.90:
	s_waitcnt lgkmcnt(0)
	v_mov_b32_dpp v19, v43 row_shr:1 row_mask:0xf bank_mask:0xf
	s_delay_alu instid0(VALU_DEP_1) | instskip(NEXT) | instid1(VALU_DEP_1)
	v_cndmask_b32_e64 v19, v19, 0, s4
	v_add_nc_u32_e32 v19, v19, v43
	s_delay_alu instid0(VALU_DEP_1) | instskip(NEXT) | instid1(VALU_DEP_1)
	v_mov_b32_dpp v20, v19 row_shr:2 row_mask:0xf bank_mask:0xf
	v_cndmask_b32_e64 v20, 0, v20, s5
	s_delay_alu instid0(VALU_DEP_1) | instskip(NEXT) | instid1(VALU_DEP_1)
	v_add_nc_u32_e32 v19, v19, v20
	v_mov_b32_dpp v20, v19 row_shr:4 row_mask:0xf bank_mask:0xf
	s_delay_alu instid0(VALU_DEP_1) | instskip(NEXT) | instid1(VALU_DEP_1)
	v_cndmask_b32_e64 v20, 0, v20, s3
	v_add_nc_u32_e32 v19, v19, v20
	s_delay_alu instid0(VALU_DEP_1) | instskip(NEXT) | instid1(VALU_DEP_1)
	v_mov_b32_dpp v20, v19 row_shr:8 row_mask:0xf bank_mask:0xf
	v_cndmask_b32_e64 v20, 0, v20, s2
	s_delay_alu instid0(VALU_DEP_1) | instskip(SKIP_3) | instid1(VALU_DEP_1)
	v_add_nc_u32_e32 v19, v19, v20
	ds_swizzle_b32 v20, v19 offset:swizzle(BROADCAST,32,15)
	s_waitcnt lgkmcnt(0)
	v_cndmask_b32_e64 v20, v20, 0, s7
	v_add_nc_u32_e32 v19, v19, v20
	s_and_saveexec_b32 s0, s6
	s_cbranch_execz .LBB1115_92
; %bb.91:
	v_lshlrev_b32_e32 v20, 2, v42
	ds_store_b32 v20, v19
.LBB1115_92:
	s_or_b32 exec_lo, exec_lo, s0
	s_delay_alu instid0(SALU_CYCLE_1)
	s_mov_b32 s0, exec_lo
	s_waitcnt lgkmcnt(0)
	s_barrier
	buffer_gl0_inv
	v_cmpx_gt_u32_e32 12, v0
	s_cbranch_execz .LBB1115_94
; %bb.93:
	v_lshlrev_b32_e32 v20, 2, v0
	ds_load_b32 v22, v20
	s_waitcnt lgkmcnt(0)
	v_mov_b32_dpp v23, v22 row_shr:1 row_mask:0xf bank_mask:0xf
	s_delay_alu instid0(VALU_DEP_1) | instskip(NEXT) | instid1(VALU_DEP_1)
	v_cndmask_b32_e64 v23, v23, 0, s4
	v_add_nc_u32_e32 v22, v23, v22
	s_delay_alu instid0(VALU_DEP_1) | instskip(NEXT) | instid1(VALU_DEP_1)
	v_mov_b32_dpp v23, v22 row_shr:2 row_mask:0xf bank_mask:0xf
	v_cndmask_b32_e64 v23, 0, v23, s5
	s_delay_alu instid0(VALU_DEP_1) | instskip(NEXT) | instid1(VALU_DEP_1)
	v_add_nc_u32_e32 v22, v22, v23
	v_mov_b32_dpp v23, v22 row_shr:4 row_mask:0xf bank_mask:0xf
	s_delay_alu instid0(VALU_DEP_1) | instskip(NEXT) | instid1(VALU_DEP_1)
	v_cndmask_b32_e64 v23, 0, v23, s3
	v_add_nc_u32_e32 v22, v22, v23
	s_delay_alu instid0(VALU_DEP_1) | instskip(NEXT) | instid1(VALU_DEP_1)
	v_mov_b32_dpp v23, v22 row_shr:8 row_mask:0xf bank_mask:0xf
	v_cndmask_b32_e64 v23, 0, v23, s2
	s_delay_alu instid0(VALU_DEP_1)
	v_add_nc_u32_e32 v22, v22, v23
	ds_store_b32 v20, v22
.LBB1115_94:
	s_or_b32 exec_lo, exec_lo, s0
	v_mov_b32_e32 v20, 0
	v_mov_b32_e32 v22, 0
	s_mov_b32 s0, exec_lo
	s_waitcnt lgkmcnt(0)
	s_barrier
	buffer_gl0_inv
	v_cmpx_lt_u32_e32 31, v0
	s_cbranch_execz .LBB1115_96
; %bb.95:
	v_lshl_add_u32 v22, v42, 2, -4
	ds_load_b32 v22, v22
.LBB1115_96:
	s_or_b32 exec_lo, exec_lo, s0
	v_add_nc_u32_e32 v23, -1, v41
	s_waitcnt lgkmcnt(0)
	v_add_nc_u32_e32 v19, v22, v19
	s_delay_alu instid0(VALU_DEP_2) | instskip(SKIP_2) | instid1(VALU_DEP_2)
	v_cmp_gt_i32_e32 vcc_lo, 0, v23
	v_cndmask_b32_e32 v23, v23, v41, vcc_lo
	v_cmp_eq_u32_e32 vcc_lo, 0, v0
	v_lshlrev_b32_e32 v23, 2, v23
	ds_bpermute_b32 v23, v23, v19
	ds_load_b32 v19, v20 offset:44
	s_and_saveexec_b32 s0, vcc_lo
	s_cbranch_execz .LBB1115_98
; %bb.97:
	v_mov_b32_e32 v24, 0
	v_mov_b32_e32 v20, 2
	s_waitcnt lgkmcnt(0)
	global_store_b64 v24, v[19:20], s[12:13] offset:256
.LBB1115_98:
	s_or_b32 exec_lo, exec_lo, s0
	v_cmp_eq_u32_e64 s0, 0, v41
	s_waitcnt lgkmcnt(0)
	s_waitcnt_vscnt null, 0x0
	s_barrier
	buffer_gl0_inv
	v_cndmask_b32_e64 v20, v23, v22, s0
	s_delay_alu instid0(VALU_DEP_1) | instskip(NEXT) | instid1(VALU_DEP_1)
	v_cndmask_b32_e64 v37, v20, 0, vcc_lo
	v_dual_mov_b32 v20, 0 :: v_dual_add_nc_u32 v35, v37, v28
	s_delay_alu instid0(VALU_DEP_1) | instskip(NEXT) | instid1(VALU_DEP_1)
	v_add_nc_u32_e32 v33, v35, v30
	v_add_nc_u32_e32 v31, v33, v32
	s_delay_alu instid0(VALU_DEP_1) | instskip(NEXT) | instid1(VALU_DEP_1)
	v_add_nc_u32_e32 v29, v31, v34
	v_add_nc_u32_e32 v27, v29, v36
	;; [unrolled: 3-line block ×3, first 2 shown]
.LBB1115_99:
	s_waitcnt lgkmcnt(0)
	v_cmp_gt_u32_e32 vcc_lo, 0x181, v19
	v_lshrrev_b32_e32 v42, 8, v17
	v_lshrrev_b32_e32 v41, 16, v17
	;; [unrolled: 1-line block ×4, first 2 shown]
	v_cmp_lt_u32_e64 s0, 0x180, v19
	s_mov_b32 s1, -1
	s_cbranch_vccz .LBB1115_125
; %bb.100:
	v_add_nc_u32_e32 v24, v20, v19
	s_lshl_b64 s[2:3], s[10:11], 2
	s_delay_alu instid0(SALU_CYCLE_1) | instskip(SKIP_1) | instid1(VALU_DEP_1)
	s_add_u32 s1, s8, s2
	s_addc_u32 s2, s9, s3
	v_cmp_lt_u32_e32 vcc_lo, v37, v24
	s_or_b32 s4, s18, vcc_lo
	s_delay_alu instid0(SALU_CYCLE_1)
	s_and_saveexec_b32 s3, s4
	s_cbranch_execz .LBB1115_103
; %bb.101:
	v_and_b32_e32 v26, 1, v17
	s_delay_alu instid0(VALU_DEP_1)
	v_cmp_eq_u32_e32 vcc_lo, 1, v26
	s_and_b32 exec_lo, exec_lo, vcc_lo
	s_cbranch_execz .LBB1115_103
; %bb.102:
	v_mov_b32_e32 v38, 0
	s_delay_alu instid0(VALU_DEP_1) | instskip(NEXT) | instid1(VALU_DEP_1)
	v_lshlrev_b64 v[43:44], 2, v[37:38]
	v_add_co_u32 v43, vcc_lo, s1, v43
	s_delay_alu instid0(VALU_DEP_2)
	v_add_co_ci_u32_e32 v44, vcc_lo, s2, v44, vcc_lo
	global_store_b32 v[43:44], v7, off
.LBB1115_103:
	s_or_b32 exec_lo, exec_lo, s3
	v_cmp_lt_u32_e32 vcc_lo, v35, v24
	s_or_b32 s4, s18, vcc_lo
	s_delay_alu instid0(SALU_CYCLE_1)
	s_and_saveexec_b32 s3, s4
	s_cbranch_execz .LBB1115_106
; %bb.104:
	v_and_b32_e32 v26, 1, v42
	s_delay_alu instid0(VALU_DEP_1)
	v_cmp_eq_u32_e32 vcc_lo, 1, v26
	s_and_b32 exec_lo, exec_lo, vcc_lo
	s_cbranch_execz .LBB1115_106
; %bb.105:
	v_mov_b32_e32 v36, 0
	s_delay_alu instid0(VALU_DEP_1) | instskip(NEXT) | instid1(VALU_DEP_1)
	v_lshlrev_b64 v[43:44], 2, v[35:36]
	v_add_co_u32 v43, vcc_lo, s1, v43
	s_delay_alu instid0(VALU_DEP_2)
	v_add_co_ci_u32_e32 v44, vcc_lo, s2, v44, vcc_lo
	global_store_b32 v[43:44], v8, off
.LBB1115_106:
	s_or_b32 exec_lo, exec_lo, s3
	;; [unrolled: 21-line block ×8, first 2 shown]
	s_mov_b32 s1, 0
.LBB1115_125:
	v_and_b32_e32 v17, 1, v17
	s_and_b32 vcc_lo, exec_lo, s1
	s_delay_alu instid0(VALU_DEP_1)
	v_cmp_eq_u32_e64 s1, 1, v17
	s_cbranch_vccz .LBB1115_146
; %bb.126:
	s_delay_alu instid0(VALU_DEP_1)
	s_and_saveexec_b32 s2, s1
	s_cbranch_execz .LBB1115_128
; %bb.127:
	v_sub_nc_u32_e32 v24, v37, v20
	s_delay_alu instid0(VALU_DEP_1)
	v_lshlrev_b32_e32 v24, 2, v24
	ds_store_b32 v24, v7
.LBB1115_128:
	s_or_b32 exec_lo, exec_lo, s2
	v_and_b32_e32 v7, 1, v42
	s_mov_b32 s1, exec_lo
	s_delay_alu instid0(VALU_DEP_1)
	v_cmpx_eq_u32_e32 1, v7
	s_cbranch_execz .LBB1115_130
; %bb.129:
	v_sub_nc_u32_e32 v7, v35, v20
	s_delay_alu instid0(VALU_DEP_1)
	v_lshlrev_b32_e32 v7, 2, v7
	ds_store_b32 v7, v8
.LBB1115_130:
	s_or_b32 exec_lo, exec_lo, s1
	v_and_b32_e32 v7, 1, v41
	s_mov_b32 s1, exec_lo
	s_delay_alu instid0(VALU_DEP_1)
	v_cmpx_eq_u32_e32 1, v7
	;; [unrolled: 12-line block ×7, first 2 shown]
	s_cbranch_execz .LBB1115_142
; %bb.141:
	v_sub_nc_u32_e32 v1, v23, v20
	s_delay_alu instid0(VALU_DEP_1)
	v_lshlrev_b32_e32 v1, 2, v1
	ds_store_b32 v1, v2
.LBB1115_142:
	s_or_b32 exec_lo, exec_lo, s1
	s_delay_alu instid0(SALU_CYCLE_1)
	s_mov_b32 s2, exec_lo
	s_waitcnt lgkmcnt(0)
	s_waitcnt_vscnt null, 0x0
	s_barrier
	buffer_gl0_inv
	v_cmpx_lt_u32_e64 v0, v19
	s_cbranch_execz .LBB1115_145
; %bb.143:
	v_dual_mov_b32 v2, 0 :: v_dual_mov_b32 v1, v20
	s_lshl_b64 s[4:5], s[10:11], 2
	v_lshlrev_b32_e32 v3, 2, v0
	s_add_u32 s1, s8, s4
	s_addc_u32 s3, s9, s5
	v_lshlrev_b64 v[4:5], 2, v[1:2]
	v_mov_b32_e32 v1, v0
	s_delay_alu instid0(VALU_DEP_2) | instskip(NEXT) | instid1(VALU_DEP_3)
	v_add_co_u32 v4, vcc_lo, s1, v4
	v_add_co_ci_u32_e32 v5, vcc_lo, s3, v5, vcc_lo
	s_mov_b32 s3, 0
	.p2align	6
.LBB1115_144:                           ; =>This Inner Loop Header: Depth=1
	ds_load_b32 v8, v3
	v_lshlrev_b64 v[6:7], 2, v[1:2]
	v_add_nc_u32_e32 v1, 0x180, v1
	v_add_nc_u32_e32 v3, 0x600, v3
	s_delay_alu instid0(VALU_DEP_2) | instskip(NEXT) | instid1(VALU_DEP_4)
	v_cmp_ge_u32_e32 vcc_lo, v1, v19
	v_add_co_u32 v6, s1, v4, v6
	s_delay_alu instid0(VALU_DEP_1)
	v_add_co_ci_u32_e64 v7, s1, v5, v7, s1
	s_or_b32 s3, vcc_lo, s3
	s_waitcnt lgkmcnt(0)
	global_store_b32 v[6:7], v8, off
	s_and_not1_b32 exec_lo, exec_lo, s3
	s_cbranch_execnz .LBB1115_144
.LBB1115_145:
	s_or_b32 exec_lo, exec_lo, s2
.LBB1115_146:
	s_delay_alu instid0(SALU_CYCLE_1)
	s_and_not1_b32 vcc_lo, exec_lo, s0
	s_waitcnt_vscnt null, 0x0
	s_barrier
	buffer_gl0_inv
	s_cbranch_vccnz .LBB1115_165
; %bb.147:
	s_mov_b32 s0, exec_lo
	v_cmpx_eq_u32_e32 1, v17
	s_cbranch_execz .LBB1115_149
; %bb.148:
	v_sub_nc_u32_e32 v1, v37, v20
	s_delay_alu instid0(VALU_DEP_1)
	v_lshlrev_b32_e32 v1, 2, v1
	ds_store_b32 v1, v15
.LBB1115_149:
	s_or_b32 exec_lo, exec_lo, s0
	v_and_b32_e32 v1, 1, v42
	s_mov_b32 s0, exec_lo
	s_delay_alu instid0(VALU_DEP_1)
	v_cmpx_eq_u32_e32 1, v1
	s_cbranch_execz .LBB1115_151
; %bb.150:
	v_sub_nc_u32_e32 v1, v35, v20
	s_delay_alu instid0(VALU_DEP_1)
	v_lshlrev_b32_e32 v1, 2, v1
	ds_store_b32 v1, v16
.LBB1115_151:
	s_or_b32 exec_lo, exec_lo, s0
	v_and_b32_e32 v1, 1, v41
	s_mov_b32 s0, exec_lo
	s_delay_alu instid0(VALU_DEP_1)
	;; [unrolled: 12-line block ×7, first 2 shown]
	v_cmpx_eq_u32_e32 1, v1
	s_cbranch_execz .LBB1115_163
; %bb.162:
	v_sub_nc_u32_e32 v1, v23, v20
	s_delay_alu instid0(VALU_DEP_1)
	v_lshlrev_b32_e32 v1, 2, v1
	ds_store_b32 v1, v10
.LBB1115_163:
	s_or_b32 exec_lo, exec_lo, s0
	s_waitcnt lgkmcnt(0)
	s_barrier
	buffer_gl0_inv
	v_cmp_eq_u32_e32 vcc_lo, 0, v0
	s_and_b32 s0, vcc_lo, s14
	s_delay_alu instid0(SALU_CYCLE_1)
	s_and_saveexec_b32 s1, s0
	s_cbranch_execnz .LBB1115_166
.LBB1115_164:
	s_endpgm
.LBB1115_165:
	v_cmp_eq_u32_e32 vcc_lo, 0, v0
	s_and_b32 s0, vcc_lo, s14
	s_delay_alu instid0(SALU_CYCLE_1)
	s_and_saveexec_b32 s1, s0
	s_cbranch_execz .LBB1115_164
.LBB1115_166:
	v_add_co_u32 v0, s0, s10, v19
	s_delay_alu instid0(VALU_DEP_1) | instskip(SKIP_1) | instid1(VALU_DEP_3)
	v_add_co_ci_u32_e64 v1, null, s11, 0, s0
	v_mov_b32_e32 v2, 0
	v_add_co_u32 v0, vcc_lo, v0, v20
	s_delay_alu instid0(VALU_DEP_3)
	v_add_co_ci_u32_e32 v1, vcc_lo, 0, v1, vcc_lo
	global_store_b64 v2, v[0:1], s[16:17]
	s_nop 0
	s_sendmsg sendmsg(MSG_DEALLOC_VGPRS)
	s_endpgm
	.section	.rodata,"a",@progbits
	.p2align	6, 0x0
	.amdhsa_kernel _ZN7rocprim17ROCPRIM_400000_NS6detail17trampoline_kernelINS0_14default_configENS1_25partition_config_selectorILNS1_17partition_subalgoE9EijbEEZZNS1_14partition_implILS5_9ELb0ES3_jN6thrust23THRUST_200600_302600_NS6detail15normal_iteratorINS9_10device_ptrIiEEEENSB_INSC_IjEEEEPNS0_10empty_typeENS0_5tupleIJSE_SH_EEENSJ_IJNS9_16discard_iteratorINS9_11use_defaultEEESI_EEENS0_18inequality_wrapperINS9_8equal_toIiEEEEPmJSH_EEE10hipError_tPvRmT3_T4_T5_T6_T7_T9_mT8_P12ihipStream_tbDpT10_ENKUlT_T0_E_clISt17integral_constantIbLb0EES1D_EEDaS18_S19_EUlS18_E_NS1_11comp_targetILNS1_3genE9ELNS1_11target_archE1100ELNS1_3gpuE3ELNS1_3repE0EEENS1_30default_config_static_selectorELNS0_4arch9wavefront6targetE0EEEvT1_
		.amdhsa_group_segment_fixed_size 12680
		.amdhsa_private_segment_fixed_size 0
		.amdhsa_kernarg_size 120
		.amdhsa_user_sgpr_count 15
		.amdhsa_user_sgpr_dispatch_ptr 0
		.amdhsa_user_sgpr_queue_ptr 0
		.amdhsa_user_sgpr_kernarg_segment_ptr 1
		.amdhsa_user_sgpr_dispatch_id 0
		.amdhsa_user_sgpr_private_segment_size 0
		.amdhsa_wavefront_size32 1
		.amdhsa_uses_dynamic_stack 0
		.amdhsa_enable_private_segment 0
		.amdhsa_system_sgpr_workgroup_id_x 1
		.amdhsa_system_sgpr_workgroup_id_y 0
		.amdhsa_system_sgpr_workgroup_id_z 0
		.amdhsa_system_sgpr_workgroup_info 0
		.amdhsa_system_vgpr_workitem_id 0
		.amdhsa_next_free_vgpr 51
		.amdhsa_next_free_sgpr 25
		.amdhsa_reserve_vcc 1
		.amdhsa_float_round_mode_32 0
		.amdhsa_float_round_mode_16_64 0
		.amdhsa_float_denorm_mode_32 3
		.amdhsa_float_denorm_mode_16_64 3
		.amdhsa_dx10_clamp 1
		.amdhsa_ieee_mode 1
		.amdhsa_fp16_overflow 0
		.amdhsa_workgroup_processor_mode 1
		.amdhsa_memory_ordered 1
		.amdhsa_forward_progress 0
		.amdhsa_shared_vgpr_count 0
		.amdhsa_exception_fp_ieee_invalid_op 0
		.amdhsa_exception_fp_denorm_src 0
		.amdhsa_exception_fp_ieee_div_zero 0
		.amdhsa_exception_fp_ieee_overflow 0
		.amdhsa_exception_fp_ieee_underflow 0
		.amdhsa_exception_fp_ieee_inexact 0
		.amdhsa_exception_int_div_zero 0
	.end_amdhsa_kernel
	.section	.text._ZN7rocprim17ROCPRIM_400000_NS6detail17trampoline_kernelINS0_14default_configENS1_25partition_config_selectorILNS1_17partition_subalgoE9EijbEEZZNS1_14partition_implILS5_9ELb0ES3_jN6thrust23THRUST_200600_302600_NS6detail15normal_iteratorINS9_10device_ptrIiEEEENSB_INSC_IjEEEEPNS0_10empty_typeENS0_5tupleIJSE_SH_EEENSJ_IJNS9_16discard_iteratorINS9_11use_defaultEEESI_EEENS0_18inequality_wrapperINS9_8equal_toIiEEEEPmJSH_EEE10hipError_tPvRmT3_T4_T5_T6_T7_T9_mT8_P12ihipStream_tbDpT10_ENKUlT_T0_E_clISt17integral_constantIbLb0EES1D_EEDaS18_S19_EUlS18_E_NS1_11comp_targetILNS1_3genE9ELNS1_11target_archE1100ELNS1_3gpuE3ELNS1_3repE0EEENS1_30default_config_static_selectorELNS0_4arch9wavefront6targetE0EEEvT1_,"axG",@progbits,_ZN7rocprim17ROCPRIM_400000_NS6detail17trampoline_kernelINS0_14default_configENS1_25partition_config_selectorILNS1_17partition_subalgoE9EijbEEZZNS1_14partition_implILS5_9ELb0ES3_jN6thrust23THRUST_200600_302600_NS6detail15normal_iteratorINS9_10device_ptrIiEEEENSB_INSC_IjEEEEPNS0_10empty_typeENS0_5tupleIJSE_SH_EEENSJ_IJNS9_16discard_iteratorINS9_11use_defaultEEESI_EEENS0_18inequality_wrapperINS9_8equal_toIiEEEEPmJSH_EEE10hipError_tPvRmT3_T4_T5_T6_T7_T9_mT8_P12ihipStream_tbDpT10_ENKUlT_T0_E_clISt17integral_constantIbLb0EES1D_EEDaS18_S19_EUlS18_E_NS1_11comp_targetILNS1_3genE9ELNS1_11target_archE1100ELNS1_3gpuE3ELNS1_3repE0EEENS1_30default_config_static_selectorELNS0_4arch9wavefront6targetE0EEEvT1_,comdat
.Lfunc_end1115:
	.size	_ZN7rocprim17ROCPRIM_400000_NS6detail17trampoline_kernelINS0_14default_configENS1_25partition_config_selectorILNS1_17partition_subalgoE9EijbEEZZNS1_14partition_implILS5_9ELb0ES3_jN6thrust23THRUST_200600_302600_NS6detail15normal_iteratorINS9_10device_ptrIiEEEENSB_INSC_IjEEEEPNS0_10empty_typeENS0_5tupleIJSE_SH_EEENSJ_IJNS9_16discard_iteratorINS9_11use_defaultEEESI_EEENS0_18inequality_wrapperINS9_8equal_toIiEEEEPmJSH_EEE10hipError_tPvRmT3_T4_T5_T6_T7_T9_mT8_P12ihipStream_tbDpT10_ENKUlT_T0_E_clISt17integral_constantIbLb0EES1D_EEDaS18_S19_EUlS18_E_NS1_11comp_targetILNS1_3genE9ELNS1_11target_archE1100ELNS1_3gpuE3ELNS1_3repE0EEENS1_30default_config_static_selectorELNS0_4arch9wavefront6targetE0EEEvT1_, .Lfunc_end1115-_ZN7rocprim17ROCPRIM_400000_NS6detail17trampoline_kernelINS0_14default_configENS1_25partition_config_selectorILNS1_17partition_subalgoE9EijbEEZZNS1_14partition_implILS5_9ELb0ES3_jN6thrust23THRUST_200600_302600_NS6detail15normal_iteratorINS9_10device_ptrIiEEEENSB_INSC_IjEEEEPNS0_10empty_typeENS0_5tupleIJSE_SH_EEENSJ_IJNS9_16discard_iteratorINS9_11use_defaultEEESI_EEENS0_18inequality_wrapperINS9_8equal_toIiEEEEPmJSH_EEE10hipError_tPvRmT3_T4_T5_T6_T7_T9_mT8_P12ihipStream_tbDpT10_ENKUlT_T0_E_clISt17integral_constantIbLb0EES1D_EEDaS18_S19_EUlS18_E_NS1_11comp_targetILNS1_3genE9ELNS1_11target_archE1100ELNS1_3gpuE3ELNS1_3repE0EEENS1_30default_config_static_selectorELNS0_4arch9wavefront6targetE0EEEvT1_
                                        ; -- End function
	.section	.AMDGPU.csdata,"",@progbits
; Kernel info:
; codeLenInByte = 8368
; NumSgprs: 27
; NumVgprs: 51
; ScratchSize: 0
; MemoryBound: 0
; FloatMode: 240
; IeeeMode: 1
; LDSByteSize: 12680 bytes/workgroup (compile time only)
; SGPRBlocks: 3
; VGPRBlocks: 6
; NumSGPRsForWavesPerEU: 27
; NumVGPRsForWavesPerEU: 51
; Occupancy: 15
; WaveLimiterHint : 1
; COMPUTE_PGM_RSRC2:SCRATCH_EN: 0
; COMPUTE_PGM_RSRC2:USER_SGPR: 15
; COMPUTE_PGM_RSRC2:TRAP_HANDLER: 0
; COMPUTE_PGM_RSRC2:TGID_X_EN: 1
; COMPUTE_PGM_RSRC2:TGID_Y_EN: 0
; COMPUTE_PGM_RSRC2:TGID_Z_EN: 0
; COMPUTE_PGM_RSRC2:TIDIG_COMP_CNT: 0
	.section	.text._ZN7rocprim17ROCPRIM_400000_NS6detail17trampoline_kernelINS0_14default_configENS1_25partition_config_selectorILNS1_17partition_subalgoE9EijbEEZZNS1_14partition_implILS5_9ELb0ES3_jN6thrust23THRUST_200600_302600_NS6detail15normal_iteratorINS9_10device_ptrIiEEEENSB_INSC_IjEEEEPNS0_10empty_typeENS0_5tupleIJSE_SH_EEENSJ_IJNS9_16discard_iteratorINS9_11use_defaultEEESI_EEENS0_18inequality_wrapperINS9_8equal_toIiEEEEPmJSH_EEE10hipError_tPvRmT3_T4_T5_T6_T7_T9_mT8_P12ihipStream_tbDpT10_ENKUlT_T0_E_clISt17integral_constantIbLb0EES1D_EEDaS18_S19_EUlS18_E_NS1_11comp_targetILNS1_3genE8ELNS1_11target_archE1030ELNS1_3gpuE2ELNS1_3repE0EEENS1_30default_config_static_selectorELNS0_4arch9wavefront6targetE0EEEvT1_,"axG",@progbits,_ZN7rocprim17ROCPRIM_400000_NS6detail17trampoline_kernelINS0_14default_configENS1_25partition_config_selectorILNS1_17partition_subalgoE9EijbEEZZNS1_14partition_implILS5_9ELb0ES3_jN6thrust23THRUST_200600_302600_NS6detail15normal_iteratorINS9_10device_ptrIiEEEENSB_INSC_IjEEEEPNS0_10empty_typeENS0_5tupleIJSE_SH_EEENSJ_IJNS9_16discard_iteratorINS9_11use_defaultEEESI_EEENS0_18inequality_wrapperINS9_8equal_toIiEEEEPmJSH_EEE10hipError_tPvRmT3_T4_T5_T6_T7_T9_mT8_P12ihipStream_tbDpT10_ENKUlT_T0_E_clISt17integral_constantIbLb0EES1D_EEDaS18_S19_EUlS18_E_NS1_11comp_targetILNS1_3genE8ELNS1_11target_archE1030ELNS1_3gpuE2ELNS1_3repE0EEENS1_30default_config_static_selectorELNS0_4arch9wavefront6targetE0EEEvT1_,comdat
	.protected	_ZN7rocprim17ROCPRIM_400000_NS6detail17trampoline_kernelINS0_14default_configENS1_25partition_config_selectorILNS1_17partition_subalgoE9EijbEEZZNS1_14partition_implILS5_9ELb0ES3_jN6thrust23THRUST_200600_302600_NS6detail15normal_iteratorINS9_10device_ptrIiEEEENSB_INSC_IjEEEEPNS0_10empty_typeENS0_5tupleIJSE_SH_EEENSJ_IJNS9_16discard_iteratorINS9_11use_defaultEEESI_EEENS0_18inequality_wrapperINS9_8equal_toIiEEEEPmJSH_EEE10hipError_tPvRmT3_T4_T5_T6_T7_T9_mT8_P12ihipStream_tbDpT10_ENKUlT_T0_E_clISt17integral_constantIbLb0EES1D_EEDaS18_S19_EUlS18_E_NS1_11comp_targetILNS1_3genE8ELNS1_11target_archE1030ELNS1_3gpuE2ELNS1_3repE0EEENS1_30default_config_static_selectorELNS0_4arch9wavefront6targetE0EEEvT1_ ; -- Begin function _ZN7rocprim17ROCPRIM_400000_NS6detail17trampoline_kernelINS0_14default_configENS1_25partition_config_selectorILNS1_17partition_subalgoE9EijbEEZZNS1_14partition_implILS5_9ELb0ES3_jN6thrust23THRUST_200600_302600_NS6detail15normal_iteratorINS9_10device_ptrIiEEEENSB_INSC_IjEEEEPNS0_10empty_typeENS0_5tupleIJSE_SH_EEENSJ_IJNS9_16discard_iteratorINS9_11use_defaultEEESI_EEENS0_18inequality_wrapperINS9_8equal_toIiEEEEPmJSH_EEE10hipError_tPvRmT3_T4_T5_T6_T7_T9_mT8_P12ihipStream_tbDpT10_ENKUlT_T0_E_clISt17integral_constantIbLb0EES1D_EEDaS18_S19_EUlS18_E_NS1_11comp_targetILNS1_3genE8ELNS1_11target_archE1030ELNS1_3gpuE2ELNS1_3repE0EEENS1_30default_config_static_selectorELNS0_4arch9wavefront6targetE0EEEvT1_
	.globl	_ZN7rocprim17ROCPRIM_400000_NS6detail17trampoline_kernelINS0_14default_configENS1_25partition_config_selectorILNS1_17partition_subalgoE9EijbEEZZNS1_14partition_implILS5_9ELb0ES3_jN6thrust23THRUST_200600_302600_NS6detail15normal_iteratorINS9_10device_ptrIiEEEENSB_INSC_IjEEEEPNS0_10empty_typeENS0_5tupleIJSE_SH_EEENSJ_IJNS9_16discard_iteratorINS9_11use_defaultEEESI_EEENS0_18inequality_wrapperINS9_8equal_toIiEEEEPmJSH_EEE10hipError_tPvRmT3_T4_T5_T6_T7_T9_mT8_P12ihipStream_tbDpT10_ENKUlT_T0_E_clISt17integral_constantIbLb0EES1D_EEDaS18_S19_EUlS18_E_NS1_11comp_targetILNS1_3genE8ELNS1_11target_archE1030ELNS1_3gpuE2ELNS1_3repE0EEENS1_30default_config_static_selectorELNS0_4arch9wavefront6targetE0EEEvT1_
	.p2align	8
	.type	_ZN7rocprim17ROCPRIM_400000_NS6detail17trampoline_kernelINS0_14default_configENS1_25partition_config_selectorILNS1_17partition_subalgoE9EijbEEZZNS1_14partition_implILS5_9ELb0ES3_jN6thrust23THRUST_200600_302600_NS6detail15normal_iteratorINS9_10device_ptrIiEEEENSB_INSC_IjEEEEPNS0_10empty_typeENS0_5tupleIJSE_SH_EEENSJ_IJNS9_16discard_iteratorINS9_11use_defaultEEESI_EEENS0_18inequality_wrapperINS9_8equal_toIiEEEEPmJSH_EEE10hipError_tPvRmT3_T4_T5_T6_T7_T9_mT8_P12ihipStream_tbDpT10_ENKUlT_T0_E_clISt17integral_constantIbLb0EES1D_EEDaS18_S19_EUlS18_E_NS1_11comp_targetILNS1_3genE8ELNS1_11target_archE1030ELNS1_3gpuE2ELNS1_3repE0EEENS1_30default_config_static_selectorELNS0_4arch9wavefront6targetE0EEEvT1_,@function
_ZN7rocprim17ROCPRIM_400000_NS6detail17trampoline_kernelINS0_14default_configENS1_25partition_config_selectorILNS1_17partition_subalgoE9EijbEEZZNS1_14partition_implILS5_9ELb0ES3_jN6thrust23THRUST_200600_302600_NS6detail15normal_iteratorINS9_10device_ptrIiEEEENSB_INSC_IjEEEEPNS0_10empty_typeENS0_5tupleIJSE_SH_EEENSJ_IJNS9_16discard_iteratorINS9_11use_defaultEEESI_EEENS0_18inequality_wrapperINS9_8equal_toIiEEEEPmJSH_EEE10hipError_tPvRmT3_T4_T5_T6_T7_T9_mT8_P12ihipStream_tbDpT10_ENKUlT_T0_E_clISt17integral_constantIbLb0EES1D_EEDaS18_S19_EUlS18_E_NS1_11comp_targetILNS1_3genE8ELNS1_11target_archE1030ELNS1_3gpuE2ELNS1_3repE0EEENS1_30default_config_static_selectorELNS0_4arch9wavefront6targetE0EEEvT1_: ; @_ZN7rocprim17ROCPRIM_400000_NS6detail17trampoline_kernelINS0_14default_configENS1_25partition_config_selectorILNS1_17partition_subalgoE9EijbEEZZNS1_14partition_implILS5_9ELb0ES3_jN6thrust23THRUST_200600_302600_NS6detail15normal_iteratorINS9_10device_ptrIiEEEENSB_INSC_IjEEEEPNS0_10empty_typeENS0_5tupleIJSE_SH_EEENSJ_IJNS9_16discard_iteratorINS9_11use_defaultEEESI_EEENS0_18inequality_wrapperINS9_8equal_toIiEEEEPmJSH_EEE10hipError_tPvRmT3_T4_T5_T6_T7_T9_mT8_P12ihipStream_tbDpT10_ENKUlT_T0_E_clISt17integral_constantIbLb0EES1D_EEDaS18_S19_EUlS18_E_NS1_11comp_targetILNS1_3genE8ELNS1_11target_archE1030ELNS1_3gpuE2ELNS1_3repE0EEENS1_30default_config_static_selectorELNS0_4arch9wavefront6targetE0EEEvT1_
; %bb.0:
	.section	.rodata,"a",@progbits
	.p2align	6, 0x0
	.amdhsa_kernel _ZN7rocprim17ROCPRIM_400000_NS6detail17trampoline_kernelINS0_14default_configENS1_25partition_config_selectorILNS1_17partition_subalgoE9EijbEEZZNS1_14partition_implILS5_9ELb0ES3_jN6thrust23THRUST_200600_302600_NS6detail15normal_iteratorINS9_10device_ptrIiEEEENSB_INSC_IjEEEEPNS0_10empty_typeENS0_5tupleIJSE_SH_EEENSJ_IJNS9_16discard_iteratorINS9_11use_defaultEEESI_EEENS0_18inequality_wrapperINS9_8equal_toIiEEEEPmJSH_EEE10hipError_tPvRmT3_T4_T5_T6_T7_T9_mT8_P12ihipStream_tbDpT10_ENKUlT_T0_E_clISt17integral_constantIbLb0EES1D_EEDaS18_S19_EUlS18_E_NS1_11comp_targetILNS1_3genE8ELNS1_11target_archE1030ELNS1_3gpuE2ELNS1_3repE0EEENS1_30default_config_static_selectorELNS0_4arch9wavefront6targetE0EEEvT1_
		.amdhsa_group_segment_fixed_size 0
		.amdhsa_private_segment_fixed_size 0
		.amdhsa_kernarg_size 120
		.amdhsa_user_sgpr_count 15
		.amdhsa_user_sgpr_dispatch_ptr 0
		.amdhsa_user_sgpr_queue_ptr 0
		.amdhsa_user_sgpr_kernarg_segment_ptr 1
		.amdhsa_user_sgpr_dispatch_id 0
		.amdhsa_user_sgpr_private_segment_size 0
		.amdhsa_wavefront_size32 1
		.amdhsa_uses_dynamic_stack 0
		.amdhsa_enable_private_segment 0
		.amdhsa_system_sgpr_workgroup_id_x 1
		.amdhsa_system_sgpr_workgroup_id_y 0
		.amdhsa_system_sgpr_workgroup_id_z 0
		.amdhsa_system_sgpr_workgroup_info 0
		.amdhsa_system_vgpr_workitem_id 0
		.amdhsa_next_free_vgpr 1
		.amdhsa_next_free_sgpr 1
		.amdhsa_reserve_vcc 0
		.amdhsa_float_round_mode_32 0
		.amdhsa_float_round_mode_16_64 0
		.amdhsa_float_denorm_mode_32 3
		.amdhsa_float_denorm_mode_16_64 3
		.amdhsa_dx10_clamp 1
		.amdhsa_ieee_mode 1
		.amdhsa_fp16_overflow 0
		.amdhsa_workgroup_processor_mode 1
		.amdhsa_memory_ordered 1
		.amdhsa_forward_progress 0
		.amdhsa_shared_vgpr_count 0
		.amdhsa_exception_fp_ieee_invalid_op 0
		.amdhsa_exception_fp_denorm_src 0
		.amdhsa_exception_fp_ieee_div_zero 0
		.amdhsa_exception_fp_ieee_overflow 0
		.amdhsa_exception_fp_ieee_underflow 0
		.amdhsa_exception_fp_ieee_inexact 0
		.amdhsa_exception_int_div_zero 0
	.end_amdhsa_kernel
	.section	.text._ZN7rocprim17ROCPRIM_400000_NS6detail17trampoline_kernelINS0_14default_configENS1_25partition_config_selectorILNS1_17partition_subalgoE9EijbEEZZNS1_14partition_implILS5_9ELb0ES3_jN6thrust23THRUST_200600_302600_NS6detail15normal_iteratorINS9_10device_ptrIiEEEENSB_INSC_IjEEEEPNS0_10empty_typeENS0_5tupleIJSE_SH_EEENSJ_IJNS9_16discard_iteratorINS9_11use_defaultEEESI_EEENS0_18inequality_wrapperINS9_8equal_toIiEEEEPmJSH_EEE10hipError_tPvRmT3_T4_T5_T6_T7_T9_mT8_P12ihipStream_tbDpT10_ENKUlT_T0_E_clISt17integral_constantIbLb0EES1D_EEDaS18_S19_EUlS18_E_NS1_11comp_targetILNS1_3genE8ELNS1_11target_archE1030ELNS1_3gpuE2ELNS1_3repE0EEENS1_30default_config_static_selectorELNS0_4arch9wavefront6targetE0EEEvT1_,"axG",@progbits,_ZN7rocprim17ROCPRIM_400000_NS6detail17trampoline_kernelINS0_14default_configENS1_25partition_config_selectorILNS1_17partition_subalgoE9EijbEEZZNS1_14partition_implILS5_9ELb0ES3_jN6thrust23THRUST_200600_302600_NS6detail15normal_iteratorINS9_10device_ptrIiEEEENSB_INSC_IjEEEEPNS0_10empty_typeENS0_5tupleIJSE_SH_EEENSJ_IJNS9_16discard_iteratorINS9_11use_defaultEEESI_EEENS0_18inequality_wrapperINS9_8equal_toIiEEEEPmJSH_EEE10hipError_tPvRmT3_T4_T5_T6_T7_T9_mT8_P12ihipStream_tbDpT10_ENKUlT_T0_E_clISt17integral_constantIbLb0EES1D_EEDaS18_S19_EUlS18_E_NS1_11comp_targetILNS1_3genE8ELNS1_11target_archE1030ELNS1_3gpuE2ELNS1_3repE0EEENS1_30default_config_static_selectorELNS0_4arch9wavefront6targetE0EEEvT1_,comdat
.Lfunc_end1116:
	.size	_ZN7rocprim17ROCPRIM_400000_NS6detail17trampoline_kernelINS0_14default_configENS1_25partition_config_selectorILNS1_17partition_subalgoE9EijbEEZZNS1_14partition_implILS5_9ELb0ES3_jN6thrust23THRUST_200600_302600_NS6detail15normal_iteratorINS9_10device_ptrIiEEEENSB_INSC_IjEEEEPNS0_10empty_typeENS0_5tupleIJSE_SH_EEENSJ_IJNS9_16discard_iteratorINS9_11use_defaultEEESI_EEENS0_18inequality_wrapperINS9_8equal_toIiEEEEPmJSH_EEE10hipError_tPvRmT3_T4_T5_T6_T7_T9_mT8_P12ihipStream_tbDpT10_ENKUlT_T0_E_clISt17integral_constantIbLb0EES1D_EEDaS18_S19_EUlS18_E_NS1_11comp_targetILNS1_3genE8ELNS1_11target_archE1030ELNS1_3gpuE2ELNS1_3repE0EEENS1_30default_config_static_selectorELNS0_4arch9wavefront6targetE0EEEvT1_, .Lfunc_end1116-_ZN7rocprim17ROCPRIM_400000_NS6detail17trampoline_kernelINS0_14default_configENS1_25partition_config_selectorILNS1_17partition_subalgoE9EijbEEZZNS1_14partition_implILS5_9ELb0ES3_jN6thrust23THRUST_200600_302600_NS6detail15normal_iteratorINS9_10device_ptrIiEEEENSB_INSC_IjEEEEPNS0_10empty_typeENS0_5tupleIJSE_SH_EEENSJ_IJNS9_16discard_iteratorINS9_11use_defaultEEESI_EEENS0_18inequality_wrapperINS9_8equal_toIiEEEEPmJSH_EEE10hipError_tPvRmT3_T4_T5_T6_T7_T9_mT8_P12ihipStream_tbDpT10_ENKUlT_T0_E_clISt17integral_constantIbLb0EES1D_EEDaS18_S19_EUlS18_E_NS1_11comp_targetILNS1_3genE8ELNS1_11target_archE1030ELNS1_3gpuE2ELNS1_3repE0EEENS1_30default_config_static_selectorELNS0_4arch9wavefront6targetE0EEEvT1_
                                        ; -- End function
	.section	.AMDGPU.csdata,"",@progbits
; Kernel info:
; codeLenInByte = 0
; NumSgprs: 0
; NumVgprs: 0
; ScratchSize: 0
; MemoryBound: 0
; FloatMode: 240
; IeeeMode: 1
; LDSByteSize: 0 bytes/workgroup (compile time only)
; SGPRBlocks: 0
; VGPRBlocks: 0
; NumSGPRsForWavesPerEU: 1
; NumVGPRsForWavesPerEU: 1
; Occupancy: 16
; WaveLimiterHint : 0
; COMPUTE_PGM_RSRC2:SCRATCH_EN: 0
; COMPUTE_PGM_RSRC2:USER_SGPR: 15
; COMPUTE_PGM_RSRC2:TRAP_HANDLER: 0
; COMPUTE_PGM_RSRC2:TGID_X_EN: 1
; COMPUTE_PGM_RSRC2:TGID_Y_EN: 0
; COMPUTE_PGM_RSRC2:TGID_Z_EN: 0
; COMPUTE_PGM_RSRC2:TIDIG_COMP_CNT: 0
	.section	.text._ZN7rocprim17ROCPRIM_400000_NS6detail17trampoline_kernelINS0_14default_configENS1_25partition_config_selectorILNS1_17partition_subalgoE9EijbEEZZNS1_14partition_implILS5_9ELb0ES3_jN6thrust23THRUST_200600_302600_NS6detail15normal_iteratorINS9_10device_ptrIiEEEENSB_INSC_IjEEEEPNS0_10empty_typeENS0_5tupleIJSE_SH_EEENSJ_IJNS9_16discard_iteratorINS9_11use_defaultEEESI_EEENS0_18inequality_wrapperINS9_8equal_toIiEEEEPmJSH_EEE10hipError_tPvRmT3_T4_T5_T6_T7_T9_mT8_P12ihipStream_tbDpT10_ENKUlT_T0_E_clISt17integral_constantIbLb1EES1D_EEDaS18_S19_EUlS18_E_NS1_11comp_targetILNS1_3genE0ELNS1_11target_archE4294967295ELNS1_3gpuE0ELNS1_3repE0EEENS1_30default_config_static_selectorELNS0_4arch9wavefront6targetE0EEEvT1_,"axG",@progbits,_ZN7rocprim17ROCPRIM_400000_NS6detail17trampoline_kernelINS0_14default_configENS1_25partition_config_selectorILNS1_17partition_subalgoE9EijbEEZZNS1_14partition_implILS5_9ELb0ES3_jN6thrust23THRUST_200600_302600_NS6detail15normal_iteratorINS9_10device_ptrIiEEEENSB_INSC_IjEEEEPNS0_10empty_typeENS0_5tupleIJSE_SH_EEENSJ_IJNS9_16discard_iteratorINS9_11use_defaultEEESI_EEENS0_18inequality_wrapperINS9_8equal_toIiEEEEPmJSH_EEE10hipError_tPvRmT3_T4_T5_T6_T7_T9_mT8_P12ihipStream_tbDpT10_ENKUlT_T0_E_clISt17integral_constantIbLb1EES1D_EEDaS18_S19_EUlS18_E_NS1_11comp_targetILNS1_3genE0ELNS1_11target_archE4294967295ELNS1_3gpuE0ELNS1_3repE0EEENS1_30default_config_static_selectorELNS0_4arch9wavefront6targetE0EEEvT1_,comdat
	.protected	_ZN7rocprim17ROCPRIM_400000_NS6detail17trampoline_kernelINS0_14default_configENS1_25partition_config_selectorILNS1_17partition_subalgoE9EijbEEZZNS1_14partition_implILS5_9ELb0ES3_jN6thrust23THRUST_200600_302600_NS6detail15normal_iteratorINS9_10device_ptrIiEEEENSB_INSC_IjEEEEPNS0_10empty_typeENS0_5tupleIJSE_SH_EEENSJ_IJNS9_16discard_iteratorINS9_11use_defaultEEESI_EEENS0_18inequality_wrapperINS9_8equal_toIiEEEEPmJSH_EEE10hipError_tPvRmT3_T4_T5_T6_T7_T9_mT8_P12ihipStream_tbDpT10_ENKUlT_T0_E_clISt17integral_constantIbLb1EES1D_EEDaS18_S19_EUlS18_E_NS1_11comp_targetILNS1_3genE0ELNS1_11target_archE4294967295ELNS1_3gpuE0ELNS1_3repE0EEENS1_30default_config_static_selectorELNS0_4arch9wavefront6targetE0EEEvT1_ ; -- Begin function _ZN7rocprim17ROCPRIM_400000_NS6detail17trampoline_kernelINS0_14default_configENS1_25partition_config_selectorILNS1_17partition_subalgoE9EijbEEZZNS1_14partition_implILS5_9ELb0ES3_jN6thrust23THRUST_200600_302600_NS6detail15normal_iteratorINS9_10device_ptrIiEEEENSB_INSC_IjEEEEPNS0_10empty_typeENS0_5tupleIJSE_SH_EEENSJ_IJNS9_16discard_iteratorINS9_11use_defaultEEESI_EEENS0_18inequality_wrapperINS9_8equal_toIiEEEEPmJSH_EEE10hipError_tPvRmT3_T4_T5_T6_T7_T9_mT8_P12ihipStream_tbDpT10_ENKUlT_T0_E_clISt17integral_constantIbLb1EES1D_EEDaS18_S19_EUlS18_E_NS1_11comp_targetILNS1_3genE0ELNS1_11target_archE4294967295ELNS1_3gpuE0ELNS1_3repE0EEENS1_30default_config_static_selectorELNS0_4arch9wavefront6targetE0EEEvT1_
	.globl	_ZN7rocprim17ROCPRIM_400000_NS6detail17trampoline_kernelINS0_14default_configENS1_25partition_config_selectorILNS1_17partition_subalgoE9EijbEEZZNS1_14partition_implILS5_9ELb0ES3_jN6thrust23THRUST_200600_302600_NS6detail15normal_iteratorINS9_10device_ptrIiEEEENSB_INSC_IjEEEEPNS0_10empty_typeENS0_5tupleIJSE_SH_EEENSJ_IJNS9_16discard_iteratorINS9_11use_defaultEEESI_EEENS0_18inequality_wrapperINS9_8equal_toIiEEEEPmJSH_EEE10hipError_tPvRmT3_T4_T5_T6_T7_T9_mT8_P12ihipStream_tbDpT10_ENKUlT_T0_E_clISt17integral_constantIbLb1EES1D_EEDaS18_S19_EUlS18_E_NS1_11comp_targetILNS1_3genE0ELNS1_11target_archE4294967295ELNS1_3gpuE0ELNS1_3repE0EEENS1_30default_config_static_selectorELNS0_4arch9wavefront6targetE0EEEvT1_
	.p2align	8
	.type	_ZN7rocprim17ROCPRIM_400000_NS6detail17trampoline_kernelINS0_14default_configENS1_25partition_config_selectorILNS1_17partition_subalgoE9EijbEEZZNS1_14partition_implILS5_9ELb0ES3_jN6thrust23THRUST_200600_302600_NS6detail15normal_iteratorINS9_10device_ptrIiEEEENSB_INSC_IjEEEEPNS0_10empty_typeENS0_5tupleIJSE_SH_EEENSJ_IJNS9_16discard_iteratorINS9_11use_defaultEEESI_EEENS0_18inequality_wrapperINS9_8equal_toIiEEEEPmJSH_EEE10hipError_tPvRmT3_T4_T5_T6_T7_T9_mT8_P12ihipStream_tbDpT10_ENKUlT_T0_E_clISt17integral_constantIbLb1EES1D_EEDaS18_S19_EUlS18_E_NS1_11comp_targetILNS1_3genE0ELNS1_11target_archE4294967295ELNS1_3gpuE0ELNS1_3repE0EEENS1_30default_config_static_selectorELNS0_4arch9wavefront6targetE0EEEvT1_,@function
_ZN7rocprim17ROCPRIM_400000_NS6detail17trampoline_kernelINS0_14default_configENS1_25partition_config_selectorILNS1_17partition_subalgoE9EijbEEZZNS1_14partition_implILS5_9ELb0ES3_jN6thrust23THRUST_200600_302600_NS6detail15normal_iteratorINS9_10device_ptrIiEEEENSB_INSC_IjEEEEPNS0_10empty_typeENS0_5tupleIJSE_SH_EEENSJ_IJNS9_16discard_iteratorINS9_11use_defaultEEESI_EEENS0_18inequality_wrapperINS9_8equal_toIiEEEEPmJSH_EEE10hipError_tPvRmT3_T4_T5_T6_T7_T9_mT8_P12ihipStream_tbDpT10_ENKUlT_T0_E_clISt17integral_constantIbLb1EES1D_EEDaS18_S19_EUlS18_E_NS1_11comp_targetILNS1_3genE0ELNS1_11target_archE4294967295ELNS1_3gpuE0ELNS1_3repE0EEENS1_30default_config_static_selectorELNS0_4arch9wavefront6targetE0EEEvT1_: ; @_ZN7rocprim17ROCPRIM_400000_NS6detail17trampoline_kernelINS0_14default_configENS1_25partition_config_selectorILNS1_17partition_subalgoE9EijbEEZZNS1_14partition_implILS5_9ELb0ES3_jN6thrust23THRUST_200600_302600_NS6detail15normal_iteratorINS9_10device_ptrIiEEEENSB_INSC_IjEEEEPNS0_10empty_typeENS0_5tupleIJSE_SH_EEENSJ_IJNS9_16discard_iteratorINS9_11use_defaultEEESI_EEENS0_18inequality_wrapperINS9_8equal_toIiEEEEPmJSH_EEE10hipError_tPvRmT3_T4_T5_T6_T7_T9_mT8_P12ihipStream_tbDpT10_ENKUlT_T0_E_clISt17integral_constantIbLb1EES1D_EEDaS18_S19_EUlS18_E_NS1_11comp_targetILNS1_3genE0ELNS1_11target_archE4294967295ELNS1_3gpuE0ELNS1_3repE0EEENS1_30default_config_static_selectorELNS0_4arch9wavefront6targetE0EEEvT1_
; %bb.0:
	.section	.rodata,"a",@progbits
	.p2align	6, 0x0
	.amdhsa_kernel _ZN7rocprim17ROCPRIM_400000_NS6detail17trampoline_kernelINS0_14default_configENS1_25partition_config_selectorILNS1_17partition_subalgoE9EijbEEZZNS1_14partition_implILS5_9ELb0ES3_jN6thrust23THRUST_200600_302600_NS6detail15normal_iteratorINS9_10device_ptrIiEEEENSB_INSC_IjEEEEPNS0_10empty_typeENS0_5tupleIJSE_SH_EEENSJ_IJNS9_16discard_iteratorINS9_11use_defaultEEESI_EEENS0_18inequality_wrapperINS9_8equal_toIiEEEEPmJSH_EEE10hipError_tPvRmT3_T4_T5_T6_T7_T9_mT8_P12ihipStream_tbDpT10_ENKUlT_T0_E_clISt17integral_constantIbLb1EES1D_EEDaS18_S19_EUlS18_E_NS1_11comp_targetILNS1_3genE0ELNS1_11target_archE4294967295ELNS1_3gpuE0ELNS1_3repE0EEENS1_30default_config_static_selectorELNS0_4arch9wavefront6targetE0EEEvT1_
		.amdhsa_group_segment_fixed_size 0
		.amdhsa_private_segment_fixed_size 0
		.amdhsa_kernarg_size 136
		.amdhsa_user_sgpr_count 15
		.amdhsa_user_sgpr_dispatch_ptr 0
		.amdhsa_user_sgpr_queue_ptr 0
		.amdhsa_user_sgpr_kernarg_segment_ptr 1
		.amdhsa_user_sgpr_dispatch_id 0
		.amdhsa_user_sgpr_private_segment_size 0
		.amdhsa_wavefront_size32 1
		.amdhsa_uses_dynamic_stack 0
		.amdhsa_enable_private_segment 0
		.amdhsa_system_sgpr_workgroup_id_x 1
		.amdhsa_system_sgpr_workgroup_id_y 0
		.amdhsa_system_sgpr_workgroup_id_z 0
		.amdhsa_system_sgpr_workgroup_info 0
		.amdhsa_system_vgpr_workitem_id 0
		.amdhsa_next_free_vgpr 1
		.amdhsa_next_free_sgpr 1
		.amdhsa_reserve_vcc 0
		.amdhsa_float_round_mode_32 0
		.amdhsa_float_round_mode_16_64 0
		.amdhsa_float_denorm_mode_32 3
		.amdhsa_float_denorm_mode_16_64 3
		.amdhsa_dx10_clamp 1
		.amdhsa_ieee_mode 1
		.amdhsa_fp16_overflow 0
		.amdhsa_workgroup_processor_mode 1
		.amdhsa_memory_ordered 1
		.amdhsa_forward_progress 0
		.amdhsa_shared_vgpr_count 0
		.amdhsa_exception_fp_ieee_invalid_op 0
		.amdhsa_exception_fp_denorm_src 0
		.amdhsa_exception_fp_ieee_div_zero 0
		.amdhsa_exception_fp_ieee_overflow 0
		.amdhsa_exception_fp_ieee_underflow 0
		.amdhsa_exception_fp_ieee_inexact 0
		.amdhsa_exception_int_div_zero 0
	.end_amdhsa_kernel
	.section	.text._ZN7rocprim17ROCPRIM_400000_NS6detail17trampoline_kernelINS0_14default_configENS1_25partition_config_selectorILNS1_17partition_subalgoE9EijbEEZZNS1_14partition_implILS5_9ELb0ES3_jN6thrust23THRUST_200600_302600_NS6detail15normal_iteratorINS9_10device_ptrIiEEEENSB_INSC_IjEEEEPNS0_10empty_typeENS0_5tupleIJSE_SH_EEENSJ_IJNS9_16discard_iteratorINS9_11use_defaultEEESI_EEENS0_18inequality_wrapperINS9_8equal_toIiEEEEPmJSH_EEE10hipError_tPvRmT3_T4_T5_T6_T7_T9_mT8_P12ihipStream_tbDpT10_ENKUlT_T0_E_clISt17integral_constantIbLb1EES1D_EEDaS18_S19_EUlS18_E_NS1_11comp_targetILNS1_3genE0ELNS1_11target_archE4294967295ELNS1_3gpuE0ELNS1_3repE0EEENS1_30default_config_static_selectorELNS0_4arch9wavefront6targetE0EEEvT1_,"axG",@progbits,_ZN7rocprim17ROCPRIM_400000_NS6detail17trampoline_kernelINS0_14default_configENS1_25partition_config_selectorILNS1_17partition_subalgoE9EijbEEZZNS1_14partition_implILS5_9ELb0ES3_jN6thrust23THRUST_200600_302600_NS6detail15normal_iteratorINS9_10device_ptrIiEEEENSB_INSC_IjEEEEPNS0_10empty_typeENS0_5tupleIJSE_SH_EEENSJ_IJNS9_16discard_iteratorINS9_11use_defaultEEESI_EEENS0_18inequality_wrapperINS9_8equal_toIiEEEEPmJSH_EEE10hipError_tPvRmT3_T4_T5_T6_T7_T9_mT8_P12ihipStream_tbDpT10_ENKUlT_T0_E_clISt17integral_constantIbLb1EES1D_EEDaS18_S19_EUlS18_E_NS1_11comp_targetILNS1_3genE0ELNS1_11target_archE4294967295ELNS1_3gpuE0ELNS1_3repE0EEENS1_30default_config_static_selectorELNS0_4arch9wavefront6targetE0EEEvT1_,comdat
.Lfunc_end1117:
	.size	_ZN7rocprim17ROCPRIM_400000_NS6detail17trampoline_kernelINS0_14default_configENS1_25partition_config_selectorILNS1_17partition_subalgoE9EijbEEZZNS1_14partition_implILS5_9ELb0ES3_jN6thrust23THRUST_200600_302600_NS6detail15normal_iteratorINS9_10device_ptrIiEEEENSB_INSC_IjEEEEPNS0_10empty_typeENS0_5tupleIJSE_SH_EEENSJ_IJNS9_16discard_iteratorINS9_11use_defaultEEESI_EEENS0_18inequality_wrapperINS9_8equal_toIiEEEEPmJSH_EEE10hipError_tPvRmT3_T4_T5_T6_T7_T9_mT8_P12ihipStream_tbDpT10_ENKUlT_T0_E_clISt17integral_constantIbLb1EES1D_EEDaS18_S19_EUlS18_E_NS1_11comp_targetILNS1_3genE0ELNS1_11target_archE4294967295ELNS1_3gpuE0ELNS1_3repE0EEENS1_30default_config_static_selectorELNS0_4arch9wavefront6targetE0EEEvT1_, .Lfunc_end1117-_ZN7rocprim17ROCPRIM_400000_NS6detail17trampoline_kernelINS0_14default_configENS1_25partition_config_selectorILNS1_17partition_subalgoE9EijbEEZZNS1_14partition_implILS5_9ELb0ES3_jN6thrust23THRUST_200600_302600_NS6detail15normal_iteratorINS9_10device_ptrIiEEEENSB_INSC_IjEEEEPNS0_10empty_typeENS0_5tupleIJSE_SH_EEENSJ_IJNS9_16discard_iteratorINS9_11use_defaultEEESI_EEENS0_18inequality_wrapperINS9_8equal_toIiEEEEPmJSH_EEE10hipError_tPvRmT3_T4_T5_T6_T7_T9_mT8_P12ihipStream_tbDpT10_ENKUlT_T0_E_clISt17integral_constantIbLb1EES1D_EEDaS18_S19_EUlS18_E_NS1_11comp_targetILNS1_3genE0ELNS1_11target_archE4294967295ELNS1_3gpuE0ELNS1_3repE0EEENS1_30default_config_static_selectorELNS0_4arch9wavefront6targetE0EEEvT1_
                                        ; -- End function
	.section	.AMDGPU.csdata,"",@progbits
; Kernel info:
; codeLenInByte = 0
; NumSgprs: 0
; NumVgprs: 0
; ScratchSize: 0
; MemoryBound: 0
; FloatMode: 240
; IeeeMode: 1
; LDSByteSize: 0 bytes/workgroup (compile time only)
; SGPRBlocks: 0
; VGPRBlocks: 0
; NumSGPRsForWavesPerEU: 1
; NumVGPRsForWavesPerEU: 1
; Occupancy: 16
; WaveLimiterHint : 0
; COMPUTE_PGM_RSRC2:SCRATCH_EN: 0
; COMPUTE_PGM_RSRC2:USER_SGPR: 15
; COMPUTE_PGM_RSRC2:TRAP_HANDLER: 0
; COMPUTE_PGM_RSRC2:TGID_X_EN: 1
; COMPUTE_PGM_RSRC2:TGID_Y_EN: 0
; COMPUTE_PGM_RSRC2:TGID_Z_EN: 0
; COMPUTE_PGM_RSRC2:TIDIG_COMP_CNT: 0
	.section	.text._ZN7rocprim17ROCPRIM_400000_NS6detail17trampoline_kernelINS0_14default_configENS1_25partition_config_selectorILNS1_17partition_subalgoE9EijbEEZZNS1_14partition_implILS5_9ELb0ES3_jN6thrust23THRUST_200600_302600_NS6detail15normal_iteratorINS9_10device_ptrIiEEEENSB_INSC_IjEEEEPNS0_10empty_typeENS0_5tupleIJSE_SH_EEENSJ_IJNS9_16discard_iteratorINS9_11use_defaultEEESI_EEENS0_18inequality_wrapperINS9_8equal_toIiEEEEPmJSH_EEE10hipError_tPvRmT3_T4_T5_T6_T7_T9_mT8_P12ihipStream_tbDpT10_ENKUlT_T0_E_clISt17integral_constantIbLb1EES1D_EEDaS18_S19_EUlS18_E_NS1_11comp_targetILNS1_3genE5ELNS1_11target_archE942ELNS1_3gpuE9ELNS1_3repE0EEENS1_30default_config_static_selectorELNS0_4arch9wavefront6targetE0EEEvT1_,"axG",@progbits,_ZN7rocprim17ROCPRIM_400000_NS6detail17trampoline_kernelINS0_14default_configENS1_25partition_config_selectorILNS1_17partition_subalgoE9EijbEEZZNS1_14partition_implILS5_9ELb0ES3_jN6thrust23THRUST_200600_302600_NS6detail15normal_iteratorINS9_10device_ptrIiEEEENSB_INSC_IjEEEEPNS0_10empty_typeENS0_5tupleIJSE_SH_EEENSJ_IJNS9_16discard_iteratorINS9_11use_defaultEEESI_EEENS0_18inequality_wrapperINS9_8equal_toIiEEEEPmJSH_EEE10hipError_tPvRmT3_T4_T5_T6_T7_T9_mT8_P12ihipStream_tbDpT10_ENKUlT_T0_E_clISt17integral_constantIbLb1EES1D_EEDaS18_S19_EUlS18_E_NS1_11comp_targetILNS1_3genE5ELNS1_11target_archE942ELNS1_3gpuE9ELNS1_3repE0EEENS1_30default_config_static_selectorELNS0_4arch9wavefront6targetE0EEEvT1_,comdat
	.protected	_ZN7rocprim17ROCPRIM_400000_NS6detail17trampoline_kernelINS0_14default_configENS1_25partition_config_selectorILNS1_17partition_subalgoE9EijbEEZZNS1_14partition_implILS5_9ELb0ES3_jN6thrust23THRUST_200600_302600_NS6detail15normal_iteratorINS9_10device_ptrIiEEEENSB_INSC_IjEEEEPNS0_10empty_typeENS0_5tupleIJSE_SH_EEENSJ_IJNS9_16discard_iteratorINS9_11use_defaultEEESI_EEENS0_18inequality_wrapperINS9_8equal_toIiEEEEPmJSH_EEE10hipError_tPvRmT3_T4_T5_T6_T7_T9_mT8_P12ihipStream_tbDpT10_ENKUlT_T0_E_clISt17integral_constantIbLb1EES1D_EEDaS18_S19_EUlS18_E_NS1_11comp_targetILNS1_3genE5ELNS1_11target_archE942ELNS1_3gpuE9ELNS1_3repE0EEENS1_30default_config_static_selectorELNS0_4arch9wavefront6targetE0EEEvT1_ ; -- Begin function _ZN7rocprim17ROCPRIM_400000_NS6detail17trampoline_kernelINS0_14default_configENS1_25partition_config_selectorILNS1_17partition_subalgoE9EijbEEZZNS1_14partition_implILS5_9ELb0ES3_jN6thrust23THRUST_200600_302600_NS6detail15normal_iteratorINS9_10device_ptrIiEEEENSB_INSC_IjEEEEPNS0_10empty_typeENS0_5tupleIJSE_SH_EEENSJ_IJNS9_16discard_iteratorINS9_11use_defaultEEESI_EEENS0_18inequality_wrapperINS9_8equal_toIiEEEEPmJSH_EEE10hipError_tPvRmT3_T4_T5_T6_T7_T9_mT8_P12ihipStream_tbDpT10_ENKUlT_T0_E_clISt17integral_constantIbLb1EES1D_EEDaS18_S19_EUlS18_E_NS1_11comp_targetILNS1_3genE5ELNS1_11target_archE942ELNS1_3gpuE9ELNS1_3repE0EEENS1_30default_config_static_selectorELNS0_4arch9wavefront6targetE0EEEvT1_
	.globl	_ZN7rocprim17ROCPRIM_400000_NS6detail17trampoline_kernelINS0_14default_configENS1_25partition_config_selectorILNS1_17partition_subalgoE9EijbEEZZNS1_14partition_implILS5_9ELb0ES3_jN6thrust23THRUST_200600_302600_NS6detail15normal_iteratorINS9_10device_ptrIiEEEENSB_INSC_IjEEEEPNS0_10empty_typeENS0_5tupleIJSE_SH_EEENSJ_IJNS9_16discard_iteratorINS9_11use_defaultEEESI_EEENS0_18inequality_wrapperINS9_8equal_toIiEEEEPmJSH_EEE10hipError_tPvRmT3_T4_T5_T6_T7_T9_mT8_P12ihipStream_tbDpT10_ENKUlT_T0_E_clISt17integral_constantIbLb1EES1D_EEDaS18_S19_EUlS18_E_NS1_11comp_targetILNS1_3genE5ELNS1_11target_archE942ELNS1_3gpuE9ELNS1_3repE0EEENS1_30default_config_static_selectorELNS0_4arch9wavefront6targetE0EEEvT1_
	.p2align	8
	.type	_ZN7rocprim17ROCPRIM_400000_NS6detail17trampoline_kernelINS0_14default_configENS1_25partition_config_selectorILNS1_17partition_subalgoE9EijbEEZZNS1_14partition_implILS5_9ELb0ES3_jN6thrust23THRUST_200600_302600_NS6detail15normal_iteratorINS9_10device_ptrIiEEEENSB_INSC_IjEEEEPNS0_10empty_typeENS0_5tupleIJSE_SH_EEENSJ_IJNS9_16discard_iteratorINS9_11use_defaultEEESI_EEENS0_18inequality_wrapperINS9_8equal_toIiEEEEPmJSH_EEE10hipError_tPvRmT3_T4_T5_T6_T7_T9_mT8_P12ihipStream_tbDpT10_ENKUlT_T0_E_clISt17integral_constantIbLb1EES1D_EEDaS18_S19_EUlS18_E_NS1_11comp_targetILNS1_3genE5ELNS1_11target_archE942ELNS1_3gpuE9ELNS1_3repE0EEENS1_30default_config_static_selectorELNS0_4arch9wavefront6targetE0EEEvT1_,@function
_ZN7rocprim17ROCPRIM_400000_NS6detail17trampoline_kernelINS0_14default_configENS1_25partition_config_selectorILNS1_17partition_subalgoE9EijbEEZZNS1_14partition_implILS5_9ELb0ES3_jN6thrust23THRUST_200600_302600_NS6detail15normal_iteratorINS9_10device_ptrIiEEEENSB_INSC_IjEEEEPNS0_10empty_typeENS0_5tupleIJSE_SH_EEENSJ_IJNS9_16discard_iteratorINS9_11use_defaultEEESI_EEENS0_18inequality_wrapperINS9_8equal_toIiEEEEPmJSH_EEE10hipError_tPvRmT3_T4_T5_T6_T7_T9_mT8_P12ihipStream_tbDpT10_ENKUlT_T0_E_clISt17integral_constantIbLb1EES1D_EEDaS18_S19_EUlS18_E_NS1_11comp_targetILNS1_3genE5ELNS1_11target_archE942ELNS1_3gpuE9ELNS1_3repE0EEENS1_30default_config_static_selectorELNS0_4arch9wavefront6targetE0EEEvT1_: ; @_ZN7rocprim17ROCPRIM_400000_NS6detail17trampoline_kernelINS0_14default_configENS1_25partition_config_selectorILNS1_17partition_subalgoE9EijbEEZZNS1_14partition_implILS5_9ELb0ES3_jN6thrust23THRUST_200600_302600_NS6detail15normal_iteratorINS9_10device_ptrIiEEEENSB_INSC_IjEEEEPNS0_10empty_typeENS0_5tupleIJSE_SH_EEENSJ_IJNS9_16discard_iteratorINS9_11use_defaultEEESI_EEENS0_18inequality_wrapperINS9_8equal_toIiEEEEPmJSH_EEE10hipError_tPvRmT3_T4_T5_T6_T7_T9_mT8_P12ihipStream_tbDpT10_ENKUlT_T0_E_clISt17integral_constantIbLb1EES1D_EEDaS18_S19_EUlS18_E_NS1_11comp_targetILNS1_3genE5ELNS1_11target_archE942ELNS1_3gpuE9ELNS1_3repE0EEENS1_30default_config_static_selectorELNS0_4arch9wavefront6targetE0EEEvT1_
; %bb.0:
	.section	.rodata,"a",@progbits
	.p2align	6, 0x0
	.amdhsa_kernel _ZN7rocprim17ROCPRIM_400000_NS6detail17trampoline_kernelINS0_14default_configENS1_25partition_config_selectorILNS1_17partition_subalgoE9EijbEEZZNS1_14partition_implILS5_9ELb0ES3_jN6thrust23THRUST_200600_302600_NS6detail15normal_iteratorINS9_10device_ptrIiEEEENSB_INSC_IjEEEEPNS0_10empty_typeENS0_5tupleIJSE_SH_EEENSJ_IJNS9_16discard_iteratorINS9_11use_defaultEEESI_EEENS0_18inequality_wrapperINS9_8equal_toIiEEEEPmJSH_EEE10hipError_tPvRmT3_T4_T5_T6_T7_T9_mT8_P12ihipStream_tbDpT10_ENKUlT_T0_E_clISt17integral_constantIbLb1EES1D_EEDaS18_S19_EUlS18_E_NS1_11comp_targetILNS1_3genE5ELNS1_11target_archE942ELNS1_3gpuE9ELNS1_3repE0EEENS1_30default_config_static_selectorELNS0_4arch9wavefront6targetE0EEEvT1_
		.amdhsa_group_segment_fixed_size 0
		.amdhsa_private_segment_fixed_size 0
		.amdhsa_kernarg_size 136
		.amdhsa_user_sgpr_count 15
		.amdhsa_user_sgpr_dispatch_ptr 0
		.amdhsa_user_sgpr_queue_ptr 0
		.amdhsa_user_sgpr_kernarg_segment_ptr 1
		.amdhsa_user_sgpr_dispatch_id 0
		.amdhsa_user_sgpr_private_segment_size 0
		.amdhsa_wavefront_size32 1
		.amdhsa_uses_dynamic_stack 0
		.amdhsa_enable_private_segment 0
		.amdhsa_system_sgpr_workgroup_id_x 1
		.amdhsa_system_sgpr_workgroup_id_y 0
		.amdhsa_system_sgpr_workgroup_id_z 0
		.amdhsa_system_sgpr_workgroup_info 0
		.amdhsa_system_vgpr_workitem_id 0
		.amdhsa_next_free_vgpr 1
		.amdhsa_next_free_sgpr 1
		.amdhsa_reserve_vcc 0
		.amdhsa_float_round_mode_32 0
		.amdhsa_float_round_mode_16_64 0
		.amdhsa_float_denorm_mode_32 3
		.amdhsa_float_denorm_mode_16_64 3
		.amdhsa_dx10_clamp 1
		.amdhsa_ieee_mode 1
		.amdhsa_fp16_overflow 0
		.amdhsa_workgroup_processor_mode 1
		.amdhsa_memory_ordered 1
		.amdhsa_forward_progress 0
		.amdhsa_shared_vgpr_count 0
		.amdhsa_exception_fp_ieee_invalid_op 0
		.amdhsa_exception_fp_denorm_src 0
		.amdhsa_exception_fp_ieee_div_zero 0
		.amdhsa_exception_fp_ieee_overflow 0
		.amdhsa_exception_fp_ieee_underflow 0
		.amdhsa_exception_fp_ieee_inexact 0
		.amdhsa_exception_int_div_zero 0
	.end_amdhsa_kernel
	.section	.text._ZN7rocprim17ROCPRIM_400000_NS6detail17trampoline_kernelINS0_14default_configENS1_25partition_config_selectorILNS1_17partition_subalgoE9EijbEEZZNS1_14partition_implILS5_9ELb0ES3_jN6thrust23THRUST_200600_302600_NS6detail15normal_iteratorINS9_10device_ptrIiEEEENSB_INSC_IjEEEEPNS0_10empty_typeENS0_5tupleIJSE_SH_EEENSJ_IJNS9_16discard_iteratorINS9_11use_defaultEEESI_EEENS0_18inequality_wrapperINS9_8equal_toIiEEEEPmJSH_EEE10hipError_tPvRmT3_T4_T5_T6_T7_T9_mT8_P12ihipStream_tbDpT10_ENKUlT_T0_E_clISt17integral_constantIbLb1EES1D_EEDaS18_S19_EUlS18_E_NS1_11comp_targetILNS1_3genE5ELNS1_11target_archE942ELNS1_3gpuE9ELNS1_3repE0EEENS1_30default_config_static_selectorELNS0_4arch9wavefront6targetE0EEEvT1_,"axG",@progbits,_ZN7rocprim17ROCPRIM_400000_NS6detail17trampoline_kernelINS0_14default_configENS1_25partition_config_selectorILNS1_17partition_subalgoE9EijbEEZZNS1_14partition_implILS5_9ELb0ES3_jN6thrust23THRUST_200600_302600_NS6detail15normal_iteratorINS9_10device_ptrIiEEEENSB_INSC_IjEEEEPNS0_10empty_typeENS0_5tupleIJSE_SH_EEENSJ_IJNS9_16discard_iteratorINS9_11use_defaultEEESI_EEENS0_18inequality_wrapperINS9_8equal_toIiEEEEPmJSH_EEE10hipError_tPvRmT3_T4_T5_T6_T7_T9_mT8_P12ihipStream_tbDpT10_ENKUlT_T0_E_clISt17integral_constantIbLb1EES1D_EEDaS18_S19_EUlS18_E_NS1_11comp_targetILNS1_3genE5ELNS1_11target_archE942ELNS1_3gpuE9ELNS1_3repE0EEENS1_30default_config_static_selectorELNS0_4arch9wavefront6targetE0EEEvT1_,comdat
.Lfunc_end1118:
	.size	_ZN7rocprim17ROCPRIM_400000_NS6detail17trampoline_kernelINS0_14default_configENS1_25partition_config_selectorILNS1_17partition_subalgoE9EijbEEZZNS1_14partition_implILS5_9ELb0ES3_jN6thrust23THRUST_200600_302600_NS6detail15normal_iteratorINS9_10device_ptrIiEEEENSB_INSC_IjEEEEPNS0_10empty_typeENS0_5tupleIJSE_SH_EEENSJ_IJNS9_16discard_iteratorINS9_11use_defaultEEESI_EEENS0_18inequality_wrapperINS9_8equal_toIiEEEEPmJSH_EEE10hipError_tPvRmT3_T4_T5_T6_T7_T9_mT8_P12ihipStream_tbDpT10_ENKUlT_T0_E_clISt17integral_constantIbLb1EES1D_EEDaS18_S19_EUlS18_E_NS1_11comp_targetILNS1_3genE5ELNS1_11target_archE942ELNS1_3gpuE9ELNS1_3repE0EEENS1_30default_config_static_selectorELNS0_4arch9wavefront6targetE0EEEvT1_, .Lfunc_end1118-_ZN7rocprim17ROCPRIM_400000_NS6detail17trampoline_kernelINS0_14default_configENS1_25partition_config_selectorILNS1_17partition_subalgoE9EijbEEZZNS1_14partition_implILS5_9ELb0ES3_jN6thrust23THRUST_200600_302600_NS6detail15normal_iteratorINS9_10device_ptrIiEEEENSB_INSC_IjEEEEPNS0_10empty_typeENS0_5tupleIJSE_SH_EEENSJ_IJNS9_16discard_iteratorINS9_11use_defaultEEESI_EEENS0_18inequality_wrapperINS9_8equal_toIiEEEEPmJSH_EEE10hipError_tPvRmT3_T4_T5_T6_T7_T9_mT8_P12ihipStream_tbDpT10_ENKUlT_T0_E_clISt17integral_constantIbLb1EES1D_EEDaS18_S19_EUlS18_E_NS1_11comp_targetILNS1_3genE5ELNS1_11target_archE942ELNS1_3gpuE9ELNS1_3repE0EEENS1_30default_config_static_selectorELNS0_4arch9wavefront6targetE0EEEvT1_
                                        ; -- End function
	.section	.AMDGPU.csdata,"",@progbits
; Kernel info:
; codeLenInByte = 0
; NumSgprs: 0
; NumVgprs: 0
; ScratchSize: 0
; MemoryBound: 0
; FloatMode: 240
; IeeeMode: 1
; LDSByteSize: 0 bytes/workgroup (compile time only)
; SGPRBlocks: 0
; VGPRBlocks: 0
; NumSGPRsForWavesPerEU: 1
; NumVGPRsForWavesPerEU: 1
; Occupancy: 16
; WaveLimiterHint : 0
; COMPUTE_PGM_RSRC2:SCRATCH_EN: 0
; COMPUTE_PGM_RSRC2:USER_SGPR: 15
; COMPUTE_PGM_RSRC2:TRAP_HANDLER: 0
; COMPUTE_PGM_RSRC2:TGID_X_EN: 1
; COMPUTE_PGM_RSRC2:TGID_Y_EN: 0
; COMPUTE_PGM_RSRC2:TGID_Z_EN: 0
; COMPUTE_PGM_RSRC2:TIDIG_COMP_CNT: 0
	.section	.text._ZN7rocprim17ROCPRIM_400000_NS6detail17trampoline_kernelINS0_14default_configENS1_25partition_config_selectorILNS1_17partition_subalgoE9EijbEEZZNS1_14partition_implILS5_9ELb0ES3_jN6thrust23THRUST_200600_302600_NS6detail15normal_iteratorINS9_10device_ptrIiEEEENSB_INSC_IjEEEEPNS0_10empty_typeENS0_5tupleIJSE_SH_EEENSJ_IJNS9_16discard_iteratorINS9_11use_defaultEEESI_EEENS0_18inequality_wrapperINS9_8equal_toIiEEEEPmJSH_EEE10hipError_tPvRmT3_T4_T5_T6_T7_T9_mT8_P12ihipStream_tbDpT10_ENKUlT_T0_E_clISt17integral_constantIbLb1EES1D_EEDaS18_S19_EUlS18_E_NS1_11comp_targetILNS1_3genE4ELNS1_11target_archE910ELNS1_3gpuE8ELNS1_3repE0EEENS1_30default_config_static_selectorELNS0_4arch9wavefront6targetE0EEEvT1_,"axG",@progbits,_ZN7rocprim17ROCPRIM_400000_NS6detail17trampoline_kernelINS0_14default_configENS1_25partition_config_selectorILNS1_17partition_subalgoE9EijbEEZZNS1_14partition_implILS5_9ELb0ES3_jN6thrust23THRUST_200600_302600_NS6detail15normal_iteratorINS9_10device_ptrIiEEEENSB_INSC_IjEEEEPNS0_10empty_typeENS0_5tupleIJSE_SH_EEENSJ_IJNS9_16discard_iteratorINS9_11use_defaultEEESI_EEENS0_18inequality_wrapperINS9_8equal_toIiEEEEPmJSH_EEE10hipError_tPvRmT3_T4_T5_T6_T7_T9_mT8_P12ihipStream_tbDpT10_ENKUlT_T0_E_clISt17integral_constantIbLb1EES1D_EEDaS18_S19_EUlS18_E_NS1_11comp_targetILNS1_3genE4ELNS1_11target_archE910ELNS1_3gpuE8ELNS1_3repE0EEENS1_30default_config_static_selectorELNS0_4arch9wavefront6targetE0EEEvT1_,comdat
	.protected	_ZN7rocprim17ROCPRIM_400000_NS6detail17trampoline_kernelINS0_14default_configENS1_25partition_config_selectorILNS1_17partition_subalgoE9EijbEEZZNS1_14partition_implILS5_9ELb0ES3_jN6thrust23THRUST_200600_302600_NS6detail15normal_iteratorINS9_10device_ptrIiEEEENSB_INSC_IjEEEEPNS0_10empty_typeENS0_5tupleIJSE_SH_EEENSJ_IJNS9_16discard_iteratorINS9_11use_defaultEEESI_EEENS0_18inequality_wrapperINS9_8equal_toIiEEEEPmJSH_EEE10hipError_tPvRmT3_T4_T5_T6_T7_T9_mT8_P12ihipStream_tbDpT10_ENKUlT_T0_E_clISt17integral_constantIbLb1EES1D_EEDaS18_S19_EUlS18_E_NS1_11comp_targetILNS1_3genE4ELNS1_11target_archE910ELNS1_3gpuE8ELNS1_3repE0EEENS1_30default_config_static_selectorELNS0_4arch9wavefront6targetE0EEEvT1_ ; -- Begin function _ZN7rocprim17ROCPRIM_400000_NS6detail17trampoline_kernelINS0_14default_configENS1_25partition_config_selectorILNS1_17partition_subalgoE9EijbEEZZNS1_14partition_implILS5_9ELb0ES3_jN6thrust23THRUST_200600_302600_NS6detail15normal_iteratorINS9_10device_ptrIiEEEENSB_INSC_IjEEEEPNS0_10empty_typeENS0_5tupleIJSE_SH_EEENSJ_IJNS9_16discard_iteratorINS9_11use_defaultEEESI_EEENS0_18inequality_wrapperINS9_8equal_toIiEEEEPmJSH_EEE10hipError_tPvRmT3_T4_T5_T6_T7_T9_mT8_P12ihipStream_tbDpT10_ENKUlT_T0_E_clISt17integral_constantIbLb1EES1D_EEDaS18_S19_EUlS18_E_NS1_11comp_targetILNS1_3genE4ELNS1_11target_archE910ELNS1_3gpuE8ELNS1_3repE0EEENS1_30default_config_static_selectorELNS0_4arch9wavefront6targetE0EEEvT1_
	.globl	_ZN7rocprim17ROCPRIM_400000_NS6detail17trampoline_kernelINS0_14default_configENS1_25partition_config_selectorILNS1_17partition_subalgoE9EijbEEZZNS1_14partition_implILS5_9ELb0ES3_jN6thrust23THRUST_200600_302600_NS6detail15normal_iteratorINS9_10device_ptrIiEEEENSB_INSC_IjEEEEPNS0_10empty_typeENS0_5tupleIJSE_SH_EEENSJ_IJNS9_16discard_iteratorINS9_11use_defaultEEESI_EEENS0_18inequality_wrapperINS9_8equal_toIiEEEEPmJSH_EEE10hipError_tPvRmT3_T4_T5_T6_T7_T9_mT8_P12ihipStream_tbDpT10_ENKUlT_T0_E_clISt17integral_constantIbLb1EES1D_EEDaS18_S19_EUlS18_E_NS1_11comp_targetILNS1_3genE4ELNS1_11target_archE910ELNS1_3gpuE8ELNS1_3repE0EEENS1_30default_config_static_selectorELNS0_4arch9wavefront6targetE0EEEvT1_
	.p2align	8
	.type	_ZN7rocprim17ROCPRIM_400000_NS6detail17trampoline_kernelINS0_14default_configENS1_25partition_config_selectorILNS1_17partition_subalgoE9EijbEEZZNS1_14partition_implILS5_9ELb0ES3_jN6thrust23THRUST_200600_302600_NS6detail15normal_iteratorINS9_10device_ptrIiEEEENSB_INSC_IjEEEEPNS0_10empty_typeENS0_5tupleIJSE_SH_EEENSJ_IJNS9_16discard_iteratorINS9_11use_defaultEEESI_EEENS0_18inequality_wrapperINS9_8equal_toIiEEEEPmJSH_EEE10hipError_tPvRmT3_T4_T5_T6_T7_T9_mT8_P12ihipStream_tbDpT10_ENKUlT_T0_E_clISt17integral_constantIbLb1EES1D_EEDaS18_S19_EUlS18_E_NS1_11comp_targetILNS1_3genE4ELNS1_11target_archE910ELNS1_3gpuE8ELNS1_3repE0EEENS1_30default_config_static_selectorELNS0_4arch9wavefront6targetE0EEEvT1_,@function
_ZN7rocprim17ROCPRIM_400000_NS6detail17trampoline_kernelINS0_14default_configENS1_25partition_config_selectorILNS1_17partition_subalgoE9EijbEEZZNS1_14partition_implILS5_9ELb0ES3_jN6thrust23THRUST_200600_302600_NS6detail15normal_iteratorINS9_10device_ptrIiEEEENSB_INSC_IjEEEEPNS0_10empty_typeENS0_5tupleIJSE_SH_EEENSJ_IJNS9_16discard_iteratorINS9_11use_defaultEEESI_EEENS0_18inequality_wrapperINS9_8equal_toIiEEEEPmJSH_EEE10hipError_tPvRmT3_T4_T5_T6_T7_T9_mT8_P12ihipStream_tbDpT10_ENKUlT_T0_E_clISt17integral_constantIbLb1EES1D_EEDaS18_S19_EUlS18_E_NS1_11comp_targetILNS1_3genE4ELNS1_11target_archE910ELNS1_3gpuE8ELNS1_3repE0EEENS1_30default_config_static_selectorELNS0_4arch9wavefront6targetE0EEEvT1_: ; @_ZN7rocprim17ROCPRIM_400000_NS6detail17trampoline_kernelINS0_14default_configENS1_25partition_config_selectorILNS1_17partition_subalgoE9EijbEEZZNS1_14partition_implILS5_9ELb0ES3_jN6thrust23THRUST_200600_302600_NS6detail15normal_iteratorINS9_10device_ptrIiEEEENSB_INSC_IjEEEEPNS0_10empty_typeENS0_5tupleIJSE_SH_EEENSJ_IJNS9_16discard_iteratorINS9_11use_defaultEEESI_EEENS0_18inequality_wrapperINS9_8equal_toIiEEEEPmJSH_EEE10hipError_tPvRmT3_T4_T5_T6_T7_T9_mT8_P12ihipStream_tbDpT10_ENKUlT_T0_E_clISt17integral_constantIbLb1EES1D_EEDaS18_S19_EUlS18_E_NS1_11comp_targetILNS1_3genE4ELNS1_11target_archE910ELNS1_3gpuE8ELNS1_3repE0EEENS1_30default_config_static_selectorELNS0_4arch9wavefront6targetE0EEEvT1_
; %bb.0:
	.section	.rodata,"a",@progbits
	.p2align	6, 0x0
	.amdhsa_kernel _ZN7rocprim17ROCPRIM_400000_NS6detail17trampoline_kernelINS0_14default_configENS1_25partition_config_selectorILNS1_17partition_subalgoE9EijbEEZZNS1_14partition_implILS5_9ELb0ES3_jN6thrust23THRUST_200600_302600_NS6detail15normal_iteratorINS9_10device_ptrIiEEEENSB_INSC_IjEEEEPNS0_10empty_typeENS0_5tupleIJSE_SH_EEENSJ_IJNS9_16discard_iteratorINS9_11use_defaultEEESI_EEENS0_18inequality_wrapperINS9_8equal_toIiEEEEPmJSH_EEE10hipError_tPvRmT3_T4_T5_T6_T7_T9_mT8_P12ihipStream_tbDpT10_ENKUlT_T0_E_clISt17integral_constantIbLb1EES1D_EEDaS18_S19_EUlS18_E_NS1_11comp_targetILNS1_3genE4ELNS1_11target_archE910ELNS1_3gpuE8ELNS1_3repE0EEENS1_30default_config_static_selectorELNS0_4arch9wavefront6targetE0EEEvT1_
		.amdhsa_group_segment_fixed_size 0
		.amdhsa_private_segment_fixed_size 0
		.amdhsa_kernarg_size 136
		.amdhsa_user_sgpr_count 15
		.amdhsa_user_sgpr_dispatch_ptr 0
		.amdhsa_user_sgpr_queue_ptr 0
		.amdhsa_user_sgpr_kernarg_segment_ptr 1
		.amdhsa_user_sgpr_dispatch_id 0
		.amdhsa_user_sgpr_private_segment_size 0
		.amdhsa_wavefront_size32 1
		.amdhsa_uses_dynamic_stack 0
		.amdhsa_enable_private_segment 0
		.amdhsa_system_sgpr_workgroup_id_x 1
		.amdhsa_system_sgpr_workgroup_id_y 0
		.amdhsa_system_sgpr_workgroup_id_z 0
		.amdhsa_system_sgpr_workgroup_info 0
		.amdhsa_system_vgpr_workitem_id 0
		.amdhsa_next_free_vgpr 1
		.amdhsa_next_free_sgpr 1
		.amdhsa_reserve_vcc 0
		.amdhsa_float_round_mode_32 0
		.amdhsa_float_round_mode_16_64 0
		.amdhsa_float_denorm_mode_32 3
		.amdhsa_float_denorm_mode_16_64 3
		.amdhsa_dx10_clamp 1
		.amdhsa_ieee_mode 1
		.amdhsa_fp16_overflow 0
		.amdhsa_workgroup_processor_mode 1
		.amdhsa_memory_ordered 1
		.amdhsa_forward_progress 0
		.amdhsa_shared_vgpr_count 0
		.amdhsa_exception_fp_ieee_invalid_op 0
		.amdhsa_exception_fp_denorm_src 0
		.amdhsa_exception_fp_ieee_div_zero 0
		.amdhsa_exception_fp_ieee_overflow 0
		.amdhsa_exception_fp_ieee_underflow 0
		.amdhsa_exception_fp_ieee_inexact 0
		.amdhsa_exception_int_div_zero 0
	.end_amdhsa_kernel
	.section	.text._ZN7rocprim17ROCPRIM_400000_NS6detail17trampoline_kernelINS0_14default_configENS1_25partition_config_selectorILNS1_17partition_subalgoE9EijbEEZZNS1_14partition_implILS5_9ELb0ES3_jN6thrust23THRUST_200600_302600_NS6detail15normal_iteratorINS9_10device_ptrIiEEEENSB_INSC_IjEEEEPNS0_10empty_typeENS0_5tupleIJSE_SH_EEENSJ_IJNS9_16discard_iteratorINS9_11use_defaultEEESI_EEENS0_18inequality_wrapperINS9_8equal_toIiEEEEPmJSH_EEE10hipError_tPvRmT3_T4_T5_T6_T7_T9_mT8_P12ihipStream_tbDpT10_ENKUlT_T0_E_clISt17integral_constantIbLb1EES1D_EEDaS18_S19_EUlS18_E_NS1_11comp_targetILNS1_3genE4ELNS1_11target_archE910ELNS1_3gpuE8ELNS1_3repE0EEENS1_30default_config_static_selectorELNS0_4arch9wavefront6targetE0EEEvT1_,"axG",@progbits,_ZN7rocprim17ROCPRIM_400000_NS6detail17trampoline_kernelINS0_14default_configENS1_25partition_config_selectorILNS1_17partition_subalgoE9EijbEEZZNS1_14partition_implILS5_9ELb0ES3_jN6thrust23THRUST_200600_302600_NS6detail15normal_iteratorINS9_10device_ptrIiEEEENSB_INSC_IjEEEEPNS0_10empty_typeENS0_5tupleIJSE_SH_EEENSJ_IJNS9_16discard_iteratorINS9_11use_defaultEEESI_EEENS0_18inequality_wrapperINS9_8equal_toIiEEEEPmJSH_EEE10hipError_tPvRmT3_T4_T5_T6_T7_T9_mT8_P12ihipStream_tbDpT10_ENKUlT_T0_E_clISt17integral_constantIbLb1EES1D_EEDaS18_S19_EUlS18_E_NS1_11comp_targetILNS1_3genE4ELNS1_11target_archE910ELNS1_3gpuE8ELNS1_3repE0EEENS1_30default_config_static_selectorELNS0_4arch9wavefront6targetE0EEEvT1_,comdat
.Lfunc_end1119:
	.size	_ZN7rocprim17ROCPRIM_400000_NS6detail17trampoline_kernelINS0_14default_configENS1_25partition_config_selectorILNS1_17partition_subalgoE9EijbEEZZNS1_14partition_implILS5_9ELb0ES3_jN6thrust23THRUST_200600_302600_NS6detail15normal_iteratorINS9_10device_ptrIiEEEENSB_INSC_IjEEEEPNS0_10empty_typeENS0_5tupleIJSE_SH_EEENSJ_IJNS9_16discard_iteratorINS9_11use_defaultEEESI_EEENS0_18inequality_wrapperINS9_8equal_toIiEEEEPmJSH_EEE10hipError_tPvRmT3_T4_T5_T6_T7_T9_mT8_P12ihipStream_tbDpT10_ENKUlT_T0_E_clISt17integral_constantIbLb1EES1D_EEDaS18_S19_EUlS18_E_NS1_11comp_targetILNS1_3genE4ELNS1_11target_archE910ELNS1_3gpuE8ELNS1_3repE0EEENS1_30default_config_static_selectorELNS0_4arch9wavefront6targetE0EEEvT1_, .Lfunc_end1119-_ZN7rocprim17ROCPRIM_400000_NS6detail17trampoline_kernelINS0_14default_configENS1_25partition_config_selectorILNS1_17partition_subalgoE9EijbEEZZNS1_14partition_implILS5_9ELb0ES3_jN6thrust23THRUST_200600_302600_NS6detail15normal_iteratorINS9_10device_ptrIiEEEENSB_INSC_IjEEEEPNS0_10empty_typeENS0_5tupleIJSE_SH_EEENSJ_IJNS9_16discard_iteratorINS9_11use_defaultEEESI_EEENS0_18inequality_wrapperINS9_8equal_toIiEEEEPmJSH_EEE10hipError_tPvRmT3_T4_T5_T6_T7_T9_mT8_P12ihipStream_tbDpT10_ENKUlT_T0_E_clISt17integral_constantIbLb1EES1D_EEDaS18_S19_EUlS18_E_NS1_11comp_targetILNS1_3genE4ELNS1_11target_archE910ELNS1_3gpuE8ELNS1_3repE0EEENS1_30default_config_static_selectorELNS0_4arch9wavefront6targetE0EEEvT1_
                                        ; -- End function
	.section	.AMDGPU.csdata,"",@progbits
; Kernel info:
; codeLenInByte = 0
; NumSgprs: 0
; NumVgprs: 0
; ScratchSize: 0
; MemoryBound: 0
; FloatMode: 240
; IeeeMode: 1
; LDSByteSize: 0 bytes/workgroup (compile time only)
; SGPRBlocks: 0
; VGPRBlocks: 0
; NumSGPRsForWavesPerEU: 1
; NumVGPRsForWavesPerEU: 1
; Occupancy: 15
; WaveLimiterHint : 0
; COMPUTE_PGM_RSRC2:SCRATCH_EN: 0
; COMPUTE_PGM_RSRC2:USER_SGPR: 15
; COMPUTE_PGM_RSRC2:TRAP_HANDLER: 0
; COMPUTE_PGM_RSRC2:TGID_X_EN: 1
; COMPUTE_PGM_RSRC2:TGID_Y_EN: 0
; COMPUTE_PGM_RSRC2:TGID_Z_EN: 0
; COMPUTE_PGM_RSRC2:TIDIG_COMP_CNT: 0
	.section	.text._ZN7rocprim17ROCPRIM_400000_NS6detail17trampoline_kernelINS0_14default_configENS1_25partition_config_selectorILNS1_17partition_subalgoE9EijbEEZZNS1_14partition_implILS5_9ELb0ES3_jN6thrust23THRUST_200600_302600_NS6detail15normal_iteratorINS9_10device_ptrIiEEEENSB_INSC_IjEEEEPNS0_10empty_typeENS0_5tupleIJSE_SH_EEENSJ_IJNS9_16discard_iteratorINS9_11use_defaultEEESI_EEENS0_18inequality_wrapperINS9_8equal_toIiEEEEPmJSH_EEE10hipError_tPvRmT3_T4_T5_T6_T7_T9_mT8_P12ihipStream_tbDpT10_ENKUlT_T0_E_clISt17integral_constantIbLb1EES1D_EEDaS18_S19_EUlS18_E_NS1_11comp_targetILNS1_3genE3ELNS1_11target_archE908ELNS1_3gpuE7ELNS1_3repE0EEENS1_30default_config_static_selectorELNS0_4arch9wavefront6targetE0EEEvT1_,"axG",@progbits,_ZN7rocprim17ROCPRIM_400000_NS6detail17trampoline_kernelINS0_14default_configENS1_25partition_config_selectorILNS1_17partition_subalgoE9EijbEEZZNS1_14partition_implILS5_9ELb0ES3_jN6thrust23THRUST_200600_302600_NS6detail15normal_iteratorINS9_10device_ptrIiEEEENSB_INSC_IjEEEEPNS0_10empty_typeENS0_5tupleIJSE_SH_EEENSJ_IJNS9_16discard_iteratorINS9_11use_defaultEEESI_EEENS0_18inequality_wrapperINS9_8equal_toIiEEEEPmJSH_EEE10hipError_tPvRmT3_T4_T5_T6_T7_T9_mT8_P12ihipStream_tbDpT10_ENKUlT_T0_E_clISt17integral_constantIbLb1EES1D_EEDaS18_S19_EUlS18_E_NS1_11comp_targetILNS1_3genE3ELNS1_11target_archE908ELNS1_3gpuE7ELNS1_3repE0EEENS1_30default_config_static_selectorELNS0_4arch9wavefront6targetE0EEEvT1_,comdat
	.protected	_ZN7rocprim17ROCPRIM_400000_NS6detail17trampoline_kernelINS0_14default_configENS1_25partition_config_selectorILNS1_17partition_subalgoE9EijbEEZZNS1_14partition_implILS5_9ELb0ES3_jN6thrust23THRUST_200600_302600_NS6detail15normal_iteratorINS9_10device_ptrIiEEEENSB_INSC_IjEEEEPNS0_10empty_typeENS0_5tupleIJSE_SH_EEENSJ_IJNS9_16discard_iteratorINS9_11use_defaultEEESI_EEENS0_18inequality_wrapperINS9_8equal_toIiEEEEPmJSH_EEE10hipError_tPvRmT3_T4_T5_T6_T7_T9_mT8_P12ihipStream_tbDpT10_ENKUlT_T0_E_clISt17integral_constantIbLb1EES1D_EEDaS18_S19_EUlS18_E_NS1_11comp_targetILNS1_3genE3ELNS1_11target_archE908ELNS1_3gpuE7ELNS1_3repE0EEENS1_30default_config_static_selectorELNS0_4arch9wavefront6targetE0EEEvT1_ ; -- Begin function _ZN7rocprim17ROCPRIM_400000_NS6detail17trampoline_kernelINS0_14default_configENS1_25partition_config_selectorILNS1_17partition_subalgoE9EijbEEZZNS1_14partition_implILS5_9ELb0ES3_jN6thrust23THRUST_200600_302600_NS6detail15normal_iteratorINS9_10device_ptrIiEEEENSB_INSC_IjEEEEPNS0_10empty_typeENS0_5tupleIJSE_SH_EEENSJ_IJNS9_16discard_iteratorINS9_11use_defaultEEESI_EEENS0_18inequality_wrapperINS9_8equal_toIiEEEEPmJSH_EEE10hipError_tPvRmT3_T4_T5_T6_T7_T9_mT8_P12ihipStream_tbDpT10_ENKUlT_T0_E_clISt17integral_constantIbLb1EES1D_EEDaS18_S19_EUlS18_E_NS1_11comp_targetILNS1_3genE3ELNS1_11target_archE908ELNS1_3gpuE7ELNS1_3repE0EEENS1_30default_config_static_selectorELNS0_4arch9wavefront6targetE0EEEvT1_
	.globl	_ZN7rocprim17ROCPRIM_400000_NS6detail17trampoline_kernelINS0_14default_configENS1_25partition_config_selectorILNS1_17partition_subalgoE9EijbEEZZNS1_14partition_implILS5_9ELb0ES3_jN6thrust23THRUST_200600_302600_NS6detail15normal_iteratorINS9_10device_ptrIiEEEENSB_INSC_IjEEEEPNS0_10empty_typeENS0_5tupleIJSE_SH_EEENSJ_IJNS9_16discard_iteratorINS9_11use_defaultEEESI_EEENS0_18inequality_wrapperINS9_8equal_toIiEEEEPmJSH_EEE10hipError_tPvRmT3_T4_T5_T6_T7_T9_mT8_P12ihipStream_tbDpT10_ENKUlT_T0_E_clISt17integral_constantIbLb1EES1D_EEDaS18_S19_EUlS18_E_NS1_11comp_targetILNS1_3genE3ELNS1_11target_archE908ELNS1_3gpuE7ELNS1_3repE0EEENS1_30default_config_static_selectorELNS0_4arch9wavefront6targetE0EEEvT1_
	.p2align	8
	.type	_ZN7rocprim17ROCPRIM_400000_NS6detail17trampoline_kernelINS0_14default_configENS1_25partition_config_selectorILNS1_17partition_subalgoE9EijbEEZZNS1_14partition_implILS5_9ELb0ES3_jN6thrust23THRUST_200600_302600_NS6detail15normal_iteratorINS9_10device_ptrIiEEEENSB_INSC_IjEEEEPNS0_10empty_typeENS0_5tupleIJSE_SH_EEENSJ_IJNS9_16discard_iteratorINS9_11use_defaultEEESI_EEENS0_18inequality_wrapperINS9_8equal_toIiEEEEPmJSH_EEE10hipError_tPvRmT3_T4_T5_T6_T7_T9_mT8_P12ihipStream_tbDpT10_ENKUlT_T0_E_clISt17integral_constantIbLb1EES1D_EEDaS18_S19_EUlS18_E_NS1_11comp_targetILNS1_3genE3ELNS1_11target_archE908ELNS1_3gpuE7ELNS1_3repE0EEENS1_30default_config_static_selectorELNS0_4arch9wavefront6targetE0EEEvT1_,@function
_ZN7rocprim17ROCPRIM_400000_NS6detail17trampoline_kernelINS0_14default_configENS1_25partition_config_selectorILNS1_17partition_subalgoE9EijbEEZZNS1_14partition_implILS5_9ELb0ES3_jN6thrust23THRUST_200600_302600_NS6detail15normal_iteratorINS9_10device_ptrIiEEEENSB_INSC_IjEEEEPNS0_10empty_typeENS0_5tupleIJSE_SH_EEENSJ_IJNS9_16discard_iteratorINS9_11use_defaultEEESI_EEENS0_18inequality_wrapperINS9_8equal_toIiEEEEPmJSH_EEE10hipError_tPvRmT3_T4_T5_T6_T7_T9_mT8_P12ihipStream_tbDpT10_ENKUlT_T0_E_clISt17integral_constantIbLb1EES1D_EEDaS18_S19_EUlS18_E_NS1_11comp_targetILNS1_3genE3ELNS1_11target_archE908ELNS1_3gpuE7ELNS1_3repE0EEENS1_30default_config_static_selectorELNS0_4arch9wavefront6targetE0EEEvT1_: ; @_ZN7rocprim17ROCPRIM_400000_NS6detail17trampoline_kernelINS0_14default_configENS1_25partition_config_selectorILNS1_17partition_subalgoE9EijbEEZZNS1_14partition_implILS5_9ELb0ES3_jN6thrust23THRUST_200600_302600_NS6detail15normal_iteratorINS9_10device_ptrIiEEEENSB_INSC_IjEEEEPNS0_10empty_typeENS0_5tupleIJSE_SH_EEENSJ_IJNS9_16discard_iteratorINS9_11use_defaultEEESI_EEENS0_18inequality_wrapperINS9_8equal_toIiEEEEPmJSH_EEE10hipError_tPvRmT3_T4_T5_T6_T7_T9_mT8_P12ihipStream_tbDpT10_ENKUlT_T0_E_clISt17integral_constantIbLb1EES1D_EEDaS18_S19_EUlS18_E_NS1_11comp_targetILNS1_3genE3ELNS1_11target_archE908ELNS1_3gpuE7ELNS1_3repE0EEENS1_30default_config_static_selectorELNS0_4arch9wavefront6targetE0EEEvT1_
; %bb.0:
	.section	.rodata,"a",@progbits
	.p2align	6, 0x0
	.amdhsa_kernel _ZN7rocprim17ROCPRIM_400000_NS6detail17trampoline_kernelINS0_14default_configENS1_25partition_config_selectorILNS1_17partition_subalgoE9EijbEEZZNS1_14partition_implILS5_9ELb0ES3_jN6thrust23THRUST_200600_302600_NS6detail15normal_iteratorINS9_10device_ptrIiEEEENSB_INSC_IjEEEEPNS0_10empty_typeENS0_5tupleIJSE_SH_EEENSJ_IJNS9_16discard_iteratorINS9_11use_defaultEEESI_EEENS0_18inequality_wrapperINS9_8equal_toIiEEEEPmJSH_EEE10hipError_tPvRmT3_T4_T5_T6_T7_T9_mT8_P12ihipStream_tbDpT10_ENKUlT_T0_E_clISt17integral_constantIbLb1EES1D_EEDaS18_S19_EUlS18_E_NS1_11comp_targetILNS1_3genE3ELNS1_11target_archE908ELNS1_3gpuE7ELNS1_3repE0EEENS1_30default_config_static_selectorELNS0_4arch9wavefront6targetE0EEEvT1_
		.amdhsa_group_segment_fixed_size 0
		.amdhsa_private_segment_fixed_size 0
		.amdhsa_kernarg_size 136
		.amdhsa_user_sgpr_count 15
		.amdhsa_user_sgpr_dispatch_ptr 0
		.amdhsa_user_sgpr_queue_ptr 0
		.amdhsa_user_sgpr_kernarg_segment_ptr 1
		.amdhsa_user_sgpr_dispatch_id 0
		.amdhsa_user_sgpr_private_segment_size 0
		.amdhsa_wavefront_size32 1
		.amdhsa_uses_dynamic_stack 0
		.amdhsa_enable_private_segment 0
		.amdhsa_system_sgpr_workgroup_id_x 1
		.amdhsa_system_sgpr_workgroup_id_y 0
		.amdhsa_system_sgpr_workgroup_id_z 0
		.amdhsa_system_sgpr_workgroup_info 0
		.amdhsa_system_vgpr_workitem_id 0
		.amdhsa_next_free_vgpr 1
		.amdhsa_next_free_sgpr 1
		.amdhsa_reserve_vcc 0
		.amdhsa_float_round_mode_32 0
		.amdhsa_float_round_mode_16_64 0
		.amdhsa_float_denorm_mode_32 3
		.amdhsa_float_denorm_mode_16_64 3
		.amdhsa_dx10_clamp 1
		.amdhsa_ieee_mode 1
		.amdhsa_fp16_overflow 0
		.amdhsa_workgroup_processor_mode 1
		.amdhsa_memory_ordered 1
		.amdhsa_forward_progress 0
		.amdhsa_shared_vgpr_count 0
		.amdhsa_exception_fp_ieee_invalid_op 0
		.amdhsa_exception_fp_denorm_src 0
		.amdhsa_exception_fp_ieee_div_zero 0
		.amdhsa_exception_fp_ieee_overflow 0
		.amdhsa_exception_fp_ieee_underflow 0
		.amdhsa_exception_fp_ieee_inexact 0
		.amdhsa_exception_int_div_zero 0
	.end_amdhsa_kernel
	.section	.text._ZN7rocprim17ROCPRIM_400000_NS6detail17trampoline_kernelINS0_14default_configENS1_25partition_config_selectorILNS1_17partition_subalgoE9EijbEEZZNS1_14partition_implILS5_9ELb0ES3_jN6thrust23THRUST_200600_302600_NS6detail15normal_iteratorINS9_10device_ptrIiEEEENSB_INSC_IjEEEEPNS0_10empty_typeENS0_5tupleIJSE_SH_EEENSJ_IJNS9_16discard_iteratorINS9_11use_defaultEEESI_EEENS0_18inequality_wrapperINS9_8equal_toIiEEEEPmJSH_EEE10hipError_tPvRmT3_T4_T5_T6_T7_T9_mT8_P12ihipStream_tbDpT10_ENKUlT_T0_E_clISt17integral_constantIbLb1EES1D_EEDaS18_S19_EUlS18_E_NS1_11comp_targetILNS1_3genE3ELNS1_11target_archE908ELNS1_3gpuE7ELNS1_3repE0EEENS1_30default_config_static_selectorELNS0_4arch9wavefront6targetE0EEEvT1_,"axG",@progbits,_ZN7rocprim17ROCPRIM_400000_NS6detail17trampoline_kernelINS0_14default_configENS1_25partition_config_selectorILNS1_17partition_subalgoE9EijbEEZZNS1_14partition_implILS5_9ELb0ES3_jN6thrust23THRUST_200600_302600_NS6detail15normal_iteratorINS9_10device_ptrIiEEEENSB_INSC_IjEEEEPNS0_10empty_typeENS0_5tupleIJSE_SH_EEENSJ_IJNS9_16discard_iteratorINS9_11use_defaultEEESI_EEENS0_18inequality_wrapperINS9_8equal_toIiEEEEPmJSH_EEE10hipError_tPvRmT3_T4_T5_T6_T7_T9_mT8_P12ihipStream_tbDpT10_ENKUlT_T0_E_clISt17integral_constantIbLb1EES1D_EEDaS18_S19_EUlS18_E_NS1_11comp_targetILNS1_3genE3ELNS1_11target_archE908ELNS1_3gpuE7ELNS1_3repE0EEENS1_30default_config_static_selectorELNS0_4arch9wavefront6targetE0EEEvT1_,comdat
.Lfunc_end1120:
	.size	_ZN7rocprim17ROCPRIM_400000_NS6detail17trampoline_kernelINS0_14default_configENS1_25partition_config_selectorILNS1_17partition_subalgoE9EijbEEZZNS1_14partition_implILS5_9ELb0ES3_jN6thrust23THRUST_200600_302600_NS6detail15normal_iteratorINS9_10device_ptrIiEEEENSB_INSC_IjEEEEPNS0_10empty_typeENS0_5tupleIJSE_SH_EEENSJ_IJNS9_16discard_iteratorINS9_11use_defaultEEESI_EEENS0_18inequality_wrapperINS9_8equal_toIiEEEEPmJSH_EEE10hipError_tPvRmT3_T4_T5_T6_T7_T9_mT8_P12ihipStream_tbDpT10_ENKUlT_T0_E_clISt17integral_constantIbLb1EES1D_EEDaS18_S19_EUlS18_E_NS1_11comp_targetILNS1_3genE3ELNS1_11target_archE908ELNS1_3gpuE7ELNS1_3repE0EEENS1_30default_config_static_selectorELNS0_4arch9wavefront6targetE0EEEvT1_, .Lfunc_end1120-_ZN7rocprim17ROCPRIM_400000_NS6detail17trampoline_kernelINS0_14default_configENS1_25partition_config_selectorILNS1_17partition_subalgoE9EijbEEZZNS1_14partition_implILS5_9ELb0ES3_jN6thrust23THRUST_200600_302600_NS6detail15normal_iteratorINS9_10device_ptrIiEEEENSB_INSC_IjEEEEPNS0_10empty_typeENS0_5tupleIJSE_SH_EEENSJ_IJNS9_16discard_iteratorINS9_11use_defaultEEESI_EEENS0_18inequality_wrapperINS9_8equal_toIiEEEEPmJSH_EEE10hipError_tPvRmT3_T4_T5_T6_T7_T9_mT8_P12ihipStream_tbDpT10_ENKUlT_T0_E_clISt17integral_constantIbLb1EES1D_EEDaS18_S19_EUlS18_E_NS1_11comp_targetILNS1_3genE3ELNS1_11target_archE908ELNS1_3gpuE7ELNS1_3repE0EEENS1_30default_config_static_selectorELNS0_4arch9wavefront6targetE0EEEvT1_
                                        ; -- End function
	.section	.AMDGPU.csdata,"",@progbits
; Kernel info:
; codeLenInByte = 0
; NumSgprs: 0
; NumVgprs: 0
; ScratchSize: 0
; MemoryBound: 0
; FloatMode: 240
; IeeeMode: 1
; LDSByteSize: 0 bytes/workgroup (compile time only)
; SGPRBlocks: 0
; VGPRBlocks: 0
; NumSGPRsForWavesPerEU: 1
; NumVGPRsForWavesPerEU: 1
; Occupancy: 16
; WaveLimiterHint : 0
; COMPUTE_PGM_RSRC2:SCRATCH_EN: 0
; COMPUTE_PGM_RSRC2:USER_SGPR: 15
; COMPUTE_PGM_RSRC2:TRAP_HANDLER: 0
; COMPUTE_PGM_RSRC2:TGID_X_EN: 1
; COMPUTE_PGM_RSRC2:TGID_Y_EN: 0
; COMPUTE_PGM_RSRC2:TGID_Z_EN: 0
; COMPUTE_PGM_RSRC2:TIDIG_COMP_CNT: 0
	.section	.text._ZN7rocprim17ROCPRIM_400000_NS6detail17trampoline_kernelINS0_14default_configENS1_25partition_config_selectorILNS1_17partition_subalgoE9EijbEEZZNS1_14partition_implILS5_9ELb0ES3_jN6thrust23THRUST_200600_302600_NS6detail15normal_iteratorINS9_10device_ptrIiEEEENSB_INSC_IjEEEEPNS0_10empty_typeENS0_5tupleIJSE_SH_EEENSJ_IJNS9_16discard_iteratorINS9_11use_defaultEEESI_EEENS0_18inequality_wrapperINS9_8equal_toIiEEEEPmJSH_EEE10hipError_tPvRmT3_T4_T5_T6_T7_T9_mT8_P12ihipStream_tbDpT10_ENKUlT_T0_E_clISt17integral_constantIbLb1EES1D_EEDaS18_S19_EUlS18_E_NS1_11comp_targetILNS1_3genE2ELNS1_11target_archE906ELNS1_3gpuE6ELNS1_3repE0EEENS1_30default_config_static_selectorELNS0_4arch9wavefront6targetE0EEEvT1_,"axG",@progbits,_ZN7rocprim17ROCPRIM_400000_NS6detail17trampoline_kernelINS0_14default_configENS1_25partition_config_selectorILNS1_17partition_subalgoE9EijbEEZZNS1_14partition_implILS5_9ELb0ES3_jN6thrust23THRUST_200600_302600_NS6detail15normal_iteratorINS9_10device_ptrIiEEEENSB_INSC_IjEEEEPNS0_10empty_typeENS0_5tupleIJSE_SH_EEENSJ_IJNS9_16discard_iteratorINS9_11use_defaultEEESI_EEENS0_18inequality_wrapperINS9_8equal_toIiEEEEPmJSH_EEE10hipError_tPvRmT3_T4_T5_T6_T7_T9_mT8_P12ihipStream_tbDpT10_ENKUlT_T0_E_clISt17integral_constantIbLb1EES1D_EEDaS18_S19_EUlS18_E_NS1_11comp_targetILNS1_3genE2ELNS1_11target_archE906ELNS1_3gpuE6ELNS1_3repE0EEENS1_30default_config_static_selectorELNS0_4arch9wavefront6targetE0EEEvT1_,comdat
	.protected	_ZN7rocprim17ROCPRIM_400000_NS6detail17trampoline_kernelINS0_14default_configENS1_25partition_config_selectorILNS1_17partition_subalgoE9EijbEEZZNS1_14partition_implILS5_9ELb0ES3_jN6thrust23THRUST_200600_302600_NS6detail15normal_iteratorINS9_10device_ptrIiEEEENSB_INSC_IjEEEEPNS0_10empty_typeENS0_5tupleIJSE_SH_EEENSJ_IJNS9_16discard_iteratorINS9_11use_defaultEEESI_EEENS0_18inequality_wrapperINS9_8equal_toIiEEEEPmJSH_EEE10hipError_tPvRmT3_T4_T5_T6_T7_T9_mT8_P12ihipStream_tbDpT10_ENKUlT_T0_E_clISt17integral_constantIbLb1EES1D_EEDaS18_S19_EUlS18_E_NS1_11comp_targetILNS1_3genE2ELNS1_11target_archE906ELNS1_3gpuE6ELNS1_3repE0EEENS1_30default_config_static_selectorELNS0_4arch9wavefront6targetE0EEEvT1_ ; -- Begin function _ZN7rocprim17ROCPRIM_400000_NS6detail17trampoline_kernelINS0_14default_configENS1_25partition_config_selectorILNS1_17partition_subalgoE9EijbEEZZNS1_14partition_implILS5_9ELb0ES3_jN6thrust23THRUST_200600_302600_NS6detail15normal_iteratorINS9_10device_ptrIiEEEENSB_INSC_IjEEEEPNS0_10empty_typeENS0_5tupleIJSE_SH_EEENSJ_IJNS9_16discard_iteratorINS9_11use_defaultEEESI_EEENS0_18inequality_wrapperINS9_8equal_toIiEEEEPmJSH_EEE10hipError_tPvRmT3_T4_T5_T6_T7_T9_mT8_P12ihipStream_tbDpT10_ENKUlT_T0_E_clISt17integral_constantIbLb1EES1D_EEDaS18_S19_EUlS18_E_NS1_11comp_targetILNS1_3genE2ELNS1_11target_archE906ELNS1_3gpuE6ELNS1_3repE0EEENS1_30default_config_static_selectorELNS0_4arch9wavefront6targetE0EEEvT1_
	.globl	_ZN7rocprim17ROCPRIM_400000_NS6detail17trampoline_kernelINS0_14default_configENS1_25partition_config_selectorILNS1_17partition_subalgoE9EijbEEZZNS1_14partition_implILS5_9ELb0ES3_jN6thrust23THRUST_200600_302600_NS6detail15normal_iteratorINS9_10device_ptrIiEEEENSB_INSC_IjEEEEPNS0_10empty_typeENS0_5tupleIJSE_SH_EEENSJ_IJNS9_16discard_iteratorINS9_11use_defaultEEESI_EEENS0_18inequality_wrapperINS9_8equal_toIiEEEEPmJSH_EEE10hipError_tPvRmT3_T4_T5_T6_T7_T9_mT8_P12ihipStream_tbDpT10_ENKUlT_T0_E_clISt17integral_constantIbLb1EES1D_EEDaS18_S19_EUlS18_E_NS1_11comp_targetILNS1_3genE2ELNS1_11target_archE906ELNS1_3gpuE6ELNS1_3repE0EEENS1_30default_config_static_selectorELNS0_4arch9wavefront6targetE0EEEvT1_
	.p2align	8
	.type	_ZN7rocprim17ROCPRIM_400000_NS6detail17trampoline_kernelINS0_14default_configENS1_25partition_config_selectorILNS1_17partition_subalgoE9EijbEEZZNS1_14partition_implILS5_9ELb0ES3_jN6thrust23THRUST_200600_302600_NS6detail15normal_iteratorINS9_10device_ptrIiEEEENSB_INSC_IjEEEEPNS0_10empty_typeENS0_5tupleIJSE_SH_EEENSJ_IJNS9_16discard_iteratorINS9_11use_defaultEEESI_EEENS0_18inequality_wrapperINS9_8equal_toIiEEEEPmJSH_EEE10hipError_tPvRmT3_T4_T5_T6_T7_T9_mT8_P12ihipStream_tbDpT10_ENKUlT_T0_E_clISt17integral_constantIbLb1EES1D_EEDaS18_S19_EUlS18_E_NS1_11comp_targetILNS1_3genE2ELNS1_11target_archE906ELNS1_3gpuE6ELNS1_3repE0EEENS1_30default_config_static_selectorELNS0_4arch9wavefront6targetE0EEEvT1_,@function
_ZN7rocprim17ROCPRIM_400000_NS6detail17trampoline_kernelINS0_14default_configENS1_25partition_config_selectorILNS1_17partition_subalgoE9EijbEEZZNS1_14partition_implILS5_9ELb0ES3_jN6thrust23THRUST_200600_302600_NS6detail15normal_iteratorINS9_10device_ptrIiEEEENSB_INSC_IjEEEEPNS0_10empty_typeENS0_5tupleIJSE_SH_EEENSJ_IJNS9_16discard_iteratorINS9_11use_defaultEEESI_EEENS0_18inequality_wrapperINS9_8equal_toIiEEEEPmJSH_EEE10hipError_tPvRmT3_T4_T5_T6_T7_T9_mT8_P12ihipStream_tbDpT10_ENKUlT_T0_E_clISt17integral_constantIbLb1EES1D_EEDaS18_S19_EUlS18_E_NS1_11comp_targetILNS1_3genE2ELNS1_11target_archE906ELNS1_3gpuE6ELNS1_3repE0EEENS1_30default_config_static_selectorELNS0_4arch9wavefront6targetE0EEEvT1_: ; @_ZN7rocprim17ROCPRIM_400000_NS6detail17trampoline_kernelINS0_14default_configENS1_25partition_config_selectorILNS1_17partition_subalgoE9EijbEEZZNS1_14partition_implILS5_9ELb0ES3_jN6thrust23THRUST_200600_302600_NS6detail15normal_iteratorINS9_10device_ptrIiEEEENSB_INSC_IjEEEEPNS0_10empty_typeENS0_5tupleIJSE_SH_EEENSJ_IJNS9_16discard_iteratorINS9_11use_defaultEEESI_EEENS0_18inequality_wrapperINS9_8equal_toIiEEEEPmJSH_EEE10hipError_tPvRmT3_T4_T5_T6_T7_T9_mT8_P12ihipStream_tbDpT10_ENKUlT_T0_E_clISt17integral_constantIbLb1EES1D_EEDaS18_S19_EUlS18_E_NS1_11comp_targetILNS1_3genE2ELNS1_11target_archE906ELNS1_3gpuE6ELNS1_3repE0EEENS1_30default_config_static_selectorELNS0_4arch9wavefront6targetE0EEEvT1_
; %bb.0:
	.section	.rodata,"a",@progbits
	.p2align	6, 0x0
	.amdhsa_kernel _ZN7rocprim17ROCPRIM_400000_NS6detail17trampoline_kernelINS0_14default_configENS1_25partition_config_selectorILNS1_17partition_subalgoE9EijbEEZZNS1_14partition_implILS5_9ELb0ES3_jN6thrust23THRUST_200600_302600_NS6detail15normal_iteratorINS9_10device_ptrIiEEEENSB_INSC_IjEEEEPNS0_10empty_typeENS0_5tupleIJSE_SH_EEENSJ_IJNS9_16discard_iteratorINS9_11use_defaultEEESI_EEENS0_18inequality_wrapperINS9_8equal_toIiEEEEPmJSH_EEE10hipError_tPvRmT3_T4_T5_T6_T7_T9_mT8_P12ihipStream_tbDpT10_ENKUlT_T0_E_clISt17integral_constantIbLb1EES1D_EEDaS18_S19_EUlS18_E_NS1_11comp_targetILNS1_3genE2ELNS1_11target_archE906ELNS1_3gpuE6ELNS1_3repE0EEENS1_30default_config_static_selectorELNS0_4arch9wavefront6targetE0EEEvT1_
		.amdhsa_group_segment_fixed_size 0
		.amdhsa_private_segment_fixed_size 0
		.amdhsa_kernarg_size 136
		.amdhsa_user_sgpr_count 15
		.amdhsa_user_sgpr_dispatch_ptr 0
		.amdhsa_user_sgpr_queue_ptr 0
		.amdhsa_user_sgpr_kernarg_segment_ptr 1
		.amdhsa_user_sgpr_dispatch_id 0
		.amdhsa_user_sgpr_private_segment_size 0
		.amdhsa_wavefront_size32 1
		.amdhsa_uses_dynamic_stack 0
		.amdhsa_enable_private_segment 0
		.amdhsa_system_sgpr_workgroup_id_x 1
		.amdhsa_system_sgpr_workgroup_id_y 0
		.amdhsa_system_sgpr_workgroup_id_z 0
		.amdhsa_system_sgpr_workgroup_info 0
		.amdhsa_system_vgpr_workitem_id 0
		.amdhsa_next_free_vgpr 1
		.amdhsa_next_free_sgpr 1
		.amdhsa_reserve_vcc 0
		.amdhsa_float_round_mode_32 0
		.amdhsa_float_round_mode_16_64 0
		.amdhsa_float_denorm_mode_32 3
		.amdhsa_float_denorm_mode_16_64 3
		.amdhsa_dx10_clamp 1
		.amdhsa_ieee_mode 1
		.amdhsa_fp16_overflow 0
		.amdhsa_workgroup_processor_mode 1
		.amdhsa_memory_ordered 1
		.amdhsa_forward_progress 0
		.amdhsa_shared_vgpr_count 0
		.amdhsa_exception_fp_ieee_invalid_op 0
		.amdhsa_exception_fp_denorm_src 0
		.amdhsa_exception_fp_ieee_div_zero 0
		.amdhsa_exception_fp_ieee_overflow 0
		.amdhsa_exception_fp_ieee_underflow 0
		.amdhsa_exception_fp_ieee_inexact 0
		.amdhsa_exception_int_div_zero 0
	.end_amdhsa_kernel
	.section	.text._ZN7rocprim17ROCPRIM_400000_NS6detail17trampoline_kernelINS0_14default_configENS1_25partition_config_selectorILNS1_17partition_subalgoE9EijbEEZZNS1_14partition_implILS5_9ELb0ES3_jN6thrust23THRUST_200600_302600_NS6detail15normal_iteratorINS9_10device_ptrIiEEEENSB_INSC_IjEEEEPNS0_10empty_typeENS0_5tupleIJSE_SH_EEENSJ_IJNS9_16discard_iteratorINS9_11use_defaultEEESI_EEENS0_18inequality_wrapperINS9_8equal_toIiEEEEPmJSH_EEE10hipError_tPvRmT3_T4_T5_T6_T7_T9_mT8_P12ihipStream_tbDpT10_ENKUlT_T0_E_clISt17integral_constantIbLb1EES1D_EEDaS18_S19_EUlS18_E_NS1_11comp_targetILNS1_3genE2ELNS1_11target_archE906ELNS1_3gpuE6ELNS1_3repE0EEENS1_30default_config_static_selectorELNS0_4arch9wavefront6targetE0EEEvT1_,"axG",@progbits,_ZN7rocprim17ROCPRIM_400000_NS6detail17trampoline_kernelINS0_14default_configENS1_25partition_config_selectorILNS1_17partition_subalgoE9EijbEEZZNS1_14partition_implILS5_9ELb0ES3_jN6thrust23THRUST_200600_302600_NS6detail15normal_iteratorINS9_10device_ptrIiEEEENSB_INSC_IjEEEEPNS0_10empty_typeENS0_5tupleIJSE_SH_EEENSJ_IJNS9_16discard_iteratorINS9_11use_defaultEEESI_EEENS0_18inequality_wrapperINS9_8equal_toIiEEEEPmJSH_EEE10hipError_tPvRmT3_T4_T5_T6_T7_T9_mT8_P12ihipStream_tbDpT10_ENKUlT_T0_E_clISt17integral_constantIbLb1EES1D_EEDaS18_S19_EUlS18_E_NS1_11comp_targetILNS1_3genE2ELNS1_11target_archE906ELNS1_3gpuE6ELNS1_3repE0EEENS1_30default_config_static_selectorELNS0_4arch9wavefront6targetE0EEEvT1_,comdat
.Lfunc_end1121:
	.size	_ZN7rocprim17ROCPRIM_400000_NS6detail17trampoline_kernelINS0_14default_configENS1_25partition_config_selectorILNS1_17partition_subalgoE9EijbEEZZNS1_14partition_implILS5_9ELb0ES3_jN6thrust23THRUST_200600_302600_NS6detail15normal_iteratorINS9_10device_ptrIiEEEENSB_INSC_IjEEEEPNS0_10empty_typeENS0_5tupleIJSE_SH_EEENSJ_IJNS9_16discard_iteratorINS9_11use_defaultEEESI_EEENS0_18inequality_wrapperINS9_8equal_toIiEEEEPmJSH_EEE10hipError_tPvRmT3_T4_T5_T6_T7_T9_mT8_P12ihipStream_tbDpT10_ENKUlT_T0_E_clISt17integral_constantIbLb1EES1D_EEDaS18_S19_EUlS18_E_NS1_11comp_targetILNS1_3genE2ELNS1_11target_archE906ELNS1_3gpuE6ELNS1_3repE0EEENS1_30default_config_static_selectorELNS0_4arch9wavefront6targetE0EEEvT1_, .Lfunc_end1121-_ZN7rocprim17ROCPRIM_400000_NS6detail17trampoline_kernelINS0_14default_configENS1_25partition_config_selectorILNS1_17partition_subalgoE9EijbEEZZNS1_14partition_implILS5_9ELb0ES3_jN6thrust23THRUST_200600_302600_NS6detail15normal_iteratorINS9_10device_ptrIiEEEENSB_INSC_IjEEEEPNS0_10empty_typeENS0_5tupleIJSE_SH_EEENSJ_IJNS9_16discard_iteratorINS9_11use_defaultEEESI_EEENS0_18inequality_wrapperINS9_8equal_toIiEEEEPmJSH_EEE10hipError_tPvRmT3_T4_T5_T6_T7_T9_mT8_P12ihipStream_tbDpT10_ENKUlT_T0_E_clISt17integral_constantIbLb1EES1D_EEDaS18_S19_EUlS18_E_NS1_11comp_targetILNS1_3genE2ELNS1_11target_archE906ELNS1_3gpuE6ELNS1_3repE0EEENS1_30default_config_static_selectorELNS0_4arch9wavefront6targetE0EEEvT1_
                                        ; -- End function
	.section	.AMDGPU.csdata,"",@progbits
; Kernel info:
; codeLenInByte = 0
; NumSgprs: 0
; NumVgprs: 0
; ScratchSize: 0
; MemoryBound: 0
; FloatMode: 240
; IeeeMode: 1
; LDSByteSize: 0 bytes/workgroup (compile time only)
; SGPRBlocks: 0
; VGPRBlocks: 0
; NumSGPRsForWavesPerEU: 1
; NumVGPRsForWavesPerEU: 1
; Occupancy: 16
; WaveLimiterHint : 0
; COMPUTE_PGM_RSRC2:SCRATCH_EN: 0
; COMPUTE_PGM_RSRC2:USER_SGPR: 15
; COMPUTE_PGM_RSRC2:TRAP_HANDLER: 0
; COMPUTE_PGM_RSRC2:TGID_X_EN: 1
; COMPUTE_PGM_RSRC2:TGID_Y_EN: 0
; COMPUTE_PGM_RSRC2:TGID_Z_EN: 0
; COMPUTE_PGM_RSRC2:TIDIG_COMP_CNT: 0
	.section	.text._ZN7rocprim17ROCPRIM_400000_NS6detail17trampoline_kernelINS0_14default_configENS1_25partition_config_selectorILNS1_17partition_subalgoE9EijbEEZZNS1_14partition_implILS5_9ELb0ES3_jN6thrust23THRUST_200600_302600_NS6detail15normal_iteratorINS9_10device_ptrIiEEEENSB_INSC_IjEEEEPNS0_10empty_typeENS0_5tupleIJSE_SH_EEENSJ_IJNS9_16discard_iteratorINS9_11use_defaultEEESI_EEENS0_18inequality_wrapperINS9_8equal_toIiEEEEPmJSH_EEE10hipError_tPvRmT3_T4_T5_T6_T7_T9_mT8_P12ihipStream_tbDpT10_ENKUlT_T0_E_clISt17integral_constantIbLb1EES1D_EEDaS18_S19_EUlS18_E_NS1_11comp_targetILNS1_3genE10ELNS1_11target_archE1200ELNS1_3gpuE4ELNS1_3repE0EEENS1_30default_config_static_selectorELNS0_4arch9wavefront6targetE0EEEvT1_,"axG",@progbits,_ZN7rocprim17ROCPRIM_400000_NS6detail17trampoline_kernelINS0_14default_configENS1_25partition_config_selectorILNS1_17partition_subalgoE9EijbEEZZNS1_14partition_implILS5_9ELb0ES3_jN6thrust23THRUST_200600_302600_NS6detail15normal_iteratorINS9_10device_ptrIiEEEENSB_INSC_IjEEEEPNS0_10empty_typeENS0_5tupleIJSE_SH_EEENSJ_IJNS9_16discard_iteratorINS9_11use_defaultEEESI_EEENS0_18inequality_wrapperINS9_8equal_toIiEEEEPmJSH_EEE10hipError_tPvRmT3_T4_T5_T6_T7_T9_mT8_P12ihipStream_tbDpT10_ENKUlT_T0_E_clISt17integral_constantIbLb1EES1D_EEDaS18_S19_EUlS18_E_NS1_11comp_targetILNS1_3genE10ELNS1_11target_archE1200ELNS1_3gpuE4ELNS1_3repE0EEENS1_30default_config_static_selectorELNS0_4arch9wavefront6targetE0EEEvT1_,comdat
	.protected	_ZN7rocprim17ROCPRIM_400000_NS6detail17trampoline_kernelINS0_14default_configENS1_25partition_config_selectorILNS1_17partition_subalgoE9EijbEEZZNS1_14partition_implILS5_9ELb0ES3_jN6thrust23THRUST_200600_302600_NS6detail15normal_iteratorINS9_10device_ptrIiEEEENSB_INSC_IjEEEEPNS0_10empty_typeENS0_5tupleIJSE_SH_EEENSJ_IJNS9_16discard_iteratorINS9_11use_defaultEEESI_EEENS0_18inequality_wrapperINS9_8equal_toIiEEEEPmJSH_EEE10hipError_tPvRmT3_T4_T5_T6_T7_T9_mT8_P12ihipStream_tbDpT10_ENKUlT_T0_E_clISt17integral_constantIbLb1EES1D_EEDaS18_S19_EUlS18_E_NS1_11comp_targetILNS1_3genE10ELNS1_11target_archE1200ELNS1_3gpuE4ELNS1_3repE0EEENS1_30default_config_static_selectorELNS0_4arch9wavefront6targetE0EEEvT1_ ; -- Begin function _ZN7rocprim17ROCPRIM_400000_NS6detail17trampoline_kernelINS0_14default_configENS1_25partition_config_selectorILNS1_17partition_subalgoE9EijbEEZZNS1_14partition_implILS5_9ELb0ES3_jN6thrust23THRUST_200600_302600_NS6detail15normal_iteratorINS9_10device_ptrIiEEEENSB_INSC_IjEEEEPNS0_10empty_typeENS0_5tupleIJSE_SH_EEENSJ_IJNS9_16discard_iteratorINS9_11use_defaultEEESI_EEENS0_18inequality_wrapperINS9_8equal_toIiEEEEPmJSH_EEE10hipError_tPvRmT3_T4_T5_T6_T7_T9_mT8_P12ihipStream_tbDpT10_ENKUlT_T0_E_clISt17integral_constantIbLb1EES1D_EEDaS18_S19_EUlS18_E_NS1_11comp_targetILNS1_3genE10ELNS1_11target_archE1200ELNS1_3gpuE4ELNS1_3repE0EEENS1_30default_config_static_selectorELNS0_4arch9wavefront6targetE0EEEvT1_
	.globl	_ZN7rocprim17ROCPRIM_400000_NS6detail17trampoline_kernelINS0_14default_configENS1_25partition_config_selectorILNS1_17partition_subalgoE9EijbEEZZNS1_14partition_implILS5_9ELb0ES3_jN6thrust23THRUST_200600_302600_NS6detail15normal_iteratorINS9_10device_ptrIiEEEENSB_INSC_IjEEEEPNS0_10empty_typeENS0_5tupleIJSE_SH_EEENSJ_IJNS9_16discard_iteratorINS9_11use_defaultEEESI_EEENS0_18inequality_wrapperINS9_8equal_toIiEEEEPmJSH_EEE10hipError_tPvRmT3_T4_T5_T6_T7_T9_mT8_P12ihipStream_tbDpT10_ENKUlT_T0_E_clISt17integral_constantIbLb1EES1D_EEDaS18_S19_EUlS18_E_NS1_11comp_targetILNS1_3genE10ELNS1_11target_archE1200ELNS1_3gpuE4ELNS1_3repE0EEENS1_30default_config_static_selectorELNS0_4arch9wavefront6targetE0EEEvT1_
	.p2align	8
	.type	_ZN7rocprim17ROCPRIM_400000_NS6detail17trampoline_kernelINS0_14default_configENS1_25partition_config_selectorILNS1_17partition_subalgoE9EijbEEZZNS1_14partition_implILS5_9ELb0ES3_jN6thrust23THRUST_200600_302600_NS6detail15normal_iteratorINS9_10device_ptrIiEEEENSB_INSC_IjEEEEPNS0_10empty_typeENS0_5tupleIJSE_SH_EEENSJ_IJNS9_16discard_iteratorINS9_11use_defaultEEESI_EEENS0_18inequality_wrapperINS9_8equal_toIiEEEEPmJSH_EEE10hipError_tPvRmT3_T4_T5_T6_T7_T9_mT8_P12ihipStream_tbDpT10_ENKUlT_T0_E_clISt17integral_constantIbLb1EES1D_EEDaS18_S19_EUlS18_E_NS1_11comp_targetILNS1_3genE10ELNS1_11target_archE1200ELNS1_3gpuE4ELNS1_3repE0EEENS1_30default_config_static_selectorELNS0_4arch9wavefront6targetE0EEEvT1_,@function
_ZN7rocprim17ROCPRIM_400000_NS6detail17trampoline_kernelINS0_14default_configENS1_25partition_config_selectorILNS1_17partition_subalgoE9EijbEEZZNS1_14partition_implILS5_9ELb0ES3_jN6thrust23THRUST_200600_302600_NS6detail15normal_iteratorINS9_10device_ptrIiEEEENSB_INSC_IjEEEEPNS0_10empty_typeENS0_5tupleIJSE_SH_EEENSJ_IJNS9_16discard_iteratorINS9_11use_defaultEEESI_EEENS0_18inequality_wrapperINS9_8equal_toIiEEEEPmJSH_EEE10hipError_tPvRmT3_T4_T5_T6_T7_T9_mT8_P12ihipStream_tbDpT10_ENKUlT_T0_E_clISt17integral_constantIbLb1EES1D_EEDaS18_S19_EUlS18_E_NS1_11comp_targetILNS1_3genE10ELNS1_11target_archE1200ELNS1_3gpuE4ELNS1_3repE0EEENS1_30default_config_static_selectorELNS0_4arch9wavefront6targetE0EEEvT1_: ; @_ZN7rocprim17ROCPRIM_400000_NS6detail17trampoline_kernelINS0_14default_configENS1_25partition_config_selectorILNS1_17partition_subalgoE9EijbEEZZNS1_14partition_implILS5_9ELb0ES3_jN6thrust23THRUST_200600_302600_NS6detail15normal_iteratorINS9_10device_ptrIiEEEENSB_INSC_IjEEEEPNS0_10empty_typeENS0_5tupleIJSE_SH_EEENSJ_IJNS9_16discard_iteratorINS9_11use_defaultEEESI_EEENS0_18inequality_wrapperINS9_8equal_toIiEEEEPmJSH_EEE10hipError_tPvRmT3_T4_T5_T6_T7_T9_mT8_P12ihipStream_tbDpT10_ENKUlT_T0_E_clISt17integral_constantIbLb1EES1D_EEDaS18_S19_EUlS18_E_NS1_11comp_targetILNS1_3genE10ELNS1_11target_archE1200ELNS1_3gpuE4ELNS1_3repE0EEENS1_30default_config_static_selectorELNS0_4arch9wavefront6targetE0EEEvT1_
; %bb.0:
	.section	.rodata,"a",@progbits
	.p2align	6, 0x0
	.amdhsa_kernel _ZN7rocprim17ROCPRIM_400000_NS6detail17trampoline_kernelINS0_14default_configENS1_25partition_config_selectorILNS1_17partition_subalgoE9EijbEEZZNS1_14partition_implILS5_9ELb0ES3_jN6thrust23THRUST_200600_302600_NS6detail15normal_iteratorINS9_10device_ptrIiEEEENSB_INSC_IjEEEEPNS0_10empty_typeENS0_5tupleIJSE_SH_EEENSJ_IJNS9_16discard_iteratorINS9_11use_defaultEEESI_EEENS0_18inequality_wrapperINS9_8equal_toIiEEEEPmJSH_EEE10hipError_tPvRmT3_T4_T5_T6_T7_T9_mT8_P12ihipStream_tbDpT10_ENKUlT_T0_E_clISt17integral_constantIbLb1EES1D_EEDaS18_S19_EUlS18_E_NS1_11comp_targetILNS1_3genE10ELNS1_11target_archE1200ELNS1_3gpuE4ELNS1_3repE0EEENS1_30default_config_static_selectorELNS0_4arch9wavefront6targetE0EEEvT1_
		.amdhsa_group_segment_fixed_size 0
		.amdhsa_private_segment_fixed_size 0
		.amdhsa_kernarg_size 136
		.amdhsa_user_sgpr_count 15
		.amdhsa_user_sgpr_dispatch_ptr 0
		.amdhsa_user_sgpr_queue_ptr 0
		.amdhsa_user_sgpr_kernarg_segment_ptr 1
		.amdhsa_user_sgpr_dispatch_id 0
		.amdhsa_user_sgpr_private_segment_size 0
		.amdhsa_wavefront_size32 1
		.amdhsa_uses_dynamic_stack 0
		.amdhsa_enable_private_segment 0
		.amdhsa_system_sgpr_workgroup_id_x 1
		.amdhsa_system_sgpr_workgroup_id_y 0
		.amdhsa_system_sgpr_workgroup_id_z 0
		.amdhsa_system_sgpr_workgroup_info 0
		.amdhsa_system_vgpr_workitem_id 0
		.amdhsa_next_free_vgpr 1
		.amdhsa_next_free_sgpr 1
		.amdhsa_reserve_vcc 0
		.amdhsa_float_round_mode_32 0
		.amdhsa_float_round_mode_16_64 0
		.amdhsa_float_denorm_mode_32 3
		.amdhsa_float_denorm_mode_16_64 3
		.amdhsa_dx10_clamp 1
		.amdhsa_ieee_mode 1
		.amdhsa_fp16_overflow 0
		.amdhsa_workgroup_processor_mode 1
		.amdhsa_memory_ordered 1
		.amdhsa_forward_progress 0
		.amdhsa_shared_vgpr_count 0
		.amdhsa_exception_fp_ieee_invalid_op 0
		.amdhsa_exception_fp_denorm_src 0
		.amdhsa_exception_fp_ieee_div_zero 0
		.amdhsa_exception_fp_ieee_overflow 0
		.amdhsa_exception_fp_ieee_underflow 0
		.amdhsa_exception_fp_ieee_inexact 0
		.amdhsa_exception_int_div_zero 0
	.end_amdhsa_kernel
	.section	.text._ZN7rocprim17ROCPRIM_400000_NS6detail17trampoline_kernelINS0_14default_configENS1_25partition_config_selectorILNS1_17partition_subalgoE9EijbEEZZNS1_14partition_implILS5_9ELb0ES3_jN6thrust23THRUST_200600_302600_NS6detail15normal_iteratorINS9_10device_ptrIiEEEENSB_INSC_IjEEEEPNS0_10empty_typeENS0_5tupleIJSE_SH_EEENSJ_IJNS9_16discard_iteratorINS9_11use_defaultEEESI_EEENS0_18inequality_wrapperINS9_8equal_toIiEEEEPmJSH_EEE10hipError_tPvRmT3_T4_T5_T6_T7_T9_mT8_P12ihipStream_tbDpT10_ENKUlT_T0_E_clISt17integral_constantIbLb1EES1D_EEDaS18_S19_EUlS18_E_NS1_11comp_targetILNS1_3genE10ELNS1_11target_archE1200ELNS1_3gpuE4ELNS1_3repE0EEENS1_30default_config_static_selectorELNS0_4arch9wavefront6targetE0EEEvT1_,"axG",@progbits,_ZN7rocprim17ROCPRIM_400000_NS6detail17trampoline_kernelINS0_14default_configENS1_25partition_config_selectorILNS1_17partition_subalgoE9EijbEEZZNS1_14partition_implILS5_9ELb0ES3_jN6thrust23THRUST_200600_302600_NS6detail15normal_iteratorINS9_10device_ptrIiEEEENSB_INSC_IjEEEEPNS0_10empty_typeENS0_5tupleIJSE_SH_EEENSJ_IJNS9_16discard_iteratorINS9_11use_defaultEEESI_EEENS0_18inequality_wrapperINS9_8equal_toIiEEEEPmJSH_EEE10hipError_tPvRmT3_T4_T5_T6_T7_T9_mT8_P12ihipStream_tbDpT10_ENKUlT_T0_E_clISt17integral_constantIbLb1EES1D_EEDaS18_S19_EUlS18_E_NS1_11comp_targetILNS1_3genE10ELNS1_11target_archE1200ELNS1_3gpuE4ELNS1_3repE0EEENS1_30default_config_static_selectorELNS0_4arch9wavefront6targetE0EEEvT1_,comdat
.Lfunc_end1122:
	.size	_ZN7rocprim17ROCPRIM_400000_NS6detail17trampoline_kernelINS0_14default_configENS1_25partition_config_selectorILNS1_17partition_subalgoE9EijbEEZZNS1_14partition_implILS5_9ELb0ES3_jN6thrust23THRUST_200600_302600_NS6detail15normal_iteratorINS9_10device_ptrIiEEEENSB_INSC_IjEEEEPNS0_10empty_typeENS0_5tupleIJSE_SH_EEENSJ_IJNS9_16discard_iteratorINS9_11use_defaultEEESI_EEENS0_18inequality_wrapperINS9_8equal_toIiEEEEPmJSH_EEE10hipError_tPvRmT3_T4_T5_T6_T7_T9_mT8_P12ihipStream_tbDpT10_ENKUlT_T0_E_clISt17integral_constantIbLb1EES1D_EEDaS18_S19_EUlS18_E_NS1_11comp_targetILNS1_3genE10ELNS1_11target_archE1200ELNS1_3gpuE4ELNS1_3repE0EEENS1_30default_config_static_selectorELNS0_4arch9wavefront6targetE0EEEvT1_, .Lfunc_end1122-_ZN7rocprim17ROCPRIM_400000_NS6detail17trampoline_kernelINS0_14default_configENS1_25partition_config_selectorILNS1_17partition_subalgoE9EijbEEZZNS1_14partition_implILS5_9ELb0ES3_jN6thrust23THRUST_200600_302600_NS6detail15normal_iteratorINS9_10device_ptrIiEEEENSB_INSC_IjEEEEPNS0_10empty_typeENS0_5tupleIJSE_SH_EEENSJ_IJNS9_16discard_iteratorINS9_11use_defaultEEESI_EEENS0_18inequality_wrapperINS9_8equal_toIiEEEEPmJSH_EEE10hipError_tPvRmT3_T4_T5_T6_T7_T9_mT8_P12ihipStream_tbDpT10_ENKUlT_T0_E_clISt17integral_constantIbLb1EES1D_EEDaS18_S19_EUlS18_E_NS1_11comp_targetILNS1_3genE10ELNS1_11target_archE1200ELNS1_3gpuE4ELNS1_3repE0EEENS1_30default_config_static_selectorELNS0_4arch9wavefront6targetE0EEEvT1_
                                        ; -- End function
	.section	.AMDGPU.csdata,"",@progbits
; Kernel info:
; codeLenInByte = 0
; NumSgprs: 0
; NumVgprs: 0
; ScratchSize: 0
; MemoryBound: 0
; FloatMode: 240
; IeeeMode: 1
; LDSByteSize: 0 bytes/workgroup (compile time only)
; SGPRBlocks: 0
; VGPRBlocks: 0
; NumSGPRsForWavesPerEU: 1
; NumVGPRsForWavesPerEU: 1
; Occupancy: 15
; WaveLimiterHint : 0
; COMPUTE_PGM_RSRC2:SCRATCH_EN: 0
; COMPUTE_PGM_RSRC2:USER_SGPR: 15
; COMPUTE_PGM_RSRC2:TRAP_HANDLER: 0
; COMPUTE_PGM_RSRC2:TGID_X_EN: 1
; COMPUTE_PGM_RSRC2:TGID_Y_EN: 0
; COMPUTE_PGM_RSRC2:TGID_Z_EN: 0
; COMPUTE_PGM_RSRC2:TIDIG_COMP_CNT: 0
	.section	.text._ZN7rocprim17ROCPRIM_400000_NS6detail17trampoline_kernelINS0_14default_configENS1_25partition_config_selectorILNS1_17partition_subalgoE9EijbEEZZNS1_14partition_implILS5_9ELb0ES3_jN6thrust23THRUST_200600_302600_NS6detail15normal_iteratorINS9_10device_ptrIiEEEENSB_INSC_IjEEEEPNS0_10empty_typeENS0_5tupleIJSE_SH_EEENSJ_IJNS9_16discard_iteratorINS9_11use_defaultEEESI_EEENS0_18inequality_wrapperINS9_8equal_toIiEEEEPmJSH_EEE10hipError_tPvRmT3_T4_T5_T6_T7_T9_mT8_P12ihipStream_tbDpT10_ENKUlT_T0_E_clISt17integral_constantIbLb1EES1D_EEDaS18_S19_EUlS18_E_NS1_11comp_targetILNS1_3genE9ELNS1_11target_archE1100ELNS1_3gpuE3ELNS1_3repE0EEENS1_30default_config_static_selectorELNS0_4arch9wavefront6targetE0EEEvT1_,"axG",@progbits,_ZN7rocprim17ROCPRIM_400000_NS6detail17trampoline_kernelINS0_14default_configENS1_25partition_config_selectorILNS1_17partition_subalgoE9EijbEEZZNS1_14partition_implILS5_9ELb0ES3_jN6thrust23THRUST_200600_302600_NS6detail15normal_iteratorINS9_10device_ptrIiEEEENSB_INSC_IjEEEEPNS0_10empty_typeENS0_5tupleIJSE_SH_EEENSJ_IJNS9_16discard_iteratorINS9_11use_defaultEEESI_EEENS0_18inequality_wrapperINS9_8equal_toIiEEEEPmJSH_EEE10hipError_tPvRmT3_T4_T5_T6_T7_T9_mT8_P12ihipStream_tbDpT10_ENKUlT_T0_E_clISt17integral_constantIbLb1EES1D_EEDaS18_S19_EUlS18_E_NS1_11comp_targetILNS1_3genE9ELNS1_11target_archE1100ELNS1_3gpuE3ELNS1_3repE0EEENS1_30default_config_static_selectorELNS0_4arch9wavefront6targetE0EEEvT1_,comdat
	.protected	_ZN7rocprim17ROCPRIM_400000_NS6detail17trampoline_kernelINS0_14default_configENS1_25partition_config_selectorILNS1_17partition_subalgoE9EijbEEZZNS1_14partition_implILS5_9ELb0ES3_jN6thrust23THRUST_200600_302600_NS6detail15normal_iteratorINS9_10device_ptrIiEEEENSB_INSC_IjEEEEPNS0_10empty_typeENS0_5tupleIJSE_SH_EEENSJ_IJNS9_16discard_iteratorINS9_11use_defaultEEESI_EEENS0_18inequality_wrapperINS9_8equal_toIiEEEEPmJSH_EEE10hipError_tPvRmT3_T4_T5_T6_T7_T9_mT8_P12ihipStream_tbDpT10_ENKUlT_T0_E_clISt17integral_constantIbLb1EES1D_EEDaS18_S19_EUlS18_E_NS1_11comp_targetILNS1_3genE9ELNS1_11target_archE1100ELNS1_3gpuE3ELNS1_3repE0EEENS1_30default_config_static_selectorELNS0_4arch9wavefront6targetE0EEEvT1_ ; -- Begin function _ZN7rocprim17ROCPRIM_400000_NS6detail17trampoline_kernelINS0_14default_configENS1_25partition_config_selectorILNS1_17partition_subalgoE9EijbEEZZNS1_14partition_implILS5_9ELb0ES3_jN6thrust23THRUST_200600_302600_NS6detail15normal_iteratorINS9_10device_ptrIiEEEENSB_INSC_IjEEEEPNS0_10empty_typeENS0_5tupleIJSE_SH_EEENSJ_IJNS9_16discard_iteratorINS9_11use_defaultEEESI_EEENS0_18inequality_wrapperINS9_8equal_toIiEEEEPmJSH_EEE10hipError_tPvRmT3_T4_T5_T6_T7_T9_mT8_P12ihipStream_tbDpT10_ENKUlT_T0_E_clISt17integral_constantIbLb1EES1D_EEDaS18_S19_EUlS18_E_NS1_11comp_targetILNS1_3genE9ELNS1_11target_archE1100ELNS1_3gpuE3ELNS1_3repE0EEENS1_30default_config_static_selectorELNS0_4arch9wavefront6targetE0EEEvT1_
	.globl	_ZN7rocprim17ROCPRIM_400000_NS6detail17trampoline_kernelINS0_14default_configENS1_25partition_config_selectorILNS1_17partition_subalgoE9EijbEEZZNS1_14partition_implILS5_9ELb0ES3_jN6thrust23THRUST_200600_302600_NS6detail15normal_iteratorINS9_10device_ptrIiEEEENSB_INSC_IjEEEEPNS0_10empty_typeENS0_5tupleIJSE_SH_EEENSJ_IJNS9_16discard_iteratorINS9_11use_defaultEEESI_EEENS0_18inequality_wrapperINS9_8equal_toIiEEEEPmJSH_EEE10hipError_tPvRmT3_T4_T5_T6_T7_T9_mT8_P12ihipStream_tbDpT10_ENKUlT_T0_E_clISt17integral_constantIbLb1EES1D_EEDaS18_S19_EUlS18_E_NS1_11comp_targetILNS1_3genE9ELNS1_11target_archE1100ELNS1_3gpuE3ELNS1_3repE0EEENS1_30default_config_static_selectorELNS0_4arch9wavefront6targetE0EEEvT1_
	.p2align	8
	.type	_ZN7rocprim17ROCPRIM_400000_NS6detail17trampoline_kernelINS0_14default_configENS1_25partition_config_selectorILNS1_17partition_subalgoE9EijbEEZZNS1_14partition_implILS5_9ELb0ES3_jN6thrust23THRUST_200600_302600_NS6detail15normal_iteratorINS9_10device_ptrIiEEEENSB_INSC_IjEEEEPNS0_10empty_typeENS0_5tupleIJSE_SH_EEENSJ_IJNS9_16discard_iteratorINS9_11use_defaultEEESI_EEENS0_18inequality_wrapperINS9_8equal_toIiEEEEPmJSH_EEE10hipError_tPvRmT3_T4_T5_T6_T7_T9_mT8_P12ihipStream_tbDpT10_ENKUlT_T0_E_clISt17integral_constantIbLb1EES1D_EEDaS18_S19_EUlS18_E_NS1_11comp_targetILNS1_3genE9ELNS1_11target_archE1100ELNS1_3gpuE3ELNS1_3repE0EEENS1_30default_config_static_selectorELNS0_4arch9wavefront6targetE0EEEvT1_,@function
_ZN7rocprim17ROCPRIM_400000_NS6detail17trampoline_kernelINS0_14default_configENS1_25partition_config_selectorILNS1_17partition_subalgoE9EijbEEZZNS1_14partition_implILS5_9ELb0ES3_jN6thrust23THRUST_200600_302600_NS6detail15normal_iteratorINS9_10device_ptrIiEEEENSB_INSC_IjEEEEPNS0_10empty_typeENS0_5tupleIJSE_SH_EEENSJ_IJNS9_16discard_iteratorINS9_11use_defaultEEESI_EEENS0_18inequality_wrapperINS9_8equal_toIiEEEEPmJSH_EEE10hipError_tPvRmT3_T4_T5_T6_T7_T9_mT8_P12ihipStream_tbDpT10_ENKUlT_T0_E_clISt17integral_constantIbLb1EES1D_EEDaS18_S19_EUlS18_E_NS1_11comp_targetILNS1_3genE9ELNS1_11target_archE1100ELNS1_3gpuE3ELNS1_3repE0EEENS1_30default_config_static_selectorELNS0_4arch9wavefront6targetE0EEEvT1_: ; @_ZN7rocprim17ROCPRIM_400000_NS6detail17trampoline_kernelINS0_14default_configENS1_25partition_config_selectorILNS1_17partition_subalgoE9EijbEEZZNS1_14partition_implILS5_9ELb0ES3_jN6thrust23THRUST_200600_302600_NS6detail15normal_iteratorINS9_10device_ptrIiEEEENSB_INSC_IjEEEEPNS0_10empty_typeENS0_5tupleIJSE_SH_EEENSJ_IJNS9_16discard_iteratorINS9_11use_defaultEEESI_EEENS0_18inequality_wrapperINS9_8equal_toIiEEEEPmJSH_EEE10hipError_tPvRmT3_T4_T5_T6_T7_T9_mT8_P12ihipStream_tbDpT10_ENKUlT_T0_E_clISt17integral_constantIbLb1EES1D_EEDaS18_S19_EUlS18_E_NS1_11comp_targetILNS1_3genE9ELNS1_11target_archE1100ELNS1_3gpuE3ELNS1_3repE0EEENS1_30default_config_static_selectorELNS0_4arch9wavefront6targetE0EEEvT1_
; %bb.0:
	s_clause 0x5
	s_load_b128 s[4:7], s[0:1], 0x8
	s_load_b64 s[8:9], s[0:1], 0x18
	s_load_b64 s[10:11], s[0:1], 0x28
	s_load_b128 s[12:15], s[0:1], 0x48
	s_load_b64 s[18:19], s[0:1], 0x58
	s_load_b64 s[16:17], s[0:1], 0x68
	v_cmp_ne_u32_e64 s3, 0, v0
	v_cmp_eq_u32_e64 s2, 0, v0
	s_delay_alu instid0(VALU_DEP_1)
	s_and_saveexec_b32 s20, s2
	s_cbranch_execz .LBB1123_4
; %bb.1:
	s_mov_b32 s22, exec_lo
	s_mov_b32 s21, exec_lo
	v_mbcnt_lo_u32_b32 v1, s22, 0
                                        ; implicit-def: $vgpr2
	s_delay_alu instid0(VALU_DEP_1)
	v_cmpx_eq_u32_e32 0, v1
	s_cbranch_execz .LBB1123_3
; %bb.2:
	s_load_b64 s[24:25], s[0:1], 0x78
	s_bcnt1_i32_b32 s22, s22
	s_delay_alu instid0(SALU_CYCLE_1)
	v_dual_mov_b32 v2, 0 :: v_dual_mov_b32 v3, s22
	s_waitcnt lgkmcnt(0)
	global_atomic_add_u32 v2, v2, v3, s[24:25] glc
.LBB1123_3:
	s_or_b32 exec_lo, exec_lo, s21
	s_waitcnt vmcnt(0)
	v_readfirstlane_b32 s21, v2
	s_delay_alu instid0(VALU_DEP_1)
	v_dual_mov_b32 v2, 0 :: v_dual_add_nc_u32 v1, s21, v1
	ds_store_b32 v2, v1
.LBB1123_4:
	s_or_b32 exec_lo, exec_lo, s20
	v_dual_mov_b32 v1, 0 :: v_dual_add_nc_u32 v18, 0x180, v0
	s_waitcnt lgkmcnt(0)
	s_barrier
	buffer_gl0_inv
	ds_load_b32 v2, v1
	s_waitcnt lgkmcnt(0)
	s_barrier
	buffer_gl0_inv
	global_load_b64 v[9:10], v1, s[14:15]
	s_load_b32 s0, s[0:1], 0x70
	s_lshl_b64 s[14:15], s[6:7], 2
	v_lshrrev_b32_e32 v16, 3, v0
	s_add_u32 s23, s4, s14
	s_addc_u32 s24, s5, s15
	v_add_nc_u32_e32 v17, 0x300, v0
	v_add_nc_u32_e32 v15, 0x480, v0
	v_or_b32_e32 v14, 0x600, v0
	v_add_nc_u32_e32 v13, 0x780, v0
	v_add_nc_u32_e32 v12, 0x900, v0
	;; [unrolled: 1-line block ×3, first 2 shown]
	v_readfirstlane_b32 s20, v2
	s_waitcnt lgkmcnt(0)
	s_mul_i32 s1, s0, 0xc00
	s_delay_alu instid0(SALU_CYCLE_1) | instskip(NEXT) | instid1(SALU_CYCLE_1)
	s_add_i32 s4, s1, s6
	s_sub_i32 s21, s18, s4
	s_add_i32 s4, s0, -1
	s_addk_i32 s21, 0xc00
	s_add_u32 s0, s6, s1
	s_addc_u32 s1, s7, 0
	s_cmp_eq_u32 s20, s4
	v_cmp_ge_u64_e64 s5, s[0:1], s[18:19]
	s_cselect_b32 s18, -1, 0
	s_mul_i32 s0, s20, 0xc00
	s_mov_b32 s1, 0
	s_delay_alu instid0(VALU_DEP_1)
	s_and_b32 s22, s5, s18
	s_lshl_b64 s[4:5], s[0:1], 2
	s_xor_b32 s19, s22, -1
	s_add_u32 s23, s23, s4
	s_addc_u32 s1, s24, s5
	s_and_b32 vcc_lo, exec_lo, s19
	s_mov_b32 s24, -1
	s_cbranch_vccz .LBB1123_6
; %bb.5:
	v_lshlrev_b32_e32 v7, 2, v0
	v_lshrrev_b32_e32 v21, 3, v18
	v_lshrrev_b32_e32 v22, 3, v17
	;; [unrolled: 1-line block ×4, first 2 shown]
	v_add_co_u32 v1, s0, s23, v7
	s_delay_alu instid0(VALU_DEP_1) | instskip(SKIP_1) | instid1(VALU_DEP_3)
	v_add_co_ci_u32_e64 v2, null, s1, 0, s0
	v_lshrrev_b32_e32 v25, 3, v13
	v_add_co_u32 v3, vcc_lo, 0x1000, v1
	s_delay_alu instid0(VALU_DEP_3)
	v_add_co_ci_u32_e32 v4, vcc_lo, 0, v2, vcc_lo
	v_add_co_u32 v5, vcc_lo, 0x2000, v1
	v_add_co_ci_u32_e32 v6, vcc_lo, 0, v2, vcc_lo
	s_clause 0x7
	flat_load_b32 v8, v[1:2]
	flat_load_b32 v19, v[1:2] offset:1536
	flat_load_b32 v1, v[1:2] offset:3072
	;; [unrolled: 1-line block ×7, first 2 shown]
	v_and_b32_e32 v6, 60, v16
	v_lshrrev_b32_e32 v26, 3, v12
	v_lshrrev_b32_e32 v27, 3, v11
	v_and_b32_e32 v21, 0x7c, v21
	v_and_b32_e32 v22, 0xfc, v22
	;; [unrolled: 1-line block ×4, first 2 shown]
	v_add_nc_u32_e32 v6, v6, v7
	v_and_b32_e32 v25, 0x1fc, v25
	v_and_b32_e32 v26, 0x17c, v26
	;; [unrolled: 1-line block ×3, first 2 shown]
	v_add_nc_u32_e32 v21, v21, v7
	v_add_nc_u32_e32 v22, v22, v7
	;; [unrolled: 1-line block ×4, first 2 shown]
	s_mov_b32 s24, 0
	v_add_nc_u32_e32 v25, v25, v7
	v_add_nc_u32_e32 v26, v26, v7
	v_add_nc_u32_e32 v7, v27, v7
	s_waitcnt vmcnt(7) lgkmcnt(7)
	ds_store_b32 v6, v8
	s_waitcnt vmcnt(6) lgkmcnt(7)
	ds_store_b32 v21, v19 offset:1536
	s_waitcnt vmcnt(5) lgkmcnt(7)
	ds_store_b32 v22, v1 offset:3072
	;; [unrolled: 2-line block ×7, first 2 shown]
	s_waitcnt lgkmcnt(0)
	s_barrier
.LBB1123_6:
	v_cmp_gt_u32_e64 s0, s21, v0
	s_and_not1_b32 vcc_lo, exec_lo, s24
	s_cbranch_vccnz .LBB1123_24
; %bb.7:
                                        ; implicit-def: $vgpr1_vgpr2_vgpr3_vgpr4_vgpr5_vgpr6_vgpr7_vgpr8
	s_delay_alu instid0(VALU_DEP_1)
	s_and_saveexec_b32 s24, s0
	s_cbranch_execz .LBB1123_15
; %bb.8:
	v_lshlrev_b32_e32 v1, 2, v0
	s_delay_alu instid0(VALU_DEP_1) | instskip(NEXT) | instid1(VALU_DEP_1)
	v_add_co_u32 v1, s0, s23, v1
	v_add_co_ci_u32_e64 v2, null, s1, 0, s0
	flat_load_b32 v1, v[1:2]
	s_or_b32 exec_lo, exec_lo, s24
	s_delay_alu instid0(SALU_CYCLE_1)
	s_mov_b32 s0, exec_lo
	v_cmpx_gt_u32_e64 s21, v18
	s_cbranch_execnz .LBB1123_16
.LBB1123_9:
	s_or_b32 exec_lo, exec_lo, s0
	s_delay_alu instid0(SALU_CYCLE_1)
	s_mov_b32 s0, exec_lo
	v_cmpx_gt_u32_e64 s21, v17
	s_cbranch_execz .LBB1123_17
.LBB1123_10:
	v_lshlrev_b32_e32 v3, 2, v0
	s_delay_alu instid0(VALU_DEP_1) | instskip(NEXT) | instid1(VALU_DEP_1)
	v_add_co_u32 v19, s24, s23, v3
	v_add_co_ci_u32_e64 v20, null, s1, 0, s24
	flat_load_b32 v3, v[19:20] offset:3072
	s_or_b32 exec_lo, exec_lo, s0
	s_delay_alu instid0(SALU_CYCLE_1)
	s_mov_b32 s0, exec_lo
	v_cmpx_gt_u32_e64 s21, v15
	s_cbranch_execnz .LBB1123_18
.LBB1123_11:
	s_or_b32 exec_lo, exec_lo, s0
	s_delay_alu instid0(SALU_CYCLE_1)
	s_mov_b32 s0, exec_lo
	v_cmpx_gt_u32_e64 s21, v14
	s_cbranch_execz .LBB1123_19
.LBB1123_12:
	v_lshlrev_b32_e32 v5, 2, v14
	s_delay_alu instid0(VALU_DEP_1) | instskip(NEXT) | instid1(VALU_DEP_1)
	v_add_co_u32 v19, s24, s23, v5
	v_add_co_ci_u32_e64 v20, null, s1, 0, s24
	flat_load_b32 v5, v[19:20]
	s_or_b32 exec_lo, exec_lo, s0
	s_delay_alu instid0(SALU_CYCLE_1)
	s_mov_b32 s0, exec_lo
	v_cmpx_gt_u32_e64 s21, v13
	s_cbranch_execnz .LBB1123_20
.LBB1123_13:
	s_or_b32 exec_lo, exec_lo, s0
	s_delay_alu instid0(SALU_CYCLE_1)
	s_mov_b32 s0, exec_lo
	v_cmpx_gt_u32_e64 s21, v12
	s_cbranch_execz .LBB1123_21
.LBB1123_14:
	v_lshlrev_b32_e32 v7, 2, v12
	s_delay_alu instid0(VALU_DEP_1) | instskip(NEXT) | instid1(VALU_DEP_1)
	v_add_co_u32 v19, s24, s23, v7
	v_add_co_ci_u32_e64 v20, null, s1, 0, s24
	flat_load_b32 v7, v[19:20]
	s_or_b32 exec_lo, exec_lo, s0
	s_delay_alu instid0(SALU_CYCLE_1)
	s_mov_b32 s0, exec_lo
	v_cmpx_gt_u32_e64 s21, v11
	s_cbranch_execnz .LBB1123_22
	s_branch .LBB1123_23
.LBB1123_15:
	s_or_b32 exec_lo, exec_lo, s24
	s_delay_alu instid0(SALU_CYCLE_1)
	s_mov_b32 s0, exec_lo
	v_cmpx_gt_u32_e64 s21, v18
	s_cbranch_execz .LBB1123_9
.LBB1123_16:
	v_lshlrev_b32_e32 v2, 2, v0
	s_delay_alu instid0(VALU_DEP_1) | instskip(NEXT) | instid1(VALU_DEP_1)
	v_add_co_u32 v19, s24, s23, v2
	v_add_co_ci_u32_e64 v20, null, s1, 0, s24
	flat_load_b32 v2, v[19:20] offset:1536
	s_or_b32 exec_lo, exec_lo, s0
	s_delay_alu instid0(SALU_CYCLE_1)
	s_mov_b32 s0, exec_lo
	v_cmpx_gt_u32_e64 s21, v17
	s_cbranch_execnz .LBB1123_10
.LBB1123_17:
	s_or_b32 exec_lo, exec_lo, s0
	s_delay_alu instid0(SALU_CYCLE_1)
	s_mov_b32 s0, exec_lo
	v_cmpx_gt_u32_e64 s21, v15
	s_cbranch_execz .LBB1123_11
.LBB1123_18:
	v_lshlrev_b32_e32 v4, 2, v15
	s_delay_alu instid0(VALU_DEP_1) | instskip(NEXT) | instid1(VALU_DEP_1)
	v_add_co_u32 v19, s24, s23, v4
	v_add_co_ci_u32_e64 v20, null, s1, 0, s24
	flat_load_b32 v4, v[19:20]
	s_or_b32 exec_lo, exec_lo, s0
	s_delay_alu instid0(SALU_CYCLE_1)
	s_mov_b32 s0, exec_lo
	v_cmpx_gt_u32_e64 s21, v14
	s_cbranch_execnz .LBB1123_12
.LBB1123_19:
	s_or_b32 exec_lo, exec_lo, s0
	s_delay_alu instid0(SALU_CYCLE_1)
	s_mov_b32 s0, exec_lo
	v_cmpx_gt_u32_e64 s21, v13
	s_cbranch_execz .LBB1123_13
.LBB1123_20:
	v_lshlrev_b32_e32 v6, 2, v13
	s_delay_alu instid0(VALU_DEP_1) | instskip(NEXT) | instid1(VALU_DEP_1)
	v_add_co_u32 v19, s24, s23, v6
	v_add_co_ci_u32_e64 v20, null, s1, 0, s24
	flat_load_b32 v6, v[19:20]
	s_or_b32 exec_lo, exec_lo, s0
	s_delay_alu instid0(SALU_CYCLE_1)
	s_mov_b32 s0, exec_lo
	v_cmpx_gt_u32_e64 s21, v12
	s_cbranch_execnz .LBB1123_14
.LBB1123_21:
	s_or_b32 exec_lo, exec_lo, s0
	s_delay_alu instid0(SALU_CYCLE_1)
	s_mov_b32 s0, exec_lo
	v_cmpx_gt_u32_e64 s21, v11
	s_cbranch_execz .LBB1123_23
.LBB1123_22:
	v_lshlrev_b32_e32 v8, 2, v11
	s_delay_alu instid0(VALU_DEP_1) | instskip(NEXT) | instid1(VALU_DEP_1)
	v_add_co_u32 v19, s24, s23, v8
	v_add_co_ci_u32_e64 v20, null, s1, 0, s24
	flat_load_b32 v8, v[19:20]
.LBB1123_23:
	s_or_b32 exec_lo, exec_lo, s0
	v_lshrrev_b32_e32 v19, 3, v18
	v_lshrrev_b32_e32 v20, 3, v17
	;; [unrolled: 1-line block ×4, first 2 shown]
	v_and_b32_e32 v21, 60, v16
	v_lshlrev_b32_e32 v22, 2, v0
	v_lshrrev_b32_e32 v25, 3, v13
	v_lshrrev_b32_e32 v26, 3, v12
	;; [unrolled: 1-line block ×3, first 2 shown]
	v_and_b32_e32 v19, 0x7c, v19
	v_and_b32_e32 v20, 0xfc, v20
	;; [unrolled: 1-line block ×4, first 2 shown]
	v_add_nc_u32_e32 v21, v21, v22
	v_and_b32_e32 v25, 0x1fc, v25
	v_and_b32_e32 v26, 0x1fc, v26
	v_and_b32_e32 v27, 0x1fc, v27
	v_add_nc_u32_e32 v19, v19, v22
	v_add_nc_u32_e32 v20, v20, v22
	;; [unrolled: 1-line block ×7, first 2 shown]
	s_waitcnt vmcnt(0) lgkmcnt(0)
	ds_store_b32 v21, v1
	ds_store_b32 v19, v2 offset:1536
	ds_store_b32 v20, v3 offset:3072
	;; [unrolled: 1-line block ×7, first 2 shown]
	s_waitcnt lgkmcnt(0)
	s_barrier
.LBB1123_24:
	v_lshlrev_b32_e32 v21, 3, v0
	v_lshrrev_b32_e32 v1, 2, v0
	s_waitcnt vmcnt(0)
	buffer_gl0_inv
	s_add_u32 s0, s8, s14
	s_addc_u32 s8, s9, s15
	s_add_u32 s0, s0, s4
	v_add_lshl_u32 v19, v1, v21, 2
	s_addc_u32 s4, s8, s5
	s_and_b32 vcc_lo, exec_lo, s19
	s_mov_b32 s5, -1
	ds_load_2addr_b32 v[7:8], v19 offset1:1
	ds_load_2addr_b32 v[5:6], v19 offset0:2 offset1:3
	ds_load_2addr_b32 v[3:4], v19 offset0:4 offset1:5
	;; [unrolled: 1-line block ×3, first 2 shown]
	s_waitcnt lgkmcnt(0)
	s_barrier
	buffer_gl0_inv
	s_cbranch_vccz .LBB1123_26
; %bb.25:
	v_lshlrev_b32_e32 v20, 2, v0
	v_lshrrev_b32_e32 v31, 3, v18
	v_lshrrev_b32_e32 v32, 3, v17
	;; [unrolled: 1-line block ×4, first 2 shown]
	v_add_co_u32 v22, s5, s0, v20
	s_delay_alu instid0(VALU_DEP_1) | instskip(SKIP_1) | instid1(VALU_DEP_3)
	v_add_co_ci_u32_e64 v23, null, s4, 0, s5
	v_lshrrev_b32_e32 v35, 3, v13
	v_add_co_u32 v24, vcc_lo, 0x1000, v22
	s_delay_alu instid0(VALU_DEP_3)
	v_add_co_ci_u32_e32 v25, vcc_lo, 0, v23, vcc_lo
	v_add_co_u32 v26, vcc_lo, 0x2000, v22
	v_add_co_ci_u32_e32 v27, vcc_lo, 0, v23, vcc_lo
	s_clause 0x7
	flat_load_b32 v28, v[22:23]
	flat_load_b32 v29, v[22:23] offset:1536
	flat_load_b32 v22, v[22:23] offset:3072
	;; [unrolled: 1-line block ×7, first 2 shown]
	v_and_b32_e32 v27, 60, v16
	v_lshrrev_b32_e32 v36, 3, v12
	v_lshrrev_b32_e32 v37, 3, v11
	v_and_b32_e32 v31, 0x7c, v31
	v_and_b32_e32 v32, 0xfc, v32
	;; [unrolled: 1-line block ×4, first 2 shown]
	v_add_nc_u32_e32 v27, v27, v20
	v_and_b32_e32 v35, 0x1fc, v35
	v_and_b32_e32 v36, 0x17c, v36
	v_and_b32_e32 v37, 0x1fc, v37
	v_add_nc_u32_e32 v31, v31, v20
	v_add_nc_u32_e32 v32, v32, v20
	;; [unrolled: 1-line block ×4, first 2 shown]
	s_mov_b32 s5, 0
	v_add_nc_u32_e32 v35, v35, v20
	v_add_nc_u32_e32 v36, v36, v20
	;; [unrolled: 1-line block ×3, first 2 shown]
	s_waitcnt vmcnt(7) lgkmcnt(7)
	ds_store_b32 v27, v28
	s_waitcnt vmcnt(6) lgkmcnt(7)
	ds_store_b32 v31, v29 offset:1536
	s_waitcnt vmcnt(5) lgkmcnt(7)
	ds_store_b32 v32, v22 offset:3072
	;; [unrolled: 2-line block ×7, first 2 shown]
	s_waitcnt lgkmcnt(0)
	s_barrier
.LBB1123_26:
	s_and_not1_b32 vcc_lo, exec_lo, s5
	s_cbranch_vccnz .LBB1123_44
; %bb.27:
	s_mov_b32 s5, exec_lo
                                        ; implicit-def: $vgpr20
	v_cmpx_gt_u32_e64 s21, v0
	s_cbranch_execz .LBB1123_29
; %bb.28:
	v_lshlrev_b32_e32 v20, 2, v0
	s_delay_alu instid0(VALU_DEP_1) | instskip(NEXT) | instid1(VALU_DEP_1)
	v_add_co_u32 v22, s8, s0, v20
	v_add_co_ci_u32_e64 v23, null, s4, 0, s8
	flat_load_b32 v20, v[22:23]
.LBB1123_29:
	s_or_b32 exec_lo, exec_lo, s5
	s_delay_alu instid0(SALU_CYCLE_1)
	s_mov_b32 s5, exec_lo
                                        ; implicit-def: $vgpr22
	v_cmpx_gt_u32_e64 s21, v18
	s_cbranch_execz .LBB1123_31
; %bb.30:
	v_lshlrev_b32_e32 v22, 2, v0
	s_delay_alu instid0(VALU_DEP_1) | instskip(NEXT) | instid1(VALU_DEP_1)
	v_add_co_u32 v22, s8, s0, v22
	v_add_co_ci_u32_e64 v23, null, s4, 0, s8
	flat_load_b32 v22, v[22:23] offset:1536
.LBB1123_31:
	s_or_b32 exec_lo, exec_lo, s5
	s_delay_alu instid0(SALU_CYCLE_1)
	s_mov_b32 s5, exec_lo
                                        ; implicit-def: $vgpr23
	v_cmpx_gt_u32_e64 s21, v17
	s_cbranch_execz .LBB1123_33
; %bb.32:
	v_lshlrev_b32_e32 v23, 2, v0
	s_delay_alu instid0(VALU_DEP_1) | instskip(NEXT) | instid1(VALU_DEP_1)
	v_add_co_u32 v23, s8, s0, v23
	v_add_co_ci_u32_e64 v24, null, s4, 0, s8
	flat_load_b32 v23, v[23:24] offset:3072
.LBB1123_33:
	s_or_b32 exec_lo, exec_lo, s5
	s_delay_alu instid0(SALU_CYCLE_1)
	s_mov_b32 s5, exec_lo
                                        ; implicit-def: $vgpr24
	v_cmpx_gt_u32_e64 s21, v15
	s_cbranch_execz .LBB1123_35
; %bb.34:
	v_lshlrev_b32_e32 v24, 2, v15
	s_delay_alu instid0(VALU_DEP_1) | instskip(NEXT) | instid1(VALU_DEP_1)
	v_add_co_u32 v24, s8, s0, v24
	v_add_co_ci_u32_e64 v25, null, s4, 0, s8
	flat_load_b32 v24, v[24:25]
.LBB1123_35:
	s_or_b32 exec_lo, exec_lo, s5
	s_delay_alu instid0(SALU_CYCLE_1)
	s_mov_b32 s5, exec_lo
                                        ; implicit-def: $vgpr25
	v_cmpx_gt_u32_e64 s21, v14
	s_cbranch_execz .LBB1123_37
; %bb.36:
	v_lshlrev_b32_e32 v25, 2, v14
	s_delay_alu instid0(VALU_DEP_1) | instskip(NEXT) | instid1(VALU_DEP_1)
	v_add_co_u32 v25, s8, s0, v25
	v_add_co_ci_u32_e64 v26, null, s4, 0, s8
	flat_load_b32 v25, v[25:26]
.LBB1123_37:
	s_or_b32 exec_lo, exec_lo, s5
	s_delay_alu instid0(SALU_CYCLE_1)
	s_mov_b32 s5, exec_lo
                                        ; implicit-def: $vgpr26
	v_cmpx_gt_u32_e64 s21, v13
	s_cbranch_execz .LBB1123_39
; %bb.38:
	v_lshlrev_b32_e32 v26, 2, v13
	s_delay_alu instid0(VALU_DEP_1) | instskip(NEXT) | instid1(VALU_DEP_1)
	v_add_co_u32 v26, s8, s0, v26
	v_add_co_ci_u32_e64 v27, null, s4, 0, s8
	flat_load_b32 v26, v[26:27]
.LBB1123_39:
	s_or_b32 exec_lo, exec_lo, s5
	s_delay_alu instid0(SALU_CYCLE_1)
	s_mov_b32 s5, exec_lo
                                        ; implicit-def: $vgpr27
	v_cmpx_gt_u32_e64 s21, v12
	s_cbranch_execz .LBB1123_41
; %bb.40:
	v_lshlrev_b32_e32 v27, 2, v12
	s_delay_alu instid0(VALU_DEP_1) | instskip(NEXT) | instid1(VALU_DEP_1)
	v_add_co_u32 v27, s8, s0, v27
	v_add_co_ci_u32_e64 v28, null, s4, 0, s8
	flat_load_b32 v27, v[27:28]
.LBB1123_41:
	s_or_b32 exec_lo, exec_lo, s5
	s_delay_alu instid0(SALU_CYCLE_1)
	s_mov_b32 s5, exec_lo
                                        ; implicit-def: $vgpr28
	v_cmpx_gt_u32_e64 s21, v11
	s_cbranch_execz .LBB1123_43
; %bb.42:
	v_lshlrev_b32_e32 v28, 2, v11
	s_delay_alu instid0(VALU_DEP_1) | instskip(NEXT) | instid1(VALU_DEP_1)
	v_add_co_u32 v28, s0, s0, v28
	v_add_co_ci_u32_e64 v29, null, s4, 0, s0
	flat_load_b32 v28, v[28:29]
.LBB1123_43:
	s_or_b32 exec_lo, exec_lo, s5
	v_lshrrev_b32_e32 v18, 3, v18
	v_lshrrev_b32_e32 v17, 3, v17
	;; [unrolled: 1-line block ×4, first 2 shown]
	v_and_b32_e32 v16, 60, v16
	v_lshlrev_b32_e32 v29, 2, v0
	v_lshrrev_b32_e32 v13, 3, v13
	v_lshrrev_b32_e32 v12, 3, v12
	;; [unrolled: 1-line block ×3, first 2 shown]
	v_and_b32_e32 v18, 0x7c, v18
	v_and_b32_e32 v17, 0xfc, v17
	;; [unrolled: 1-line block ×4, first 2 shown]
	v_add_nc_u32_e32 v16, v16, v29
	v_and_b32_e32 v13, 0x1fc, v13
	v_and_b32_e32 v12, 0x1fc, v12
	v_and_b32_e32 v11, 0x1fc, v11
	v_add_nc_u32_e32 v18, v18, v29
	v_add_nc_u32_e32 v17, v17, v29
	;; [unrolled: 1-line block ×7, first 2 shown]
	s_waitcnt vmcnt(0) lgkmcnt(0)
	ds_store_b32 v16, v20
	ds_store_b32 v18, v22 offset:1536
	ds_store_b32 v17, v23 offset:3072
	;; [unrolled: 1-line block ×7, first 2 shown]
	s_waitcnt lgkmcnt(0)
	s_barrier
.LBB1123_44:
	buffer_gl0_inv
	ds_load_2addr_b32 v[17:18], v19 offset1:1
	ds_load_2addr_b32 v[15:16], v19 offset0:2 offset1:3
	ds_load_2addr_b32 v[13:14], v19 offset0:4 offset1:5
	;; [unrolled: 1-line block ×3, first 2 shown]
	s_cmp_lg_u32 s20, 0
	s_mov_b32 s14, 0
	s_cselect_b32 s9, -1, 0
	s_cmp_lg_u64 s[6:7], 0
	s_waitcnt lgkmcnt(0)
	s_cselect_b32 s0, -1, 0
	s_barrier
	s_or_b32 s0, s0, s9
	buffer_gl0_inv
	s_and_b32 vcc_lo, exec_lo, s0
	s_cbranch_vccz .LBB1123_49
; %bb.45:
	v_add_co_u32 v19, s0, -4, s23
	s_delay_alu instid0(VALU_DEP_1)
	v_add_co_ci_u32_e64 v20, null, -1, s1, s0
	v_lshlrev_b32_e32 v23, 2, v0
	s_mov_b32 s1, -1
	s_and_b32 vcc_lo, exec_lo, s19
	flat_load_b32 v22, v[19:20]
	ds_store_b32 v23, v2
	s_cbranch_vccz .LBB1123_50
; %bb.46:
	s_waitcnt vmcnt(0) lgkmcnt(1)
	v_mov_b32_e32 v19, v22
	s_waitcnt lgkmcnt(0)
	s_barrier
	buffer_gl0_inv
	s_and_saveexec_b32 s0, s3
	s_cbranch_execz .LBB1123_48
; %bb.47:
	v_add_nc_u32_e32 v19, -4, v23
	ds_load_b32 v19, v19
.LBB1123_48:
	s_or_b32 exec_lo, exec_lo, s0
	v_cmp_ne_u32_e32 vcc_lo, v1, v2
	s_waitcnt lgkmcnt(0)
	v_cmp_ne_u32_e64 s0, v19, v7
	v_cndmask_b32_e64 v20, 0, 1, vcc_lo
	v_cmp_ne_u32_e32 vcc_lo, v4, v1
	s_delay_alu instid0(VALU_DEP_2) | instskip(SKIP_2) | instid1(VALU_DEP_2)
	v_lshlrev_b16 v20, 8, v20
	v_cndmask_b32_e64 v24, 0, 1, vcc_lo
	v_cmp_ne_u32_e32 vcc_lo, v3, v4
	v_or_b32_e32 v20, v24, v20
	v_cndmask_b32_e64 v25, 0, 1, vcc_lo
	v_cmp_ne_u32_e32 vcc_lo, v5, v6
	s_delay_alu instid0(VALU_DEP_3) | instskip(NEXT) | instid1(VALU_DEP_3)
	v_lshlrev_b32_e32 v20, 16, v20
	v_lshlrev_b16 v25, 8, v25
	v_cndmask_b32_e64 v26, 0, 1, vcc_lo
	v_cmp_ne_u32_e32 vcc_lo, v6, v3
	s_delay_alu instid0(VALU_DEP_2) | instskip(SKIP_2) | instid1(VALU_DEP_2)
	v_lshlrev_b16 v26, 8, v26
	v_cndmask_b32_e64 v27, 0, 1, vcc_lo
	v_cmp_ne_u32_e32 vcc_lo, v8, v5
	v_or_b32_e32 v25, v27, v25
	v_cndmask_b32_e64 v28, 0, 1, vcc_lo
	v_cmp_ne_u32_e32 vcc_lo, v7, v8
	s_delay_alu instid0(VALU_DEP_3) | instskip(NEXT) | instid1(VALU_DEP_3)
	v_and_b32_e32 v25, 0xffff, v25
	v_or_b32_e32 v26, v28, v26
	v_cndmask_b32_e64 v29, 0, 1, vcc_lo
	s_delay_alu instid0(VALU_DEP_3) | instskip(NEXT) | instid1(VALU_DEP_3)
	v_or_b32_e32 v20, v25, v20
	v_lshlrev_b32_e32 v24, 16, v26
	s_delay_alu instid0(VALU_DEP_3) | instskip(NEXT) | instid1(VALU_DEP_1)
	v_lshlrev_b16 v28, 8, v29
	v_and_b32_e32 v26, 0xffff, v28
	s_delay_alu instid0(VALU_DEP_1)
	v_or_b32_e32 v19, v26, v24
	s_branch .LBB1123_54
.LBB1123_49:
                                        ; implicit-def: $sgpr0
                                        ; implicit-def: $vgpr20
	s_branch .LBB1123_55
.LBB1123_50:
                                        ; implicit-def: $sgpr0
                                        ; implicit-def: $vgpr20
	s_and_b32 vcc_lo, exec_lo, s1
	s_cbranch_vccz .LBB1123_54
; %bb.51:
	s_waitcnt vmcnt(0) lgkmcnt(0)
	s_barrier
	buffer_gl0_inv
	s_and_saveexec_b32 s0, s3
	s_cbranch_execz .LBB1123_53
; %bb.52:
	v_add_nc_u32_e32 v19, -4, v23
	ds_load_b32 v22, v19
.LBB1123_53:
	s_or_b32 exec_lo, exec_lo, s0
	v_or_b32_e32 v19, 7, v21
	v_or_b32_e32 v20, 6, v21
	;; [unrolled: 1-line block ×3, first 2 shown]
	v_cmp_ne_u32_e32 vcc_lo, v1, v2
	v_cmp_ne_u32_e64 s1, v4, v1
	v_cmp_gt_u32_e64 s0, s21, v19
	v_cmp_gt_u32_e64 s5, s21, v20
	v_cmp_ne_u32_e64 s4, v3, v4
	v_cmp_gt_u32_e64 s6, s21, v23
	v_or_b32_e32 v20, 3, v21
	s_and_b32 s0, s0, vcc_lo
	v_or_b32_e32 v24, 4, v21
	v_cndmask_b32_e64 v19, 0, 1, s0
	s_and_b32 s0, s5, s1
	v_cmp_gt_u32_e32 vcc_lo, s21, v20
	v_cndmask_b32_e64 v23, 0, 1, s0
	s_and_b32 s0, s6, s4
	v_or_b32_e32 v20, 2, v21
	v_cndmask_b32_e64 v25, 0, 1, s0
	v_cmp_ne_u32_e64 s0, v5, v6
	v_cmp_gt_u32_e64 s1, s21, v24
	v_or_b32_e32 v24, 1, v21
	v_cmp_ne_u32_e64 s4, v6, v3
	v_cmp_ne_u32_e64 s6, v7, v8
	s_and_b32 s0, vcc_lo, s0
	v_cmp_gt_u32_e32 vcc_lo, s21, v20
	v_cndmask_b32_e64 v26, 0, 1, s0
	v_cmp_ne_u32_e64 s0, v8, v5
	v_cmp_gt_u32_e64 s5, s21, v24
	s_and_b32 s1, s1, s4
	v_lshlrev_b16 v25, 8, v25
	v_cndmask_b32_e64 v20, 0, 1, s1
	s_and_b32 s0, vcc_lo, s0
	v_lshlrev_b16 v26, 8, v26
	v_cndmask_b32_e64 v24, 0, 1, s0
	s_and_b32 s0, s5, s6
	v_lshlrev_b16 v19, 8, v19
	v_cndmask_b32_e64 v27, 0, 1, s0
	v_or_b32_e32 v20, v20, v25
	v_or_b32_e32 v24, v24, v26
	v_cmp_gt_u32_e32 vcc_lo, s21, v21
	v_or_b32_e32 v19, v23, v19
	v_lshlrev_b16 v26, 8, v27
	v_and_b32_e32 v20, 0xffff, v20
	v_lshlrev_b32_e32 v23, 16, v24
	s_waitcnt lgkmcnt(0)
	v_cmp_ne_u32_e64 s0, v22, v7
	v_lshlrev_b32_e32 v25, 16, v19
	v_and_b32_e32 v24, 0xffff, v26
	s_delay_alu instid0(VALU_DEP_3) | instskip(NEXT) | instid1(VALU_DEP_2)
	s_and_b32 s0, vcc_lo, s0
	v_or_b32_e32 v20, v20, v25
	s_delay_alu instid0(VALU_DEP_2)
	v_or_b32_e32 v19, v24, v23
.LBB1123_54:
	s_mov_b32 s14, -1
	s_cbranch_execnz .LBB1123_63
.LBB1123_55:
	s_waitcnt vmcnt(0) lgkmcnt(1)
	v_lshlrev_b32_e32 v22, 2, v0
	v_cmp_ne_u32_e64 s1, v1, v2
	v_cmp_ne_u32_e64 s4, v4, v1
	;; [unrolled: 1-line block ×7, first 2 shown]
	s_and_b32 vcc_lo, exec_lo, s19
	ds_store_b32 v22, v2
	s_cbranch_vccz .LBB1123_59
; %bb.56:
	v_cndmask_b32_e64 v19, 0, 1, s1
	v_cndmask_b32_e64 v23, 0, 1, s5
	;; [unrolled: 1-line block ×7, first 2 shown]
	v_lshlrev_b16 v23, 8, v23
	v_lshlrev_b16 v19, 8, v19
	;; [unrolled: 1-line block ×4, first 2 shown]
	s_waitcnt lgkmcnt(0)
	v_or_b32_e32 v23, v24, v23
	v_or_b32_e32 v19, v20, v19
	;; [unrolled: 1-line block ×4, first 2 shown]
	s_barrier
	v_and_b32_e32 v23, 0xffff, v23
	v_lshlrev_b32_e32 v19, 16, v19
	v_lshlrev_b32_e32 v25, 16, v20
	v_and_b32_e32 v24, 0xffff, v24
	buffer_gl0_inv
                                        ; implicit-def: $sgpr0
	v_or_b32_e32 v20, v23, v19
	v_or_b32_e32 v19, v24, v25
	s_and_saveexec_b32 s1, s3
	s_delay_alu instid0(SALU_CYCLE_1)
	s_xor_b32 s1, exec_lo, s1
	s_cbranch_execz .LBB1123_58
; %bb.57:
	v_add_nc_u32_e32 v23, -4, v22
	s_or_b32 s14, s14, exec_lo
	ds_load_b32 v23, v23
	s_waitcnt lgkmcnt(0)
	v_cmp_ne_u32_e32 vcc_lo, v23, v7
	s_and_b32 s0, vcc_lo, exec_lo
.LBB1123_58:
	s_or_b32 exec_lo, exec_lo, s1
	s_branch .LBB1123_63
.LBB1123_59:
                                        ; implicit-def: $sgpr0
                                        ; implicit-def: $vgpr20
	s_cbranch_execz .LBB1123_63
; %bb.60:
	v_or_b32_e32 v19, 7, v21
	v_or_b32_e32 v20, 6, v21
	v_cmp_ne_u32_e32 vcc_lo, v1, v2
	v_cmp_ne_u32_e64 s1, v4, v1
	v_or_b32_e32 v23, 5, v21
	v_cmp_gt_u32_e64 s0, s21, v19
	v_cmp_gt_u32_e64 s4, s21, v20
	v_or_b32_e32 v19, 4, v21
	v_or_b32_e32 v24, 3, v21
	v_cmp_gt_u32_e64 s5, s21, v23
	s_and_b32 s0, s0, vcc_lo
	v_cmp_ne_u32_e32 vcc_lo, v3, v4
	v_cndmask_b32_e64 v20, 0, 1, s0
	s_and_b32 s0, s4, s1
	v_cmp_ne_u32_e64 s1, v6, v3
	v_cndmask_b32_e64 v23, 0, 1, s0
	v_cmp_gt_u32_e64 s0, s21, v19
	v_or_b32_e32 v25, 1, v21
	s_and_b32 s4, s5, vcc_lo
	v_cmp_gt_u32_e32 vcc_lo, s21, v24
	v_cndmask_b32_e64 v19, 0, 1, s4
	s_and_b32 s0, s0, s1
	v_or_b32_e32 v27, 2, v21
	v_cndmask_b32_e64 v26, 0, 1, s0
	v_cmp_ne_u32_e64 s0, v5, v6
	v_cmp_gt_u32_e64 s1, s21, v25
	v_cmp_ne_u32_e64 s4, v7, v8
	v_cmp_gt_u32_e64 s5, s21, v27
	v_cmp_ne_u32_e64 s6, v8, v5
	s_and_b32 s0, vcc_lo, s0
	v_lshlrev_b16 v19, 8, v19
	v_cndmask_b32_e64 v24, 0, 1, s0
	s_and_b32 s0, s1, s4
	v_lshlrev_b16 v20, 8, v20
	v_cndmask_b32_e64 v25, 0, 1, s0
	s_and_b32 s0, s5, s6
	v_lshlrev_b16 v24, 8, v24
	v_cndmask_b32_e64 v27, 0, 1, s0
	v_or_b32_e32 v19, v26, v19
	v_lshlrev_b16 v25, 8, v25
	v_or_b32_e32 v20, v23, v20
	s_waitcnt lgkmcnt(0)
	v_or_b32_e32 v23, v27, v24
	v_and_b32_e32 v19, 0xffff, v19
	v_or_b32_e32 v24, 1, v25
	v_lshlrev_b32_e32 v20, 16, v20
	s_barrier
	v_lshlrev_b32_e32 v23, 16, v23
	buffer_gl0_inv
	v_and_b32_e32 v24, 0xffff, v24
	v_or_b32_e32 v20, v19, v20
                                        ; implicit-def: $sgpr0
	s_delay_alu instid0(VALU_DEP_2)
	v_or_b32_e32 v19, v24, v23
	s_and_saveexec_b32 s1, s3
	s_cbranch_execz .LBB1123_62
; %bb.61:
	v_add_nc_u32_e32 v22, -4, v22
	v_cmp_gt_u32_e32 vcc_lo, s21, v21
	s_or_b32 s14, s14, exec_lo
	ds_load_b32 v22, v22
	s_waitcnt lgkmcnt(0)
	v_cmp_ne_u32_e64 s0, v22, v7
	s_delay_alu instid0(VALU_DEP_1) | instskip(NEXT) | instid1(SALU_CYCLE_1)
	s_and_b32 s0, vcc_lo, s0
	s_and_b32 s0, s0, exec_lo
.LBB1123_62:
	s_or_b32 exec_lo, exec_lo, s1
.LBB1123_63:
	s_and_saveexec_b32 s1, s14
	s_cbranch_execz .LBB1123_65
; %bb.64:
	s_waitcnt vmcnt(0) lgkmcnt(1)
	v_and_b32_e32 v22, 0xffffff00, v19
	v_cndmask_b32_e64 v23, 0, 1, s0
	s_delay_alu instid0(VALU_DEP_1) | instskip(NEXT) | instid1(VALU_DEP_1)
	v_or_b32_e32 v22, v23, v22
	v_and_b32_e32 v22, 0xffff, v22
	s_delay_alu instid0(VALU_DEP_1)
	v_and_or_b32 v19, 0xffff0000, v19, v22
.LBB1123_65:
	s_or_b32 exec_lo, exec_lo, s1
	s_delay_alu instid0(SALU_CYCLE_1)
	s_and_not1_b32 vcc_lo, exec_lo, s22
	s_cbranch_vccnz .LBB1123_67
; %bb.66:
	v_cmp_gt_u32_e32 vcc_lo, s21, v21
	v_or_b32_e32 v23, 1, v21
	v_and_b32_e32 v24, 0xffffff00, v20
	v_or_b32_e32 v25, 2, v21
	s_waitcnt vmcnt(0) lgkmcnt(1)
	v_cndmask_b32_e32 v22, 0, v19, vcc_lo
	v_cmp_gt_u32_e32 vcc_lo, s21, v23
	v_or_b32_e32 v23, 4, v21
	v_cmp_gt_u32_e64 s0, s21, v25
	v_or_b32_e32 v25, 3, v21
	v_and_b32_e32 v22, 0xff, v22
	s_delay_alu instid0(VALU_DEP_2) | instskip(NEXT) | instid1(VALU_DEP_2)
	v_cmp_gt_u32_e64 s1, s21, v25
	v_cndmask_b32_e32 v22, v22, v19, vcc_lo
	v_cmp_gt_u32_e32 vcc_lo, s21, v23
	s_delay_alu instid0(VALU_DEP_2) | instskip(SKIP_1) | instid1(VALU_DEP_2)
	v_dual_cndmask_b32 v23, v24, v20 :: v_dual_and_b32 v22, 0xffff, v22
	v_or_b32_e32 v24, 5, v21
	v_cndmask_b32_e64 v22, v22, v19, s0
	s_delay_alu instid0(VALU_DEP_3) | instskip(NEXT) | instid1(VALU_DEP_3)
	v_and_b32_e32 v23, 0xffff00ff, v23
	v_cmp_gt_u32_e64 s0, s21, v24
	v_or_b32_e32 v24, 6, v21
	v_or_b32_e32 v21, 7, v21
	v_and_b32_e32 v22, 0xffffff, v22
	s_delay_alu instid0(VALU_DEP_4) | instskip(NEXT) | instid1(VALU_DEP_2)
	v_cndmask_b32_e64 v23, v23, v20, s0
	v_cndmask_b32_e64 v22, v22, v19, s1
	s_delay_alu instid0(VALU_DEP_2) | instskip(NEXT) | instid1(VALU_DEP_2)
	v_and_b32_e32 v23, 0xff00ffff, v23
	v_cndmask_b32_e32 v22, v22, v19, vcc_lo
	v_cmp_gt_u32_e32 vcc_lo, s21, v24
	s_delay_alu instid0(VALU_DEP_2) | instskip(NEXT) | instid1(VALU_DEP_1)
	v_cndmask_b32_e64 v22, v22, v19, s0
	v_dual_cndmask_b32 v23, v23, v20 :: v_dual_cndmask_b32 v22, v22, v19
	s_delay_alu instid0(VALU_DEP_1) | instskip(SKIP_1) | instid1(VALU_DEP_2)
	v_and_b32_e32 v23, 0xffffff, v23
	v_cmp_gt_u32_e32 vcc_lo, s21, v21
	v_dual_cndmask_b32 v20, v23, v20 :: v_dual_cndmask_b32 v19, v22, v19
.LBB1123_67:
	s_delay_alu instid0(VALU_DEP_1) | instskip(NEXT) | instid1(VALU_DEP_2)
	v_and_b32_e32 v30, 0xff, v19
	v_alignbit_b32 v21, v20, v19, 24
	v_bfe_u32 v32, v19, 8, 8
	v_bfe_u32 v34, v19, 16, 8
	v_and_b32_e32 v38, 0xff, v20
	v_bfe_u32 v40, v20, 8, 8
	v_and_b32_e32 v36, 0xff, v21
	v_add_nc_u32_e32 v21, v32, v30
	s_waitcnt vmcnt(0) lgkmcnt(1)
	v_and_b32_e32 v22, 0x1e0, v0
	v_mbcnt_lo_u32_b32 v43, -1, 0
	v_bfe_u32 v42, v20, 16, 8
	v_lshrrev_b32_e32 v41, 24, v20
	v_add3_u32 v21, v21, v34, v36
	v_min_u32_e32 v22, 0x160, v22
	v_and_b32_e32 v23, 15, v43
	v_lshrrev_b32_e32 v44, 5, v0
	s_and_b32 vcc_lo, exec_lo, s9
	v_add3_u32 v21, v21, v38, v40
	v_or_b32_e32 v22, 31, v22
	v_cmp_eq_u32_e64 s3, 0, v23
	v_cmp_lt_u32_e64 s4, 1, v23
	v_cmp_lt_u32_e64 s1, 3, v23
	v_add3_u32 v45, v21, v42, v41
	v_and_b32_e32 v21, 16, v43
	v_cmp_lt_u32_e64 s0, 7, v23
	v_cmp_eq_u32_e64 s5, v22, v0
	s_mov_b32 s7, -1
	s_waitcnt lgkmcnt(0)
	v_cmp_eq_u32_e64 s6, 0, v21
	s_barrier
	buffer_gl0_inv
	s_cbranch_vccz .LBB1123_98
; %bb.68:
	v_mov_b32_dpp v21, v45 row_shr:1 row_mask:0xf bank_mask:0xf
	s_delay_alu instid0(VALU_DEP_1) | instskip(NEXT) | instid1(VALU_DEP_1)
	v_cndmask_b32_e64 v21, v21, 0, s3
	v_add_nc_u32_e32 v21, v21, v45
	s_delay_alu instid0(VALU_DEP_1) | instskip(NEXT) | instid1(VALU_DEP_1)
	v_mov_b32_dpp v22, v21 row_shr:2 row_mask:0xf bank_mask:0xf
	v_cndmask_b32_e64 v22, 0, v22, s4
	s_delay_alu instid0(VALU_DEP_1) | instskip(NEXT) | instid1(VALU_DEP_1)
	v_add_nc_u32_e32 v21, v21, v22
	v_mov_b32_dpp v22, v21 row_shr:4 row_mask:0xf bank_mask:0xf
	s_delay_alu instid0(VALU_DEP_1) | instskip(NEXT) | instid1(VALU_DEP_1)
	v_cndmask_b32_e64 v22, 0, v22, s1
	v_add_nc_u32_e32 v21, v21, v22
	s_delay_alu instid0(VALU_DEP_1) | instskip(NEXT) | instid1(VALU_DEP_1)
	v_mov_b32_dpp v22, v21 row_shr:8 row_mask:0xf bank_mask:0xf
	v_cndmask_b32_e64 v22, 0, v22, s0
	s_delay_alu instid0(VALU_DEP_1) | instskip(SKIP_3) | instid1(VALU_DEP_1)
	v_add_nc_u32_e32 v21, v21, v22
	ds_swizzle_b32 v22, v21 offset:swizzle(BROADCAST,32,15)
	s_waitcnt lgkmcnt(0)
	v_cndmask_b32_e64 v22, v22, 0, s6
	v_add_nc_u32_e32 v21, v21, v22
	s_and_saveexec_b32 s7, s5
	s_cbranch_execz .LBB1123_70
; %bb.69:
	v_lshlrev_b32_e32 v22, 2, v44
	ds_store_b32 v22, v21
.LBB1123_70:
	s_or_b32 exec_lo, exec_lo, s7
	s_delay_alu instid0(SALU_CYCLE_1)
	s_mov_b32 s7, exec_lo
	s_waitcnt lgkmcnt(0)
	s_barrier
	buffer_gl0_inv
	v_cmpx_gt_u32_e32 12, v0
	s_cbranch_execz .LBB1123_72
; %bb.71:
	v_lshlrev_b32_e32 v22, 2, v0
	ds_load_b32 v23, v22
	s_waitcnt lgkmcnt(0)
	v_mov_b32_dpp v24, v23 row_shr:1 row_mask:0xf bank_mask:0xf
	s_delay_alu instid0(VALU_DEP_1) | instskip(NEXT) | instid1(VALU_DEP_1)
	v_cndmask_b32_e64 v24, v24, 0, s3
	v_add_nc_u32_e32 v23, v24, v23
	s_delay_alu instid0(VALU_DEP_1) | instskip(NEXT) | instid1(VALU_DEP_1)
	v_mov_b32_dpp v24, v23 row_shr:2 row_mask:0xf bank_mask:0xf
	v_cndmask_b32_e64 v24, 0, v24, s4
	s_delay_alu instid0(VALU_DEP_1) | instskip(NEXT) | instid1(VALU_DEP_1)
	v_add_nc_u32_e32 v23, v23, v24
	v_mov_b32_dpp v24, v23 row_shr:4 row_mask:0xf bank_mask:0xf
	s_delay_alu instid0(VALU_DEP_1) | instskip(NEXT) | instid1(VALU_DEP_1)
	v_cndmask_b32_e64 v24, 0, v24, s1
	v_add_nc_u32_e32 v23, v23, v24
	s_delay_alu instid0(VALU_DEP_1) | instskip(NEXT) | instid1(VALU_DEP_1)
	v_mov_b32_dpp v24, v23 row_shr:8 row_mask:0xf bank_mask:0xf
	v_cndmask_b32_e64 v24, 0, v24, s0
	s_delay_alu instid0(VALU_DEP_1)
	v_add_nc_u32_e32 v23, v23, v24
	ds_store_b32 v22, v23
.LBB1123_72:
	s_or_b32 exec_lo, exec_lo, s7
	v_cmp_gt_u32_e32 vcc_lo, 32, v0
	s_mov_b32 s8, exec_lo
	s_waitcnt lgkmcnt(0)
	s_barrier
	buffer_gl0_inv
                                        ; implicit-def: $vgpr29
	v_cmpx_lt_u32_e32 31, v0
	s_cbranch_execz .LBB1123_74
; %bb.73:
	v_lshl_add_u32 v22, v44, 2, -4
	ds_load_b32 v29, v22
	s_waitcnt lgkmcnt(0)
	v_add_nc_u32_e32 v21, v29, v21
.LBB1123_74:
	s_or_b32 exec_lo, exec_lo, s8
	v_add_nc_u32_e32 v22, -1, v43
	s_delay_alu instid0(VALU_DEP_1) | instskip(NEXT) | instid1(VALU_DEP_1)
	v_cmp_gt_i32_e64 s7, 0, v22
	v_cndmask_b32_e64 v22, v22, v43, s7
	v_cmp_eq_u32_e64 s7, 0, v43
	s_delay_alu instid0(VALU_DEP_2)
	v_lshlrev_b32_e32 v22, 2, v22
	ds_bpermute_b32 v31, v22, v21
	s_and_saveexec_b32 s8, vcc_lo
	s_cbranch_execz .LBB1123_97
; %bb.75:
	v_mov_b32_e32 v25, 0
	ds_load_b32 v21, v25 offset:44
	s_and_saveexec_b32 s9, s7
	s_cbranch_execz .LBB1123_77
; %bb.76:
	s_add_i32 s14, s20, 32
	s_mov_b32 s15, 0
	v_mov_b32_e32 v22, 1
	s_lshl_b64 s[14:15], s[14:15], 3
	s_delay_alu instid0(SALU_CYCLE_1)
	s_add_u32 s14, s16, s14
	s_addc_u32 s15, s17, s15
	s_waitcnt lgkmcnt(0)
	global_store_b64 v25, v[21:22], s[14:15]
.LBB1123_77:
	s_or_b32 exec_lo, exec_lo, s9
	v_xad_u32 v23, v43, -1, s20
	s_mov_b32 s14, 0
	s_mov_b32 s9, exec_lo
	s_delay_alu instid0(VALU_DEP_1) | instskip(NEXT) | instid1(VALU_DEP_1)
	v_add_nc_u32_e32 v24, 32, v23
	v_lshlrev_b64 v[24:25], 3, v[24:25]
	s_delay_alu instid0(VALU_DEP_1) | instskip(NEXT) | instid1(VALU_DEP_2)
	v_add_co_u32 v27, vcc_lo, s16, v24
	v_add_co_ci_u32_e32 v28, vcc_lo, s17, v25, vcc_lo
	global_load_b64 v[25:26], v[27:28], off glc
	s_waitcnt vmcnt(0)
	v_and_b32_e32 v22, 0xff, v26
	s_delay_alu instid0(VALU_DEP_1)
	v_cmpx_eq_u16_e32 0, v22
	s_cbranch_execz .LBB1123_83
; %bb.78:
	s_mov_b32 s15, 1
	.p2align	6
.LBB1123_79:                            ; =>This Loop Header: Depth=1
                                        ;     Child Loop BB1123_80 Depth 2
	s_delay_alu instid0(SALU_CYCLE_1)
	s_max_u32 s21, s15, 1
.LBB1123_80:                            ;   Parent Loop BB1123_79 Depth=1
                                        ; =>  This Inner Loop Header: Depth=2
	s_delay_alu instid0(SALU_CYCLE_1)
	s_add_i32 s21, s21, -1
	s_sleep 1
	s_cmp_eq_u32 s21, 0
	s_cbranch_scc0 .LBB1123_80
; %bb.81:                               ;   in Loop: Header=BB1123_79 Depth=1
	global_load_b64 v[25:26], v[27:28], off glc
	s_cmp_lt_u32 s15, 32
	s_cselect_b32 s21, -1, 0
	s_delay_alu instid0(SALU_CYCLE_1) | instskip(SKIP_3) | instid1(VALU_DEP_1)
	s_cmp_lg_u32 s21, 0
	s_addc_u32 s15, s15, 0
	s_waitcnt vmcnt(0)
	v_and_b32_e32 v22, 0xff, v26
	v_cmp_ne_u16_e32 vcc_lo, 0, v22
	s_or_b32 s14, vcc_lo, s14
	s_delay_alu instid0(SALU_CYCLE_1)
	s_and_not1_b32 exec_lo, exec_lo, s14
	s_cbranch_execnz .LBB1123_79
; %bb.82:
	s_or_b32 exec_lo, exec_lo, s14
.LBB1123_83:
	s_delay_alu instid0(SALU_CYCLE_1)
	s_or_b32 exec_lo, exec_lo, s9
	v_cmp_ne_u32_e32 vcc_lo, 31, v43
	v_lshlrev_b32_e64 v35, v43, -1
	v_add_nc_u32_e32 v39, 2, v43
	v_add_nc_u32_e32 v47, 4, v43
	;; [unrolled: 1-line block ×3, first 2 shown]
	v_add_co_ci_u32_e32 v22, vcc_lo, 0, v43, vcc_lo
	v_add_nc_u32_e32 v51, 16, v43
	s_delay_alu instid0(VALU_DEP_2)
	v_lshlrev_b32_e32 v33, 2, v22
	v_and_b32_e32 v22, 0xff, v26
	ds_bpermute_b32 v24, v33, v25
	v_cmp_eq_u16_e32 vcc_lo, 2, v22
	v_and_or_b32 v22, vcc_lo, v35, 0x80000000
	v_cmp_gt_u32_e32 vcc_lo, 30, v43
	s_delay_alu instid0(VALU_DEP_2) | instskip(SKIP_1) | instid1(VALU_DEP_2)
	v_ctz_i32_b32_e32 v22, v22
	v_cndmask_b32_e64 v27, 0, 1, vcc_lo
	v_cmp_lt_u32_e32 vcc_lo, v43, v22
	s_waitcnt lgkmcnt(0)
	s_delay_alu instid0(VALU_DEP_2) | instskip(NEXT) | instid1(VALU_DEP_1)
	v_dual_cndmask_b32 v24, 0, v24 :: v_dual_lshlrev_b32 v27, 1, v27
	v_add_lshl_u32 v37, v27, v43, 2
	v_cmp_gt_u32_e32 vcc_lo, 28, v43
	s_delay_alu instid0(VALU_DEP_3) | instskip(SKIP_4) | instid1(VALU_DEP_1)
	v_add_nc_u32_e32 v24, v24, v25
	v_cndmask_b32_e64 v27, 0, 1, vcc_lo
	v_cmp_le_u32_e32 vcc_lo, v39, v22
	ds_bpermute_b32 v25, v37, v24
	v_lshlrev_b32_e32 v27, 2, v27
	v_add_lshl_u32 v46, v27, v43, 2
	s_waitcnt lgkmcnt(0)
	v_cndmask_b32_e32 v25, 0, v25, vcc_lo
	v_cmp_gt_u32_e32 vcc_lo, 24, v43
	s_delay_alu instid0(VALU_DEP_2) | instskip(SKIP_4) | instid1(VALU_DEP_1)
	v_add_nc_u32_e32 v24, v24, v25
	v_cndmask_b32_e64 v27, 0, 1, vcc_lo
	v_cmp_le_u32_e32 vcc_lo, v47, v22
	ds_bpermute_b32 v25, v46, v24
	v_lshlrev_b32_e32 v27, 3, v27
	v_add_lshl_u32 v48, v27, v43, 2
	s_waitcnt lgkmcnt(0)
	v_cndmask_b32_e32 v25, 0, v25, vcc_lo
	v_cmp_gt_u32_e32 vcc_lo, 16, v43
	s_delay_alu instid0(VALU_DEP_2) | instskip(SKIP_4) | instid1(VALU_DEP_1)
	v_add_nc_u32_e32 v24, v24, v25
	v_cndmask_b32_e64 v27, 0, 1, vcc_lo
	v_cmp_le_u32_e32 vcc_lo, v49, v22
	ds_bpermute_b32 v25, v48, v24
	v_lshlrev_b32_e32 v27, 4, v27
	v_add_lshl_u32 v50, v27, v43, 2
	s_waitcnt lgkmcnt(0)
	v_cndmask_b32_e32 v25, 0, v25, vcc_lo
	v_cmp_le_u32_e32 vcc_lo, v51, v22
	s_delay_alu instid0(VALU_DEP_2) | instskip(SKIP_3) | instid1(VALU_DEP_1)
	v_add_nc_u32_e32 v24, v24, v25
	ds_bpermute_b32 v25, v50, v24
	s_waitcnt lgkmcnt(0)
	v_cndmask_b32_e32 v22, 0, v25, vcc_lo
	v_dual_mov_b32 v24, 0 :: v_dual_add_nc_u32 v25, v24, v22
	s_branch .LBB1123_85
.LBB1123_84:                            ;   in Loop: Header=BB1123_85 Depth=1
	s_or_b32 exec_lo, exec_lo, s9
	ds_bpermute_b32 v28, v33, v25
	v_and_b32_e32 v27, 0xff, v26
	v_subrev_nc_u32_e32 v23, 32, v23
	s_delay_alu instid0(VALU_DEP_2) | instskip(SKIP_1) | instid1(VALU_DEP_1)
	v_cmp_eq_u16_e32 vcc_lo, 2, v27
	v_and_or_b32 v27, vcc_lo, v35, 0x80000000
	v_ctz_i32_b32_e32 v27, v27
	s_delay_alu instid0(VALU_DEP_1) | instskip(SKIP_3) | instid1(VALU_DEP_2)
	v_cmp_lt_u32_e32 vcc_lo, v43, v27
	s_waitcnt lgkmcnt(0)
	v_cndmask_b32_e32 v28, 0, v28, vcc_lo
	v_cmp_le_u32_e32 vcc_lo, v39, v27
	v_add_nc_u32_e32 v25, v28, v25
	ds_bpermute_b32 v28, v37, v25
	s_waitcnt lgkmcnt(0)
	v_cndmask_b32_e32 v28, 0, v28, vcc_lo
	v_cmp_le_u32_e32 vcc_lo, v47, v27
	s_delay_alu instid0(VALU_DEP_2) | instskip(SKIP_4) | instid1(VALU_DEP_2)
	v_add_nc_u32_e32 v25, v25, v28
	ds_bpermute_b32 v28, v46, v25
	s_waitcnt lgkmcnt(0)
	v_cndmask_b32_e32 v28, 0, v28, vcc_lo
	v_cmp_le_u32_e32 vcc_lo, v49, v27
	v_add_nc_u32_e32 v25, v25, v28
	ds_bpermute_b32 v28, v48, v25
	s_waitcnt lgkmcnt(0)
	v_cndmask_b32_e32 v28, 0, v28, vcc_lo
	v_cmp_le_u32_e32 vcc_lo, v51, v27
	s_delay_alu instid0(VALU_DEP_2) | instskip(SKIP_3) | instid1(VALU_DEP_1)
	v_add_nc_u32_e32 v25, v25, v28
	ds_bpermute_b32 v28, v50, v25
	s_waitcnt lgkmcnt(0)
	v_cndmask_b32_e32 v27, 0, v28, vcc_lo
	v_add3_u32 v25, v27, v22, v25
.LBB1123_85:                            ; =>This Loop Header: Depth=1
                                        ;     Child Loop BB1123_88 Depth 2
                                        ;       Child Loop BB1123_89 Depth 3
	v_and_b32_e32 v22, 0xff, v26
	s_delay_alu instid0(VALU_DEP_1) | instskip(SKIP_2) | instid1(VALU_DEP_1)
	v_cmp_ne_u16_e32 vcc_lo, 2, v22
	v_cndmask_b32_e64 v22, 0, 1, vcc_lo
	;;#ASMSTART
	;;#ASMEND
	v_cmp_ne_u32_e32 vcc_lo, 0, v22
	v_mov_b32_e32 v22, v25
	s_cmp_lg_u32 vcc_lo, exec_lo
	s_cbranch_scc1 .LBB1123_92
; %bb.86:                               ;   in Loop: Header=BB1123_85 Depth=1
	v_lshlrev_b64 v[25:26], 3, v[23:24]
	s_mov_b32 s9, exec_lo
	s_delay_alu instid0(VALU_DEP_1) | instskip(NEXT) | instid1(VALU_DEP_2)
	v_add_co_u32 v27, vcc_lo, s16, v25
	v_add_co_ci_u32_e32 v28, vcc_lo, s17, v26, vcc_lo
	global_load_b64 v[25:26], v[27:28], off glc
	s_waitcnt vmcnt(0)
	v_and_b32_e32 v52, 0xff, v26
	s_delay_alu instid0(VALU_DEP_1)
	v_cmpx_eq_u16_e32 0, v52
	s_cbranch_execz .LBB1123_84
; %bb.87:                               ;   in Loop: Header=BB1123_85 Depth=1
	s_mov_b32 s15, 1
	s_mov_b32 s14, 0
	.p2align	6
.LBB1123_88:                            ;   Parent Loop BB1123_85 Depth=1
                                        ; =>  This Loop Header: Depth=2
                                        ;       Child Loop BB1123_89 Depth 3
	s_max_u32 s21, s15, 1
.LBB1123_89:                            ;   Parent Loop BB1123_85 Depth=1
                                        ;     Parent Loop BB1123_88 Depth=2
                                        ; =>    This Inner Loop Header: Depth=3
	s_delay_alu instid0(SALU_CYCLE_1)
	s_add_i32 s21, s21, -1
	s_sleep 1
	s_cmp_eq_u32 s21, 0
	s_cbranch_scc0 .LBB1123_89
; %bb.90:                               ;   in Loop: Header=BB1123_88 Depth=2
	global_load_b64 v[25:26], v[27:28], off glc
	s_cmp_lt_u32 s15, 32
	s_cselect_b32 s21, -1, 0
	s_delay_alu instid0(SALU_CYCLE_1) | instskip(SKIP_3) | instid1(VALU_DEP_1)
	s_cmp_lg_u32 s21, 0
	s_addc_u32 s15, s15, 0
	s_waitcnt vmcnt(0)
	v_and_b32_e32 v52, 0xff, v26
	v_cmp_ne_u16_e32 vcc_lo, 0, v52
	s_or_b32 s14, vcc_lo, s14
	s_delay_alu instid0(SALU_CYCLE_1)
	s_and_not1_b32 exec_lo, exec_lo, s14
	s_cbranch_execnz .LBB1123_88
; %bb.91:                               ;   in Loop: Header=BB1123_85 Depth=1
	s_or_b32 exec_lo, exec_lo, s14
	s_branch .LBB1123_84
.LBB1123_92:                            ;   in Loop: Header=BB1123_85 Depth=1
                                        ; implicit-def: $vgpr25
                                        ; implicit-def: $vgpr26
	s_cbranch_execz .LBB1123_85
; %bb.93:
	s_and_saveexec_b32 s9, s7
	s_cbranch_execz .LBB1123_95
; %bb.94:
	s_add_i32 s14, s20, 32
	s_mov_b32 s15, 0
	v_dual_mov_b32 v24, 2 :: v_dual_add_nc_u32 v23, v22, v21
	s_lshl_b64 s[14:15], s[14:15], 3
	v_mov_b32_e32 v25, 0
	s_add_u32 s14, s16, s14
	s_addc_u32 s15, s17, s15
	global_store_b64 v25, v[23:24], s[14:15]
	ds_store_b64 v25, v[21:22] offset:12672
.LBB1123_95:
	s_or_b32 exec_lo, exec_lo, s9
	s_delay_alu instid0(SALU_CYCLE_1)
	s_and_b32 exec_lo, exec_lo, s2
	s_cbranch_execz .LBB1123_97
; %bb.96:
	v_mov_b32_e32 v21, 0
	ds_store_b32 v21, v22 offset:44
.LBB1123_97:
	s_or_b32 exec_lo, exec_lo, s8
	v_mov_b32_e32 v21, 0
	s_waitcnt lgkmcnt(0)
	s_waitcnt_vscnt null, 0x0
	s_barrier
	buffer_gl0_inv
	v_cndmask_b32_e64 v23, v31, v29, s7
	ds_load_b32 v22, v21 offset:44
	s_waitcnt lgkmcnt(0)
	s_barrier
	buffer_gl0_inv
	v_cndmask_b32_e64 v23, v23, 0, s2
	s_delay_alu instid0(VALU_DEP_1) | instskip(SKIP_2) | instid1(VALU_DEP_1)
	v_add_nc_u32_e32 v39, v22, v23
	ds_load_b64 v[21:22], v21 offset:12672
	v_add_nc_u32_e32 v37, v39, v30
	v_add_nc_u32_e32 v35, v37, v32
	s_delay_alu instid0(VALU_DEP_1) | instskip(NEXT) | instid1(VALU_DEP_1)
	v_add_nc_u32_e32 v33, v35, v34
	v_add_nc_u32_e32 v31, v33, v36
	s_delay_alu instid0(VALU_DEP_1) | instskip(NEXT) | instid1(VALU_DEP_1)
	v_add_nc_u32_e32 v29, v31, v38
	v_add_nc_u32_e32 v27, v29, v40
	s_delay_alu instid0(VALU_DEP_1)
	v_add_nc_u32_e32 v25, v27, v42
	v_lshrrev_b64 v[23:24], 24, v[19:20]
	s_branch .LBB1123_108
.LBB1123_98:
                                        ; implicit-def: $vgpr25
                                        ; implicit-def: $vgpr27
                                        ; implicit-def: $vgpr29
                                        ; implicit-def: $vgpr31
                                        ; implicit-def: $vgpr33
                                        ; implicit-def: $vgpr35
                                        ; implicit-def: $vgpr37
                                        ; implicit-def: $vgpr39
                                        ; implicit-def: $vgpr22
	v_lshrrev_b64 v[23:24], 24, v[19:20]
	s_and_b32 vcc_lo, exec_lo, s7
	s_cbranch_vccz .LBB1123_108
; %bb.99:
	s_waitcnt lgkmcnt(0)
	v_mov_b32_dpp v21, v45 row_shr:1 row_mask:0xf bank_mask:0xf
	s_delay_alu instid0(VALU_DEP_1) | instskip(NEXT) | instid1(VALU_DEP_1)
	v_cndmask_b32_e64 v21, v21, 0, s3
	v_add_nc_u32_e32 v21, v21, v45
	s_delay_alu instid0(VALU_DEP_1) | instskip(NEXT) | instid1(VALU_DEP_1)
	v_mov_b32_dpp v22, v21 row_shr:2 row_mask:0xf bank_mask:0xf
	v_cndmask_b32_e64 v22, 0, v22, s4
	s_delay_alu instid0(VALU_DEP_1) | instskip(NEXT) | instid1(VALU_DEP_1)
	v_add_nc_u32_e32 v21, v21, v22
	v_mov_b32_dpp v22, v21 row_shr:4 row_mask:0xf bank_mask:0xf
	s_delay_alu instid0(VALU_DEP_1) | instskip(NEXT) | instid1(VALU_DEP_1)
	v_cndmask_b32_e64 v22, 0, v22, s1
	v_add_nc_u32_e32 v21, v21, v22
	s_delay_alu instid0(VALU_DEP_1) | instskip(NEXT) | instid1(VALU_DEP_1)
	v_mov_b32_dpp v22, v21 row_shr:8 row_mask:0xf bank_mask:0xf
	v_cndmask_b32_e64 v22, 0, v22, s0
	s_delay_alu instid0(VALU_DEP_1) | instskip(SKIP_3) | instid1(VALU_DEP_1)
	v_add_nc_u32_e32 v21, v21, v22
	ds_swizzle_b32 v22, v21 offset:swizzle(BROADCAST,32,15)
	s_waitcnt lgkmcnt(0)
	v_cndmask_b32_e64 v22, v22, 0, s6
	v_add_nc_u32_e32 v21, v21, v22
	s_and_saveexec_b32 s6, s5
	s_cbranch_execz .LBB1123_101
; %bb.100:
	v_lshlrev_b32_e32 v22, 2, v44
	ds_store_b32 v22, v21
.LBB1123_101:
	s_or_b32 exec_lo, exec_lo, s6
	s_delay_alu instid0(SALU_CYCLE_1)
	s_mov_b32 s5, exec_lo
	s_waitcnt lgkmcnt(0)
	s_barrier
	buffer_gl0_inv
	v_cmpx_gt_u32_e32 12, v0
	s_cbranch_execz .LBB1123_103
; %bb.102:
	v_lshlrev_b32_e32 v22, 2, v0
	ds_load_b32 v24, v22
	s_waitcnt lgkmcnt(0)
	v_mov_b32_dpp v25, v24 row_shr:1 row_mask:0xf bank_mask:0xf
	s_delay_alu instid0(VALU_DEP_1) | instskip(NEXT) | instid1(VALU_DEP_1)
	v_cndmask_b32_e64 v25, v25, 0, s3
	v_add_nc_u32_e32 v24, v25, v24
	s_delay_alu instid0(VALU_DEP_1) | instskip(NEXT) | instid1(VALU_DEP_1)
	v_mov_b32_dpp v25, v24 row_shr:2 row_mask:0xf bank_mask:0xf
	v_cndmask_b32_e64 v25, 0, v25, s4
	s_delay_alu instid0(VALU_DEP_1) | instskip(NEXT) | instid1(VALU_DEP_1)
	v_add_nc_u32_e32 v24, v24, v25
	v_mov_b32_dpp v25, v24 row_shr:4 row_mask:0xf bank_mask:0xf
	s_delay_alu instid0(VALU_DEP_1) | instskip(NEXT) | instid1(VALU_DEP_1)
	v_cndmask_b32_e64 v25, 0, v25, s1
	v_add_nc_u32_e32 v24, v24, v25
	s_delay_alu instid0(VALU_DEP_1) | instskip(NEXT) | instid1(VALU_DEP_1)
	v_mov_b32_dpp v25, v24 row_shr:8 row_mask:0xf bank_mask:0xf
	v_cndmask_b32_e64 v25, 0, v25, s0
	s_delay_alu instid0(VALU_DEP_1)
	v_add_nc_u32_e32 v24, v24, v25
	ds_store_b32 v22, v24
.LBB1123_103:
	s_or_b32 exec_lo, exec_lo, s5
	v_mov_b32_e32 v22, 0
	v_mov_b32_e32 v24, 0
	s_mov_b32 s0, exec_lo
	s_waitcnt lgkmcnt(0)
	s_barrier
	buffer_gl0_inv
	v_cmpx_lt_u32_e32 31, v0
	s_cbranch_execz .LBB1123_105
; %bb.104:
	v_lshl_add_u32 v24, v44, 2, -4
	ds_load_b32 v24, v24
.LBB1123_105:
	s_or_b32 exec_lo, exec_lo, s0
	v_add_nc_u32_e32 v25, -1, v43
	s_waitcnt lgkmcnt(0)
	v_add_nc_u32_e32 v21, v24, v21
	s_delay_alu instid0(VALU_DEP_2) | instskip(SKIP_1) | instid1(VALU_DEP_1)
	v_cmp_gt_i32_e32 vcc_lo, 0, v25
	v_cndmask_b32_e32 v25, v25, v43, vcc_lo
	v_lshlrev_b32_e32 v25, 2, v25
	ds_bpermute_b32 v25, v25, v21
	ds_load_b32 v21, v22 offset:44
	s_and_saveexec_b32 s0, s2
	s_cbranch_execz .LBB1123_107
; %bb.106:
	v_mov_b32_e32 v26, 0
	v_mov_b32_e32 v22, 2
	s_waitcnt lgkmcnt(0)
	global_store_b64 v26, v[21:22], s[16:17] offset:256
.LBB1123_107:
	s_or_b32 exec_lo, exec_lo, s0
	v_cmp_eq_u32_e32 vcc_lo, 0, v43
	s_waitcnt lgkmcnt(0)
	s_waitcnt_vscnt null, 0x0
	s_barrier
	buffer_gl0_inv
	v_cndmask_b32_e32 v22, v25, v24, vcc_lo
	s_delay_alu instid0(VALU_DEP_1) | instskip(NEXT) | instid1(VALU_DEP_1)
	v_cndmask_b32_e64 v39, v22, 0, s2
	v_dual_mov_b32 v22, 0 :: v_dual_add_nc_u32 v37, v39, v30
	s_delay_alu instid0(VALU_DEP_1) | instskip(NEXT) | instid1(VALU_DEP_1)
	v_add_nc_u32_e32 v35, v37, v32
	v_add_nc_u32_e32 v33, v35, v34
	s_delay_alu instid0(VALU_DEP_1) | instskip(NEXT) | instid1(VALU_DEP_1)
	v_add_nc_u32_e32 v31, v33, v36
	v_add_nc_u32_e32 v29, v31, v38
	;; [unrolled: 3-line block ×3, first 2 shown]
.LBB1123_108:
	s_waitcnt lgkmcnt(0)
	v_cmp_gt_u32_e32 vcc_lo, 0x181, v21
	v_lshrrev_b32_e32 v44, 8, v19
	v_lshrrev_b32_e32 v43, 16, v19
	;; [unrolled: 1-line block ×4, first 2 shown]
	v_cmp_lt_u32_e64 s0, 0x180, v21
	s_mov_b32 s1, -1
	s_cbranch_vccz .LBB1123_134
; %bb.109:
	v_lshlrev_b64 v[45:46], 2, v[9:10]
	v_add_nc_u32_e32 v26, v22, v21
	s_delay_alu instid0(VALU_DEP_1) | instskip(NEXT) | instid1(VALU_DEP_3)
	v_cmp_lt_u32_e32 vcc_lo, v39, v26
	v_add_co_u32 v45, s1, s10, v45
	s_delay_alu instid0(VALU_DEP_1) | instskip(SKIP_1) | instid1(SALU_CYCLE_1)
	v_add_co_ci_u32_e64 v46, s1, s11, v46, s1
	s_or_b32 s3, s19, vcc_lo
	s_and_saveexec_b32 s1, s3
	s_cbranch_execz .LBB1123_112
; %bb.110:
	v_and_b32_e32 v28, 1, v19
	s_delay_alu instid0(VALU_DEP_1)
	v_cmp_eq_u32_e32 vcc_lo, 1, v28
	s_and_b32 exec_lo, exec_lo, vcc_lo
	s_cbranch_execz .LBB1123_112
; %bb.111:
	v_mov_b32_e32 v40, 0
	s_delay_alu instid0(VALU_DEP_1) | instskip(NEXT) | instid1(VALU_DEP_1)
	v_lshlrev_b64 v[47:48], 2, v[39:40]
	v_add_co_u32 v47, vcc_lo, v45, v47
	s_delay_alu instid0(VALU_DEP_2)
	v_add_co_ci_u32_e32 v48, vcc_lo, v46, v48, vcc_lo
	global_store_b32 v[47:48], v7, off
.LBB1123_112:
	s_or_b32 exec_lo, exec_lo, s1
	v_cmp_lt_u32_e32 vcc_lo, v37, v26
	s_or_b32 s3, s19, vcc_lo
	s_delay_alu instid0(SALU_CYCLE_1)
	s_and_saveexec_b32 s1, s3
	s_cbranch_execz .LBB1123_115
; %bb.113:
	v_and_b32_e32 v28, 1, v44
	s_delay_alu instid0(VALU_DEP_1)
	v_cmp_eq_u32_e32 vcc_lo, 1, v28
	s_and_b32 exec_lo, exec_lo, vcc_lo
	s_cbranch_execz .LBB1123_115
; %bb.114:
	v_mov_b32_e32 v38, 0
	s_delay_alu instid0(VALU_DEP_1) | instskip(NEXT) | instid1(VALU_DEP_1)
	v_lshlrev_b64 v[47:48], 2, v[37:38]
	v_add_co_u32 v47, vcc_lo, v45, v47
	s_delay_alu instid0(VALU_DEP_2)
	v_add_co_ci_u32_e32 v48, vcc_lo, v46, v48, vcc_lo
	global_store_b32 v[47:48], v8, off
.LBB1123_115:
	s_or_b32 exec_lo, exec_lo, s1
	v_cmp_lt_u32_e32 vcc_lo, v35, v26
	s_or_b32 s3, s19, vcc_lo
	s_delay_alu instid0(SALU_CYCLE_1)
	;; [unrolled: 21-line block ×7, first 2 shown]
	s_and_saveexec_b32 s1, s3
	s_cbranch_execz .LBB1123_133
; %bb.131:
	v_and_b32_e32 v26, 1, v41
	s_delay_alu instid0(VALU_DEP_1)
	v_cmp_eq_u32_e32 vcc_lo, 1, v26
	s_and_b32 exec_lo, exec_lo, vcc_lo
	s_cbranch_execz .LBB1123_133
; %bb.132:
	v_mov_b32_e32 v26, 0
	s_delay_alu instid0(VALU_DEP_1) | instskip(NEXT) | instid1(VALU_DEP_1)
	v_lshlrev_b64 v[47:48], 2, v[25:26]
	v_add_co_u32 v45, vcc_lo, v45, v47
	s_delay_alu instid0(VALU_DEP_2)
	v_add_co_ci_u32_e32 v46, vcc_lo, v46, v48, vcc_lo
	global_store_b32 v[45:46], v2, off
.LBB1123_133:
	s_or_b32 exec_lo, exec_lo, s1
	s_mov_b32 s1, 0
.LBB1123_134:
	v_and_b32_e32 v19, 1, v19
	s_and_b32 vcc_lo, exec_lo, s1
	s_delay_alu instid0(VALU_DEP_1)
	v_cmp_eq_u32_e64 s1, 1, v19
	s_cbranch_vccz .LBB1123_155
; %bb.135:
	s_delay_alu instid0(VALU_DEP_1)
	s_and_saveexec_b32 s3, s1
	s_cbranch_execz .LBB1123_137
; %bb.136:
	v_sub_nc_u32_e32 v26, v39, v22
	s_delay_alu instid0(VALU_DEP_1)
	v_lshlrev_b32_e32 v26, 2, v26
	ds_store_b32 v26, v7
.LBB1123_137:
	s_or_b32 exec_lo, exec_lo, s3
	v_and_b32_e32 v7, 1, v44
	s_mov_b32 s1, exec_lo
	s_delay_alu instid0(VALU_DEP_1)
	v_cmpx_eq_u32_e32 1, v7
	s_cbranch_execz .LBB1123_139
; %bb.138:
	v_sub_nc_u32_e32 v7, v37, v22
	s_delay_alu instid0(VALU_DEP_1)
	v_lshlrev_b32_e32 v7, 2, v7
	ds_store_b32 v7, v8
.LBB1123_139:
	s_or_b32 exec_lo, exec_lo, s1
	v_and_b32_e32 v7, 1, v43
	s_mov_b32 s1, exec_lo
	s_delay_alu instid0(VALU_DEP_1)
	v_cmpx_eq_u32_e32 1, v7
	;; [unrolled: 12-line block ×7, first 2 shown]
	s_cbranch_execz .LBB1123_151
; %bb.150:
	v_sub_nc_u32_e32 v1, v25, v22
	s_delay_alu instid0(VALU_DEP_1)
	v_lshlrev_b32_e32 v1, 2, v1
	ds_store_b32 v1, v2
.LBB1123_151:
	s_or_b32 exec_lo, exec_lo, s1
	s_delay_alu instid0(SALU_CYCLE_1)
	s_mov_b32 s3, exec_lo
	s_waitcnt lgkmcnt(0)
	s_waitcnt_vscnt null, 0x0
	s_barrier
	buffer_gl0_inv
	v_cmpx_lt_u32_e64 v0, v21
	s_cbranch_execz .LBB1123_154
; %bb.152:
	v_dual_mov_b32 v1, 0 :: v_dual_mov_b32 v2, v22
	v_lshlrev_b64 v[4:5], 2, v[9:10]
	s_mov_b32 s4, 0
	s_delay_alu instid0(VALU_DEP_2) | instskip(NEXT) | instid1(VALU_DEP_2)
	v_mov_b32_e32 v3, v1
	v_add_co_u32 v4, vcc_lo, s10, v4
	s_delay_alu instid0(VALU_DEP_2) | instskip(NEXT) | instid1(VALU_DEP_4)
	v_lshlrev_b64 v[2:3], 2, v[2:3]
	v_add_co_ci_u32_e32 v5, vcc_lo, s11, v5, vcc_lo
	s_delay_alu instid0(VALU_DEP_2) | instskip(SKIP_1) | instid1(VALU_DEP_3)
	v_add_co_u32 v2, vcc_lo, v4, v2
	v_lshlrev_b32_e32 v4, 2, v0
	v_add_co_ci_u32_e32 v3, vcc_lo, v5, v3, vcc_lo
	.p2align	6
.LBB1123_153:                           ; =>This Inner Loop Header: Depth=1
	ds_load_b32 v7, v4
	v_lshlrev_b64 v[5:6], 2, v[0:1]
	v_add_nc_u32_e32 v0, 0x180, v0
	v_add_nc_u32_e32 v4, 0x600, v4
	s_delay_alu instid0(VALU_DEP_2) | instskip(NEXT) | instid1(VALU_DEP_4)
	v_cmp_ge_u32_e32 vcc_lo, v0, v21
	v_add_co_u32 v5, s1, v2, v5
	s_delay_alu instid0(VALU_DEP_1)
	v_add_co_ci_u32_e64 v6, s1, v3, v6, s1
	s_or_b32 s4, vcc_lo, s4
	s_waitcnt lgkmcnt(0)
	global_store_b32 v[5:6], v7, off
	s_and_not1_b32 exec_lo, exec_lo, s4
	s_cbranch_execnz .LBB1123_153
.LBB1123_154:
	s_or_b32 exec_lo, exec_lo, s3
.LBB1123_155:
	s_delay_alu instid0(SALU_CYCLE_1)
	s_and_not1_b32 vcc_lo, exec_lo, s0
	s_waitcnt_vscnt null, 0x0
	s_barrier
	buffer_gl0_inv
	s_cbranch_vccnz .LBB1123_174
; %bb.156:
	s_mov_b32 s0, exec_lo
	v_cmpx_eq_u32_e32 1, v19
	s_cbranch_execz .LBB1123_158
; %bb.157:
	v_sub_nc_u32_e32 v0, v39, v22
	s_delay_alu instid0(VALU_DEP_1)
	v_lshlrev_b32_e32 v0, 2, v0
	ds_store_b32 v0, v17
.LBB1123_158:
	s_or_b32 exec_lo, exec_lo, s0
	v_and_b32_e32 v0, 1, v44
	s_mov_b32 s0, exec_lo
	s_delay_alu instid0(VALU_DEP_1)
	v_cmpx_eq_u32_e32 1, v0
	s_cbranch_execz .LBB1123_160
; %bb.159:
	v_sub_nc_u32_e32 v0, v37, v22
	s_delay_alu instid0(VALU_DEP_1)
	v_lshlrev_b32_e32 v0, 2, v0
	ds_store_b32 v0, v18
.LBB1123_160:
	s_or_b32 exec_lo, exec_lo, s0
	v_and_b32_e32 v0, 1, v43
	s_mov_b32 s0, exec_lo
	s_delay_alu instid0(VALU_DEP_1)
	;; [unrolled: 12-line block ×7, first 2 shown]
	v_cmpx_eq_u32_e32 1, v0
	s_cbranch_execz .LBB1123_172
; %bb.171:
	v_sub_nc_u32_e32 v0, v25, v22
	s_delay_alu instid0(VALU_DEP_1)
	v_lshlrev_b32_e32 v0, 2, v0
	ds_store_b32 v0, v12
.LBB1123_172:
	s_or_b32 exec_lo, exec_lo, s0
	s_waitcnt lgkmcnt(0)
	s_barrier
	buffer_gl0_inv
	s_and_b32 s0, s2, s18
	s_delay_alu instid0(SALU_CYCLE_1)
	s_and_saveexec_b32 s1, s0
	s_cbranch_execnz .LBB1123_175
.LBB1123_173:
	s_endpgm
.LBB1123_174:
	s_and_b32 s0, s2, s18
	s_delay_alu instid0(SALU_CYCLE_1)
	s_and_saveexec_b32 s1, s0
	s_cbranch_execz .LBB1123_173
.LBB1123_175:
	v_add_co_u32 v0, vcc_lo, v9, v21
	v_add_co_ci_u32_e32 v1, vcc_lo, 0, v10, vcc_lo
	v_mov_b32_e32 v2, 0
	s_delay_alu instid0(VALU_DEP_3) | instskip(NEXT) | instid1(VALU_DEP_3)
	v_add_co_u32 v0, vcc_lo, v0, v22
	v_add_co_ci_u32_e32 v1, vcc_lo, 0, v1, vcc_lo
	global_store_b64 v2, v[0:1], s[12:13]
	s_nop 0
	s_sendmsg sendmsg(MSG_DEALLOC_VGPRS)
	s_endpgm
	.section	.rodata,"a",@progbits
	.p2align	6, 0x0
	.amdhsa_kernel _ZN7rocprim17ROCPRIM_400000_NS6detail17trampoline_kernelINS0_14default_configENS1_25partition_config_selectorILNS1_17partition_subalgoE9EijbEEZZNS1_14partition_implILS5_9ELb0ES3_jN6thrust23THRUST_200600_302600_NS6detail15normal_iteratorINS9_10device_ptrIiEEEENSB_INSC_IjEEEEPNS0_10empty_typeENS0_5tupleIJSE_SH_EEENSJ_IJNS9_16discard_iteratorINS9_11use_defaultEEESI_EEENS0_18inequality_wrapperINS9_8equal_toIiEEEEPmJSH_EEE10hipError_tPvRmT3_T4_T5_T6_T7_T9_mT8_P12ihipStream_tbDpT10_ENKUlT_T0_E_clISt17integral_constantIbLb1EES1D_EEDaS18_S19_EUlS18_E_NS1_11comp_targetILNS1_3genE9ELNS1_11target_archE1100ELNS1_3gpuE3ELNS1_3repE0EEENS1_30default_config_static_selectorELNS0_4arch9wavefront6targetE0EEEvT1_
		.amdhsa_group_segment_fixed_size 12680
		.amdhsa_private_segment_fixed_size 0
		.amdhsa_kernarg_size 136
		.amdhsa_user_sgpr_count 15
		.amdhsa_user_sgpr_dispatch_ptr 0
		.amdhsa_user_sgpr_queue_ptr 0
		.amdhsa_user_sgpr_kernarg_segment_ptr 1
		.amdhsa_user_sgpr_dispatch_id 0
		.amdhsa_user_sgpr_private_segment_size 0
		.amdhsa_wavefront_size32 1
		.amdhsa_uses_dynamic_stack 0
		.amdhsa_enable_private_segment 0
		.amdhsa_system_sgpr_workgroup_id_x 1
		.amdhsa_system_sgpr_workgroup_id_y 0
		.amdhsa_system_sgpr_workgroup_id_z 0
		.amdhsa_system_sgpr_workgroup_info 0
		.amdhsa_system_vgpr_workitem_id 0
		.amdhsa_next_free_vgpr 53
		.amdhsa_next_free_sgpr 26
		.amdhsa_reserve_vcc 1
		.amdhsa_float_round_mode_32 0
		.amdhsa_float_round_mode_16_64 0
		.amdhsa_float_denorm_mode_32 3
		.amdhsa_float_denorm_mode_16_64 3
		.amdhsa_dx10_clamp 1
		.amdhsa_ieee_mode 1
		.amdhsa_fp16_overflow 0
		.amdhsa_workgroup_processor_mode 1
		.amdhsa_memory_ordered 1
		.amdhsa_forward_progress 0
		.amdhsa_shared_vgpr_count 0
		.amdhsa_exception_fp_ieee_invalid_op 0
		.amdhsa_exception_fp_denorm_src 0
		.amdhsa_exception_fp_ieee_div_zero 0
		.amdhsa_exception_fp_ieee_overflow 0
		.amdhsa_exception_fp_ieee_underflow 0
		.amdhsa_exception_fp_ieee_inexact 0
		.amdhsa_exception_int_div_zero 0
	.end_amdhsa_kernel
	.section	.text._ZN7rocprim17ROCPRIM_400000_NS6detail17trampoline_kernelINS0_14default_configENS1_25partition_config_selectorILNS1_17partition_subalgoE9EijbEEZZNS1_14partition_implILS5_9ELb0ES3_jN6thrust23THRUST_200600_302600_NS6detail15normal_iteratorINS9_10device_ptrIiEEEENSB_INSC_IjEEEEPNS0_10empty_typeENS0_5tupleIJSE_SH_EEENSJ_IJNS9_16discard_iteratorINS9_11use_defaultEEESI_EEENS0_18inequality_wrapperINS9_8equal_toIiEEEEPmJSH_EEE10hipError_tPvRmT3_T4_T5_T6_T7_T9_mT8_P12ihipStream_tbDpT10_ENKUlT_T0_E_clISt17integral_constantIbLb1EES1D_EEDaS18_S19_EUlS18_E_NS1_11comp_targetILNS1_3genE9ELNS1_11target_archE1100ELNS1_3gpuE3ELNS1_3repE0EEENS1_30default_config_static_selectorELNS0_4arch9wavefront6targetE0EEEvT1_,"axG",@progbits,_ZN7rocprim17ROCPRIM_400000_NS6detail17trampoline_kernelINS0_14default_configENS1_25partition_config_selectorILNS1_17partition_subalgoE9EijbEEZZNS1_14partition_implILS5_9ELb0ES3_jN6thrust23THRUST_200600_302600_NS6detail15normal_iteratorINS9_10device_ptrIiEEEENSB_INSC_IjEEEEPNS0_10empty_typeENS0_5tupleIJSE_SH_EEENSJ_IJNS9_16discard_iteratorINS9_11use_defaultEEESI_EEENS0_18inequality_wrapperINS9_8equal_toIiEEEEPmJSH_EEE10hipError_tPvRmT3_T4_T5_T6_T7_T9_mT8_P12ihipStream_tbDpT10_ENKUlT_T0_E_clISt17integral_constantIbLb1EES1D_EEDaS18_S19_EUlS18_E_NS1_11comp_targetILNS1_3genE9ELNS1_11target_archE1100ELNS1_3gpuE3ELNS1_3repE0EEENS1_30default_config_static_selectorELNS0_4arch9wavefront6targetE0EEEvT1_,comdat
.Lfunc_end1123:
	.size	_ZN7rocprim17ROCPRIM_400000_NS6detail17trampoline_kernelINS0_14default_configENS1_25partition_config_selectorILNS1_17partition_subalgoE9EijbEEZZNS1_14partition_implILS5_9ELb0ES3_jN6thrust23THRUST_200600_302600_NS6detail15normal_iteratorINS9_10device_ptrIiEEEENSB_INSC_IjEEEEPNS0_10empty_typeENS0_5tupleIJSE_SH_EEENSJ_IJNS9_16discard_iteratorINS9_11use_defaultEEESI_EEENS0_18inequality_wrapperINS9_8equal_toIiEEEEPmJSH_EEE10hipError_tPvRmT3_T4_T5_T6_T7_T9_mT8_P12ihipStream_tbDpT10_ENKUlT_T0_E_clISt17integral_constantIbLb1EES1D_EEDaS18_S19_EUlS18_E_NS1_11comp_targetILNS1_3genE9ELNS1_11target_archE1100ELNS1_3gpuE3ELNS1_3repE0EEENS1_30default_config_static_selectorELNS0_4arch9wavefront6targetE0EEEvT1_, .Lfunc_end1123-_ZN7rocprim17ROCPRIM_400000_NS6detail17trampoline_kernelINS0_14default_configENS1_25partition_config_selectorILNS1_17partition_subalgoE9EijbEEZZNS1_14partition_implILS5_9ELb0ES3_jN6thrust23THRUST_200600_302600_NS6detail15normal_iteratorINS9_10device_ptrIiEEEENSB_INSC_IjEEEEPNS0_10empty_typeENS0_5tupleIJSE_SH_EEENSJ_IJNS9_16discard_iteratorINS9_11use_defaultEEESI_EEENS0_18inequality_wrapperINS9_8equal_toIiEEEEPmJSH_EEE10hipError_tPvRmT3_T4_T5_T6_T7_T9_mT8_P12ihipStream_tbDpT10_ENKUlT_T0_E_clISt17integral_constantIbLb1EES1D_EEDaS18_S19_EUlS18_E_NS1_11comp_targetILNS1_3genE9ELNS1_11target_archE1100ELNS1_3gpuE3ELNS1_3repE0EEENS1_30default_config_static_selectorELNS0_4arch9wavefront6targetE0EEEvT1_
                                        ; -- End function
	.section	.AMDGPU.csdata,"",@progbits
; Kernel info:
; codeLenInByte = 8608
; NumSgprs: 28
; NumVgprs: 53
; ScratchSize: 0
; MemoryBound: 0
; FloatMode: 240
; IeeeMode: 1
; LDSByteSize: 12680 bytes/workgroup (compile time only)
; SGPRBlocks: 3
; VGPRBlocks: 6
; NumSGPRsForWavesPerEU: 28
; NumVGPRsForWavesPerEU: 53
; Occupancy: 15
; WaveLimiterHint : 1
; COMPUTE_PGM_RSRC2:SCRATCH_EN: 0
; COMPUTE_PGM_RSRC2:USER_SGPR: 15
; COMPUTE_PGM_RSRC2:TRAP_HANDLER: 0
; COMPUTE_PGM_RSRC2:TGID_X_EN: 1
; COMPUTE_PGM_RSRC2:TGID_Y_EN: 0
; COMPUTE_PGM_RSRC2:TGID_Z_EN: 0
; COMPUTE_PGM_RSRC2:TIDIG_COMP_CNT: 0
	.section	.text._ZN7rocprim17ROCPRIM_400000_NS6detail17trampoline_kernelINS0_14default_configENS1_25partition_config_selectorILNS1_17partition_subalgoE9EijbEEZZNS1_14partition_implILS5_9ELb0ES3_jN6thrust23THRUST_200600_302600_NS6detail15normal_iteratorINS9_10device_ptrIiEEEENSB_INSC_IjEEEEPNS0_10empty_typeENS0_5tupleIJSE_SH_EEENSJ_IJNS9_16discard_iteratorINS9_11use_defaultEEESI_EEENS0_18inequality_wrapperINS9_8equal_toIiEEEEPmJSH_EEE10hipError_tPvRmT3_T4_T5_T6_T7_T9_mT8_P12ihipStream_tbDpT10_ENKUlT_T0_E_clISt17integral_constantIbLb1EES1D_EEDaS18_S19_EUlS18_E_NS1_11comp_targetILNS1_3genE8ELNS1_11target_archE1030ELNS1_3gpuE2ELNS1_3repE0EEENS1_30default_config_static_selectorELNS0_4arch9wavefront6targetE0EEEvT1_,"axG",@progbits,_ZN7rocprim17ROCPRIM_400000_NS6detail17trampoline_kernelINS0_14default_configENS1_25partition_config_selectorILNS1_17partition_subalgoE9EijbEEZZNS1_14partition_implILS5_9ELb0ES3_jN6thrust23THRUST_200600_302600_NS6detail15normal_iteratorINS9_10device_ptrIiEEEENSB_INSC_IjEEEEPNS0_10empty_typeENS0_5tupleIJSE_SH_EEENSJ_IJNS9_16discard_iteratorINS9_11use_defaultEEESI_EEENS0_18inequality_wrapperINS9_8equal_toIiEEEEPmJSH_EEE10hipError_tPvRmT3_T4_T5_T6_T7_T9_mT8_P12ihipStream_tbDpT10_ENKUlT_T0_E_clISt17integral_constantIbLb1EES1D_EEDaS18_S19_EUlS18_E_NS1_11comp_targetILNS1_3genE8ELNS1_11target_archE1030ELNS1_3gpuE2ELNS1_3repE0EEENS1_30default_config_static_selectorELNS0_4arch9wavefront6targetE0EEEvT1_,comdat
	.protected	_ZN7rocprim17ROCPRIM_400000_NS6detail17trampoline_kernelINS0_14default_configENS1_25partition_config_selectorILNS1_17partition_subalgoE9EijbEEZZNS1_14partition_implILS5_9ELb0ES3_jN6thrust23THRUST_200600_302600_NS6detail15normal_iteratorINS9_10device_ptrIiEEEENSB_INSC_IjEEEEPNS0_10empty_typeENS0_5tupleIJSE_SH_EEENSJ_IJNS9_16discard_iteratorINS9_11use_defaultEEESI_EEENS0_18inequality_wrapperINS9_8equal_toIiEEEEPmJSH_EEE10hipError_tPvRmT3_T4_T5_T6_T7_T9_mT8_P12ihipStream_tbDpT10_ENKUlT_T0_E_clISt17integral_constantIbLb1EES1D_EEDaS18_S19_EUlS18_E_NS1_11comp_targetILNS1_3genE8ELNS1_11target_archE1030ELNS1_3gpuE2ELNS1_3repE0EEENS1_30default_config_static_selectorELNS0_4arch9wavefront6targetE0EEEvT1_ ; -- Begin function _ZN7rocprim17ROCPRIM_400000_NS6detail17trampoline_kernelINS0_14default_configENS1_25partition_config_selectorILNS1_17partition_subalgoE9EijbEEZZNS1_14partition_implILS5_9ELb0ES3_jN6thrust23THRUST_200600_302600_NS6detail15normal_iteratorINS9_10device_ptrIiEEEENSB_INSC_IjEEEEPNS0_10empty_typeENS0_5tupleIJSE_SH_EEENSJ_IJNS9_16discard_iteratorINS9_11use_defaultEEESI_EEENS0_18inequality_wrapperINS9_8equal_toIiEEEEPmJSH_EEE10hipError_tPvRmT3_T4_T5_T6_T7_T9_mT8_P12ihipStream_tbDpT10_ENKUlT_T0_E_clISt17integral_constantIbLb1EES1D_EEDaS18_S19_EUlS18_E_NS1_11comp_targetILNS1_3genE8ELNS1_11target_archE1030ELNS1_3gpuE2ELNS1_3repE0EEENS1_30default_config_static_selectorELNS0_4arch9wavefront6targetE0EEEvT1_
	.globl	_ZN7rocprim17ROCPRIM_400000_NS6detail17trampoline_kernelINS0_14default_configENS1_25partition_config_selectorILNS1_17partition_subalgoE9EijbEEZZNS1_14partition_implILS5_9ELb0ES3_jN6thrust23THRUST_200600_302600_NS6detail15normal_iteratorINS9_10device_ptrIiEEEENSB_INSC_IjEEEEPNS0_10empty_typeENS0_5tupleIJSE_SH_EEENSJ_IJNS9_16discard_iteratorINS9_11use_defaultEEESI_EEENS0_18inequality_wrapperINS9_8equal_toIiEEEEPmJSH_EEE10hipError_tPvRmT3_T4_T5_T6_T7_T9_mT8_P12ihipStream_tbDpT10_ENKUlT_T0_E_clISt17integral_constantIbLb1EES1D_EEDaS18_S19_EUlS18_E_NS1_11comp_targetILNS1_3genE8ELNS1_11target_archE1030ELNS1_3gpuE2ELNS1_3repE0EEENS1_30default_config_static_selectorELNS0_4arch9wavefront6targetE0EEEvT1_
	.p2align	8
	.type	_ZN7rocprim17ROCPRIM_400000_NS6detail17trampoline_kernelINS0_14default_configENS1_25partition_config_selectorILNS1_17partition_subalgoE9EijbEEZZNS1_14partition_implILS5_9ELb0ES3_jN6thrust23THRUST_200600_302600_NS6detail15normal_iteratorINS9_10device_ptrIiEEEENSB_INSC_IjEEEEPNS0_10empty_typeENS0_5tupleIJSE_SH_EEENSJ_IJNS9_16discard_iteratorINS9_11use_defaultEEESI_EEENS0_18inequality_wrapperINS9_8equal_toIiEEEEPmJSH_EEE10hipError_tPvRmT3_T4_T5_T6_T7_T9_mT8_P12ihipStream_tbDpT10_ENKUlT_T0_E_clISt17integral_constantIbLb1EES1D_EEDaS18_S19_EUlS18_E_NS1_11comp_targetILNS1_3genE8ELNS1_11target_archE1030ELNS1_3gpuE2ELNS1_3repE0EEENS1_30default_config_static_selectorELNS0_4arch9wavefront6targetE0EEEvT1_,@function
_ZN7rocprim17ROCPRIM_400000_NS6detail17trampoline_kernelINS0_14default_configENS1_25partition_config_selectorILNS1_17partition_subalgoE9EijbEEZZNS1_14partition_implILS5_9ELb0ES3_jN6thrust23THRUST_200600_302600_NS6detail15normal_iteratorINS9_10device_ptrIiEEEENSB_INSC_IjEEEEPNS0_10empty_typeENS0_5tupleIJSE_SH_EEENSJ_IJNS9_16discard_iteratorINS9_11use_defaultEEESI_EEENS0_18inequality_wrapperINS9_8equal_toIiEEEEPmJSH_EEE10hipError_tPvRmT3_T4_T5_T6_T7_T9_mT8_P12ihipStream_tbDpT10_ENKUlT_T0_E_clISt17integral_constantIbLb1EES1D_EEDaS18_S19_EUlS18_E_NS1_11comp_targetILNS1_3genE8ELNS1_11target_archE1030ELNS1_3gpuE2ELNS1_3repE0EEENS1_30default_config_static_selectorELNS0_4arch9wavefront6targetE0EEEvT1_: ; @_ZN7rocprim17ROCPRIM_400000_NS6detail17trampoline_kernelINS0_14default_configENS1_25partition_config_selectorILNS1_17partition_subalgoE9EijbEEZZNS1_14partition_implILS5_9ELb0ES3_jN6thrust23THRUST_200600_302600_NS6detail15normal_iteratorINS9_10device_ptrIiEEEENSB_INSC_IjEEEEPNS0_10empty_typeENS0_5tupleIJSE_SH_EEENSJ_IJNS9_16discard_iteratorINS9_11use_defaultEEESI_EEENS0_18inequality_wrapperINS9_8equal_toIiEEEEPmJSH_EEE10hipError_tPvRmT3_T4_T5_T6_T7_T9_mT8_P12ihipStream_tbDpT10_ENKUlT_T0_E_clISt17integral_constantIbLb1EES1D_EEDaS18_S19_EUlS18_E_NS1_11comp_targetILNS1_3genE8ELNS1_11target_archE1030ELNS1_3gpuE2ELNS1_3repE0EEENS1_30default_config_static_selectorELNS0_4arch9wavefront6targetE0EEEvT1_
; %bb.0:
	.section	.rodata,"a",@progbits
	.p2align	6, 0x0
	.amdhsa_kernel _ZN7rocprim17ROCPRIM_400000_NS6detail17trampoline_kernelINS0_14default_configENS1_25partition_config_selectorILNS1_17partition_subalgoE9EijbEEZZNS1_14partition_implILS5_9ELb0ES3_jN6thrust23THRUST_200600_302600_NS6detail15normal_iteratorINS9_10device_ptrIiEEEENSB_INSC_IjEEEEPNS0_10empty_typeENS0_5tupleIJSE_SH_EEENSJ_IJNS9_16discard_iteratorINS9_11use_defaultEEESI_EEENS0_18inequality_wrapperINS9_8equal_toIiEEEEPmJSH_EEE10hipError_tPvRmT3_T4_T5_T6_T7_T9_mT8_P12ihipStream_tbDpT10_ENKUlT_T0_E_clISt17integral_constantIbLb1EES1D_EEDaS18_S19_EUlS18_E_NS1_11comp_targetILNS1_3genE8ELNS1_11target_archE1030ELNS1_3gpuE2ELNS1_3repE0EEENS1_30default_config_static_selectorELNS0_4arch9wavefront6targetE0EEEvT1_
		.amdhsa_group_segment_fixed_size 0
		.amdhsa_private_segment_fixed_size 0
		.amdhsa_kernarg_size 136
		.amdhsa_user_sgpr_count 15
		.amdhsa_user_sgpr_dispatch_ptr 0
		.amdhsa_user_sgpr_queue_ptr 0
		.amdhsa_user_sgpr_kernarg_segment_ptr 1
		.amdhsa_user_sgpr_dispatch_id 0
		.amdhsa_user_sgpr_private_segment_size 0
		.amdhsa_wavefront_size32 1
		.amdhsa_uses_dynamic_stack 0
		.amdhsa_enable_private_segment 0
		.amdhsa_system_sgpr_workgroup_id_x 1
		.amdhsa_system_sgpr_workgroup_id_y 0
		.amdhsa_system_sgpr_workgroup_id_z 0
		.amdhsa_system_sgpr_workgroup_info 0
		.amdhsa_system_vgpr_workitem_id 0
		.amdhsa_next_free_vgpr 1
		.amdhsa_next_free_sgpr 1
		.amdhsa_reserve_vcc 0
		.amdhsa_float_round_mode_32 0
		.amdhsa_float_round_mode_16_64 0
		.amdhsa_float_denorm_mode_32 3
		.amdhsa_float_denorm_mode_16_64 3
		.amdhsa_dx10_clamp 1
		.amdhsa_ieee_mode 1
		.amdhsa_fp16_overflow 0
		.amdhsa_workgroup_processor_mode 1
		.amdhsa_memory_ordered 1
		.amdhsa_forward_progress 0
		.amdhsa_shared_vgpr_count 0
		.amdhsa_exception_fp_ieee_invalid_op 0
		.amdhsa_exception_fp_denorm_src 0
		.amdhsa_exception_fp_ieee_div_zero 0
		.amdhsa_exception_fp_ieee_overflow 0
		.amdhsa_exception_fp_ieee_underflow 0
		.amdhsa_exception_fp_ieee_inexact 0
		.amdhsa_exception_int_div_zero 0
	.end_amdhsa_kernel
	.section	.text._ZN7rocprim17ROCPRIM_400000_NS6detail17trampoline_kernelINS0_14default_configENS1_25partition_config_selectorILNS1_17partition_subalgoE9EijbEEZZNS1_14partition_implILS5_9ELb0ES3_jN6thrust23THRUST_200600_302600_NS6detail15normal_iteratorINS9_10device_ptrIiEEEENSB_INSC_IjEEEEPNS0_10empty_typeENS0_5tupleIJSE_SH_EEENSJ_IJNS9_16discard_iteratorINS9_11use_defaultEEESI_EEENS0_18inequality_wrapperINS9_8equal_toIiEEEEPmJSH_EEE10hipError_tPvRmT3_T4_T5_T6_T7_T9_mT8_P12ihipStream_tbDpT10_ENKUlT_T0_E_clISt17integral_constantIbLb1EES1D_EEDaS18_S19_EUlS18_E_NS1_11comp_targetILNS1_3genE8ELNS1_11target_archE1030ELNS1_3gpuE2ELNS1_3repE0EEENS1_30default_config_static_selectorELNS0_4arch9wavefront6targetE0EEEvT1_,"axG",@progbits,_ZN7rocprim17ROCPRIM_400000_NS6detail17trampoline_kernelINS0_14default_configENS1_25partition_config_selectorILNS1_17partition_subalgoE9EijbEEZZNS1_14partition_implILS5_9ELb0ES3_jN6thrust23THRUST_200600_302600_NS6detail15normal_iteratorINS9_10device_ptrIiEEEENSB_INSC_IjEEEEPNS0_10empty_typeENS0_5tupleIJSE_SH_EEENSJ_IJNS9_16discard_iteratorINS9_11use_defaultEEESI_EEENS0_18inequality_wrapperINS9_8equal_toIiEEEEPmJSH_EEE10hipError_tPvRmT3_T4_T5_T6_T7_T9_mT8_P12ihipStream_tbDpT10_ENKUlT_T0_E_clISt17integral_constantIbLb1EES1D_EEDaS18_S19_EUlS18_E_NS1_11comp_targetILNS1_3genE8ELNS1_11target_archE1030ELNS1_3gpuE2ELNS1_3repE0EEENS1_30default_config_static_selectorELNS0_4arch9wavefront6targetE0EEEvT1_,comdat
.Lfunc_end1124:
	.size	_ZN7rocprim17ROCPRIM_400000_NS6detail17trampoline_kernelINS0_14default_configENS1_25partition_config_selectorILNS1_17partition_subalgoE9EijbEEZZNS1_14partition_implILS5_9ELb0ES3_jN6thrust23THRUST_200600_302600_NS6detail15normal_iteratorINS9_10device_ptrIiEEEENSB_INSC_IjEEEEPNS0_10empty_typeENS0_5tupleIJSE_SH_EEENSJ_IJNS9_16discard_iteratorINS9_11use_defaultEEESI_EEENS0_18inequality_wrapperINS9_8equal_toIiEEEEPmJSH_EEE10hipError_tPvRmT3_T4_T5_T6_T7_T9_mT8_P12ihipStream_tbDpT10_ENKUlT_T0_E_clISt17integral_constantIbLb1EES1D_EEDaS18_S19_EUlS18_E_NS1_11comp_targetILNS1_3genE8ELNS1_11target_archE1030ELNS1_3gpuE2ELNS1_3repE0EEENS1_30default_config_static_selectorELNS0_4arch9wavefront6targetE0EEEvT1_, .Lfunc_end1124-_ZN7rocprim17ROCPRIM_400000_NS6detail17trampoline_kernelINS0_14default_configENS1_25partition_config_selectorILNS1_17partition_subalgoE9EijbEEZZNS1_14partition_implILS5_9ELb0ES3_jN6thrust23THRUST_200600_302600_NS6detail15normal_iteratorINS9_10device_ptrIiEEEENSB_INSC_IjEEEEPNS0_10empty_typeENS0_5tupleIJSE_SH_EEENSJ_IJNS9_16discard_iteratorINS9_11use_defaultEEESI_EEENS0_18inequality_wrapperINS9_8equal_toIiEEEEPmJSH_EEE10hipError_tPvRmT3_T4_T5_T6_T7_T9_mT8_P12ihipStream_tbDpT10_ENKUlT_T0_E_clISt17integral_constantIbLb1EES1D_EEDaS18_S19_EUlS18_E_NS1_11comp_targetILNS1_3genE8ELNS1_11target_archE1030ELNS1_3gpuE2ELNS1_3repE0EEENS1_30default_config_static_selectorELNS0_4arch9wavefront6targetE0EEEvT1_
                                        ; -- End function
	.section	.AMDGPU.csdata,"",@progbits
; Kernel info:
; codeLenInByte = 0
; NumSgprs: 0
; NumVgprs: 0
; ScratchSize: 0
; MemoryBound: 0
; FloatMode: 240
; IeeeMode: 1
; LDSByteSize: 0 bytes/workgroup (compile time only)
; SGPRBlocks: 0
; VGPRBlocks: 0
; NumSGPRsForWavesPerEU: 1
; NumVGPRsForWavesPerEU: 1
; Occupancy: 16
; WaveLimiterHint : 0
; COMPUTE_PGM_RSRC2:SCRATCH_EN: 0
; COMPUTE_PGM_RSRC2:USER_SGPR: 15
; COMPUTE_PGM_RSRC2:TRAP_HANDLER: 0
; COMPUTE_PGM_RSRC2:TGID_X_EN: 1
; COMPUTE_PGM_RSRC2:TGID_Y_EN: 0
; COMPUTE_PGM_RSRC2:TGID_Z_EN: 0
; COMPUTE_PGM_RSRC2:TIDIG_COMP_CNT: 0
	.section	.text._ZN7rocprim17ROCPRIM_400000_NS6detail17trampoline_kernelINS0_14default_configENS1_25partition_config_selectorILNS1_17partition_subalgoE9EijbEEZZNS1_14partition_implILS5_9ELb0ES3_jN6thrust23THRUST_200600_302600_NS6detail15normal_iteratorINS9_10device_ptrIiEEEENSB_INSC_IjEEEEPNS0_10empty_typeENS0_5tupleIJSE_SH_EEENSJ_IJNS9_16discard_iteratorINS9_11use_defaultEEESI_EEENS0_18inequality_wrapperINS9_8equal_toIiEEEEPmJSH_EEE10hipError_tPvRmT3_T4_T5_T6_T7_T9_mT8_P12ihipStream_tbDpT10_ENKUlT_T0_E_clISt17integral_constantIbLb1EES1C_IbLb0EEEEDaS18_S19_EUlS18_E_NS1_11comp_targetILNS1_3genE0ELNS1_11target_archE4294967295ELNS1_3gpuE0ELNS1_3repE0EEENS1_30default_config_static_selectorELNS0_4arch9wavefront6targetE0EEEvT1_,"axG",@progbits,_ZN7rocprim17ROCPRIM_400000_NS6detail17trampoline_kernelINS0_14default_configENS1_25partition_config_selectorILNS1_17partition_subalgoE9EijbEEZZNS1_14partition_implILS5_9ELb0ES3_jN6thrust23THRUST_200600_302600_NS6detail15normal_iteratorINS9_10device_ptrIiEEEENSB_INSC_IjEEEEPNS0_10empty_typeENS0_5tupleIJSE_SH_EEENSJ_IJNS9_16discard_iteratorINS9_11use_defaultEEESI_EEENS0_18inequality_wrapperINS9_8equal_toIiEEEEPmJSH_EEE10hipError_tPvRmT3_T4_T5_T6_T7_T9_mT8_P12ihipStream_tbDpT10_ENKUlT_T0_E_clISt17integral_constantIbLb1EES1C_IbLb0EEEEDaS18_S19_EUlS18_E_NS1_11comp_targetILNS1_3genE0ELNS1_11target_archE4294967295ELNS1_3gpuE0ELNS1_3repE0EEENS1_30default_config_static_selectorELNS0_4arch9wavefront6targetE0EEEvT1_,comdat
	.protected	_ZN7rocprim17ROCPRIM_400000_NS6detail17trampoline_kernelINS0_14default_configENS1_25partition_config_selectorILNS1_17partition_subalgoE9EijbEEZZNS1_14partition_implILS5_9ELb0ES3_jN6thrust23THRUST_200600_302600_NS6detail15normal_iteratorINS9_10device_ptrIiEEEENSB_INSC_IjEEEEPNS0_10empty_typeENS0_5tupleIJSE_SH_EEENSJ_IJNS9_16discard_iteratorINS9_11use_defaultEEESI_EEENS0_18inequality_wrapperINS9_8equal_toIiEEEEPmJSH_EEE10hipError_tPvRmT3_T4_T5_T6_T7_T9_mT8_P12ihipStream_tbDpT10_ENKUlT_T0_E_clISt17integral_constantIbLb1EES1C_IbLb0EEEEDaS18_S19_EUlS18_E_NS1_11comp_targetILNS1_3genE0ELNS1_11target_archE4294967295ELNS1_3gpuE0ELNS1_3repE0EEENS1_30default_config_static_selectorELNS0_4arch9wavefront6targetE0EEEvT1_ ; -- Begin function _ZN7rocprim17ROCPRIM_400000_NS6detail17trampoline_kernelINS0_14default_configENS1_25partition_config_selectorILNS1_17partition_subalgoE9EijbEEZZNS1_14partition_implILS5_9ELb0ES3_jN6thrust23THRUST_200600_302600_NS6detail15normal_iteratorINS9_10device_ptrIiEEEENSB_INSC_IjEEEEPNS0_10empty_typeENS0_5tupleIJSE_SH_EEENSJ_IJNS9_16discard_iteratorINS9_11use_defaultEEESI_EEENS0_18inequality_wrapperINS9_8equal_toIiEEEEPmJSH_EEE10hipError_tPvRmT3_T4_T5_T6_T7_T9_mT8_P12ihipStream_tbDpT10_ENKUlT_T0_E_clISt17integral_constantIbLb1EES1C_IbLb0EEEEDaS18_S19_EUlS18_E_NS1_11comp_targetILNS1_3genE0ELNS1_11target_archE4294967295ELNS1_3gpuE0ELNS1_3repE0EEENS1_30default_config_static_selectorELNS0_4arch9wavefront6targetE0EEEvT1_
	.globl	_ZN7rocprim17ROCPRIM_400000_NS6detail17trampoline_kernelINS0_14default_configENS1_25partition_config_selectorILNS1_17partition_subalgoE9EijbEEZZNS1_14partition_implILS5_9ELb0ES3_jN6thrust23THRUST_200600_302600_NS6detail15normal_iteratorINS9_10device_ptrIiEEEENSB_INSC_IjEEEEPNS0_10empty_typeENS0_5tupleIJSE_SH_EEENSJ_IJNS9_16discard_iteratorINS9_11use_defaultEEESI_EEENS0_18inequality_wrapperINS9_8equal_toIiEEEEPmJSH_EEE10hipError_tPvRmT3_T4_T5_T6_T7_T9_mT8_P12ihipStream_tbDpT10_ENKUlT_T0_E_clISt17integral_constantIbLb1EES1C_IbLb0EEEEDaS18_S19_EUlS18_E_NS1_11comp_targetILNS1_3genE0ELNS1_11target_archE4294967295ELNS1_3gpuE0ELNS1_3repE0EEENS1_30default_config_static_selectorELNS0_4arch9wavefront6targetE0EEEvT1_
	.p2align	8
	.type	_ZN7rocprim17ROCPRIM_400000_NS6detail17trampoline_kernelINS0_14default_configENS1_25partition_config_selectorILNS1_17partition_subalgoE9EijbEEZZNS1_14partition_implILS5_9ELb0ES3_jN6thrust23THRUST_200600_302600_NS6detail15normal_iteratorINS9_10device_ptrIiEEEENSB_INSC_IjEEEEPNS0_10empty_typeENS0_5tupleIJSE_SH_EEENSJ_IJNS9_16discard_iteratorINS9_11use_defaultEEESI_EEENS0_18inequality_wrapperINS9_8equal_toIiEEEEPmJSH_EEE10hipError_tPvRmT3_T4_T5_T6_T7_T9_mT8_P12ihipStream_tbDpT10_ENKUlT_T0_E_clISt17integral_constantIbLb1EES1C_IbLb0EEEEDaS18_S19_EUlS18_E_NS1_11comp_targetILNS1_3genE0ELNS1_11target_archE4294967295ELNS1_3gpuE0ELNS1_3repE0EEENS1_30default_config_static_selectorELNS0_4arch9wavefront6targetE0EEEvT1_,@function
_ZN7rocprim17ROCPRIM_400000_NS6detail17trampoline_kernelINS0_14default_configENS1_25partition_config_selectorILNS1_17partition_subalgoE9EijbEEZZNS1_14partition_implILS5_9ELb0ES3_jN6thrust23THRUST_200600_302600_NS6detail15normal_iteratorINS9_10device_ptrIiEEEENSB_INSC_IjEEEEPNS0_10empty_typeENS0_5tupleIJSE_SH_EEENSJ_IJNS9_16discard_iteratorINS9_11use_defaultEEESI_EEENS0_18inequality_wrapperINS9_8equal_toIiEEEEPmJSH_EEE10hipError_tPvRmT3_T4_T5_T6_T7_T9_mT8_P12ihipStream_tbDpT10_ENKUlT_T0_E_clISt17integral_constantIbLb1EES1C_IbLb0EEEEDaS18_S19_EUlS18_E_NS1_11comp_targetILNS1_3genE0ELNS1_11target_archE4294967295ELNS1_3gpuE0ELNS1_3repE0EEENS1_30default_config_static_selectorELNS0_4arch9wavefront6targetE0EEEvT1_: ; @_ZN7rocprim17ROCPRIM_400000_NS6detail17trampoline_kernelINS0_14default_configENS1_25partition_config_selectorILNS1_17partition_subalgoE9EijbEEZZNS1_14partition_implILS5_9ELb0ES3_jN6thrust23THRUST_200600_302600_NS6detail15normal_iteratorINS9_10device_ptrIiEEEENSB_INSC_IjEEEEPNS0_10empty_typeENS0_5tupleIJSE_SH_EEENSJ_IJNS9_16discard_iteratorINS9_11use_defaultEEESI_EEENS0_18inequality_wrapperINS9_8equal_toIiEEEEPmJSH_EEE10hipError_tPvRmT3_T4_T5_T6_T7_T9_mT8_P12ihipStream_tbDpT10_ENKUlT_T0_E_clISt17integral_constantIbLb1EES1C_IbLb0EEEEDaS18_S19_EUlS18_E_NS1_11comp_targetILNS1_3genE0ELNS1_11target_archE4294967295ELNS1_3gpuE0ELNS1_3repE0EEENS1_30default_config_static_selectorELNS0_4arch9wavefront6targetE0EEEvT1_
; %bb.0:
	.section	.rodata,"a",@progbits
	.p2align	6, 0x0
	.amdhsa_kernel _ZN7rocprim17ROCPRIM_400000_NS6detail17trampoline_kernelINS0_14default_configENS1_25partition_config_selectorILNS1_17partition_subalgoE9EijbEEZZNS1_14partition_implILS5_9ELb0ES3_jN6thrust23THRUST_200600_302600_NS6detail15normal_iteratorINS9_10device_ptrIiEEEENSB_INSC_IjEEEEPNS0_10empty_typeENS0_5tupleIJSE_SH_EEENSJ_IJNS9_16discard_iteratorINS9_11use_defaultEEESI_EEENS0_18inequality_wrapperINS9_8equal_toIiEEEEPmJSH_EEE10hipError_tPvRmT3_T4_T5_T6_T7_T9_mT8_P12ihipStream_tbDpT10_ENKUlT_T0_E_clISt17integral_constantIbLb1EES1C_IbLb0EEEEDaS18_S19_EUlS18_E_NS1_11comp_targetILNS1_3genE0ELNS1_11target_archE4294967295ELNS1_3gpuE0ELNS1_3repE0EEENS1_30default_config_static_selectorELNS0_4arch9wavefront6targetE0EEEvT1_
		.amdhsa_group_segment_fixed_size 0
		.amdhsa_private_segment_fixed_size 0
		.amdhsa_kernarg_size 120
		.amdhsa_user_sgpr_count 15
		.amdhsa_user_sgpr_dispatch_ptr 0
		.amdhsa_user_sgpr_queue_ptr 0
		.amdhsa_user_sgpr_kernarg_segment_ptr 1
		.amdhsa_user_sgpr_dispatch_id 0
		.amdhsa_user_sgpr_private_segment_size 0
		.amdhsa_wavefront_size32 1
		.amdhsa_uses_dynamic_stack 0
		.amdhsa_enable_private_segment 0
		.amdhsa_system_sgpr_workgroup_id_x 1
		.amdhsa_system_sgpr_workgroup_id_y 0
		.amdhsa_system_sgpr_workgroup_id_z 0
		.amdhsa_system_sgpr_workgroup_info 0
		.amdhsa_system_vgpr_workitem_id 0
		.amdhsa_next_free_vgpr 1
		.amdhsa_next_free_sgpr 1
		.amdhsa_reserve_vcc 0
		.amdhsa_float_round_mode_32 0
		.amdhsa_float_round_mode_16_64 0
		.amdhsa_float_denorm_mode_32 3
		.amdhsa_float_denorm_mode_16_64 3
		.amdhsa_dx10_clamp 1
		.amdhsa_ieee_mode 1
		.amdhsa_fp16_overflow 0
		.amdhsa_workgroup_processor_mode 1
		.amdhsa_memory_ordered 1
		.amdhsa_forward_progress 0
		.amdhsa_shared_vgpr_count 0
		.amdhsa_exception_fp_ieee_invalid_op 0
		.amdhsa_exception_fp_denorm_src 0
		.amdhsa_exception_fp_ieee_div_zero 0
		.amdhsa_exception_fp_ieee_overflow 0
		.amdhsa_exception_fp_ieee_underflow 0
		.amdhsa_exception_fp_ieee_inexact 0
		.amdhsa_exception_int_div_zero 0
	.end_amdhsa_kernel
	.section	.text._ZN7rocprim17ROCPRIM_400000_NS6detail17trampoline_kernelINS0_14default_configENS1_25partition_config_selectorILNS1_17partition_subalgoE9EijbEEZZNS1_14partition_implILS5_9ELb0ES3_jN6thrust23THRUST_200600_302600_NS6detail15normal_iteratorINS9_10device_ptrIiEEEENSB_INSC_IjEEEEPNS0_10empty_typeENS0_5tupleIJSE_SH_EEENSJ_IJNS9_16discard_iteratorINS9_11use_defaultEEESI_EEENS0_18inequality_wrapperINS9_8equal_toIiEEEEPmJSH_EEE10hipError_tPvRmT3_T4_T5_T6_T7_T9_mT8_P12ihipStream_tbDpT10_ENKUlT_T0_E_clISt17integral_constantIbLb1EES1C_IbLb0EEEEDaS18_S19_EUlS18_E_NS1_11comp_targetILNS1_3genE0ELNS1_11target_archE4294967295ELNS1_3gpuE0ELNS1_3repE0EEENS1_30default_config_static_selectorELNS0_4arch9wavefront6targetE0EEEvT1_,"axG",@progbits,_ZN7rocprim17ROCPRIM_400000_NS6detail17trampoline_kernelINS0_14default_configENS1_25partition_config_selectorILNS1_17partition_subalgoE9EijbEEZZNS1_14partition_implILS5_9ELb0ES3_jN6thrust23THRUST_200600_302600_NS6detail15normal_iteratorINS9_10device_ptrIiEEEENSB_INSC_IjEEEEPNS0_10empty_typeENS0_5tupleIJSE_SH_EEENSJ_IJNS9_16discard_iteratorINS9_11use_defaultEEESI_EEENS0_18inequality_wrapperINS9_8equal_toIiEEEEPmJSH_EEE10hipError_tPvRmT3_T4_T5_T6_T7_T9_mT8_P12ihipStream_tbDpT10_ENKUlT_T0_E_clISt17integral_constantIbLb1EES1C_IbLb0EEEEDaS18_S19_EUlS18_E_NS1_11comp_targetILNS1_3genE0ELNS1_11target_archE4294967295ELNS1_3gpuE0ELNS1_3repE0EEENS1_30default_config_static_selectorELNS0_4arch9wavefront6targetE0EEEvT1_,comdat
.Lfunc_end1125:
	.size	_ZN7rocprim17ROCPRIM_400000_NS6detail17trampoline_kernelINS0_14default_configENS1_25partition_config_selectorILNS1_17partition_subalgoE9EijbEEZZNS1_14partition_implILS5_9ELb0ES3_jN6thrust23THRUST_200600_302600_NS6detail15normal_iteratorINS9_10device_ptrIiEEEENSB_INSC_IjEEEEPNS0_10empty_typeENS0_5tupleIJSE_SH_EEENSJ_IJNS9_16discard_iteratorINS9_11use_defaultEEESI_EEENS0_18inequality_wrapperINS9_8equal_toIiEEEEPmJSH_EEE10hipError_tPvRmT3_T4_T5_T6_T7_T9_mT8_P12ihipStream_tbDpT10_ENKUlT_T0_E_clISt17integral_constantIbLb1EES1C_IbLb0EEEEDaS18_S19_EUlS18_E_NS1_11comp_targetILNS1_3genE0ELNS1_11target_archE4294967295ELNS1_3gpuE0ELNS1_3repE0EEENS1_30default_config_static_selectorELNS0_4arch9wavefront6targetE0EEEvT1_, .Lfunc_end1125-_ZN7rocprim17ROCPRIM_400000_NS6detail17trampoline_kernelINS0_14default_configENS1_25partition_config_selectorILNS1_17partition_subalgoE9EijbEEZZNS1_14partition_implILS5_9ELb0ES3_jN6thrust23THRUST_200600_302600_NS6detail15normal_iteratorINS9_10device_ptrIiEEEENSB_INSC_IjEEEEPNS0_10empty_typeENS0_5tupleIJSE_SH_EEENSJ_IJNS9_16discard_iteratorINS9_11use_defaultEEESI_EEENS0_18inequality_wrapperINS9_8equal_toIiEEEEPmJSH_EEE10hipError_tPvRmT3_T4_T5_T6_T7_T9_mT8_P12ihipStream_tbDpT10_ENKUlT_T0_E_clISt17integral_constantIbLb1EES1C_IbLb0EEEEDaS18_S19_EUlS18_E_NS1_11comp_targetILNS1_3genE0ELNS1_11target_archE4294967295ELNS1_3gpuE0ELNS1_3repE0EEENS1_30default_config_static_selectorELNS0_4arch9wavefront6targetE0EEEvT1_
                                        ; -- End function
	.section	.AMDGPU.csdata,"",@progbits
; Kernel info:
; codeLenInByte = 0
; NumSgprs: 0
; NumVgprs: 0
; ScratchSize: 0
; MemoryBound: 0
; FloatMode: 240
; IeeeMode: 1
; LDSByteSize: 0 bytes/workgroup (compile time only)
; SGPRBlocks: 0
; VGPRBlocks: 0
; NumSGPRsForWavesPerEU: 1
; NumVGPRsForWavesPerEU: 1
; Occupancy: 16
; WaveLimiterHint : 0
; COMPUTE_PGM_RSRC2:SCRATCH_EN: 0
; COMPUTE_PGM_RSRC2:USER_SGPR: 15
; COMPUTE_PGM_RSRC2:TRAP_HANDLER: 0
; COMPUTE_PGM_RSRC2:TGID_X_EN: 1
; COMPUTE_PGM_RSRC2:TGID_Y_EN: 0
; COMPUTE_PGM_RSRC2:TGID_Z_EN: 0
; COMPUTE_PGM_RSRC2:TIDIG_COMP_CNT: 0
	.section	.text._ZN7rocprim17ROCPRIM_400000_NS6detail17trampoline_kernelINS0_14default_configENS1_25partition_config_selectorILNS1_17partition_subalgoE9EijbEEZZNS1_14partition_implILS5_9ELb0ES3_jN6thrust23THRUST_200600_302600_NS6detail15normal_iteratorINS9_10device_ptrIiEEEENSB_INSC_IjEEEEPNS0_10empty_typeENS0_5tupleIJSE_SH_EEENSJ_IJNS9_16discard_iteratorINS9_11use_defaultEEESI_EEENS0_18inequality_wrapperINS9_8equal_toIiEEEEPmJSH_EEE10hipError_tPvRmT3_T4_T5_T6_T7_T9_mT8_P12ihipStream_tbDpT10_ENKUlT_T0_E_clISt17integral_constantIbLb1EES1C_IbLb0EEEEDaS18_S19_EUlS18_E_NS1_11comp_targetILNS1_3genE5ELNS1_11target_archE942ELNS1_3gpuE9ELNS1_3repE0EEENS1_30default_config_static_selectorELNS0_4arch9wavefront6targetE0EEEvT1_,"axG",@progbits,_ZN7rocprim17ROCPRIM_400000_NS6detail17trampoline_kernelINS0_14default_configENS1_25partition_config_selectorILNS1_17partition_subalgoE9EijbEEZZNS1_14partition_implILS5_9ELb0ES3_jN6thrust23THRUST_200600_302600_NS6detail15normal_iteratorINS9_10device_ptrIiEEEENSB_INSC_IjEEEEPNS0_10empty_typeENS0_5tupleIJSE_SH_EEENSJ_IJNS9_16discard_iteratorINS9_11use_defaultEEESI_EEENS0_18inequality_wrapperINS9_8equal_toIiEEEEPmJSH_EEE10hipError_tPvRmT3_T4_T5_T6_T7_T9_mT8_P12ihipStream_tbDpT10_ENKUlT_T0_E_clISt17integral_constantIbLb1EES1C_IbLb0EEEEDaS18_S19_EUlS18_E_NS1_11comp_targetILNS1_3genE5ELNS1_11target_archE942ELNS1_3gpuE9ELNS1_3repE0EEENS1_30default_config_static_selectorELNS0_4arch9wavefront6targetE0EEEvT1_,comdat
	.protected	_ZN7rocprim17ROCPRIM_400000_NS6detail17trampoline_kernelINS0_14default_configENS1_25partition_config_selectorILNS1_17partition_subalgoE9EijbEEZZNS1_14partition_implILS5_9ELb0ES3_jN6thrust23THRUST_200600_302600_NS6detail15normal_iteratorINS9_10device_ptrIiEEEENSB_INSC_IjEEEEPNS0_10empty_typeENS0_5tupleIJSE_SH_EEENSJ_IJNS9_16discard_iteratorINS9_11use_defaultEEESI_EEENS0_18inequality_wrapperINS9_8equal_toIiEEEEPmJSH_EEE10hipError_tPvRmT3_T4_T5_T6_T7_T9_mT8_P12ihipStream_tbDpT10_ENKUlT_T0_E_clISt17integral_constantIbLb1EES1C_IbLb0EEEEDaS18_S19_EUlS18_E_NS1_11comp_targetILNS1_3genE5ELNS1_11target_archE942ELNS1_3gpuE9ELNS1_3repE0EEENS1_30default_config_static_selectorELNS0_4arch9wavefront6targetE0EEEvT1_ ; -- Begin function _ZN7rocprim17ROCPRIM_400000_NS6detail17trampoline_kernelINS0_14default_configENS1_25partition_config_selectorILNS1_17partition_subalgoE9EijbEEZZNS1_14partition_implILS5_9ELb0ES3_jN6thrust23THRUST_200600_302600_NS6detail15normal_iteratorINS9_10device_ptrIiEEEENSB_INSC_IjEEEEPNS0_10empty_typeENS0_5tupleIJSE_SH_EEENSJ_IJNS9_16discard_iteratorINS9_11use_defaultEEESI_EEENS0_18inequality_wrapperINS9_8equal_toIiEEEEPmJSH_EEE10hipError_tPvRmT3_T4_T5_T6_T7_T9_mT8_P12ihipStream_tbDpT10_ENKUlT_T0_E_clISt17integral_constantIbLb1EES1C_IbLb0EEEEDaS18_S19_EUlS18_E_NS1_11comp_targetILNS1_3genE5ELNS1_11target_archE942ELNS1_3gpuE9ELNS1_3repE0EEENS1_30default_config_static_selectorELNS0_4arch9wavefront6targetE0EEEvT1_
	.globl	_ZN7rocprim17ROCPRIM_400000_NS6detail17trampoline_kernelINS0_14default_configENS1_25partition_config_selectorILNS1_17partition_subalgoE9EijbEEZZNS1_14partition_implILS5_9ELb0ES3_jN6thrust23THRUST_200600_302600_NS6detail15normal_iteratorINS9_10device_ptrIiEEEENSB_INSC_IjEEEEPNS0_10empty_typeENS0_5tupleIJSE_SH_EEENSJ_IJNS9_16discard_iteratorINS9_11use_defaultEEESI_EEENS0_18inequality_wrapperINS9_8equal_toIiEEEEPmJSH_EEE10hipError_tPvRmT3_T4_T5_T6_T7_T9_mT8_P12ihipStream_tbDpT10_ENKUlT_T0_E_clISt17integral_constantIbLb1EES1C_IbLb0EEEEDaS18_S19_EUlS18_E_NS1_11comp_targetILNS1_3genE5ELNS1_11target_archE942ELNS1_3gpuE9ELNS1_3repE0EEENS1_30default_config_static_selectorELNS0_4arch9wavefront6targetE0EEEvT1_
	.p2align	8
	.type	_ZN7rocprim17ROCPRIM_400000_NS6detail17trampoline_kernelINS0_14default_configENS1_25partition_config_selectorILNS1_17partition_subalgoE9EijbEEZZNS1_14partition_implILS5_9ELb0ES3_jN6thrust23THRUST_200600_302600_NS6detail15normal_iteratorINS9_10device_ptrIiEEEENSB_INSC_IjEEEEPNS0_10empty_typeENS0_5tupleIJSE_SH_EEENSJ_IJNS9_16discard_iteratorINS9_11use_defaultEEESI_EEENS0_18inequality_wrapperINS9_8equal_toIiEEEEPmJSH_EEE10hipError_tPvRmT3_T4_T5_T6_T7_T9_mT8_P12ihipStream_tbDpT10_ENKUlT_T0_E_clISt17integral_constantIbLb1EES1C_IbLb0EEEEDaS18_S19_EUlS18_E_NS1_11comp_targetILNS1_3genE5ELNS1_11target_archE942ELNS1_3gpuE9ELNS1_3repE0EEENS1_30default_config_static_selectorELNS0_4arch9wavefront6targetE0EEEvT1_,@function
_ZN7rocprim17ROCPRIM_400000_NS6detail17trampoline_kernelINS0_14default_configENS1_25partition_config_selectorILNS1_17partition_subalgoE9EijbEEZZNS1_14partition_implILS5_9ELb0ES3_jN6thrust23THRUST_200600_302600_NS6detail15normal_iteratorINS9_10device_ptrIiEEEENSB_INSC_IjEEEEPNS0_10empty_typeENS0_5tupleIJSE_SH_EEENSJ_IJNS9_16discard_iteratorINS9_11use_defaultEEESI_EEENS0_18inequality_wrapperINS9_8equal_toIiEEEEPmJSH_EEE10hipError_tPvRmT3_T4_T5_T6_T7_T9_mT8_P12ihipStream_tbDpT10_ENKUlT_T0_E_clISt17integral_constantIbLb1EES1C_IbLb0EEEEDaS18_S19_EUlS18_E_NS1_11comp_targetILNS1_3genE5ELNS1_11target_archE942ELNS1_3gpuE9ELNS1_3repE0EEENS1_30default_config_static_selectorELNS0_4arch9wavefront6targetE0EEEvT1_: ; @_ZN7rocprim17ROCPRIM_400000_NS6detail17trampoline_kernelINS0_14default_configENS1_25partition_config_selectorILNS1_17partition_subalgoE9EijbEEZZNS1_14partition_implILS5_9ELb0ES3_jN6thrust23THRUST_200600_302600_NS6detail15normal_iteratorINS9_10device_ptrIiEEEENSB_INSC_IjEEEEPNS0_10empty_typeENS0_5tupleIJSE_SH_EEENSJ_IJNS9_16discard_iteratorINS9_11use_defaultEEESI_EEENS0_18inequality_wrapperINS9_8equal_toIiEEEEPmJSH_EEE10hipError_tPvRmT3_T4_T5_T6_T7_T9_mT8_P12ihipStream_tbDpT10_ENKUlT_T0_E_clISt17integral_constantIbLb1EES1C_IbLb0EEEEDaS18_S19_EUlS18_E_NS1_11comp_targetILNS1_3genE5ELNS1_11target_archE942ELNS1_3gpuE9ELNS1_3repE0EEENS1_30default_config_static_selectorELNS0_4arch9wavefront6targetE0EEEvT1_
; %bb.0:
	.section	.rodata,"a",@progbits
	.p2align	6, 0x0
	.amdhsa_kernel _ZN7rocprim17ROCPRIM_400000_NS6detail17trampoline_kernelINS0_14default_configENS1_25partition_config_selectorILNS1_17partition_subalgoE9EijbEEZZNS1_14partition_implILS5_9ELb0ES3_jN6thrust23THRUST_200600_302600_NS6detail15normal_iteratorINS9_10device_ptrIiEEEENSB_INSC_IjEEEEPNS0_10empty_typeENS0_5tupleIJSE_SH_EEENSJ_IJNS9_16discard_iteratorINS9_11use_defaultEEESI_EEENS0_18inequality_wrapperINS9_8equal_toIiEEEEPmJSH_EEE10hipError_tPvRmT3_T4_T5_T6_T7_T9_mT8_P12ihipStream_tbDpT10_ENKUlT_T0_E_clISt17integral_constantIbLb1EES1C_IbLb0EEEEDaS18_S19_EUlS18_E_NS1_11comp_targetILNS1_3genE5ELNS1_11target_archE942ELNS1_3gpuE9ELNS1_3repE0EEENS1_30default_config_static_selectorELNS0_4arch9wavefront6targetE0EEEvT1_
		.amdhsa_group_segment_fixed_size 0
		.amdhsa_private_segment_fixed_size 0
		.amdhsa_kernarg_size 120
		.amdhsa_user_sgpr_count 15
		.amdhsa_user_sgpr_dispatch_ptr 0
		.amdhsa_user_sgpr_queue_ptr 0
		.amdhsa_user_sgpr_kernarg_segment_ptr 1
		.amdhsa_user_sgpr_dispatch_id 0
		.amdhsa_user_sgpr_private_segment_size 0
		.amdhsa_wavefront_size32 1
		.amdhsa_uses_dynamic_stack 0
		.amdhsa_enable_private_segment 0
		.amdhsa_system_sgpr_workgroup_id_x 1
		.amdhsa_system_sgpr_workgroup_id_y 0
		.amdhsa_system_sgpr_workgroup_id_z 0
		.amdhsa_system_sgpr_workgroup_info 0
		.amdhsa_system_vgpr_workitem_id 0
		.amdhsa_next_free_vgpr 1
		.amdhsa_next_free_sgpr 1
		.amdhsa_reserve_vcc 0
		.amdhsa_float_round_mode_32 0
		.amdhsa_float_round_mode_16_64 0
		.amdhsa_float_denorm_mode_32 3
		.amdhsa_float_denorm_mode_16_64 3
		.amdhsa_dx10_clamp 1
		.amdhsa_ieee_mode 1
		.amdhsa_fp16_overflow 0
		.amdhsa_workgroup_processor_mode 1
		.amdhsa_memory_ordered 1
		.amdhsa_forward_progress 0
		.amdhsa_shared_vgpr_count 0
		.amdhsa_exception_fp_ieee_invalid_op 0
		.amdhsa_exception_fp_denorm_src 0
		.amdhsa_exception_fp_ieee_div_zero 0
		.amdhsa_exception_fp_ieee_overflow 0
		.amdhsa_exception_fp_ieee_underflow 0
		.amdhsa_exception_fp_ieee_inexact 0
		.amdhsa_exception_int_div_zero 0
	.end_amdhsa_kernel
	.section	.text._ZN7rocprim17ROCPRIM_400000_NS6detail17trampoline_kernelINS0_14default_configENS1_25partition_config_selectorILNS1_17partition_subalgoE9EijbEEZZNS1_14partition_implILS5_9ELb0ES3_jN6thrust23THRUST_200600_302600_NS6detail15normal_iteratorINS9_10device_ptrIiEEEENSB_INSC_IjEEEEPNS0_10empty_typeENS0_5tupleIJSE_SH_EEENSJ_IJNS9_16discard_iteratorINS9_11use_defaultEEESI_EEENS0_18inequality_wrapperINS9_8equal_toIiEEEEPmJSH_EEE10hipError_tPvRmT3_T4_T5_T6_T7_T9_mT8_P12ihipStream_tbDpT10_ENKUlT_T0_E_clISt17integral_constantIbLb1EES1C_IbLb0EEEEDaS18_S19_EUlS18_E_NS1_11comp_targetILNS1_3genE5ELNS1_11target_archE942ELNS1_3gpuE9ELNS1_3repE0EEENS1_30default_config_static_selectorELNS0_4arch9wavefront6targetE0EEEvT1_,"axG",@progbits,_ZN7rocprim17ROCPRIM_400000_NS6detail17trampoline_kernelINS0_14default_configENS1_25partition_config_selectorILNS1_17partition_subalgoE9EijbEEZZNS1_14partition_implILS5_9ELb0ES3_jN6thrust23THRUST_200600_302600_NS6detail15normal_iteratorINS9_10device_ptrIiEEEENSB_INSC_IjEEEEPNS0_10empty_typeENS0_5tupleIJSE_SH_EEENSJ_IJNS9_16discard_iteratorINS9_11use_defaultEEESI_EEENS0_18inequality_wrapperINS9_8equal_toIiEEEEPmJSH_EEE10hipError_tPvRmT3_T4_T5_T6_T7_T9_mT8_P12ihipStream_tbDpT10_ENKUlT_T0_E_clISt17integral_constantIbLb1EES1C_IbLb0EEEEDaS18_S19_EUlS18_E_NS1_11comp_targetILNS1_3genE5ELNS1_11target_archE942ELNS1_3gpuE9ELNS1_3repE0EEENS1_30default_config_static_selectorELNS0_4arch9wavefront6targetE0EEEvT1_,comdat
.Lfunc_end1126:
	.size	_ZN7rocprim17ROCPRIM_400000_NS6detail17trampoline_kernelINS0_14default_configENS1_25partition_config_selectorILNS1_17partition_subalgoE9EijbEEZZNS1_14partition_implILS5_9ELb0ES3_jN6thrust23THRUST_200600_302600_NS6detail15normal_iteratorINS9_10device_ptrIiEEEENSB_INSC_IjEEEEPNS0_10empty_typeENS0_5tupleIJSE_SH_EEENSJ_IJNS9_16discard_iteratorINS9_11use_defaultEEESI_EEENS0_18inequality_wrapperINS9_8equal_toIiEEEEPmJSH_EEE10hipError_tPvRmT3_T4_T5_T6_T7_T9_mT8_P12ihipStream_tbDpT10_ENKUlT_T0_E_clISt17integral_constantIbLb1EES1C_IbLb0EEEEDaS18_S19_EUlS18_E_NS1_11comp_targetILNS1_3genE5ELNS1_11target_archE942ELNS1_3gpuE9ELNS1_3repE0EEENS1_30default_config_static_selectorELNS0_4arch9wavefront6targetE0EEEvT1_, .Lfunc_end1126-_ZN7rocprim17ROCPRIM_400000_NS6detail17trampoline_kernelINS0_14default_configENS1_25partition_config_selectorILNS1_17partition_subalgoE9EijbEEZZNS1_14partition_implILS5_9ELb0ES3_jN6thrust23THRUST_200600_302600_NS6detail15normal_iteratorINS9_10device_ptrIiEEEENSB_INSC_IjEEEEPNS0_10empty_typeENS0_5tupleIJSE_SH_EEENSJ_IJNS9_16discard_iteratorINS9_11use_defaultEEESI_EEENS0_18inequality_wrapperINS9_8equal_toIiEEEEPmJSH_EEE10hipError_tPvRmT3_T4_T5_T6_T7_T9_mT8_P12ihipStream_tbDpT10_ENKUlT_T0_E_clISt17integral_constantIbLb1EES1C_IbLb0EEEEDaS18_S19_EUlS18_E_NS1_11comp_targetILNS1_3genE5ELNS1_11target_archE942ELNS1_3gpuE9ELNS1_3repE0EEENS1_30default_config_static_selectorELNS0_4arch9wavefront6targetE0EEEvT1_
                                        ; -- End function
	.section	.AMDGPU.csdata,"",@progbits
; Kernel info:
; codeLenInByte = 0
; NumSgprs: 0
; NumVgprs: 0
; ScratchSize: 0
; MemoryBound: 0
; FloatMode: 240
; IeeeMode: 1
; LDSByteSize: 0 bytes/workgroup (compile time only)
; SGPRBlocks: 0
; VGPRBlocks: 0
; NumSGPRsForWavesPerEU: 1
; NumVGPRsForWavesPerEU: 1
; Occupancy: 16
; WaveLimiterHint : 0
; COMPUTE_PGM_RSRC2:SCRATCH_EN: 0
; COMPUTE_PGM_RSRC2:USER_SGPR: 15
; COMPUTE_PGM_RSRC2:TRAP_HANDLER: 0
; COMPUTE_PGM_RSRC2:TGID_X_EN: 1
; COMPUTE_PGM_RSRC2:TGID_Y_EN: 0
; COMPUTE_PGM_RSRC2:TGID_Z_EN: 0
; COMPUTE_PGM_RSRC2:TIDIG_COMP_CNT: 0
	.section	.text._ZN7rocprim17ROCPRIM_400000_NS6detail17trampoline_kernelINS0_14default_configENS1_25partition_config_selectorILNS1_17partition_subalgoE9EijbEEZZNS1_14partition_implILS5_9ELb0ES3_jN6thrust23THRUST_200600_302600_NS6detail15normal_iteratorINS9_10device_ptrIiEEEENSB_INSC_IjEEEEPNS0_10empty_typeENS0_5tupleIJSE_SH_EEENSJ_IJNS9_16discard_iteratorINS9_11use_defaultEEESI_EEENS0_18inequality_wrapperINS9_8equal_toIiEEEEPmJSH_EEE10hipError_tPvRmT3_T4_T5_T6_T7_T9_mT8_P12ihipStream_tbDpT10_ENKUlT_T0_E_clISt17integral_constantIbLb1EES1C_IbLb0EEEEDaS18_S19_EUlS18_E_NS1_11comp_targetILNS1_3genE4ELNS1_11target_archE910ELNS1_3gpuE8ELNS1_3repE0EEENS1_30default_config_static_selectorELNS0_4arch9wavefront6targetE0EEEvT1_,"axG",@progbits,_ZN7rocprim17ROCPRIM_400000_NS6detail17trampoline_kernelINS0_14default_configENS1_25partition_config_selectorILNS1_17partition_subalgoE9EijbEEZZNS1_14partition_implILS5_9ELb0ES3_jN6thrust23THRUST_200600_302600_NS6detail15normal_iteratorINS9_10device_ptrIiEEEENSB_INSC_IjEEEEPNS0_10empty_typeENS0_5tupleIJSE_SH_EEENSJ_IJNS9_16discard_iteratorINS9_11use_defaultEEESI_EEENS0_18inequality_wrapperINS9_8equal_toIiEEEEPmJSH_EEE10hipError_tPvRmT3_T4_T5_T6_T7_T9_mT8_P12ihipStream_tbDpT10_ENKUlT_T0_E_clISt17integral_constantIbLb1EES1C_IbLb0EEEEDaS18_S19_EUlS18_E_NS1_11comp_targetILNS1_3genE4ELNS1_11target_archE910ELNS1_3gpuE8ELNS1_3repE0EEENS1_30default_config_static_selectorELNS0_4arch9wavefront6targetE0EEEvT1_,comdat
	.protected	_ZN7rocprim17ROCPRIM_400000_NS6detail17trampoline_kernelINS0_14default_configENS1_25partition_config_selectorILNS1_17partition_subalgoE9EijbEEZZNS1_14partition_implILS5_9ELb0ES3_jN6thrust23THRUST_200600_302600_NS6detail15normal_iteratorINS9_10device_ptrIiEEEENSB_INSC_IjEEEEPNS0_10empty_typeENS0_5tupleIJSE_SH_EEENSJ_IJNS9_16discard_iteratorINS9_11use_defaultEEESI_EEENS0_18inequality_wrapperINS9_8equal_toIiEEEEPmJSH_EEE10hipError_tPvRmT3_T4_T5_T6_T7_T9_mT8_P12ihipStream_tbDpT10_ENKUlT_T0_E_clISt17integral_constantIbLb1EES1C_IbLb0EEEEDaS18_S19_EUlS18_E_NS1_11comp_targetILNS1_3genE4ELNS1_11target_archE910ELNS1_3gpuE8ELNS1_3repE0EEENS1_30default_config_static_selectorELNS0_4arch9wavefront6targetE0EEEvT1_ ; -- Begin function _ZN7rocprim17ROCPRIM_400000_NS6detail17trampoline_kernelINS0_14default_configENS1_25partition_config_selectorILNS1_17partition_subalgoE9EijbEEZZNS1_14partition_implILS5_9ELb0ES3_jN6thrust23THRUST_200600_302600_NS6detail15normal_iteratorINS9_10device_ptrIiEEEENSB_INSC_IjEEEEPNS0_10empty_typeENS0_5tupleIJSE_SH_EEENSJ_IJNS9_16discard_iteratorINS9_11use_defaultEEESI_EEENS0_18inequality_wrapperINS9_8equal_toIiEEEEPmJSH_EEE10hipError_tPvRmT3_T4_T5_T6_T7_T9_mT8_P12ihipStream_tbDpT10_ENKUlT_T0_E_clISt17integral_constantIbLb1EES1C_IbLb0EEEEDaS18_S19_EUlS18_E_NS1_11comp_targetILNS1_3genE4ELNS1_11target_archE910ELNS1_3gpuE8ELNS1_3repE0EEENS1_30default_config_static_selectorELNS0_4arch9wavefront6targetE0EEEvT1_
	.globl	_ZN7rocprim17ROCPRIM_400000_NS6detail17trampoline_kernelINS0_14default_configENS1_25partition_config_selectorILNS1_17partition_subalgoE9EijbEEZZNS1_14partition_implILS5_9ELb0ES3_jN6thrust23THRUST_200600_302600_NS6detail15normal_iteratorINS9_10device_ptrIiEEEENSB_INSC_IjEEEEPNS0_10empty_typeENS0_5tupleIJSE_SH_EEENSJ_IJNS9_16discard_iteratorINS9_11use_defaultEEESI_EEENS0_18inequality_wrapperINS9_8equal_toIiEEEEPmJSH_EEE10hipError_tPvRmT3_T4_T5_T6_T7_T9_mT8_P12ihipStream_tbDpT10_ENKUlT_T0_E_clISt17integral_constantIbLb1EES1C_IbLb0EEEEDaS18_S19_EUlS18_E_NS1_11comp_targetILNS1_3genE4ELNS1_11target_archE910ELNS1_3gpuE8ELNS1_3repE0EEENS1_30default_config_static_selectorELNS0_4arch9wavefront6targetE0EEEvT1_
	.p2align	8
	.type	_ZN7rocprim17ROCPRIM_400000_NS6detail17trampoline_kernelINS0_14default_configENS1_25partition_config_selectorILNS1_17partition_subalgoE9EijbEEZZNS1_14partition_implILS5_9ELb0ES3_jN6thrust23THRUST_200600_302600_NS6detail15normal_iteratorINS9_10device_ptrIiEEEENSB_INSC_IjEEEEPNS0_10empty_typeENS0_5tupleIJSE_SH_EEENSJ_IJNS9_16discard_iteratorINS9_11use_defaultEEESI_EEENS0_18inequality_wrapperINS9_8equal_toIiEEEEPmJSH_EEE10hipError_tPvRmT3_T4_T5_T6_T7_T9_mT8_P12ihipStream_tbDpT10_ENKUlT_T0_E_clISt17integral_constantIbLb1EES1C_IbLb0EEEEDaS18_S19_EUlS18_E_NS1_11comp_targetILNS1_3genE4ELNS1_11target_archE910ELNS1_3gpuE8ELNS1_3repE0EEENS1_30default_config_static_selectorELNS0_4arch9wavefront6targetE0EEEvT1_,@function
_ZN7rocprim17ROCPRIM_400000_NS6detail17trampoline_kernelINS0_14default_configENS1_25partition_config_selectorILNS1_17partition_subalgoE9EijbEEZZNS1_14partition_implILS5_9ELb0ES3_jN6thrust23THRUST_200600_302600_NS6detail15normal_iteratorINS9_10device_ptrIiEEEENSB_INSC_IjEEEEPNS0_10empty_typeENS0_5tupleIJSE_SH_EEENSJ_IJNS9_16discard_iteratorINS9_11use_defaultEEESI_EEENS0_18inequality_wrapperINS9_8equal_toIiEEEEPmJSH_EEE10hipError_tPvRmT3_T4_T5_T6_T7_T9_mT8_P12ihipStream_tbDpT10_ENKUlT_T0_E_clISt17integral_constantIbLb1EES1C_IbLb0EEEEDaS18_S19_EUlS18_E_NS1_11comp_targetILNS1_3genE4ELNS1_11target_archE910ELNS1_3gpuE8ELNS1_3repE0EEENS1_30default_config_static_selectorELNS0_4arch9wavefront6targetE0EEEvT1_: ; @_ZN7rocprim17ROCPRIM_400000_NS6detail17trampoline_kernelINS0_14default_configENS1_25partition_config_selectorILNS1_17partition_subalgoE9EijbEEZZNS1_14partition_implILS5_9ELb0ES3_jN6thrust23THRUST_200600_302600_NS6detail15normal_iteratorINS9_10device_ptrIiEEEENSB_INSC_IjEEEEPNS0_10empty_typeENS0_5tupleIJSE_SH_EEENSJ_IJNS9_16discard_iteratorINS9_11use_defaultEEESI_EEENS0_18inequality_wrapperINS9_8equal_toIiEEEEPmJSH_EEE10hipError_tPvRmT3_T4_T5_T6_T7_T9_mT8_P12ihipStream_tbDpT10_ENKUlT_T0_E_clISt17integral_constantIbLb1EES1C_IbLb0EEEEDaS18_S19_EUlS18_E_NS1_11comp_targetILNS1_3genE4ELNS1_11target_archE910ELNS1_3gpuE8ELNS1_3repE0EEENS1_30default_config_static_selectorELNS0_4arch9wavefront6targetE0EEEvT1_
; %bb.0:
	.section	.rodata,"a",@progbits
	.p2align	6, 0x0
	.amdhsa_kernel _ZN7rocprim17ROCPRIM_400000_NS6detail17trampoline_kernelINS0_14default_configENS1_25partition_config_selectorILNS1_17partition_subalgoE9EijbEEZZNS1_14partition_implILS5_9ELb0ES3_jN6thrust23THRUST_200600_302600_NS6detail15normal_iteratorINS9_10device_ptrIiEEEENSB_INSC_IjEEEEPNS0_10empty_typeENS0_5tupleIJSE_SH_EEENSJ_IJNS9_16discard_iteratorINS9_11use_defaultEEESI_EEENS0_18inequality_wrapperINS9_8equal_toIiEEEEPmJSH_EEE10hipError_tPvRmT3_T4_T5_T6_T7_T9_mT8_P12ihipStream_tbDpT10_ENKUlT_T0_E_clISt17integral_constantIbLb1EES1C_IbLb0EEEEDaS18_S19_EUlS18_E_NS1_11comp_targetILNS1_3genE4ELNS1_11target_archE910ELNS1_3gpuE8ELNS1_3repE0EEENS1_30default_config_static_selectorELNS0_4arch9wavefront6targetE0EEEvT1_
		.amdhsa_group_segment_fixed_size 0
		.amdhsa_private_segment_fixed_size 0
		.amdhsa_kernarg_size 120
		.amdhsa_user_sgpr_count 15
		.amdhsa_user_sgpr_dispatch_ptr 0
		.amdhsa_user_sgpr_queue_ptr 0
		.amdhsa_user_sgpr_kernarg_segment_ptr 1
		.amdhsa_user_sgpr_dispatch_id 0
		.amdhsa_user_sgpr_private_segment_size 0
		.amdhsa_wavefront_size32 1
		.amdhsa_uses_dynamic_stack 0
		.amdhsa_enable_private_segment 0
		.amdhsa_system_sgpr_workgroup_id_x 1
		.amdhsa_system_sgpr_workgroup_id_y 0
		.amdhsa_system_sgpr_workgroup_id_z 0
		.amdhsa_system_sgpr_workgroup_info 0
		.amdhsa_system_vgpr_workitem_id 0
		.amdhsa_next_free_vgpr 1
		.amdhsa_next_free_sgpr 1
		.amdhsa_reserve_vcc 0
		.amdhsa_float_round_mode_32 0
		.amdhsa_float_round_mode_16_64 0
		.amdhsa_float_denorm_mode_32 3
		.amdhsa_float_denorm_mode_16_64 3
		.amdhsa_dx10_clamp 1
		.amdhsa_ieee_mode 1
		.amdhsa_fp16_overflow 0
		.amdhsa_workgroup_processor_mode 1
		.amdhsa_memory_ordered 1
		.amdhsa_forward_progress 0
		.amdhsa_shared_vgpr_count 0
		.amdhsa_exception_fp_ieee_invalid_op 0
		.amdhsa_exception_fp_denorm_src 0
		.amdhsa_exception_fp_ieee_div_zero 0
		.amdhsa_exception_fp_ieee_overflow 0
		.amdhsa_exception_fp_ieee_underflow 0
		.amdhsa_exception_fp_ieee_inexact 0
		.amdhsa_exception_int_div_zero 0
	.end_amdhsa_kernel
	.section	.text._ZN7rocprim17ROCPRIM_400000_NS6detail17trampoline_kernelINS0_14default_configENS1_25partition_config_selectorILNS1_17partition_subalgoE9EijbEEZZNS1_14partition_implILS5_9ELb0ES3_jN6thrust23THRUST_200600_302600_NS6detail15normal_iteratorINS9_10device_ptrIiEEEENSB_INSC_IjEEEEPNS0_10empty_typeENS0_5tupleIJSE_SH_EEENSJ_IJNS9_16discard_iteratorINS9_11use_defaultEEESI_EEENS0_18inequality_wrapperINS9_8equal_toIiEEEEPmJSH_EEE10hipError_tPvRmT3_T4_T5_T6_T7_T9_mT8_P12ihipStream_tbDpT10_ENKUlT_T0_E_clISt17integral_constantIbLb1EES1C_IbLb0EEEEDaS18_S19_EUlS18_E_NS1_11comp_targetILNS1_3genE4ELNS1_11target_archE910ELNS1_3gpuE8ELNS1_3repE0EEENS1_30default_config_static_selectorELNS0_4arch9wavefront6targetE0EEEvT1_,"axG",@progbits,_ZN7rocprim17ROCPRIM_400000_NS6detail17trampoline_kernelINS0_14default_configENS1_25partition_config_selectorILNS1_17partition_subalgoE9EijbEEZZNS1_14partition_implILS5_9ELb0ES3_jN6thrust23THRUST_200600_302600_NS6detail15normal_iteratorINS9_10device_ptrIiEEEENSB_INSC_IjEEEEPNS0_10empty_typeENS0_5tupleIJSE_SH_EEENSJ_IJNS9_16discard_iteratorINS9_11use_defaultEEESI_EEENS0_18inequality_wrapperINS9_8equal_toIiEEEEPmJSH_EEE10hipError_tPvRmT3_T4_T5_T6_T7_T9_mT8_P12ihipStream_tbDpT10_ENKUlT_T0_E_clISt17integral_constantIbLb1EES1C_IbLb0EEEEDaS18_S19_EUlS18_E_NS1_11comp_targetILNS1_3genE4ELNS1_11target_archE910ELNS1_3gpuE8ELNS1_3repE0EEENS1_30default_config_static_selectorELNS0_4arch9wavefront6targetE0EEEvT1_,comdat
.Lfunc_end1127:
	.size	_ZN7rocprim17ROCPRIM_400000_NS6detail17trampoline_kernelINS0_14default_configENS1_25partition_config_selectorILNS1_17partition_subalgoE9EijbEEZZNS1_14partition_implILS5_9ELb0ES3_jN6thrust23THRUST_200600_302600_NS6detail15normal_iteratorINS9_10device_ptrIiEEEENSB_INSC_IjEEEEPNS0_10empty_typeENS0_5tupleIJSE_SH_EEENSJ_IJNS9_16discard_iteratorINS9_11use_defaultEEESI_EEENS0_18inequality_wrapperINS9_8equal_toIiEEEEPmJSH_EEE10hipError_tPvRmT3_T4_T5_T6_T7_T9_mT8_P12ihipStream_tbDpT10_ENKUlT_T0_E_clISt17integral_constantIbLb1EES1C_IbLb0EEEEDaS18_S19_EUlS18_E_NS1_11comp_targetILNS1_3genE4ELNS1_11target_archE910ELNS1_3gpuE8ELNS1_3repE0EEENS1_30default_config_static_selectorELNS0_4arch9wavefront6targetE0EEEvT1_, .Lfunc_end1127-_ZN7rocprim17ROCPRIM_400000_NS6detail17trampoline_kernelINS0_14default_configENS1_25partition_config_selectorILNS1_17partition_subalgoE9EijbEEZZNS1_14partition_implILS5_9ELb0ES3_jN6thrust23THRUST_200600_302600_NS6detail15normal_iteratorINS9_10device_ptrIiEEEENSB_INSC_IjEEEEPNS0_10empty_typeENS0_5tupleIJSE_SH_EEENSJ_IJNS9_16discard_iteratorINS9_11use_defaultEEESI_EEENS0_18inequality_wrapperINS9_8equal_toIiEEEEPmJSH_EEE10hipError_tPvRmT3_T4_T5_T6_T7_T9_mT8_P12ihipStream_tbDpT10_ENKUlT_T0_E_clISt17integral_constantIbLb1EES1C_IbLb0EEEEDaS18_S19_EUlS18_E_NS1_11comp_targetILNS1_3genE4ELNS1_11target_archE910ELNS1_3gpuE8ELNS1_3repE0EEENS1_30default_config_static_selectorELNS0_4arch9wavefront6targetE0EEEvT1_
                                        ; -- End function
	.section	.AMDGPU.csdata,"",@progbits
; Kernel info:
; codeLenInByte = 0
; NumSgprs: 0
; NumVgprs: 0
; ScratchSize: 0
; MemoryBound: 0
; FloatMode: 240
; IeeeMode: 1
; LDSByteSize: 0 bytes/workgroup (compile time only)
; SGPRBlocks: 0
; VGPRBlocks: 0
; NumSGPRsForWavesPerEU: 1
; NumVGPRsForWavesPerEU: 1
; Occupancy: 15
; WaveLimiterHint : 0
; COMPUTE_PGM_RSRC2:SCRATCH_EN: 0
; COMPUTE_PGM_RSRC2:USER_SGPR: 15
; COMPUTE_PGM_RSRC2:TRAP_HANDLER: 0
; COMPUTE_PGM_RSRC2:TGID_X_EN: 1
; COMPUTE_PGM_RSRC2:TGID_Y_EN: 0
; COMPUTE_PGM_RSRC2:TGID_Z_EN: 0
; COMPUTE_PGM_RSRC2:TIDIG_COMP_CNT: 0
	.section	.text._ZN7rocprim17ROCPRIM_400000_NS6detail17trampoline_kernelINS0_14default_configENS1_25partition_config_selectorILNS1_17partition_subalgoE9EijbEEZZNS1_14partition_implILS5_9ELb0ES3_jN6thrust23THRUST_200600_302600_NS6detail15normal_iteratorINS9_10device_ptrIiEEEENSB_INSC_IjEEEEPNS0_10empty_typeENS0_5tupleIJSE_SH_EEENSJ_IJNS9_16discard_iteratorINS9_11use_defaultEEESI_EEENS0_18inequality_wrapperINS9_8equal_toIiEEEEPmJSH_EEE10hipError_tPvRmT3_T4_T5_T6_T7_T9_mT8_P12ihipStream_tbDpT10_ENKUlT_T0_E_clISt17integral_constantIbLb1EES1C_IbLb0EEEEDaS18_S19_EUlS18_E_NS1_11comp_targetILNS1_3genE3ELNS1_11target_archE908ELNS1_3gpuE7ELNS1_3repE0EEENS1_30default_config_static_selectorELNS0_4arch9wavefront6targetE0EEEvT1_,"axG",@progbits,_ZN7rocprim17ROCPRIM_400000_NS6detail17trampoline_kernelINS0_14default_configENS1_25partition_config_selectorILNS1_17partition_subalgoE9EijbEEZZNS1_14partition_implILS5_9ELb0ES3_jN6thrust23THRUST_200600_302600_NS6detail15normal_iteratorINS9_10device_ptrIiEEEENSB_INSC_IjEEEEPNS0_10empty_typeENS0_5tupleIJSE_SH_EEENSJ_IJNS9_16discard_iteratorINS9_11use_defaultEEESI_EEENS0_18inequality_wrapperINS9_8equal_toIiEEEEPmJSH_EEE10hipError_tPvRmT3_T4_T5_T6_T7_T9_mT8_P12ihipStream_tbDpT10_ENKUlT_T0_E_clISt17integral_constantIbLb1EES1C_IbLb0EEEEDaS18_S19_EUlS18_E_NS1_11comp_targetILNS1_3genE3ELNS1_11target_archE908ELNS1_3gpuE7ELNS1_3repE0EEENS1_30default_config_static_selectorELNS0_4arch9wavefront6targetE0EEEvT1_,comdat
	.protected	_ZN7rocprim17ROCPRIM_400000_NS6detail17trampoline_kernelINS0_14default_configENS1_25partition_config_selectorILNS1_17partition_subalgoE9EijbEEZZNS1_14partition_implILS5_9ELb0ES3_jN6thrust23THRUST_200600_302600_NS6detail15normal_iteratorINS9_10device_ptrIiEEEENSB_INSC_IjEEEEPNS0_10empty_typeENS0_5tupleIJSE_SH_EEENSJ_IJNS9_16discard_iteratorINS9_11use_defaultEEESI_EEENS0_18inequality_wrapperINS9_8equal_toIiEEEEPmJSH_EEE10hipError_tPvRmT3_T4_T5_T6_T7_T9_mT8_P12ihipStream_tbDpT10_ENKUlT_T0_E_clISt17integral_constantIbLb1EES1C_IbLb0EEEEDaS18_S19_EUlS18_E_NS1_11comp_targetILNS1_3genE3ELNS1_11target_archE908ELNS1_3gpuE7ELNS1_3repE0EEENS1_30default_config_static_selectorELNS0_4arch9wavefront6targetE0EEEvT1_ ; -- Begin function _ZN7rocprim17ROCPRIM_400000_NS6detail17trampoline_kernelINS0_14default_configENS1_25partition_config_selectorILNS1_17partition_subalgoE9EijbEEZZNS1_14partition_implILS5_9ELb0ES3_jN6thrust23THRUST_200600_302600_NS6detail15normal_iteratorINS9_10device_ptrIiEEEENSB_INSC_IjEEEEPNS0_10empty_typeENS0_5tupleIJSE_SH_EEENSJ_IJNS9_16discard_iteratorINS9_11use_defaultEEESI_EEENS0_18inequality_wrapperINS9_8equal_toIiEEEEPmJSH_EEE10hipError_tPvRmT3_T4_T5_T6_T7_T9_mT8_P12ihipStream_tbDpT10_ENKUlT_T0_E_clISt17integral_constantIbLb1EES1C_IbLb0EEEEDaS18_S19_EUlS18_E_NS1_11comp_targetILNS1_3genE3ELNS1_11target_archE908ELNS1_3gpuE7ELNS1_3repE0EEENS1_30default_config_static_selectorELNS0_4arch9wavefront6targetE0EEEvT1_
	.globl	_ZN7rocprim17ROCPRIM_400000_NS6detail17trampoline_kernelINS0_14default_configENS1_25partition_config_selectorILNS1_17partition_subalgoE9EijbEEZZNS1_14partition_implILS5_9ELb0ES3_jN6thrust23THRUST_200600_302600_NS6detail15normal_iteratorINS9_10device_ptrIiEEEENSB_INSC_IjEEEEPNS0_10empty_typeENS0_5tupleIJSE_SH_EEENSJ_IJNS9_16discard_iteratorINS9_11use_defaultEEESI_EEENS0_18inequality_wrapperINS9_8equal_toIiEEEEPmJSH_EEE10hipError_tPvRmT3_T4_T5_T6_T7_T9_mT8_P12ihipStream_tbDpT10_ENKUlT_T0_E_clISt17integral_constantIbLb1EES1C_IbLb0EEEEDaS18_S19_EUlS18_E_NS1_11comp_targetILNS1_3genE3ELNS1_11target_archE908ELNS1_3gpuE7ELNS1_3repE0EEENS1_30default_config_static_selectorELNS0_4arch9wavefront6targetE0EEEvT1_
	.p2align	8
	.type	_ZN7rocprim17ROCPRIM_400000_NS6detail17trampoline_kernelINS0_14default_configENS1_25partition_config_selectorILNS1_17partition_subalgoE9EijbEEZZNS1_14partition_implILS5_9ELb0ES3_jN6thrust23THRUST_200600_302600_NS6detail15normal_iteratorINS9_10device_ptrIiEEEENSB_INSC_IjEEEEPNS0_10empty_typeENS0_5tupleIJSE_SH_EEENSJ_IJNS9_16discard_iteratorINS9_11use_defaultEEESI_EEENS0_18inequality_wrapperINS9_8equal_toIiEEEEPmJSH_EEE10hipError_tPvRmT3_T4_T5_T6_T7_T9_mT8_P12ihipStream_tbDpT10_ENKUlT_T0_E_clISt17integral_constantIbLb1EES1C_IbLb0EEEEDaS18_S19_EUlS18_E_NS1_11comp_targetILNS1_3genE3ELNS1_11target_archE908ELNS1_3gpuE7ELNS1_3repE0EEENS1_30default_config_static_selectorELNS0_4arch9wavefront6targetE0EEEvT1_,@function
_ZN7rocprim17ROCPRIM_400000_NS6detail17trampoline_kernelINS0_14default_configENS1_25partition_config_selectorILNS1_17partition_subalgoE9EijbEEZZNS1_14partition_implILS5_9ELb0ES3_jN6thrust23THRUST_200600_302600_NS6detail15normal_iteratorINS9_10device_ptrIiEEEENSB_INSC_IjEEEEPNS0_10empty_typeENS0_5tupleIJSE_SH_EEENSJ_IJNS9_16discard_iteratorINS9_11use_defaultEEESI_EEENS0_18inequality_wrapperINS9_8equal_toIiEEEEPmJSH_EEE10hipError_tPvRmT3_T4_T5_T6_T7_T9_mT8_P12ihipStream_tbDpT10_ENKUlT_T0_E_clISt17integral_constantIbLb1EES1C_IbLb0EEEEDaS18_S19_EUlS18_E_NS1_11comp_targetILNS1_3genE3ELNS1_11target_archE908ELNS1_3gpuE7ELNS1_3repE0EEENS1_30default_config_static_selectorELNS0_4arch9wavefront6targetE0EEEvT1_: ; @_ZN7rocprim17ROCPRIM_400000_NS6detail17trampoline_kernelINS0_14default_configENS1_25partition_config_selectorILNS1_17partition_subalgoE9EijbEEZZNS1_14partition_implILS5_9ELb0ES3_jN6thrust23THRUST_200600_302600_NS6detail15normal_iteratorINS9_10device_ptrIiEEEENSB_INSC_IjEEEEPNS0_10empty_typeENS0_5tupleIJSE_SH_EEENSJ_IJNS9_16discard_iteratorINS9_11use_defaultEEESI_EEENS0_18inequality_wrapperINS9_8equal_toIiEEEEPmJSH_EEE10hipError_tPvRmT3_T4_T5_T6_T7_T9_mT8_P12ihipStream_tbDpT10_ENKUlT_T0_E_clISt17integral_constantIbLb1EES1C_IbLb0EEEEDaS18_S19_EUlS18_E_NS1_11comp_targetILNS1_3genE3ELNS1_11target_archE908ELNS1_3gpuE7ELNS1_3repE0EEENS1_30default_config_static_selectorELNS0_4arch9wavefront6targetE0EEEvT1_
; %bb.0:
	.section	.rodata,"a",@progbits
	.p2align	6, 0x0
	.amdhsa_kernel _ZN7rocprim17ROCPRIM_400000_NS6detail17trampoline_kernelINS0_14default_configENS1_25partition_config_selectorILNS1_17partition_subalgoE9EijbEEZZNS1_14partition_implILS5_9ELb0ES3_jN6thrust23THRUST_200600_302600_NS6detail15normal_iteratorINS9_10device_ptrIiEEEENSB_INSC_IjEEEEPNS0_10empty_typeENS0_5tupleIJSE_SH_EEENSJ_IJNS9_16discard_iteratorINS9_11use_defaultEEESI_EEENS0_18inequality_wrapperINS9_8equal_toIiEEEEPmJSH_EEE10hipError_tPvRmT3_T4_T5_T6_T7_T9_mT8_P12ihipStream_tbDpT10_ENKUlT_T0_E_clISt17integral_constantIbLb1EES1C_IbLb0EEEEDaS18_S19_EUlS18_E_NS1_11comp_targetILNS1_3genE3ELNS1_11target_archE908ELNS1_3gpuE7ELNS1_3repE0EEENS1_30default_config_static_selectorELNS0_4arch9wavefront6targetE0EEEvT1_
		.amdhsa_group_segment_fixed_size 0
		.amdhsa_private_segment_fixed_size 0
		.amdhsa_kernarg_size 120
		.amdhsa_user_sgpr_count 15
		.amdhsa_user_sgpr_dispatch_ptr 0
		.amdhsa_user_sgpr_queue_ptr 0
		.amdhsa_user_sgpr_kernarg_segment_ptr 1
		.amdhsa_user_sgpr_dispatch_id 0
		.amdhsa_user_sgpr_private_segment_size 0
		.amdhsa_wavefront_size32 1
		.amdhsa_uses_dynamic_stack 0
		.amdhsa_enable_private_segment 0
		.amdhsa_system_sgpr_workgroup_id_x 1
		.amdhsa_system_sgpr_workgroup_id_y 0
		.amdhsa_system_sgpr_workgroup_id_z 0
		.amdhsa_system_sgpr_workgroup_info 0
		.amdhsa_system_vgpr_workitem_id 0
		.amdhsa_next_free_vgpr 1
		.amdhsa_next_free_sgpr 1
		.amdhsa_reserve_vcc 0
		.amdhsa_float_round_mode_32 0
		.amdhsa_float_round_mode_16_64 0
		.amdhsa_float_denorm_mode_32 3
		.amdhsa_float_denorm_mode_16_64 3
		.amdhsa_dx10_clamp 1
		.amdhsa_ieee_mode 1
		.amdhsa_fp16_overflow 0
		.amdhsa_workgroup_processor_mode 1
		.amdhsa_memory_ordered 1
		.amdhsa_forward_progress 0
		.amdhsa_shared_vgpr_count 0
		.amdhsa_exception_fp_ieee_invalid_op 0
		.amdhsa_exception_fp_denorm_src 0
		.amdhsa_exception_fp_ieee_div_zero 0
		.amdhsa_exception_fp_ieee_overflow 0
		.amdhsa_exception_fp_ieee_underflow 0
		.amdhsa_exception_fp_ieee_inexact 0
		.amdhsa_exception_int_div_zero 0
	.end_amdhsa_kernel
	.section	.text._ZN7rocprim17ROCPRIM_400000_NS6detail17trampoline_kernelINS0_14default_configENS1_25partition_config_selectorILNS1_17partition_subalgoE9EijbEEZZNS1_14partition_implILS5_9ELb0ES3_jN6thrust23THRUST_200600_302600_NS6detail15normal_iteratorINS9_10device_ptrIiEEEENSB_INSC_IjEEEEPNS0_10empty_typeENS0_5tupleIJSE_SH_EEENSJ_IJNS9_16discard_iteratorINS9_11use_defaultEEESI_EEENS0_18inequality_wrapperINS9_8equal_toIiEEEEPmJSH_EEE10hipError_tPvRmT3_T4_T5_T6_T7_T9_mT8_P12ihipStream_tbDpT10_ENKUlT_T0_E_clISt17integral_constantIbLb1EES1C_IbLb0EEEEDaS18_S19_EUlS18_E_NS1_11comp_targetILNS1_3genE3ELNS1_11target_archE908ELNS1_3gpuE7ELNS1_3repE0EEENS1_30default_config_static_selectorELNS0_4arch9wavefront6targetE0EEEvT1_,"axG",@progbits,_ZN7rocprim17ROCPRIM_400000_NS6detail17trampoline_kernelINS0_14default_configENS1_25partition_config_selectorILNS1_17partition_subalgoE9EijbEEZZNS1_14partition_implILS5_9ELb0ES3_jN6thrust23THRUST_200600_302600_NS6detail15normal_iteratorINS9_10device_ptrIiEEEENSB_INSC_IjEEEEPNS0_10empty_typeENS0_5tupleIJSE_SH_EEENSJ_IJNS9_16discard_iteratorINS9_11use_defaultEEESI_EEENS0_18inequality_wrapperINS9_8equal_toIiEEEEPmJSH_EEE10hipError_tPvRmT3_T4_T5_T6_T7_T9_mT8_P12ihipStream_tbDpT10_ENKUlT_T0_E_clISt17integral_constantIbLb1EES1C_IbLb0EEEEDaS18_S19_EUlS18_E_NS1_11comp_targetILNS1_3genE3ELNS1_11target_archE908ELNS1_3gpuE7ELNS1_3repE0EEENS1_30default_config_static_selectorELNS0_4arch9wavefront6targetE0EEEvT1_,comdat
.Lfunc_end1128:
	.size	_ZN7rocprim17ROCPRIM_400000_NS6detail17trampoline_kernelINS0_14default_configENS1_25partition_config_selectorILNS1_17partition_subalgoE9EijbEEZZNS1_14partition_implILS5_9ELb0ES3_jN6thrust23THRUST_200600_302600_NS6detail15normal_iteratorINS9_10device_ptrIiEEEENSB_INSC_IjEEEEPNS0_10empty_typeENS0_5tupleIJSE_SH_EEENSJ_IJNS9_16discard_iteratorINS9_11use_defaultEEESI_EEENS0_18inequality_wrapperINS9_8equal_toIiEEEEPmJSH_EEE10hipError_tPvRmT3_T4_T5_T6_T7_T9_mT8_P12ihipStream_tbDpT10_ENKUlT_T0_E_clISt17integral_constantIbLb1EES1C_IbLb0EEEEDaS18_S19_EUlS18_E_NS1_11comp_targetILNS1_3genE3ELNS1_11target_archE908ELNS1_3gpuE7ELNS1_3repE0EEENS1_30default_config_static_selectorELNS0_4arch9wavefront6targetE0EEEvT1_, .Lfunc_end1128-_ZN7rocprim17ROCPRIM_400000_NS6detail17trampoline_kernelINS0_14default_configENS1_25partition_config_selectorILNS1_17partition_subalgoE9EijbEEZZNS1_14partition_implILS5_9ELb0ES3_jN6thrust23THRUST_200600_302600_NS6detail15normal_iteratorINS9_10device_ptrIiEEEENSB_INSC_IjEEEEPNS0_10empty_typeENS0_5tupleIJSE_SH_EEENSJ_IJNS9_16discard_iteratorINS9_11use_defaultEEESI_EEENS0_18inequality_wrapperINS9_8equal_toIiEEEEPmJSH_EEE10hipError_tPvRmT3_T4_T5_T6_T7_T9_mT8_P12ihipStream_tbDpT10_ENKUlT_T0_E_clISt17integral_constantIbLb1EES1C_IbLb0EEEEDaS18_S19_EUlS18_E_NS1_11comp_targetILNS1_3genE3ELNS1_11target_archE908ELNS1_3gpuE7ELNS1_3repE0EEENS1_30default_config_static_selectorELNS0_4arch9wavefront6targetE0EEEvT1_
                                        ; -- End function
	.section	.AMDGPU.csdata,"",@progbits
; Kernel info:
; codeLenInByte = 0
; NumSgprs: 0
; NumVgprs: 0
; ScratchSize: 0
; MemoryBound: 0
; FloatMode: 240
; IeeeMode: 1
; LDSByteSize: 0 bytes/workgroup (compile time only)
; SGPRBlocks: 0
; VGPRBlocks: 0
; NumSGPRsForWavesPerEU: 1
; NumVGPRsForWavesPerEU: 1
; Occupancy: 16
; WaveLimiterHint : 0
; COMPUTE_PGM_RSRC2:SCRATCH_EN: 0
; COMPUTE_PGM_RSRC2:USER_SGPR: 15
; COMPUTE_PGM_RSRC2:TRAP_HANDLER: 0
; COMPUTE_PGM_RSRC2:TGID_X_EN: 1
; COMPUTE_PGM_RSRC2:TGID_Y_EN: 0
; COMPUTE_PGM_RSRC2:TGID_Z_EN: 0
; COMPUTE_PGM_RSRC2:TIDIG_COMP_CNT: 0
	.section	.text._ZN7rocprim17ROCPRIM_400000_NS6detail17trampoline_kernelINS0_14default_configENS1_25partition_config_selectorILNS1_17partition_subalgoE9EijbEEZZNS1_14partition_implILS5_9ELb0ES3_jN6thrust23THRUST_200600_302600_NS6detail15normal_iteratorINS9_10device_ptrIiEEEENSB_INSC_IjEEEEPNS0_10empty_typeENS0_5tupleIJSE_SH_EEENSJ_IJNS9_16discard_iteratorINS9_11use_defaultEEESI_EEENS0_18inequality_wrapperINS9_8equal_toIiEEEEPmJSH_EEE10hipError_tPvRmT3_T4_T5_T6_T7_T9_mT8_P12ihipStream_tbDpT10_ENKUlT_T0_E_clISt17integral_constantIbLb1EES1C_IbLb0EEEEDaS18_S19_EUlS18_E_NS1_11comp_targetILNS1_3genE2ELNS1_11target_archE906ELNS1_3gpuE6ELNS1_3repE0EEENS1_30default_config_static_selectorELNS0_4arch9wavefront6targetE0EEEvT1_,"axG",@progbits,_ZN7rocprim17ROCPRIM_400000_NS6detail17trampoline_kernelINS0_14default_configENS1_25partition_config_selectorILNS1_17partition_subalgoE9EijbEEZZNS1_14partition_implILS5_9ELb0ES3_jN6thrust23THRUST_200600_302600_NS6detail15normal_iteratorINS9_10device_ptrIiEEEENSB_INSC_IjEEEEPNS0_10empty_typeENS0_5tupleIJSE_SH_EEENSJ_IJNS9_16discard_iteratorINS9_11use_defaultEEESI_EEENS0_18inequality_wrapperINS9_8equal_toIiEEEEPmJSH_EEE10hipError_tPvRmT3_T4_T5_T6_T7_T9_mT8_P12ihipStream_tbDpT10_ENKUlT_T0_E_clISt17integral_constantIbLb1EES1C_IbLb0EEEEDaS18_S19_EUlS18_E_NS1_11comp_targetILNS1_3genE2ELNS1_11target_archE906ELNS1_3gpuE6ELNS1_3repE0EEENS1_30default_config_static_selectorELNS0_4arch9wavefront6targetE0EEEvT1_,comdat
	.protected	_ZN7rocprim17ROCPRIM_400000_NS6detail17trampoline_kernelINS0_14default_configENS1_25partition_config_selectorILNS1_17partition_subalgoE9EijbEEZZNS1_14partition_implILS5_9ELb0ES3_jN6thrust23THRUST_200600_302600_NS6detail15normal_iteratorINS9_10device_ptrIiEEEENSB_INSC_IjEEEEPNS0_10empty_typeENS0_5tupleIJSE_SH_EEENSJ_IJNS9_16discard_iteratorINS9_11use_defaultEEESI_EEENS0_18inequality_wrapperINS9_8equal_toIiEEEEPmJSH_EEE10hipError_tPvRmT3_T4_T5_T6_T7_T9_mT8_P12ihipStream_tbDpT10_ENKUlT_T0_E_clISt17integral_constantIbLb1EES1C_IbLb0EEEEDaS18_S19_EUlS18_E_NS1_11comp_targetILNS1_3genE2ELNS1_11target_archE906ELNS1_3gpuE6ELNS1_3repE0EEENS1_30default_config_static_selectorELNS0_4arch9wavefront6targetE0EEEvT1_ ; -- Begin function _ZN7rocprim17ROCPRIM_400000_NS6detail17trampoline_kernelINS0_14default_configENS1_25partition_config_selectorILNS1_17partition_subalgoE9EijbEEZZNS1_14partition_implILS5_9ELb0ES3_jN6thrust23THRUST_200600_302600_NS6detail15normal_iteratorINS9_10device_ptrIiEEEENSB_INSC_IjEEEEPNS0_10empty_typeENS0_5tupleIJSE_SH_EEENSJ_IJNS9_16discard_iteratorINS9_11use_defaultEEESI_EEENS0_18inequality_wrapperINS9_8equal_toIiEEEEPmJSH_EEE10hipError_tPvRmT3_T4_T5_T6_T7_T9_mT8_P12ihipStream_tbDpT10_ENKUlT_T0_E_clISt17integral_constantIbLb1EES1C_IbLb0EEEEDaS18_S19_EUlS18_E_NS1_11comp_targetILNS1_3genE2ELNS1_11target_archE906ELNS1_3gpuE6ELNS1_3repE0EEENS1_30default_config_static_selectorELNS0_4arch9wavefront6targetE0EEEvT1_
	.globl	_ZN7rocprim17ROCPRIM_400000_NS6detail17trampoline_kernelINS0_14default_configENS1_25partition_config_selectorILNS1_17partition_subalgoE9EijbEEZZNS1_14partition_implILS5_9ELb0ES3_jN6thrust23THRUST_200600_302600_NS6detail15normal_iteratorINS9_10device_ptrIiEEEENSB_INSC_IjEEEEPNS0_10empty_typeENS0_5tupleIJSE_SH_EEENSJ_IJNS9_16discard_iteratorINS9_11use_defaultEEESI_EEENS0_18inequality_wrapperINS9_8equal_toIiEEEEPmJSH_EEE10hipError_tPvRmT3_T4_T5_T6_T7_T9_mT8_P12ihipStream_tbDpT10_ENKUlT_T0_E_clISt17integral_constantIbLb1EES1C_IbLb0EEEEDaS18_S19_EUlS18_E_NS1_11comp_targetILNS1_3genE2ELNS1_11target_archE906ELNS1_3gpuE6ELNS1_3repE0EEENS1_30default_config_static_selectorELNS0_4arch9wavefront6targetE0EEEvT1_
	.p2align	8
	.type	_ZN7rocprim17ROCPRIM_400000_NS6detail17trampoline_kernelINS0_14default_configENS1_25partition_config_selectorILNS1_17partition_subalgoE9EijbEEZZNS1_14partition_implILS5_9ELb0ES3_jN6thrust23THRUST_200600_302600_NS6detail15normal_iteratorINS9_10device_ptrIiEEEENSB_INSC_IjEEEEPNS0_10empty_typeENS0_5tupleIJSE_SH_EEENSJ_IJNS9_16discard_iteratorINS9_11use_defaultEEESI_EEENS0_18inequality_wrapperINS9_8equal_toIiEEEEPmJSH_EEE10hipError_tPvRmT3_T4_T5_T6_T7_T9_mT8_P12ihipStream_tbDpT10_ENKUlT_T0_E_clISt17integral_constantIbLb1EES1C_IbLb0EEEEDaS18_S19_EUlS18_E_NS1_11comp_targetILNS1_3genE2ELNS1_11target_archE906ELNS1_3gpuE6ELNS1_3repE0EEENS1_30default_config_static_selectorELNS0_4arch9wavefront6targetE0EEEvT1_,@function
_ZN7rocprim17ROCPRIM_400000_NS6detail17trampoline_kernelINS0_14default_configENS1_25partition_config_selectorILNS1_17partition_subalgoE9EijbEEZZNS1_14partition_implILS5_9ELb0ES3_jN6thrust23THRUST_200600_302600_NS6detail15normal_iteratorINS9_10device_ptrIiEEEENSB_INSC_IjEEEEPNS0_10empty_typeENS0_5tupleIJSE_SH_EEENSJ_IJNS9_16discard_iteratorINS9_11use_defaultEEESI_EEENS0_18inequality_wrapperINS9_8equal_toIiEEEEPmJSH_EEE10hipError_tPvRmT3_T4_T5_T6_T7_T9_mT8_P12ihipStream_tbDpT10_ENKUlT_T0_E_clISt17integral_constantIbLb1EES1C_IbLb0EEEEDaS18_S19_EUlS18_E_NS1_11comp_targetILNS1_3genE2ELNS1_11target_archE906ELNS1_3gpuE6ELNS1_3repE0EEENS1_30default_config_static_selectorELNS0_4arch9wavefront6targetE0EEEvT1_: ; @_ZN7rocprim17ROCPRIM_400000_NS6detail17trampoline_kernelINS0_14default_configENS1_25partition_config_selectorILNS1_17partition_subalgoE9EijbEEZZNS1_14partition_implILS5_9ELb0ES3_jN6thrust23THRUST_200600_302600_NS6detail15normal_iteratorINS9_10device_ptrIiEEEENSB_INSC_IjEEEEPNS0_10empty_typeENS0_5tupleIJSE_SH_EEENSJ_IJNS9_16discard_iteratorINS9_11use_defaultEEESI_EEENS0_18inequality_wrapperINS9_8equal_toIiEEEEPmJSH_EEE10hipError_tPvRmT3_T4_T5_T6_T7_T9_mT8_P12ihipStream_tbDpT10_ENKUlT_T0_E_clISt17integral_constantIbLb1EES1C_IbLb0EEEEDaS18_S19_EUlS18_E_NS1_11comp_targetILNS1_3genE2ELNS1_11target_archE906ELNS1_3gpuE6ELNS1_3repE0EEENS1_30default_config_static_selectorELNS0_4arch9wavefront6targetE0EEEvT1_
; %bb.0:
	.section	.rodata,"a",@progbits
	.p2align	6, 0x0
	.amdhsa_kernel _ZN7rocprim17ROCPRIM_400000_NS6detail17trampoline_kernelINS0_14default_configENS1_25partition_config_selectorILNS1_17partition_subalgoE9EijbEEZZNS1_14partition_implILS5_9ELb0ES3_jN6thrust23THRUST_200600_302600_NS6detail15normal_iteratorINS9_10device_ptrIiEEEENSB_INSC_IjEEEEPNS0_10empty_typeENS0_5tupleIJSE_SH_EEENSJ_IJNS9_16discard_iteratorINS9_11use_defaultEEESI_EEENS0_18inequality_wrapperINS9_8equal_toIiEEEEPmJSH_EEE10hipError_tPvRmT3_T4_T5_T6_T7_T9_mT8_P12ihipStream_tbDpT10_ENKUlT_T0_E_clISt17integral_constantIbLb1EES1C_IbLb0EEEEDaS18_S19_EUlS18_E_NS1_11comp_targetILNS1_3genE2ELNS1_11target_archE906ELNS1_3gpuE6ELNS1_3repE0EEENS1_30default_config_static_selectorELNS0_4arch9wavefront6targetE0EEEvT1_
		.amdhsa_group_segment_fixed_size 0
		.amdhsa_private_segment_fixed_size 0
		.amdhsa_kernarg_size 120
		.amdhsa_user_sgpr_count 15
		.amdhsa_user_sgpr_dispatch_ptr 0
		.amdhsa_user_sgpr_queue_ptr 0
		.amdhsa_user_sgpr_kernarg_segment_ptr 1
		.amdhsa_user_sgpr_dispatch_id 0
		.amdhsa_user_sgpr_private_segment_size 0
		.amdhsa_wavefront_size32 1
		.amdhsa_uses_dynamic_stack 0
		.amdhsa_enable_private_segment 0
		.amdhsa_system_sgpr_workgroup_id_x 1
		.amdhsa_system_sgpr_workgroup_id_y 0
		.amdhsa_system_sgpr_workgroup_id_z 0
		.amdhsa_system_sgpr_workgroup_info 0
		.amdhsa_system_vgpr_workitem_id 0
		.amdhsa_next_free_vgpr 1
		.amdhsa_next_free_sgpr 1
		.amdhsa_reserve_vcc 0
		.amdhsa_float_round_mode_32 0
		.amdhsa_float_round_mode_16_64 0
		.amdhsa_float_denorm_mode_32 3
		.amdhsa_float_denorm_mode_16_64 3
		.amdhsa_dx10_clamp 1
		.amdhsa_ieee_mode 1
		.amdhsa_fp16_overflow 0
		.amdhsa_workgroup_processor_mode 1
		.amdhsa_memory_ordered 1
		.amdhsa_forward_progress 0
		.amdhsa_shared_vgpr_count 0
		.amdhsa_exception_fp_ieee_invalid_op 0
		.amdhsa_exception_fp_denorm_src 0
		.amdhsa_exception_fp_ieee_div_zero 0
		.amdhsa_exception_fp_ieee_overflow 0
		.amdhsa_exception_fp_ieee_underflow 0
		.amdhsa_exception_fp_ieee_inexact 0
		.amdhsa_exception_int_div_zero 0
	.end_amdhsa_kernel
	.section	.text._ZN7rocprim17ROCPRIM_400000_NS6detail17trampoline_kernelINS0_14default_configENS1_25partition_config_selectorILNS1_17partition_subalgoE9EijbEEZZNS1_14partition_implILS5_9ELb0ES3_jN6thrust23THRUST_200600_302600_NS6detail15normal_iteratorINS9_10device_ptrIiEEEENSB_INSC_IjEEEEPNS0_10empty_typeENS0_5tupleIJSE_SH_EEENSJ_IJNS9_16discard_iteratorINS9_11use_defaultEEESI_EEENS0_18inequality_wrapperINS9_8equal_toIiEEEEPmJSH_EEE10hipError_tPvRmT3_T4_T5_T6_T7_T9_mT8_P12ihipStream_tbDpT10_ENKUlT_T0_E_clISt17integral_constantIbLb1EES1C_IbLb0EEEEDaS18_S19_EUlS18_E_NS1_11comp_targetILNS1_3genE2ELNS1_11target_archE906ELNS1_3gpuE6ELNS1_3repE0EEENS1_30default_config_static_selectorELNS0_4arch9wavefront6targetE0EEEvT1_,"axG",@progbits,_ZN7rocprim17ROCPRIM_400000_NS6detail17trampoline_kernelINS0_14default_configENS1_25partition_config_selectorILNS1_17partition_subalgoE9EijbEEZZNS1_14partition_implILS5_9ELb0ES3_jN6thrust23THRUST_200600_302600_NS6detail15normal_iteratorINS9_10device_ptrIiEEEENSB_INSC_IjEEEEPNS0_10empty_typeENS0_5tupleIJSE_SH_EEENSJ_IJNS9_16discard_iteratorINS9_11use_defaultEEESI_EEENS0_18inequality_wrapperINS9_8equal_toIiEEEEPmJSH_EEE10hipError_tPvRmT3_T4_T5_T6_T7_T9_mT8_P12ihipStream_tbDpT10_ENKUlT_T0_E_clISt17integral_constantIbLb1EES1C_IbLb0EEEEDaS18_S19_EUlS18_E_NS1_11comp_targetILNS1_3genE2ELNS1_11target_archE906ELNS1_3gpuE6ELNS1_3repE0EEENS1_30default_config_static_selectorELNS0_4arch9wavefront6targetE0EEEvT1_,comdat
.Lfunc_end1129:
	.size	_ZN7rocprim17ROCPRIM_400000_NS6detail17trampoline_kernelINS0_14default_configENS1_25partition_config_selectorILNS1_17partition_subalgoE9EijbEEZZNS1_14partition_implILS5_9ELb0ES3_jN6thrust23THRUST_200600_302600_NS6detail15normal_iteratorINS9_10device_ptrIiEEEENSB_INSC_IjEEEEPNS0_10empty_typeENS0_5tupleIJSE_SH_EEENSJ_IJNS9_16discard_iteratorINS9_11use_defaultEEESI_EEENS0_18inequality_wrapperINS9_8equal_toIiEEEEPmJSH_EEE10hipError_tPvRmT3_T4_T5_T6_T7_T9_mT8_P12ihipStream_tbDpT10_ENKUlT_T0_E_clISt17integral_constantIbLb1EES1C_IbLb0EEEEDaS18_S19_EUlS18_E_NS1_11comp_targetILNS1_3genE2ELNS1_11target_archE906ELNS1_3gpuE6ELNS1_3repE0EEENS1_30default_config_static_selectorELNS0_4arch9wavefront6targetE0EEEvT1_, .Lfunc_end1129-_ZN7rocprim17ROCPRIM_400000_NS6detail17trampoline_kernelINS0_14default_configENS1_25partition_config_selectorILNS1_17partition_subalgoE9EijbEEZZNS1_14partition_implILS5_9ELb0ES3_jN6thrust23THRUST_200600_302600_NS6detail15normal_iteratorINS9_10device_ptrIiEEEENSB_INSC_IjEEEEPNS0_10empty_typeENS0_5tupleIJSE_SH_EEENSJ_IJNS9_16discard_iteratorINS9_11use_defaultEEESI_EEENS0_18inequality_wrapperINS9_8equal_toIiEEEEPmJSH_EEE10hipError_tPvRmT3_T4_T5_T6_T7_T9_mT8_P12ihipStream_tbDpT10_ENKUlT_T0_E_clISt17integral_constantIbLb1EES1C_IbLb0EEEEDaS18_S19_EUlS18_E_NS1_11comp_targetILNS1_3genE2ELNS1_11target_archE906ELNS1_3gpuE6ELNS1_3repE0EEENS1_30default_config_static_selectorELNS0_4arch9wavefront6targetE0EEEvT1_
                                        ; -- End function
	.section	.AMDGPU.csdata,"",@progbits
; Kernel info:
; codeLenInByte = 0
; NumSgprs: 0
; NumVgprs: 0
; ScratchSize: 0
; MemoryBound: 0
; FloatMode: 240
; IeeeMode: 1
; LDSByteSize: 0 bytes/workgroup (compile time only)
; SGPRBlocks: 0
; VGPRBlocks: 0
; NumSGPRsForWavesPerEU: 1
; NumVGPRsForWavesPerEU: 1
; Occupancy: 16
; WaveLimiterHint : 0
; COMPUTE_PGM_RSRC2:SCRATCH_EN: 0
; COMPUTE_PGM_RSRC2:USER_SGPR: 15
; COMPUTE_PGM_RSRC2:TRAP_HANDLER: 0
; COMPUTE_PGM_RSRC2:TGID_X_EN: 1
; COMPUTE_PGM_RSRC2:TGID_Y_EN: 0
; COMPUTE_PGM_RSRC2:TGID_Z_EN: 0
; COMPUTE_PGM_RSRC2:TIDIG_COMP_CNT: 0
	.section	.text._ZN7rocprim17ROCPRIM_400000_NS6detail17trampoline_kernelINS0_14default_configENS1_25partition_config_selectorILNS1_17partition_subalgoE9EijbEEZZNS1_14partition_implILS5_9ELb0ES3_jN6thrust23THRUST_200600_302600_NS6detail15normal_iteratorINS9_10device_ptrIiEEEENSB_INSC_IjEEEEPNS0_10empty_typeENS0_5tupleIJSE_SH_EEENSJ_IJNS9_16discard_iteratorINS9_11use_defaultEEESI_EEENS0_18inequality_wrapperINS9_8equal_toIiEEEEPmJSH_EEE10hipError_tPvRmT3_T4_T5_T6_T7_T9_mT8_P12ihipStream_tbDpT10_ENKUlT_T0_E_clISt17integral_constantIbLb1EES1C_IbLb0EEEEDaS18_S19_EUlS18_E_NS1_11comp_targetILNS1_3genE10ELNS1_11target_archE1200ELNS1_3gpuE4ELNS1_3repE0EEENS1_30default_config_static_selectorELNS0_4arch9wavefront6targetE0EEEvT1_,"axG",@progbits,_ZN7rocprim17ROCPRIM_400000_NS6detail17trampoline_kernelINS0_14default_configENS1_25partition_config_selectorILNS1_17partition_subalgoE9EijbEEZZNS1_14partition_implILS5_9ELb0ES3_jN6thrust23THRUST_200600_302600_NS6detail15normal_iteratorINS9_10device_ptrIiEEEENSB_INSC_IjEEEEPNS0_10empty_typeENS0_5tupleIJSE_SH_EEENSJ_IJNS9_16discard_iteratorINS9_11use_defaultEEESI_EEENS0_18inequality_wrapperINS9_8equal_toIiEEEEPmJSH_EEE10hipError_tPvRmT3_T4_T5_T6_T7_T9_mT8_P12ihipStream_tbDpT10_ENKUlT_T0_E_clISt17integral_constantIbLb1EES1C_IbLb0EEEEDaS18_S19_EUlS18_E_NS1_11comp_targetILNS1_3genE10ELNS1_11target_archE1200ELNS1_3gpuE4ELNS1_3repE0EEENS1_30default_config_static_selectorELNS0_4arch9wavefront6targetE0EEEvT1_,comdat
	.protected	_ZN7rocprim17ROCPRIM_400000_NS6detail17trampoline_kernelINS0_14default_configENS1_25partition_config_selectorILNS1_17partition_subalgoE9EijbEEZZNS1_14partition_implILS5_9ELb0ES3_jN6thrust23THRUST_200600_302600_NS6detail15normal_iteratorINS9_10device_ptrIiEEEENSB_INSC_IjEEEEPNS0_10empty_typeENS0_5tupleIJSE_SH_EEENSJ_IJNS9_16discard_iteratorINS9_11use_defaultEEESI_EEENS0_18inequality_wrapperINS9_8equal_toIiEEEEPmJSH_EEE10hipError_tPvRmT3_T4_T5_T6_T7_T9_mT8_P12ihipStream_tbDpT10_ENKUlT_T0_E_clISt17integral_constantIbLb1EES1C_IbLb0EEEEDaS18_S19_EUlS18_E_NS1_11comp_targetILNS1_3genE10ELNS1_11target_archE1200ELNS1_3gpuE4ELNS1_3repE0EEENS1_30default_config_static_selectorELNS0_4arch9wavefront6targetE0EEEvT1_ ; -- Begin function _ZN7rocprim17ROCPRIM_400000_NS6detail17trampoline_kernelINS0_14default_configENS1_25partition_config_selectorILNS1_17partition_subalgoE9EijbEEZZNS1_14partition_implILS5_9ELb0ES3_jN6thrust23THRUST_200600_302600_NS6detail15normal_iteratorINS9_10device_ptrIiEEEENSB_INSC_IjEEEEPNS0_10empty_typeENS0_5tupleIJSE_SH_EEENSJ_IJNS9_16discard_iteratorINS9_11use_defaultEEESI_EEENS0_18inequality_wrapperINS9_8equal_toIiEEEEPmJSH_EEE10hipError_tPvRmT3_T4_T5_T6_T7_T9_mT8_P12ihipStream_tbDpT10_ENKUlT_T0_E_clISt17integral_constantIbLb1EES1C_IbLb0EEEEDaS18_S19_EUlS18_E_NS1_11comp_targetILNS1_3genE10ELNS1_11target_archE1200ELNS1_3gpuE4ELNS1_3repE0EEENS1_30default_config_static_selectorELNS0_4arch9wavefront6targetE0EEEvT1_
	.globl	_ZN7rocprim17ROCPRIM_400000_NS6detail17trampoline_kernelINS0_14default_configENS1_25partition_config_selectorILNS1_17partition_subalgoE9EijbEEZZNS1_14partition_implILS5_9ELb0ES3_jN6thrust23THRUST_200600_302600_NS6detail15normal_iteratorINS9_10device_ptrIiEEEENSB_INSC_IjEEEEPNS0_10empty_typeENS0_5tupleIJSE_SH_EEENSJ_IJNS9_16discard_iteratorINS9_11use_defaultEEESI_EEENS0_18inequality_wrapperINS9_8equal_toIiEEEEPmJSH_EEE10hipError_tPvRmT3_T4_T5_T6_T7_T9_mT8_P12ihipStream_tbDpT10_ENKUlT_T0_E_clISt17integral_constantIbLb1EES1C_IbLb0EEEEDaS18_S19_EUlS18_E_NS1_11comp_targetILNS1_3genE10ELNS1_11target_archE1200ELNS1_3gpuE4ELNS1_3repE0EEENS1_30default_config_static_selectorELNS0_4arch9wavefront6targetE0EEEvT1_
	.p2align	8
	.type	_ZN7rocprim17ROCPRIM_400000_NS6detail17trampoline_kernelINS0_14default_configENS1_25partition_config_selectorILNS1_17partition_subalgoE9EijbEEZZNS1_14partition_implILS5_9ELb0ES3_jN6thrust23THRUST_200600_302600_NS6detail15normal_iteratorINS9_10device_ptrIiEEEENSB_INSC_IjEEEEPNS0_10empty_typeENS0_5tupleIJSE_SH_EEENSJ_IJNS9_16discard_iteratorINS9_11use_defaultEEESI_EEENS0_18inequality_wrapperINS9_8equal_toIiEEEEPmJSH_EEE10hipError_tPvRmT3_T4_T5_T6_T7_T9_mT8_P12ihipStream_tbDpT10_ENKUlT_T0_E_clISt17integral_constantIbLb1EES1C_IbLb0EEEEDaS18_S19_EUlS18_E_NS1_11comp_targetILNS1_3genE10ELNS1_11target_archE1200ELNS1_3gpuE4ELNS1_3repE0EEENS1_30default_config_static_selectorELNS0_4arch9wavefront6targetE0EEEvT1_,@function
_ZN7rocprim17ROCPRIM_400000_NS6detail17trampoline_kernelINS0_14default_configENS1_25partition_config_selectorILNS1_17partition_subalgoE9EijbEEZZNS1_14partition_implILS5_9ELb0ES3_jN6thrust23THRUST_200600_302600_NS6detail15normal_iteratorINS9_10device_ptrIiEEEENSB_INSC_IjEEEEPNS0_10empty_typeENS0_5tupleIJSE_SH_EEENSJ_IJNS9_16discard_iteratorINS9_11use_defaultEEESI_EEENS0_18inequality_wrapperINS9_8equal_toIiEEEEPmJSH_EEE10hipError_tPvRmT3_T4_T5_T6_T7_T9_mT8_P12ihipStream_tbDpT10_ENKUlT_T0_E_clISt17integral_constantIbLb1EES1C_IbLb0EEEEDaS18_S19_EUlS18_E_NS1_11comp_targetILNS1_3genE10ELNS1_11target_archE1200ELNS1_3gpuE4ELNS1_3repE0EEENS1_30default_config_static_selectorELNS0_4arch9wavefront6targetE0EEEvT1_: ; @_ZN7rocprim17ROCPRIM_400000_NS6detail17trampoline_kernelINS0_14default_configENS1_25partition_config_selectorILNS1_17partition_subalgoE9EijbEEZZNS1_14partition_implILS5_9ELb0ES3_jN6thrust23THRUST_200600_302600_NS6detail15normal_iteratorINS9_10device_ptrIiEEEENSB_INSC_IjEEEEPNS0_10empty_typeENS0_5tupleIJSE_SH_EEENSJ_IJNS9_16discard_iteratorINS9_11use_defaultEEESI_EEENS0_18inequality_wrapperINS9_8equal_toIiEEEEPmJSH_EEE10hipError_tPvRmT3_T4_T5_T6_T7_T9_mT8_P12ihipStream_tbDpT10_ENKUlT_T0_E_clISt17integral_constantIbLb1EES1C_IbLb0EEEEDaS18_S19_EUlS18_E_NS1_11comp_targetILNS1_3genE10ELNS1_11target_archE1200ELNS1_3gpuE4ELNS1_3repE0EEENS1_30default_config_static_selectorELNS0_4arch9wavefront6targetE0EEEvT1_
; %bb.0:
	.section	.rodata,"a",@progbits
	.p2align	6, 0x0
	.amdhsa_kernel _ZN7rocprim17ROCPRIM_400000_NS6detail17trampoline_kernelINS0_14default_configENS1_25partition_config_selectorILNS1_17partition_subalgoE9EijbEEZZNS1_14partition_implILS5_9ELb0ES3_jN6thrust23THRUST_200600_302600_NS6detail15normal_iteratorINS9_10device_ptrIiEEEENSB_INSC_IjEEEEPNS0_10empty_typeENS0_5tupleIJSE_SH_EEENSJ_IJNS9_16discard_iteratorINS9_11use_defaultEEESI_EEENS0_18inequality_wrapperINS9_8equal_toIiEEEEPmJSH_EEE10hipError_tPvRmT3_T4_T5_T6_T7_T9_mT8_P12ihipStream_tbDpT10_ENKUlT_T0_E_clISt17integral_constantIbLb1EES1C_IbLb0EEEEDaS18_S19_EUlS18_E_NS1_11comp_targetILNS1_3genE10ELNS1_11target_archE1200ELNS1_3gpuE4ELNS1_3repE0EEENS1_30default_config_static_selectorELNS0_4arch9wavefront6targetE0EEEvT1_
		.amdhsa_group_segment_fixed_size 0
		.amdhsa_private_segment_fixed_size 0
		.amdhsa_kernarg_size 120
		.amdhsa_user_sgpr_count 15
		.amdhsa_user_sgpr_dispatch_ptr 0
		.amdhsa_user_sgpr_queue_ptr 0
		.amdhsa_user_sgpr_kernarg_segment_ptr 1
		.amdhsa_user_sgpr_dispatch_id 0
		.amdhsa_user_sgpr_private_segment_size 0
		.amdhsa_wavefront_size32 1
		.amdhsa_uses_dynamic_stack 0
		.amdhsa_enable_private_segment 0
		.amdhsa_system_sgpr_workgroup_id_x 1
		.amdhsa_system_sgpr_workgroup_id_y 0
		.amdhsa_system_sgpr_workgroup_id_z 0
		.amdhsa_system_sgpr_workgroup_info 0
		.amdhsa_system_vgpr_workitem_id 0
		.amdhsa_next_free_vgpr 1
		.amdhsa_next_free_sgpr 1
		.amdhsa_reserve_vcc 0
		.amdhsa_float_round_mode_32 0
		.amdhsa_float_round_mode_16_64 0
		.amdhsa_float_denorm_mode_32 3
		.amdhsa_float_denorm_mode_16_64 3
		.amdhsa_dx10_clamp 1
		.amdhsa_ieee_mode 1
		.amdhsa_fp16_overflow 0
		.amdhsa_workgroup_processor_mode 1
		.amdhsa_memory_ordered 1
		.amdhsa_forward_progress 0
		.amdhsa_shared_vgpr_count 0
		.amdhsa_exception_fp_ieee_invalid_op 0
		.amdhsa_exception_fp_denorm_src 0
		.amdhsa_exception_fp_ieee_div_zero 0
		.amdhsa_exception_fp_ieee_overflow 0
		.amdhsa_exception_fp_ieee_underflow 0
		.amdhsa_exception_fp_ieee_inexact 0
		.amdhsa_exception_int_div_zero 0
	.end_amdhsa_kernel
	.section	.text._ZN7rocprim17ROCPRIM_400000_NS6detail17trampoline_kernelINS0_14default_configENS1_25partition_config_selectorILNS1_17partition_subalgoE9EijbEEZZNS1_14partition_implILS5_9ELb0ES3_jN6thrust23THRUST_200600_302600_NS6detail15normal_iteratorINS9_10device_ptrIiEEEENSB_INSC_IjEEEEPNS0_10empty_typeENS0_5tupleIJSE_SH_EEENSJ_IJNS9_16discard_iteratorINS9_11use_defaultEEESI_EEENS0_18inequality_wrapperINS9_8equal_toIiEEEEPmJSH_EEE10hipError_tPvRmT3_T4_T5_T6_T7_T9_mT8_P12ihipStream_tbDpT10_ENKUlT_T0_E_clISt17integral_constantIbLb1EES1C_IbLb0EEEEDaS18_S19_EUlS18_E_NS1_11comp_targetILNS1_3genE10ELNS1_11target_archE1200ELNS1_3gpuE4ELNS1_3repE0EEENS1_30default_config_static_selectorELNS0_4arch9wavefront6targetE0EEEvT1_,"axG",@progbits,_ZN7rocprim17ROCPRIM_400000_NS6detail17trampoline_kernelINS0_14default_configENS1_25partition_config_selectorILNS1_17partition_subalgoE9EijbEEZZNS1_14partition_implILS5_9ELb0ES3_jN6thrust23THRUST_200600_302600_NS6detail15normal_iteratorINS9_10device_ptrIiEEEENSB_INSC_IjEEEEPNS0_10empty_typeENS0_5tupleIJSE_SH_EEENSJ_IJNS9_16discard_iteratorINS9_11use_defaultEEESI_EEENS0_18inequality_wrapperINS9_8equal_toIiEEEEPmJSH_EEE10hipError_tPvRmT3_T4_T5_T6_T7_T9_mT8_P12ihipStream_tbDpT10_ENKUlT_T0_E_clISt17integral_constantIbLb1EES1C_IbLb0EEEEDaS18_S19_EUlS18_E_NS1_11comp_targetILNS1_3genE10ELNS1_11target_archE1200ELNS1_3gpuE4ELNS1_3repE0EEENS1_30default_config_static_selectorELNS0_4arch9wavefront6targetE0EEEvT1_,comdat
.Lfunc_end1130:
	.size	_ZN7rocprim17ROCPRIM_400000_NS6detail17trampoline_kernelINS0_14default_configENS1_25partition_config_selectorILNS1_17partition_subalgoE9EijbEEZZNS1_14partition_implILS5_9ELb0ES3_jN6thrust23THRUST_200600_302600_NS6detail15normal_iteratorINS9_10device_ptrIiEEEENSB_INSC_IjEEEEPNS0_10empty_typeENS0_5tupleIJSE_SH_EEENSJ_IJNS9_16discard_iteratorINS9_11use_defaultEEESI_EEENS0_18inequality_wrapperINS9_8equal_toIiEEEEPmJSH_EEE10hipError_tPvRmT3_T4_T5_T6_T7_T9_mT8_P12ihipStream_tbDpT10_ENKUlT_T0_E_clISt17integral_constantIbLb1EES1C_IbLb0EEEEDaS18_S19_EUlS18_E_NS1_11comp_targetILNS1_3genE10ELNS1_11target_archE1200ELNS1_3gpuE4ELNS1_3repE0EEENS1_30default_config_static_selectorELNS0_4arch9wavefront6targetE0EEEvT1_, .Lfunc_end1130-_ZN7rocprim17ROCPRIM_400000_NS6detail17trampoline_kernelINS0_14default_configENS1_25partition_config_selectorILNS1_17partition_subalgoE9EijbEEZZNS1_14partition_implILS5_9ELb0ES3_jN6thrust23THRUST_200600_302600_NS6detail15normal_iteratorINS9_10device_ptrIiEEEENSB_INSC_IjEEEEPNS0_10empty_typeENS0_5tupleIJSE_SH_EEENSJ_IJNS9_16discard_iteratorINS9_11use_defaultEEESI_EEENS0_18inequality_wrapperINS9_8equal_toIiEEEEPmJSH_EEE10hipError_tPvRmT3_T4_T5_T6_T7_T9_mT8_P12ihipStream_tbDpT10_ENKUlT_T0_E_clISt17integral_constantIbLb1EES1C_IbLb0EEEEDaS18_S19_EUlS18_E_NS1_11comp_targetILNS1_3genE10ELNS1_11target_archE1200ELNS1_3gpuE4ELNS1_3repE0EEENS1_30default_config_static_selectorELNS0_4arch9wavefront6targetE0EEEvT1_
                                        ; -- End function
	.section	.AMDGPU.csdata,"",@progbits
; Kernel info:
; codeLenInByte = 0
; NumSgprs: 0
; NumVgprs: 0
; ScratchSize: 0
; MemoryBound: 0
; FloatMode: 240
; IeeeMode: 1
; LDSByteSize: 0 bytes/workgroup (compile time only)
; SGPRBlocks: 0
; VGPRBlocks: 0
; NumSGPRsForWavesPerEU: 1
; NumVGPRsForWavesPerEU: 1
; Occupancy: 15
; WaveLimiterHint : 0
; COMPUTE_PGM_RSRC2:SCRATCH_EN: 0
; COMPUTE_PGM_RSRC2:USER_SGPR: 15
; COMPUTE_PGM_RSRC2:TRAP_HANDLER: 0
; COMPUTE_PGM_RSRC2:TGID_X_EN: 1
; COMPUTE_PGM_RSRC2:TGID_Y_EN: 0
; COMPUTE_PGM_RSRC2:TGID_Z_EN: 0
; COMPUTE_PGM_RSRC2:TIDIG_COMP_CNT: 0
	.section	.text._ZN7rocprim17ROCPRIM_400000_NS6detail17trampoline_kernelINS0_14default_configENS1_25partition_config_selectorILNS1_17partition_subalgoE9EijbEEZZNS1_14partition_implILS5_9ELb0ES3_jN6thrust23THRUST_200600_302600_NS6detail15normal_iteratorINS9_10device_ptrIiEEEENSB_INSC_IjEEEEPNS0_10empty_typeENS0_5tupleIJSE_SH_EEENSJ_IJNS9_16discard_iteratorINS9_11use_defaultEEESI_EEENS0_18inequality_wrapperINS9_8equal_toIiEEEEPmJSH_EEE10hipError_tPvRmT3_T4_T5_T6_T7_T9_mT8_P12ihipStream_tbDpT10_ENKUlT_T0_E_clISt17integral_constantIbLb1EES1C_IbLb0EEEEDaS18_S19_EUlS18_E_NS1_11comp_targetILNS1_3genE9ELNS1_11target_archE1100ELNS1_3gpuE3ELNS1_3repE0EEENS1_30default_config_static_selectorELNS0_4arch9wavefront6targetE0EEEvT1_,"axG",@progbits,_ZN7rocprim17ROCPRIM_400000_NS6detail17trampoline_kernelINS0_14default_configENS1_25partition_config_selectorILNS1_17partition_subalgoE9EijbEEZZNS1_14partition_implILS5_9ELb0ES3_jN6thrust23THRUST_200600_302600_NS6detail15normal_iteratorINS9_10device_ptrIiEEEENSB_INSC_IjEEEEPNS0_10empty_typeENS0_5tupleIJSE_SH_EEENSJ_IJNS9_16discard_iteratorINS9_11use_defaultEEESI_EEENS0_18inequality_wrapperINS9_8equal_toIiEEEEPmJSH_EEE10hipError_tPvRmT3_T4_T5_T6_T7_T9_mT8_P12ihipStream_tbDpT10_ENKUlT_T0_E_clISt17integral_constantIbLb1EES1C_IbLb0EEEEDaS18_S19_EUlS18_E_NS1_11comp_targetILNS1_3genE9ELNS1_11target_archE1100ELNS1_3gpuE3ELNS1_3repE0EEENS1_30default_config_static_selectorELNS0_4arch9wavefront6targetE0EEEvT1_,comdat
	.protected	_ZN7rocprim17ROCPRIM_400000_NS6detail17trampoline_kernelINS0_14default_configENS1_25partition_config_selectorILNS1_17partition_subalgoE9EijbEEZZNS1_14partition_implILS5_9ELb0ES3_jN6thrust23THRUST_200600_302600_NS6detail15normal_iteratorINS9_10device_ptrIiEEEENSB_INSC_IjEEEEPNS0_10empty_typeENS0_5tupleIJSE_SH_EEENSJ_IJNS9_16discard_iteratorINS9_11use_defaultEEESI_EEENS0_18inequality_wrapperINS9_8equal_toIiEEEEPmJSH_EEE10hipError_tPvRmT3_T4_T5_T6_T7_T9_mT8_P12ihipStream_tbDpT10_ENKUlT_T0_E_clISt17integral_constantIbLb1EES1C_IbLb0EEEEDaS18_S19_EUlS18_E_NS1_11comp_targetILNS1_3genE9ELNS1_11target_archE1100ELNS1_3gpuE3ELNS1_3repE0EEENS1_30default_config_static_selectorELNS0_4arch9wavefront6targetE0EEEvT1_ ; -- Begin function _ZN7rocprim17ROCPRIM_400000_NS6detail17trampoline_kernelINS0_14default_configENS1_25partition_config_selectorILNS1_17partition_subalgoE9EijbEEZZNS1_14partition_implILS5_9ELb0ES3_jN6thrust23THRUST_200600_302600_NS6detail15normal_iteratorINS9_10device_ptrIiEEEENSB_INSC_IjEEEEPNS0_10empty_typeENS0_5tupleIJSE_SH_EEENSJ_IJNS9_16discard_iteratorINS9_11use_defaultEEESI_EEENS0_18inequality_wrapperINS9_8equal_toIiEEEEPmJSH_EEE10hipError_tPvRmT3_T4_T5_T6_T7_T9_mT8_P12ihipStream_tbDpT10_ENKUlT_T0_E_clISt17integral_constantIbLb1EES1C_IbLb0EEEEDaS18_S19_EUlS18_E_NS1_11comp_targetILNS1_3genE9ELNS1_11target_archE1100ELNS1_3gpuE3ELNS1_3repE0EEENS1_30default_config_static_selectorELNS0_4arch9wavefront6targetE0EEEvT1_
	.globl	_ZN7rocprim17ROCPRIM_400000_NS6detail17trampoline_kernelINS0_14default_configENS1_25partition_config_selectorILNS1_17partition_subalgoE9EijbEEZZNS1_14partition_implILS5_9ELb0ES3_jN6thrust23THRUST_200600_302600_NS6detail15normal_iteratorINS9_10device_ptrIiEEEENSB_INSC_IjEEEEPNS0_10empty_typeENS0_5tupleIJSE_SH_EEENSJ_IJNS9_16discard_iteratorINS9_11use_defaultEEESI_EEENS0_18inequality_wrapperINS9_8equal_toIiEEEEPmJSH_EEE10hipError_tPvRmT3_T4_T5_T6_T7_T9_mT8_P12ihipStream_tbDpT10_ENKUlT_T0_E_clISt17integral_constantIbLb1EES1C_IbLb0EEEEDaS18_S19_EUlS18_E_NS1_11comp_targetILNS1_3genE9ELNS1_11target_archE1100ELNS1_3gpuE3ELNS1_3repE0EEENS1_30default_config_static_selectorELNS0_4arch9wavefront6targetE0EEEvT1_
	.p2align	8
	.type	_ZN7rocprim17ROCPRIM_400000_NS6detail17trampoline_kernelINS0_14default_configENS1_25partition_config_selectorILNS1_17partition_subalgoE9EijbEEZZNS1_14partition_implILS5_9ELb0ES3_jN6thrust23THRUST_200600_302600_NS6detail15normal_iteratorINS9_10device_ptrIiEEEENSB_INSC_IjEEEEPNS0_10empty_typeENS0_5tupleIJSE_SH_EEENSJ_IJNS9_16discard_iteratorINS9_11use_defaultEEESI_EEENS0_18inequality_wrapperINS9_8equal_toIiEEEEPmJSH_EEE10hipError_tPvRmT3_T4_T5_T6_T7_T9_mT8_P12ihipStream_tbDpT10_ENKUlT_T0_E_clISt17integral_constantIbLb1EES1C_IbLb0EEEEDaS18_S19_EUlS18_E_NS1_11comp_targetILNS1_3genE9ELNS1_11target_archE1100ELNS1_3gpuE3ELNS1_3repE0EEENS1_30default_config_static_selectorELNS0_4arch9wavefront6targetE0EEEvT1_,@function
_ZN7rocprim17ROCPRIM_400000_NS6detail17trampoline_kernelINS0_14default_configENS1_25partition_config_selectorILNS1_17partition_subalgoE9EijbEEZZNS1_14partition_implILS5_9ELb0ES3_jN6thrust23THRUST_200600_302600_NS6detail15normal_iteratorINS9_10device_ptrIiEEEENSB_INSC_IjEEEEPNS0_10empty_typeENS0_5tupleIJSE_SH_EEENSJ_IJNS9_16discard_iteratorINS9_11use_defaultEEESI_EEENS0_18inequality_wrapperINS9_8equal_toIiEEEEPmJSH_EEE10hipError_tPvRmT3_T4_T5_T6_T7_T9_mT8_P12ihipStream_tbDpT10_ENKUlT_T0_E_clISt17integral_constantIbLb1EES1C_IbLb0EEEEDaS18_S19_EUlS18_E_NS1_11comp_targetILNS1_3genE9ELNS1_11target_archE1100ELNS1_3gpuE3ELNS1_3repE0EEENS1_30default_config_static_selectorELNS0_4arch9wavefront6targetE0EEEvT1_: ; @_ZN7rocprim17ROCPRIM_400000_NS6detail17trampoline_kernelINS0_14default_configENS1_25partition_config_selectorILNS1_17partition_subalgoE9EijbEEZZNS1_14partition_implILS5_9ELb0ES3_jN6thrust23THRUST_200600_302600_NS6detail15normal_iteratorINS9_10device_ptrIiEEEENSB_INSC_IjEEEEPNS0_10empty_typeENS0_5tupleIJSE_SH_EEENSJ_IJNS9_16discard_iteratorINS9_11use_defaultEEESI_EEENS0_18inequality_wrapperINS9_8equal_toIiEEEEPmJSH_EEE10hipError_tPvRmT3_T4_T5_T6_T7_T9_mT8_P12ihipStream_tbDpT10_ENKUlT_T0_E_clISt17integral_constantIbLb1EES1C_IbLb0EEEEDaS18_S19_EUlS18_E_NS1_11comp_targetILNS1_3genE9ELNS1_11target_archE1100ELNS1_3gpuE3ELNS1_3repE0EEENS1_30default_config_static_selectorELNS0_4arch9wavefront6targetE0EEEvT1_
; %bb.0:
	s_clause 0x4
	s_load_b128 s[4:7], s[0:1], 0x8
	s_load_b32 s14, s[0:1], 0x70
	s_load_b128 s[16:19], s[0:1], 0x48
	s_load_b64 s[2:3], s[0:1], 0x58
	s_load_b64 s[8:9], s[0:1], 0x18
	s_mov_b32 s23, 0
	s_mul_i32 s22, s15, 0xc00
	v_lshrrev_b32_e32 v10, 3, v0
	v_add_nc_u32_e32 v14, 0x180, v0
	v_add_nc_u32_e32 v13, 0x300, v0
	;; [unrolled: 1-line block ×3, first 2 shown]
	v_or_b32_e32 v15, 0x600, v0
	v_add_nc_u32_e32 v11, 0x780, v0
	v_add_nc_u32_e32 v9, 0x900, v0
	;; [unrolled: 1-line block ×3, first 2 shown]
	s_waitcnt lgkmcnt(0)
	s_lshl_b64 s[12:13], s[6:7], 2
	s_mul_i32 s20, s14, 0xc00
	s_add_u32 s21, s4, s12
	s_addc_u32 s24, s5, s13
	s_add_i32 s4, s20, s6
	s_load_b64 s[10:11], s[18:19], 0x0
	s_sub_i32 s19, s2, s4
	s_add_i32 s14, s14, -1
	s_addk_i32 s19, 0xc00
	s_add_u32 s4, s6, s20
	s_addc_u32 s5, s7, 0
	s_cmp_eq_u32 s15, s14
	v_cmp_ge_u64_e64 s2, s[4:5], s[2:3]
	s_cselect_b32 s14, -1, 0
	s_lshl_b64 s[4:5], s[22:23], 2
	s_mov_b32 s22, -1
	s_delay_alu instid0(VALU_DEP_1) | instskip(NEXT) | instid1(SALU_CYCLE_1)
	s_and_b32 s20, s14, s2
	s_xor_b32 s18, s20, -1
	s_add_u32 s21, s21, s4
	s_addc_u32 s3, s24, s5
	s_and_b32 vcc_lo, exec_lo, s18
	s_cbranch_vccz .LBB1131_2
; %bb.1:
	v_lshlrev_b32_e32 v7, 2, v0
	v_lshrrev_b32_e32 v19, 3, v14
	v_lshrrev_b32_e32 v20, 3, v13
	;; [unrolled: 1-line block ×4, first 2 shown]
	v_add_co_u32 v1, s2, s21, v7
	s_delay_alu instid0(VALU_DEP_1) | instskip(SKIP_1) | instid1(VALU_DEP_3)
	v_add_co_ci_u32_e64 v2, null, s3, 0, s2
	v_lshrrev_b32_e32 v23, 3, v11
	v_add_co_u32 v3, vcc_lo, 0x1000, v1
	s_delay_alu instid0(VALU_DEP_3)
	v_add_co_ci_u32_e32 v4, vcc_lo, 0, v2, vcc_lo
	v_add_co_u32 v5, vcc_lo, 0x2000, v1
	v_add_co_ci_u32_e32 v6, vcc_lo, 0, v2, vcc_lo
	s_clause 0x7
	flat_load_b32 v8, v[1:2]
	flat_load_b32 v17, v[1:2] offset:1536
	flat_load_b32 v1, v[1:2] offset:3072
	;; [unrolled: 1-line block ×7, first 2 shown]
	v_and_b32_e32 v6, 60, v10
	v_lshrrev_b32_e32 v24, 3, v9
	v_lshrrev_b32_e32 v25, 3, v12
	v_and_b32_e32 v19, 0x7c, v19
	v_and_b32_e32 v20, 0xfc, v20
	;; [unrolled: 1-line block ×4, first 2 shown]
	v_add_nc_u32_e32 v6, v6, v7
	v_and_b32_e32 v23, 0x1fc, v23
	v_and_b32_e32 v24, 0x17c, v24
	;; [unrolled: 1-line block ×3, first 2 shown]
	v_add_nc_u32_e32 v19, v19, v7
	v_add_nc_u32_e32 v20, v20, v7
	;; [unrolled: 1-line block ×4, first 2 shown]
	s_mov_b32 s22, 0
	v_add_nc_u32_e32 v23, v23, v7
	v_add_nc_u32_e32 v24, v24, v7
	;; [unrolled: 1-line block ×3, first 2 shown]
	s_waitcnt vmcnt(7) lgkmcnt(0)
	ds_store_b32 v6, v8
	s_waitcnt vmcnt(6)
	ds_store_b32 v19, v17 offset:1536
	s_waitcnt vmcnt(5)
	ds_store_b32 v20, v1 offset:3072
	;; [unrolled: 2-line block ×7, first 2 shown]
	s_waitcnt lgkmcnt(0)
	s_barrier
.LBB1131_2:
	v_cmp_gt_u32_e64 s2, s19, v0
	s_and_not1_b32 vcc_lo, exec_lo, s22
	s_cbranch_vccnz .LBB1131_20
; %bb.3:
                                        ; implicit-def: $vgpr1_vgpr2_vgpr3_vgpr4_vgpr5_vgpr6_vgpr7_vgpr8
	s_delay_alu instid0(VALU_DEP_1)
	s_and_saveexec_b32 s22, s2
	s_cbranch_execz .LBB1131_11
; %bb.4:
	v_lshlrev_b32_e32 v1, 2, v0
	s_delay_alu instid0(VALU_DEP_1) | instskip(NEXT) | instid1(VALU_DEP_1)
	v_add_co_u32 v1, s2, s21, v1
	v_add_co_ci_u32_e64 v2, null, s3, 0, s2
	flat_load_b32 v1, v[1:2]
	s_or_b32 exec_lo, exec_lo, s22
	s_delay_alu instid0(SALU_CYCLE_1)
	s_mov_b32 s2, exec_lo
	v_cmpx_gt_u32_e64 s19, v14
	s_cbranch_execnz .LBB1131_12
.LBB1131_5:
	s_or_b32 exec_lo, exec_lo, s2
	s_delay_alu instid0(SALU_CYCLE_1)
	s_mov_b32 s2, exec_lo
	v_cmpx_gt_u32_e64 s19, v13
	s_cbranch_execz .LBB1131_13
.LBB1131_6:
	v_lshlrev_b32_e32 v3, 2, v0
	s_delay_alu instid0(VALU_DEP_1) | instskip(NEXT) | instid1(VALU_DEP_1)
	v_add_co_u32 v17, s22, s21, v3
	v_add_co_ci_u32_e64 v18, null, s3, 0, s22
	flat_load_b32 v3, v[17:18] offset:3072
	s_or_b32 exec_lo, exec_lo, s2
	s_delay_alu instid0(SALU_CYCLE_1)
	s_mov_b32 s2, exec_lo
	v_cmpx_gt_u32_e64 s19, v16
	s_cbranch_execnz .LBB1131_14
.LBB1131_7:
	s_or_b32 exec_lo, exec_lo, s2
	s_delay_alu instid0(SALU_CYCLE_1)
	s_mov_b32 s2, exec_lo
	v_cmpx_gt_u32_e64 s19, v15
	s_cbranch_execz .LBB1131_15
.LBB1131_8:
	v_lshlrev_b32_e32 v5, 2, v15
	s_delay_alu instid0(VALU_DEP_1) | instskip(NEXT) | instid1(VALU_DEP_1)
	v_add_co_u32 v17, s22, s21, v5
	v_add_co_ci_u32_e64 v18, null, s3, 0, s22
	flat_load_b32 v5, v[17:18]
	s_or_b32 exec_lo, exec_lo, s2
	s_delay_alu instid0(SALU_CYCLE_1)
	s_mov_b32 s2, exec_lo
	v_cmpx_gt_u32_e64 s19, v11
	s_cbranch_execnz .LBB1131_16
.LBB1131_9:
	s_or_b32 exec_lo, exec_lo, s2
	s_delay_alu instid0(SALU_CYCLE_1)
	s_mov_b32 s2, exec_lo
	v_cmpx_gt_u32_e64 s19, v9
	s_cbranch_execz .LBB1131_17
.LBB1131_10:
	v_lshlrev_b32_e32 v7, 2, v9
	s_delay_alu instid0(VALU_DEP_1) | instskip(NEXT) | instid1(VALU_DEP_1)
	v_add_co_u32 v17, s22, s21, v7
	v_add_co_ci_u32_e64 v18, null, s3, 0, s22
	flat_load_b32 v7, v[17:18]
	s_or_b32 exec_lo, exec_lo, s2
	s_delay_alu instid0(SALU_CYCLE_1)
	s_mov_b32 s2, exec_lo
	v_cmpx_gt_u32_e64 s19, v12
	s_cbranch_execnz .LBB1131_18
	s_branch .LBB1131_19
.LBB1131_11:
	s_or_b32 exec_lo, exec_lo, s22
	s_delay_alu instid0(SALU_CYCLE_1)
	s_mov_b32 s2, exec_lo
	v_cmpx_gt_u32_e64 s19, v14
	s_cbranch_execz .LBB1131_5
.LBB1131_12:
	v_lshlrev_b32_e32 v2, 2, v0
	s_delay_alu instid0(VALU_DEP_1) | instskip(NEXT) | instid1(VALU_DEP_1)
	v_add_co_u32 v17, s22, s21, v2
	v_add_co_ci_u32_e64 v18, null, s3, 0, s22
	flat_load_b32 v2, v[17:18] offset:1536
	s_or_b32 exec_lo, exec_lo, s2
	s_delay_alu instid0(SALU_CYCLE_1)
	s_mov_b32 s2, exec_lo
	v_cmpx_gt_u32_e64 s19, v13
	s_cbranch_execnz .LBB1131_6
.LBB1131_13:
	s_or_b32 exec_lo, exec_lo, s2
	s_delay_alu instid0(SALU_CYCLE_1)
	s_mov_b32 s2, exec_lo
	v_cmpx_gt_u32_e64 s19, v16
	s_cbranch_execz .LBB1131_7
.LBB1131_14:
	v_lshlrev_b32_e32 v4, 2, v16
	s_delay_alu instid0(VALU_DEP_1) | instskip(NEXT) | instid1(VALU_DEP_1)
	v_add_co_u32 v17, s22, s21, v4
	v_add_co_ci_u32_e64 v18, null, s3, 0, s22
	flat_load_b32 v4, v[17:18]
	s_or_b32 exec_lo, exec_lo, s2
	s_delay_alu instid0(SALU_CYCLE_1)
	s_mov_b32 s2, exec_lo
	v_cmpx_gt_u32_e64 s19, v15
	s_cbranch_execnz .LBB1131_8
.LBB1131_15:
	s_or_b32 exec_lo, exec_lo, s2
	s_delay_alu instid0(SALU_CYCLE_1)
	s_mov_b32 s2, exec_lo
	v_cmpx_gt_u32_e64 s19, v11
	s_cbranch_execz .LBB1131_9
.LBB1131_16:
	v_lshlrev_b32_e32 v6, 2, v11
	s_delay_alu instid0(VALU_DEP_1) | instskip(NEXT) | instid1(VALU_DEP_1)
	v_add_co_u32 v17, s22, s21, v6
	v_add_co_ci_u32_e64 v18, null, s3, 0, s22
	flat_load_b32 v6, v[17:18]
	s_or_b32 exec_lo, exec_lo, s2
	s_delay_alu instid0(SALU_CYCLE_1)
	s_mov_b32 s2, exec_lo
	v_cmpx_gt_u32_e64 s19, v9
	s_cbranch_execnz .LBB1131_10
.LBB1131_17:
	s_or_b32 exec_lo, exec_lo, s2
	s_delay_alu instid0(SALU_CYCLE_1)
	s_mov_b32 s2, exec_lo
	v_cmpx_gt_u32_e64 s19, v12
	s_cbranch_execz .LBB1131_19
.LBB1131_18:
	v_lshlrev_b32_e32 v8, 2, v12
	s_delay_alu instid0(VALU_DEP_1) | instskip(NEXT) | instid1(VALU_DEP_1)
	v_add_co_u32 v17, s22, s21, v8
	v_add_co_ci_u32_e64 v18, null, s3, 0, s22
	flat_load_b32 v8, v[17:18]
.LBB1131_19:
	s_or_b32 exec_lo, exec_lo, s2
	v_lshrrev_b32_e32 v17, 3, v14
	v_lshrrev_b32_e32 v18, 3, v13
	;; [unrolled: 1-line block ×4, first 2 shown]
	v_and_b32_e32 v19, 60, v10
	v_lshlrev_b32_e32 v20, 2, v0
	v_lshrrev_b32_e32 v23, 3, v11
	v_lshrrev_b32_e32 v24, 3, v9
	;; [unrolled: 1-line block ×3, first 2 shown]
	v_and_b32_e32 v17, 0x7c, v17
	v_and_b32_e32 v18, 0xfc, v18
	;; [unrolled: 1-line block ×4, first 2 shown]
	v_add_nc_u32_e32 v19, v19, v20
	v_and_b32_e32 v23, 0x1fc, v23
	v_and_b32_e32 v24, 0x1fc, v24
	;; [unrolled: 1-line block ×3, first 2 shown]
	v_add_nc_u32_e32 v17, v17, v20
	v_add_nc_u32_e32 v18, v18, v20
	;; [unrolled: 1-line block ×7, first 2 shown]
	s_waitcnt vmcnt(0) lgkmcnt(0)
	ds_store_b32 v19, v1
	ds_store_b32 v17, v2 offset:1536
	ds_store_b32 v18, v3 offset:3072
	ds_store_b32 v21, v4 offset:4608
	ds_store_b32 v22, v5 offset:6144
	ds_store_b32 v23, v6 offset:7680
	ds_store_b32 v24, v7 offset:9216
	ds_store_b32 v20, v8 offset:10752
	s_waitcnt lgkmcnt(0)
	s_barrier
.LBB1131_20:
	v_lshlrev_b32_e32 v19, 3, v0
	v_lshrrev_b32_e32 v1, 2, v0
	s_waitcnt lgkmcnt(0)
	buffer_gl0_inv
	s_add_u32 s2, s8, s12
	s_addc_u32 s8, s9, s13
	s_add_u32 s2, s2, s4
	v_add_lshl_u32 v17, v1, v19, 2
	s_addc_u32 s4, s8, s5
	s_and_b32 vcc_lo, exec_lo, s18
	s_mov_b32 s5, -1
	ds_load_2addr_b32 v[7:8], v17 offset1:1
	ds_load_2addr_b32 v[5:6], v17 offset0:2 offset1:3
	ds_load_2addr_b32 v[3:4], v17 offset0:4 offset1:5
	;; [unrolled: 1-line block ×3, first 2 shown]
	s_waitcnt lgkmcnt(0)
	s_barrier
	buffer_gl0_inv
	s_cbranch_vccz .LBB1131_22
; %bb.21:
	v_lshlrev_b32_e32 v18, 2, v0
	v_lshrrev_b32_e32 v29, 3, v14
	v_lshrrev_b32_e32 v30, 3, v13
	;; [unrolled: 1-line block ×4, first 2 shown]
	v_add_co_u32 v20, s5, s2, v18
	s_delay_alu instid0(VALU_DEP_1) | instskip(SKIP_1) | instid1(VALU_DEP_3)
	v_add_co_ci_u32_e64 v21, null, s4, 0, s5
	v_lshrrev_b32_e32 v33, 3, v11
	v_add_co_u32 v22, vcc_lo, 0x1000, v20
	s_delay_alu instid0(VALU_DEP_3)
	v_add_co_ci_u32_e32 v23, vcc_lo, 0, v21, vcc_lo
	v_add_co_u32 v24, vcc_lo, 0x2000, v20
	v_add_co_ci_u32_e32 v25, vcc_lo, 0, v21, vcc_lo
	s_clause 0x7
	flat_load_b32 v26, v[20:21]
	flat_load_b32 v27, v[20:21] offset:1536
	flat_load_b32 v20, v[20:21] offset:3072
	;; [unrolled: 1-line block ×7, first 2 shown]
	v_and_b32_e32 v25, 60, v10
	v_lshrrev_b32_e32 v34, 3, v9
	v_lshrrev_b32_e32 v35, 3, v12
	v_and_b32_e32 v29, 0x7c, v29
	v_and_b32_e32 v30, 0xfc, v30
	;; [unrolled: 1-line block ×4, first 2 shown]
	v_add_nc_u32_e32 v25, v25, v18
	v_and_b32_e32 v33, 0x1fc, v33
	v_and_b32_e32 v34, 0x17c, v34
	;; [unrolled: 1-line block ×3, first 2 shown]
	v_add_nc_u32_e32 v29, v29, v18
	v_add_nc_u32_e32 v30, v30, v18
	;; [unrolled: 1-line block ×4, first 2 shown]
	s_mov_b32 s5, 0
	v_add_nc_u32_e32 v33, v33, v18
	v_add_nc_u32_e32 v34, v34, v18
	;; [unrolled: 1-line block ×3, first 2 shown]
	s_waitcnt vmcnt(7) lgkmcnt(7)
	ds_store_b32 v25, v26
	s_waitcnt vmcnt(6) lgkmcnt(7)
	ds_store_b32 v29, v27 offset:1536
	s_waitcnt vmcnt(5) lgkmcnt(7)
	ds_store_b32 v30, v20 offset:3072
	;; [unrolled: 2-line block ×7, first 2 shown]
	s_waitcnt lgkmcnt(0)
	s_barrier
.LBB1131_22:
	s_and_not1_b32 vcc_lo, exec_lo, s5
	s_cbranch_vccnz .LBB1131_40
; %bb.23:
	s_mov_b32 s5, exec_lo
                                        ; implicit-def: $vgpr18
	v_cmpx_gt_u32_e64 s19, v0
	s_cbranch_execz .LBB1131_25
; %bb.24:
	v_lshlrev_b32_e32 v18, 2, v0
	s_delay_alu instid0(VALU_DEP_1) | instskip(NEXT) | instid1(VALU_DEP_1)
	v_add_co_u32 v20, s8, s2, v18
	v_add_co_ci_u32_e64 v21, null, s4, 0, s8
	flat_load_b32 v18, v[20:21]
.LBB1131_25:
	s_or_b32 exec_lo, exec_lo, s5
	s_delay_alu instid0(SALU_CYCLE_1)
	s_mov_b32 s5, exec_lo
                                        ; implicit-def: $vgpr20
	v_cmpx_gt_u32_e64 s19, v14
	s_cbranch_execz .LBB1131_27
; %bb.26:
	v_lshlrev_b32_e32 v20, 2, v0
	s_delay_alu instid0(VALU_DEP_1) | instskip(NEXT) | instid1(VALU_DEP_1)
	v_add_co_u32 v20, s8, s2, v20
	v_add_co_ci_u32_e64 v21, null, s4, 0, s8
	flat_load_b32 v20, v[20:21] offset:1536
.LBB1131_27:
	s_or_b32 exec_lo, exec_lo, s5
	s_delay_alu instid0(SALU_CYCLE_1)
	s_mov_b32 s5, exec_lo
                                        ; implicit-def: $vgpr21
	v_cmpx_gt_u32_e64 s19, v13
	s_cbranch_execz .LBB1131_29
; %bb.28:
	v_lshlrev_b32_e32 v21, 2, v0
	s_delay_alu instid0(VALU_DEP_1) | instskip(NEXT) | instid1(VALU_DEP_1)
	v_add_co_u32 v21, s8, s2, v21
	v_add_co_ci_u32_e64 v22, null, s4, 0, s8
	flat_load_b32 v21, v[21:22] offset:3072
.LBB1131_29:
	s_or_b32 exec_lo, exec_lo, s5
	s_delay_alu instid0(SALU_CYCLE_1)
	s_mov_b32 s5, exec_lo
                                        ; implicit-def: $vgpr22
	v_cmpx_gt_u32_e64 s19, v16
	s_cbranch_execz .LBB1131_31
; %bb.30:
	v_lshlrev_b32_e32 v22, 2, v16
	s_delay_alu instid0(VALU_DEP_1) | instskip(NEXT) | instid1(VALU_DEP_1)
	v_add_co_u32 v22, s8, s2, v22
	v_add_co_ci_u32_e64 v23, null, s4, 0, s8
	flat_load_b32 v22, v[22:23]
.LBB1131_31:
	s_or_b32 exec_lo, exec_lo, s5
	s_delay_alu instid0(SALU_CYCLE_1)
	s_mov_b32 s5, exec_lo
                                        ; implicit-def: $vgpr23
	v_cmpx_gt_u32_e64 s19, v15
	s_cbranch_execz .LBB1131_33
; %bb.32:
	v_lshlrev_b32_e32 v23, 2, v15
	s_delay_alu instid0(VALU_DEP_1) | instskip(NEXT) | instid1(VALU_DEP_1)
	v_add_co_u32 v23, s8, s2, v23
	v_add_co_ci_u32_e64 v24, null, s4, 0, s8
	flat_load_b32 v23, v[23:24]
.LBB1131_33:
	s_or_b32 exec_lo, exec_lo, s5
	s_delay_alu instid0(SALU_CYCLE_1)
	s_mov_b32 s5, exec_lo
                                        ; implicit-def: $vgpr24
	v_cmpx_gt_u32_e64 s19, v11
	s_cbranch_execz .LBB1131_35
; %bb.34:
	v_lshlrev_b32_e32 v24, 2, v11
	s_delay_alu instid0(VALU_DEP_1) | instskip(NEXT) | instid1(VALU_DEP_1)
	v_add_co_u32 v24, s8, s2, v24
	v_add_co_ci_u32_e64 v25, null, s4, 0, s8
	flat_load_b32 v24, v[24:25]
.LBB1131_35:
	s_or_b32 exec_lo, exec_lo, s5
	s_delay_alu instid0(SALU_CYCLE_1)
	s_mov_b32 s5, exec_lo
                                        ; implicit-def: $vgpr25
	v_cmpx_gt_u32_e64 s19, v9
	s_cbranch_execz .LBB1131_37
; %bb.36:
	v_lshlrev_b32_e32 v25, 2, v9
	s_delay_alu instid0(VALU_DEP_1) | instskip(NEXT) | instid1(VALU_DEP_1)
	v_add_co_u32 v25, s8, s2, v25
	v_add_co_ci_u32_e64 v26, null, s4, 0, s8
	flat_load_b32 v25, v[25:26]
.LBB1131_37:
	s_or_b32 exec_lo, exec_lo, s5
	s_delay_alu instid0(SALU_CYCLE_1)
	s_mov_b32 s5, exec_lo
                                        ; implicit-def: $vgpr26
	v_cmpx_gt_u32_e64 s19, v12
	s_cbranch_execz .LBB1131_39
; %bb.38:
	v_lshlrev_b32_e32 v26, 2, v12
	s_delay_alu instid0(VALU_DEP_1) | instskip(NEXT) | instid1(VALU_DEP_1)
	v_add_co_u32 v26, s2, s2, v26
	v_add_co_ci_u32_e64 v27, null, s4, 0, s2
	flat_load_b32 v26, v[26:27]
.LBB1131_39:
	s_or_b32 exec_lo, exec_lo, s5
	v_lshrrev_b32_e32 v14, 3, v14
	v_lshrrev_b32_e32 v13, 3, v13
	;; [unrolled: 1-line block ×4, first 2 shown]
	v_and_b32_e32 v10, 60, v10
	v_lshlrev_b32_e32 v27, 2, v0
	v_lshrrev_b32_e32 v11, 3, v11
	v_lshrrev_b32_e32 v9, 3, v9
	;; [unrolled: 1-line block ×3, first 2 shown]
	v_and_b32_e32 v14, 0x7c, v14
	v_and_b32_e32 v13, 0xfc, v13
	;; [unrolled: 1-line block ×4, first 2 shown]
	v_add_nc_u32_e32 v10, v10, v27
	v_and_b32_e32 v11, 0x1fc, v11
	v_and_b32_e32 v9, 0x1fc, v9
	;; [unrolled: 1-line block ×3, first 2 shown]
	v_add_nc_u32_e32 v14, v14, v27
	v_add_nc_u32_e32 v13, v13, v27
	v_add_nc_u32_e32 v16, v16, v27
	v_add_nc_u32_e32 v15, v15, v27
	v_add_nc_u32_e32 v11, v11, v27
	v_add_nc_u32_e32 v9, v9, v27
	v_add_nc_u32_e32 v12, v12, v27
	s_waitcnt vmcnt(0) lgkmcnt(0)
	ds_store_b32 v10, v18
	ds_store_b32 v14, v20 offset:1536
	ds_store_b32 v13, v21 offset:3072
	;; [unrolled: 1-line block ×7, first 2 shown]
	s_waitcnt lgkmcnt(0)
	s_barrier
.LBB1131_40:
	buffer_gl0_inv
	ds_load_2addr_b32 v[15:16], v17 offset1:1
	ds_load_2addr_b32 v[13:14], v17 offset0:2 offset1:3
	ds_load_2addr_b32 v[11:12], v17 offset0:4 offset1:5
	;; [unrolled: 1-line block ×3, first 2 shown]
	s_cmp_lg_u32 s15, 0
	s_mov_b32 s12, 0
	s_cselect_b32 s9, -1, 0
	s_cmp_lg_u64 s[6:7], 0
	s_waitcnt lgkmcnt(0)
	s_cselect_b32 s2, -1, 0
	s_barrier
	s_or_b32 s2, s9, s2
	buffer_gl0_inv
	s_and_b32 vcc_lo, exec_lo, s2
	s_cbranch_vccz .LBB1131_45
; %bb.41:
	v_add_co_u32 v17, s2, -4, s21
	s_delay_alu instid0(VALU_DEP_1)
	v_add_co_ci_u32_e64 v18, null, -1, s3, s2
	v_lshlrev_b32_e32 v21, 2, v0
	s_mov_b32 s3, -1
	s_and_b32 vcc_lo, exec_lo, s18
	flat_load_b32 v20, v[17:18]
	ds_store_b32 v21, v2
	s_cbranch_vccz .LBB1131_46
; %bb.42:
	s_waitcnt vmcnt(0) lgkmcnt(1)
	v_mov_b32_e32 v17, v20
	s_mov_b32 s3, 0
	s_mov_b32 s2, exec_lo
	s_waitcnt lgkmcnt(0)
	s_barrier
	buffer_gl0_inv
	v_cmpx_ne_u32_e32 0, v0
	s_cbranch_execz .LBB1131_44
; %bb.43:
	v_add_nc_u32_e32 v17, -4, v21
	ds_load_b32 v17, v17
.LBB1131_44:
	s_or_b32 exec_lo, exec_lo, s2
	v_cmp_ne_u32_e32 vcc_lo, v1, v2
	s_waitcnt lgkmcnt(0)
	v_cmp_ne_u32_e64 s2, v17, v7
	v_cndmask_b32_e64 v18, 0, 1, vcc_lo
	v_cmp_ne_u32_e32 vcc_lo, v4, v1
	s_delay_alu instid0(VALU_DEP_2) | instskip(SKIP_2) | instid1(VALU_DEP_2)
	v_lshlrev_b16 v18, 8, v18
	v_cndmask_b32_e64 v22, 0, 1, vcc_lo
	v_cmp_ne_u32_e32 vcc_lo, v3, v4
	v_or_b32_e32 v18, v22, v18
	v_cndmask_b32_e64 v23, 0, 1, vcc_lo
	v_cmp_ne_u32_e32 vcc_lo, v5, v6
	s_delay_alu instid0(VALU_DEP_3) | instskip(NEXT) | instid1(VALU_DEP_3)
	v_lshlrev_b32_e32 v18, 16, v18
	v_lshlrev_b16 v23, 8, v23
	v_cndmask_b32_e64 v24, 0, 1, vcc_lo
	v_cmp_ne_u32_e32 vcc_lo, v6, v3
	s_delay_alu instid0(VALU_DEP_2) | instskip(SKIP_2) | instid1(VALU_DEP_2)
	v_lshlrev_b16 v24, 8, v24
	v_cndmask_b32_e64 v25, 0, 1, vcc_lo
	v_cmp_ne_u32_e32 vcc_lo, v8, v5
	v_or_b32_e32 v23, v25, v23
	v_cndmask_b32_e64 v26, 0, 1, vcc_lo
	v_cmp_ne_u32_e32 vcc_lo, v7, v8
	s_delay_alu instid0(VALU_DEP_3) | instskip(NEXT) | instid1(VALU_DEP_3)
	v_and_b32_e32 v23, 0xffff, v23
	v_or_b32_e32 v24, v26, v24
	v_cndmask_b32_e64 v27, 0, 1, vcc_lo
	s_delay_alu instid0(VALU_DEP_3) | instskip(NEXT) | instid1(VALU_DEP_3)
	v_or_b32_e32 v18, v23, v18
	v_lshlrev_b32_e32 v22, 16, v24
	s_delay_alu instid0(VALU_DEP_3) | instskip(NEXT) | instid1(VALU_DEP_1)
	v_lshlrev_b16 v26, 8, v27
	v_and_b32_e32 v24, 0xffff, v26
	s_delay_alu instid0(VALU_DEP_1)
	v_or_b32_e32 v17, v24, v22
	s_and_b32 vcc_lo, exec_lo, s3
	s_cbranch_vccnz .LBB1131_47
	s_branch .LBB1131_50
.LBB1131_45:
                                        ; implicit-def: $sgpr2
                                        ; implicit-def: $vgpr18
	s_branch .LBB1131_51
.LBB1131_46:
                                        ; implicit-def: $sgpr2
                                        ; implicit-def: $vgpr18
	s_and_b32 vcc_lo, exec_lo, s3
	s_cbranch_vccz .LBB1131_50
.LBB1131_47:
	s_mov_b32 s2, exec_lo
	s_waitcnt vmcnt(0) lgkmcnt(0)
	s_barrier
	buffer_gl0_inv
	v_cmpx_ne_u32_e32 0, v0
	s_cbranch_execz .LBB1131_49
; %bb.48:
	v_add_nc_u32_e32 v17, -4, v21
	ds_load_b32 v20, v17
.LBB1131_49:
	s_or_b32 exec_lo, exec_lo, s2
	v_or_b32_e32 v17, 7, v19
	v_or_b32_e32 v18, 6, v19
	;; [unrolled: 1-line block ×3, first 2 shown]
	v_cmp_ne_u32_e32 vcc_lo, v1, v2
	v_cmp_ne_u32_e64 s3, v4, v1
	v_cmp_gt_u32_e64 s2, s19, v17
	v_cmp_gt_u32_e64 s5, s19, v18
	v_cmp_ne_u32_e64 s4, v3, v4
	v_cmp_gt_u32_e64 s6, s19, v21
	v_or_b32_e32 v18, 3, v19
	s_and_b32 s2, s2, vcc_lo
	v_or_b32_e32 v22, 4, v19
	v_cndmask_b32_e64 v17, 0, 1, s2
	s_and_b32 s2, s5, s3
	v_cmp_gt_u32_e32 vcc_lo, s19, v18
	v_cndmask_b32_e64 v21, 0, 1, s2
	s_and_b32 s2, s6, s4
	v_or_b32_e32 v18, 2, v19
	v_cndmask_b32_e64 v23, 0, 1, s2
	v_cmp_ne_u32_e64 s2, v5, v6
	v_cmp_gt_u32_e64 s3, s19, v22
	v_or_b32_e32 v22, 1, v19
	v_cmp_ne_u32_e64 s4, v6, v3
	v_cmp_ne_u32_e64 s6, v7, v8
	s_and_b32 s2, vcc_lo, s2
	v_cmp_gt_u32_e32 vcc_lo, s19, v18
	v_cndmask_b32_e64 v24, 0, 1, s2
	v_cmp_ne_u32_e64 s2, v8, v5
	v_cmp_gt_u32_e64 s5, s19, v22
	s_and_b32 s3, s3, s4
	v_lshlrev_b16 v23, 8, v23
	v_cndmask_b32_e64 v18, 0, 1, s3
	s_and_b32 s2, vcc_lo, s2
	v_lshlrev_b16 v24, 8, v24
	v_cndmask_b32_e64 v22, 0, 1, s2
	s_and_b32 s2, s5, s6
	v_lshlrev_b16 v17, 8, v17
	v_cndmask_b32_e64 v25, 0, 1, s2
	v_or_b32_e32 v18, v18, v23
	v_or_b32_e32 v22, v22, v24
	v_cmp_gt_u32_e32 vcc_lo, s19, v19
	v_or_b32_e32 v17, v21, v17
	v_lshlrev_b16 v24, 8, v25
	v_and_b32_e32 v18, 0xffff, v18
	v_lshlrev_b32_e32 v21, 16, v22
	s_waitcnt lgkmcnt(0)
	v_cmp_ne_u32_e64 s2, v20, v7
	v_lshlrev_b32_e32 v23, 16, v17
	v_and_b32_e32 v22, 0xffff, v24
	s_delay_alu instid0(VALU_DEP_3) | instskip(NEXT) | instid1(VALU_DEP_2)
	s_and_b32 s2, vcc_lo, s2
	v_or_b32_e32 v18, v18, v23
	s_delay_alu instid0(VALU_DEP_2)
	v_or_b32_e32 v17, v22, v21
.LBB1131_50:
	s_mov_b32 s12, -1
	s_cbranch_execnz .LBB1131_59
.LBB1131_51:
	s_waitcnt vmcnt(0) lgkmcnt(1)
	v_lshlrev_b32_e32 v20, 2, v0
	v_cmp_ne_u32_e64 s3, v1, v2
	v_cmp_ne_u32_e64 s4, v4, v1
	v_cmp_ne_u32_e64 s5, v3, v4
	v_cmp_ne_u32_e64 s6, v6, v3
	v_cmp_ne_u32_e64 s7, v5, v6
	v_cmp_ne_u32_e64 s2, v8, v5
	v_cmp_ne_u32_e64 s8, v7, v8
	s_and_b32 vcc_lo, exec_lo, s18
	ds_store_b32 v20, v2
	s_cbranch_vccz .LBB1131_55
; %bb.52:
	v_cndmask_b32_e64 v17, 0, 1, s3
	v_cndmask_b32_e64 v21, 0, 1, s5
	;; [unrolled: 1-line block ×7, first 2 shown]
	v_lshlrev_b16 v21, 8, v21
	v_lshlrev_b16 v17, 8, v17
	;; [unrolled: 1-line block ×4, first 2 shown]
	s_mov_b32 s3, 0
	v_or_b32_e32 v21, v22, v21
	v_or_b32_e32 v17, v18, v17
	;; [unrolled: 1-line block ×4, first 2 shown]
	s_mov_b32 s4, exec_lo
	v_and_b32_e32 v21, 0xffff, v21
	v_lshlrev_b32_e32 v17, 16, v17
	v_lshlrev_b32_e32 v23, 16, v18
	v_and_b32_e32 v22, 0xffff, v22
	s_waitcnt lgkmcnt(0)
	s_barrier
	v_or_b32_e32 v18, v21, v17
	buffer_gl0_inv
	v_or_b32_e32 v17, v22, v23
                                        ; implicit-def: $sgpr2
	v_cmpx_ne_u32_e32 0, v0
	s_xor_b32 s4, exec_lo, s4
	s_cbranch_execz .LBB1131_54
; %bb.53:
	v_add_nc_u32_e32 v21, -4, v20
	s_or_b32 s12, s12, exec_lo
	ds_load_b32 v21, v21
	s_waitcnt lgkmcnt(0)
	v_cmp_ne_u32_e32 vcc_lo, v21, v7
	s_and_b32 s2, vcc_lo, exec_lo
.LBB1131_54:
	s_or_b32 exec_lo, exec_lo, s4
	s_delay_alu instid0(SALU_CYCLE_1)
	s_and_b32 vcc_lo, exec_lo, s3
	s_cbranch_vccnz .LBB1131_56
	s_branch .LBB1131_59
.LBB1131_55:
                                        ; implicit-def: $sgpr2
                                        ; implicit-def: $vgpr18
	s_cbranch_execz .LBB1131_59
.LBB1131_56:
	v_or_b32_e32 v17, 7, v19
	v_or_b32_e32 v18, 6, v19
	v_cmp_ne_u32_e32 vcc_lo, v1, v2
	v_cmp_ne_u32_e64 s3, v4, v1
	v_or_b32_e32 v21, 5, v19
	v_cmp_gt_u32_e64 s2, s19, v17
	v_cmp_gt_u32_e64 s4, s19, v18
	v_or_b32_e32 v17, 4, v19
	v_or_b32_e32 v22, 3, v19
	v_cmp_gt_u32_e64 s5, s19, v21
	s_and_b32 s2, s2, vcc_lo
	v_cmp_ne_u32_e32 vcc_lo, v3, v4
	v_cndmask_b32_e64 v18, 0, 1, s2
	s_and_b32 s2, s4, s3
	v_cmp_ne_u32_e64 s3, v6, v3
	v_cndmask_b32_e64 v21, 0, 1, s2
	v_cmp_gt_u32_e64 s2, s19, v17
	v_or_b32_e32 v23, 1, v19
	s_and_b32 s4, s5, vcc_lo
	v_cmp_gt_u32_e32 vcc_lo, s19, v22
	v_cndmask_b32_e64 v17, 0, 1, s4
	s_and_b32 s2, s2, s3
	v_or_b32_e32 v25, 2, v19
	v_cndmask_b32_e64 v24, 0, 1, s2
	v_cmp_ne_u32_e64 s2, v5, v6
	v_cmp_gt_u32_e64 s3, s19, v23
	v_cmp_ne_u32_e64 s4, v7, v8
	v_cmp_gt_u32_e64 s5, s19, v25
	v_cmp_ne_u32_e64 s6, v8, v5
	s_and_b32 s2, vcc_lo, s2
	v_lshlrev_b16 v17, 8, v17
	v_cndmask_b32_e64 v22, 0, 1, s2
	s_and_b32 s2, s3, s4
	v_lshlrev_b16 v18, 8, v18
	v_cndmask_b32_e64 v23, 0, 1, s2
	s_and_b32 s2, s5, s6
	v_lshlrev_b16 v22, 8, v22
	v_cndmask_b32_e64 v25, 0, 1, s2
	v_or_b32_e32 v17, v24, v17
	v_lshlrev_b16 v23, 8, v23
	v_or_b32_e32 v18, v21, v18
	s_mov_b32 s3, exec_lo
	v_or_b32_e32 v21, v25, v22
	v_and_b32_e32 v17, 0xffff, v17
	v_or_b32_e32 v22, 1, v23
	v_lshlrev_b32_e32 v18, 16, v18
	s_waitcnt lgkmcnt(0)
	v_lshlrev_b32_e32 v21, 16, v21
	s_barrier
	v_and_b32_e32 v22, 0xffff, v22
	v_or_b32_e32 v18, v17, v18
	buffer_gl0_inv
                                        ; implicit-def: $sgpr2
	v_or_b32_e32 v17, v22, v21
	v_cmpx_ne_u32_e32 0, v0
	s_cbranch_execz .LBB1131_58
; %bb.57:
	v_add_nc_u32_e32 v20, -4, v20
	v_cmp_gt_u32_e32 vcc_lo, s19, v19
	s_or_b32 s12, s12, exec_lo
	ds_load_b32 v20, v20
	s_waitcnt lgkmcnt(0)
	v_cmp_ne_u32_e64 s2, v20, v7
	s_delay_alu instid0(VALU_DEP_1) | instskip(NEXT) | instid1(SALU_CYCLE_1)
	s_and_b32 s2, vcc_lo, s2
	s_and_b32 s2, s2, exec_lo
.LBB1131_58:
	s_or_b32 exec_lo, exec_lo, s3
.LBB1131_59:
	s_and_saveexec_b32 s3, s12
	s_cbranch_execz .LBB1131_61
; %bb.60:
	s_waitcnt vmcnt(0) lgkmcnt(1)
	v_and_b32_e32 v20, 0xffffff00, v17
	v_cndmask_b32_e64 v21, 0, 1, s2
	s_delay_alu instid0(VALU_DEP_1) | instskip(NEXT) | instid1(VALU_DEP_1)
	v_or_b32_e32 v20, v21, v20
	v_and_b32_e32 v20, 0xffff, v20
	s_delay_alu instid0(VALU_DEP_1)
	v_and_or_b32 v17, 0xffff0000, v17, v20
.LBB1131_61:
	s_or_b32 exec_lo, exec_lo, s3
	s_load_b64 s[12:13], s[0:1], 0x68
	s_and_not1_b32 vcc_lo, exec_lo, s20
	s_cbranch_vccnz .LBB1131_63
; %bb.62:
	v_cmp_gt_u32_e32 vcc_lo, s19, v19
	v_or_b32_e32 v21, 1, v19
	v_and_b32_e32 v22, 0xffffff00, v18
	v_or_b32_e32 v23, 2, v19
	s_waitcnt vmcnt(0) lgkmcnt(0)
	v_cndmask_b32_e32 v20, 0, v17, vcc_lo
	v_cmp_gt_u32_e32 vcc_lo, s19, v21
	v_or_b32_e32 v21, 4, v19
	v_cmp_gt_u32_e64 s2, s19, v23
	v_or_b32_e32 v23, 3, v19
	v_and_b32_e32 v20, 0xff, v20
	s_delay_alu instid0(VALU_DEP_2) | instskip(NEXT) | instid1(VALU_DEP_2)
	v_cmp_gt_u32_e64 s3, s19, v23
	v_cndmask_b32_e32 v20, v20, v17, vcc_lo
	v_cmp_gt_u32_e32 vcc_lo, s19, v21
	s_delay_alu instid0(VALU_DEP_2) | instskip(SKIP_1) | instid1(VALU_DEP_2)
	v_dual_cndmask_b32 v21, v22, v18 :: v_dual_and_b32 v20, 0xffff, v20
	v_or_b32_e32 v22, 5, v19
	v_cndmask_b32_e64 v20, v20, v17, s2
	s_delay_alu instid0(VALU_DEP_3) | instskip(NEXT) | instid1(VALU_DEP_3)
	v_and_b32_e32 v21, 0xffff00ff, v21
	v_cmp_gt_u32_e64 s2, s19, v22
	v_or_b32_e32 v22, 6, v19
	v_or_b32_e32 v19, 7, v19
	v_and_b32_e32 v20, 0xffffff, v20
	s_delay_alu instid0(VALU_DEP_4) | instskip(NEXT) | instid1(VALU_DEP_2)
	v_cndmask_b32_e64 v21, v21, v18, s2
	v_cndmask_b32_e64 v20, v20, v17, s3
	s_delay_alu instid0(VALU_DEP_2) | instskip(NEXT) | instid1(VALU_DEP_2)
	v_and_b32_e32 v21, 0xff00ffff, v21
	v_cndmask_b32_e32 v20, v20, v17, vcc_lo
	v_cmp_gt_u32_e32 vcc_lo, s19, v22
	s_delay_alu instid0(VALU_DEP_2) | instskip(NEXT) | instid1(VALU_DEP_1)
	v_cndmask_b32_e64 v20, v20, v17, s2
	v_dual_cndmask_b32 v21, v21, v18 :: v_dual_cndmask_b32 v20, v20, v17
	s_delay_alu instid0(VALU_DEP_1) | instskip(SKIP_1) | instid1(VALU_DEP_2)
	v_and_b32_e32 v21, 0xffffff, v21
	v_cmp_gt_u32_e32 vcc_lo, s19, v19
	v_dual_cndmask_b32 v18, v21, v18 :: v_dual_cndmask_b32 v17, v20, v17
.LBB1131_63:
	s_delay_alu instid0(VALU_DEP_1) | instskip(NEXT) | instid1(VALU_DEP_2)
	v_and_b32_e32 v28, 0xff, v17
	v_alignbit_b32 v19, v18, v17, 24
	v_bfe_u32 v30, v17, 8, 8
	v_bfe_u32 v32, v17, 16, 8
	v_and_b32_e32 v36, 0xff, v18
	v_bfe_u32 v38, v18, 8, 8
	v_and_b32_e32 v34, 0xff, v19
	v_add_nc_u32_e32 v19, v30, v28
	s_waitcnt vmcnt(0) lgkmcnt(0)
	v_and_b32_e32 v20, 0x1e0, v0
	v_mbcnt_lo_u32_b32 v41, -1, 0
	v_bfe_u32 v40, v18, 16, 8
	v_lshrrev_b32_e32 v39, 24, v18
	v_add3_u32 v19, v19, v32, v34
	v_min_u32_e32 v20, 0x160, v20
	v_and_b32_e32 v21, 15, v41
	v_lshrrev_b32_e32 v42, 5, v0
	s_and_b32 vcc_lo, exec_lo, s9
	v_add3_u32 v19, v19, v36, v38
	v_or_b32_e32 v20, 31, v20
	v_cmp_eq_u32_e64 s4, 0, v21
	v_cmp_lt_u32_e64 s5, 1, v21
	v_cmp_lt_u32_e64 s3, 3, v21
	v_add3_u32 v43, v19, v40, v39
	v_and_b32_e32 v19, 16, v41
	v_cmp_lt_u32_e64 s2, 7, v21
	v_cmp_eq_u32_e64 s6, v20, v0
	s_mov_b32 s19, -1
	s_delay_alu instid0(VALU_DEP_3)
	v_cmp_eq_u32_e64 s7, 0, v19
	s_barrier
	buffer_gl0_inv
	s_cbranch_vccz .LBB1131_94
; %bb.64:
	v_mov_b32_dpp v19, v43 row_shr:1 row_mask:0xf bank_mask:0xf
	s_delay_alu instid0(VALU_DEP_1) | instskip(NEXT) | instid1(VALU_DEP_1)
	v_cndmask_b32_e64 v19, v19, 0, s4
	v_add_nc_u32_e32 v19, v19, v43
	s_delay_alu instid0(VALU_DEP_1) | instskip(NEXT) | instid1(VALU_DEP_1)
	v_mov_b32_dpp v20, v19 row_shr:2 row_mask:0xf bank_mask:0xf
	v_cndmask_b32_e64 v20, 0, v20, s5
	s_delay_alu instid0(VALU_DEP_1) | instskip(NEXT) | instid1(VALU_DEP_1)
	v_add_nc_u32_e32 v19, v19, v20
	v_mov_b32_dpp v20, v19 row_shr:4 row_mask:0xf bank_mask:0xf
	s_delay_alu instid0(VALU_DEP_1) | instskip(NEXT) | instid1(VALU_DEP_1)
	v_cndmask_b32_e64 v20, 0, v20, s3
	v_add_nc_u32_e32 v19, v19, v20
	s_delay_alu instid0(VALU_DEP_1) | instskip(NEXT) | instid1(VALU_DEP_1)
	v_mov_b32_dpp v20, v19 row_shr:8 row_mask:0xf bank_mask:0xf
	v_cndmask_b32_e64 v20, 0, v20, s2
	s_delay_alu instid0(VALU_DEP_1) | instskip(SKIP_3) | instid1(VALU_DEP_1)
	v_add_nc_u32_e32 v19, v19, v20
	ds_swizzle_b32 v20, v19 offset:swizzle(BROADCAST,32,15)
	s_waitcnt lgkmcnt(0)
	v_cndmask_b32_e64 v20, v20, 0, s7
	v_add_nc_u32_e32 v19, v19, v20
	s_and_saveexec_b32 s8, s6
	s_cbranch_execz .LBB1131_66
; %bb.65:
	v_lshlrev_b32_e32 v20, 2, v42
	ds_store_b32 v20, v19
.LBB1131_66:
	s_or_b32 exec_lo, exec_lo, s8
	s_delay_alu instid0(SALU_CYCLE_1)
	s_mov_b32 s8, exec_lo
	s_waitcnt lgkmcnt(0)
	s_barrier
	buffer_gl0_inv
	v_cmpx_gt_u32_e32 12, v0
	s_cbranch_execz .LBB1131_68
; %bb.67:
	v_lshlrev_b32_e32 v20, 2, v0
	ds_load_b32 v21, v20
	s_waitcnt lgkmcnt(0)
	v_mov_b32_dpp v22, v21 row_shr:1 row_mask:0xf bank_mask:0xf
	s_delay_alu instid0(VALU_DEP_1) | instskip(NEXT) | instid1(VALU_DEP_1)
	v_cndmask_b32_e64 v22, v22, 0, s4
	v_add_nc_u32_e32 v21, v22, v21
	s_delay_alu instid0(VALU_DEP_1) | instskip(NEXT) | instid1(VALU_DEP_1)
	v_mov_b32_dpp v22, v21 row_shr:2 row_mask:0xf bank_mask:0xf
	v_cndmask_b32_e64 v22, 0, v22, s5
	s_delay_alu instid0(VALU_DEP_1) | instskip(NEXT) | instid1(VALU_DEP_1)
	v_add_nc_u32_e32 v21, v21, v22
	v_mov_b32_dpp v22, v21 row_shr:4 row_mask:0xf bank_mask:0xf
	s_delay_alu instid0(VALU_DEP_1) | instskip(NEXT) | instid1(VALU_DEP_1)
	v_cndmask_b32_e64 v22, 0, v22, s3
	v_add_nc_u32_e32 v21, v21, v22
	s_delay_alu instid0(VALU_DEP_1) | instskip(NEXT) | instid1(VALU_DEP_1)
	v_mov_b32_dpp v22, v21 row_shr:8 row_mask:0xf bank_mask:0xf
	v_cndmask_b32_e64 v22, 0, v22, s2
	s_delay_alu instid0(VALU_DEP_1)
	v_add_nc_u32_e32 v21, v21, v22
	ds_store_b32 v20, v21
.LBB1131_68:
	s_or_b32 exec_lo, exec_lo, s8
	v_cmp_gt_u32_e32 vcc_lo, 32, v0
	s_mov_b32 s9, exec_lo
	s_waitcnt lgkmcnt(0)
	s_barrier
	buffer_gl0_inv
                                        ; implicit-def: $vgpr27
	v_cmpx_lt_u32_e32 31, v0
	s_cbranch_execz .LBB1131_70
; %bb.69:
	v_lshl_add_u32 v20, v42, 2, -4
	ds_load_b32 v27, v20
	s_waitcnt lgkmcnt(0)
	v_add_nc_u32_e32 v19, v27, v19
.LBB1131_70:
	s_or_b32 exec_lo, exec_lo, s9
	v_add_nc_u32_e32 v20, -1, v41
	s_delay_alu instid0(VALU_DEP_1) | instskip(NEXT) | instid1(VALU_DEP_1)
	v_cmp_gt_i32_e64 s8, 0, v20
	v_cndmask_b32_e64 v20, v20, v41, s8
	v_cmp_eq_u32_e64 s8, 0, v41
	s_delay_alu instid0(VALU_DEP_2)
	v_lshlrev_b32_e32 v20, 2, v20
	ds_bpermute_b32 v29, v20, v19
	s_and_saveexec_b32 s9, vcc_lo
	s_cbranch_execz .LBB1131_93
; %bb.71:
	v_mov_b32_e32 v23, 0
	ds_load_b32 v19, v23 offset:44
	s_and_saveexec_b32 s19, s8
	s_cbranch_execz .LBB1131_73
; %bb.72:
	s_add_i32 s20, s15, 32
	s_mov_b32 s21, 0
	v_mov_b32_e32 v20, 1
	s_lshl_b64 s[20:21], s[20:21], 3
	s_delay_alu instid0(SALU_CYCLE_1)
	s_add_u32 s20, s12, s20
	s_addc_u32 s21, s13, s21
	s_waitcnt lgkmcnt(0)
	global_store_b64 v23, v[19:20], s[20:21]
.LBB1131_73:
	s_or_b32 exec_lo, exec_lo, s19
	v_xad_u32 v21, v41, -1, s15
	s_mov_b32 s20, 0
	s_mov_b32 s19, exec_lo
	s_delay_alu instid0(VALU_DEP_1) | instskip(NEXT) | instid1(VALU_DEP_1)
	v_add_nc_u32_e32 v22, 32, v21
	v_lshlrev_b64 v[22:23], 3, v[22:23]
	s_delay_alu instid0(VALU_DEP_1) | instskip(NEXT) | instid1(VALU_DEP_2)
	v_add_co_u32 v25, vcc_lo, s12, v22
	v_add_co_ci_u32_e32 v26, vcc_lo, s13, v23, vcc_lo
	global_load_b64 v[23:24], v[25:26], off glc
	s_waitcnt vmcnt(0)
	v_and_b32_e32 v20, 0xff, v24
	s_delay_alu instid0(VALU_DEP_1)
	v_cmpx_eq_u16_e32 0, v20
	s_cbranch_execz .LBB1131_79
; %bb.74:
	s_mov_b32 s21, 1
	.p2align	6
.LBB1131_75:                            ; =>This Loop Header: Depth=1
                                        ;     Child Loop BB1131_76 Depth 2
	s_delay_alu instid0(SALU_CYCLE_1)
	s_max_u32 s22, s21, 1
.LBB1131_76:                            ;   Parent Loop BB1131_75 Depth=1
                                        ; =>  This Inner Loop Header: Depth=2
	s_delay_alu instid0(SALU_CYCLE_1)
	s_add_i32 s22, s22, -1
	s_sleep 1
	s_cmp_eq_u32 s22, 0
	s_cbranch_scc0 .LBB1131_76
; %bb.77:                               ;   in Loop: Header=BB1131_75 Depth=1
	global_load_b64 v[23:24], v[25:26], off glc
	s_cmp_lt_u32 s21, 32
	s_cselect_b32 s22, -1, 0
	s_delay_alu instid0(SALU_CYCLE_1) | instskip(SKIP_3) | instid1(VALU_DEP_1)
	s_cmp_lg_u32 s22, 0
	s_addc_u32 s21, s21, 0
	s_waitcnt vmcnt(0)
	v_and_b32_e32 v20, 0xff, v24
	v_cmp_ne_u16_e32 vcc_lo, 0, v20
	s_or_b32 s20, vcc_lo, s20
	s_delay_alu instid0(SALU_CYCLE_1)
	s_and_not1_b32 exec_lo, exec_lo, s20
	s_cbranch_execnz .LBB1131_75
; %bb.78:
	s_or_b32 exec_lo, exec_lo, s20
.LBB1131_79:
	s_delay_alu instid0(SALU_CYCLE_1)
	s_or_b32 exec_lo, exec_lo, s19
	v_cmp_ne_u32_e32 vcc_lo, 31, v41
	v_lshlrev_b32_e64 v33, v41, -1
	v_add_nc_u32_e32 v37, 2, v41
	v_add_nc_u32_e32 v45, 4, v41
	;; [unrolled: 1-line block ×3, first 2 shown]
	v_add_co_ci_u32_e32 v20, vcc_lo, 0, v41, vcc_lo
	v_add_nc_u32_e32 v49, 16, v41
	s_delay_alu instid0(VALU_DEP_2)
	v_lshlrev_b32_e32 v31, 2, v20
	v_and_b32_e32 v20, 0xff, v24
	ds_bpermute_b32 v22, v31, v23
	v_cmp_eq_u16_e32 vcc_lo, 2, v20
	v_and_or_b32 v20, vcc_lo, v33, 0x80000000
	v_cmp_gt_u32_e32 vcc_lo, 30, v41
	s_delay_alu instid0(VALU_DEP_2) | instskip(SKIP_1) | instid1(VALU_DEP_2)
	v_ctz_i32_b32_e32 v20, v20
	v_cndmask_b32_e64 v25, 0, 1, vcc_lo
	v_cmp_lt_u32_e32 vcc_lo, v41, v20
	s_waitcnt lgkmcnt(0)
	s_delay_alu instid0(VALU_DEP_2) | instskip(NEXT) | instid1(VALU_DEP_1)
	v_dual_cndmask_b32 v22, 0, v22 :: v_dual_lshlrev_b32 v25, 1, v25
	v_add_lshl_u32 v35, v25, v41, 2
	v_cmp_gt_u32_e32 vcc_lo, 28, v41
	s_delay_alu instid0(VALU_DEP_3) | instskip(SKIP_4) | instid1(VALU_DEP_1)
	v_add_nc_u32_e32 v22, v22, v23
	v_cndmask_b32_e64 v25, 0, 1, vcc_lo
	v_cmp_le_u32_e32 vcc_lo, v37, v20
	ds_bpermute_b32 v23, v35, v22
	v_lshlrev_b32_e32 v25, 2, v25
	v_add_lshl_u32 v44, v25, v41, 2
	s_waitcnt lgkmcnt(0)
	v_cndmask_b32_e32 v23, 0, v23, vcc_lo
	v_cmp_gt_u32_e32 vcc_lo, 24, v41
	s_delay_alu instid0(VALU_DEP_2) | instskip(SKIP_4) | instid1(VALU_DEP_1)
	v_add_nc_u32_e32 v22, v22, v23
	v_cndmask_b32_e64 v25, 0, 1, vcc_lo
	v_cmp_le_u32_e32 vcc_lo, v45, v20
	ds_bpermute_b32 v23, v44, v22
	v_lshlrev_b32_e32 v25, 3, v25
	v_add_lshl_u32 v46, v25, v41, 2
	s_waitcnt lgkmcnt(0)
	v_cndmask_b32_e32 v23, 0, v23, vcc_lo
	v_cmp_gt_u32_e32 vcc_lo, 16, v41
	s_delay_alu instid0(VALU_DEP_2) | instskip(SKIP_4) | instid1(VALU_DEP_1)
	v_add_nc_u32_e32 v22, v22, v23
	v_cndmask_b32_e64 v25, 0, 1, vcc_lo
	v_cmp_le_u32_e32 vcc_lo, v47, v20
	ds_bpermute_b32 v23, v46, v22
	v_lshlrev_b32_e32 v25, 4, v25
	v_add_lshl_u32 v48, v25, v41, 2
	s_waitcnt lgkmcnt(0)
	v_cndmask_b32_e32 v23, 0, v23, vcc_lo
	v_cmp_le_u32_e32 vcc_lo, v49, v20
	s_delay_alu instid0(VALU_DEP_2) | instskip(SKIP_3) | instid1(VALU_DEP_1)
	v_add_nc_u32_e32 v22, v22, v23
	ds_bpermute_b32 v23, v48, v22
	s_waitcnt lgkmcnt(0)
	v_cndmask_b32_e32 v20, 0, v23, vcc_lo
	v_dual_mov_b32 v22, 0 :: v_dual_add_nc_u32 v23, v22, v20
	s_branch .LBB1131_81
.LBB1131_80:                            ;   in Loop: Header=BB1131_81 Depth=1
	s_or_b32 exec_lo, exec_lo, s19
	ds_bpermute_b32 v26, v31, v23
	v_and_b32_e32 v25, 0xff, v24
	v_subrev_nc_u32_e32 v21, 32, v21
	s_delay_alu instid0(VALU_DEP_2) | instskip(SKIP_1) | instid1(VALU_DEP_1)
	v_cmp_eq_u16_e32 vcc_lo, 2, v25
	v_and_or_b32 v25, vcc_lo, v33, 0x80000000
	v_ctz_i32_b32_e32 v25, v25
	s_delay_alu instid0(VALU_DEP_1) | instskip(SKIP_3) | instid1(VALU_DEP_2)
	v_cmp_lt_u32_e32 vcc_lo, v41, v25
	s_waitcnt lgkmcnt(0)
	v_cndmask_b32_e32 v26, 0, v26, vcc_lo
	v_cmp_le_u32_e32 vcc_lo, v37, v25
	v_add_nc_u32_e32 v23, v26, v23
	ds_bpermute_b32 v26, v35, v23
	s_waitcnt lgkmcnt(0)
	v_cndmask_b32_e32 v26, 0, v26, vcc_lo
	v_cmp_le_u32_e32 vcc_lo, v45, v25
	s_delay_alu instid0(VALU_DEP_2) | instskip(SKIP_4) | instid1(VALU_DEP_2)
	v_add_nc_u32_e32 v23, v23, v26
	ds_bpermute_b32 v26, v44, v23
	s_waitcnt lgkmcnt(0)
	v_cndmask_b32_e32 v26, 0, v26, vcc_lo
	v_cmp_le_u32_e32 vcc_lo, v47, v25
	v_add_nc_u32_e32 v23, v23, v26
	ds_bpermute_b32 v26, v46, v23
	s_waitcnt lgkmcnt(0)
	v_cndmask_b32_e32 v26, 0, v26, vcc_lo
	v_cmp_le_u32_e32 vcc_lo, v49, v25
	s_delay_alu instid0(VALU_DEP_2) | instskip(SKIP_3) | instid1(VALU_DEP_1)
	v_add_nc_u32_e32 v23, v23, v26
	ds_bpermute_b32 v26, v48, v23
	s_waitcnt lgkmcnt(0)
	v_cndmask_b32_e32 v25, 0, v26, vcc_lo
	v_add3_u32 v23, v25, v20, v23
.LBB1131_81:                            ; =>This Loop Header: Depth=1
                                        ;     Child Loop BB1131_84 Depth 2
                                        ;       Child Loop BB1131_85 Depth 3
	v_and_b32_e32 v20, 0xff, v24
	s_delay_alu instid0(VALU_DEP_1) | instskip(SKIP_2) | instid1(VALU_DEP_1)
	v_cmp_ne_u16_e32 vcc_lo, 2, v20
	v_cndmask_b32_e64 v20, 0, 1, vcc_lo
	;;#ASMSTART
	;;#ASMEND
	v_cmp_ne_u32_e32 vcc_lo, 0, v20
	v_mov_b32_e32 v20, v23
	s_cmp_lg_u32 vcc_lo, exec_lo
	s_cbranch_scc1 .LBB1131_88
; %bb.82:                               ;   in Loop: Header=BB1131_81 Depth=1
	v_lshlrev_b64 v[23:24], 3, v[21:22]
	s_mov_b32 s19, exec_lo
	s_delay_alu instid0(VALU_DEP_1) | instskip(NEXT) | instid1(VALU_DEP_2)
	v_add_co_u32 v25, vcc_lo, s12, v23
	v_add_co_ci_u32_e32 v26, vcc_lo, s13, v24, vcc_lo
	global_load_b64 v[23:24], v[25:26], off glc
	s_waitcnt vmcnt(0)
	v_and_b32_e32 v50, 0xff, v24
	s_delay_alu instid0(VALU_DEP_1)
	v_cmpx_eq_u16_e32 0, v50
	s_cbranch_execz .LBB1131_80
; %bb.83:                               ;   in Loop: Header=BB1131_81 Depth=1
	s_mov_b32 s21, 1
	s_mov_b32 s20, 0
	.p2align	6
.LBB1131_84:                            ;   Parent Loop BB1131_81 Depth=1
                                        ; =>  This Loop Header: Depth=2
                                        ;       Child Loop BB1131_85 Depth 3
	s_max_u32 s22, s21, 1
.LBB1131_85:                            ;   Parent Loop BB1131_81 Depth=1
                                        ;     Parent Loop BB1131_84 Depth=2
                                        ; =>    This Inner Loop Header: Depth=3
	s_delay_alu instid0(SALU_CYCLE_1)
	s_add_i32 s22, s22, -1
	s_sleep 1
	s_cmp_eq_u32 s22, 0
	s_cbranch_scc0 .LBB1131_85
; %bb.86:                               ;   in Loop: Header=BB1131_84 Depth=2
	global_load_b64 v[23:24], v[25:26], off glc
	s_cmp_lt_u32 s21, 32
	s_cselect_b32 s22, -1, 0
	s_delay_alu instid0(SALU_CYCLE_1) | instskip(SKIP_3) | instid1(VALU_DEP_1)
	s_cmp_lg_u32 s22, 0
	s_addc_u32 s21, s21, 0
	s_waitcnt vmcnt(0)
	v_and_b32_e32 v50, 0xff, v24
	v_cmp_ne_u16_e32 vcc_lo, 0, v50
	s_or_b32 s20, vcc_lo, s20
	s_delay_alu instid0(SALU_CYCLE_1)
	s_and_not1_b32 exec_lo, exec_lo, s20
	s_cbranch_execnz .LBB1131_84
; %bb.87:                               ;   in Loop: Header=BB1131_81 Depth=1
	s_or_b32 exec_lo, exec_lo, s20
	s_branch .LBB1131_80
.LBB1131_88:                            ;   in Loop: Header=BB1131_81 Depth=1
                                        ; implicit-def: $vgpr23
                                        ; implicit-def: $vgpr24
	s_cbranch_execz .LBB1131_81
; %bb.89:
	s_and_saveexec_b32 s19, s8
	s_cbranch_execz .LBB1131_91
; %bb.90:
	s_add_i32 s20, s15, 32
	s_mov_b32 s21, 0
	v_dual_mov_b32 v22, 2 :: v_dual_add_nc_u32 v21, v20, v19
	s_lshl_b64 s[20:21], s[20:21], 3
	v_mov_b32_e32 v23, 0
	s_add_u32 s20, s12, s20
	s_addc_u32 s21, s13, s21
	global_store_b64 v23, v[21:22], s[20:21]
	ds_store_b64 v23, v[19:20] offset:12672
.LBB1131_91:
	s_or_b32 exec_lo, exec_lo, s19
	v_cmp_eq_u32_e32 vcc_lo, 0, v0
	s_and_b32 exec_lo, exec_lo, vcc_lo
	s_cbranch_execz .LBB1131_93
; %bb.92:
	v_mov_b32_e32 v19, 0
	ds_store_b32 v19, v20 offset:44
.LBB1131_93:
	s_or_b32 exec_lo, exec_lo, s9
	v_mov_b32_e32 v19, 0
	s_waitcnt lgkmcnt(0)
	s_waitcnt_vscnt null, 0x0
	s_barrier
	buffer_gl0_inv
	v_cndmask_b32_e64 v21, v29, v27, s8
	ds_load_b32 v20, v19 offset:44
	v_cmp_ne_u32_e32 vcc_lo, 0, v0
	s_waitcnt lgkmcnt(0)
	s_barrier
	buffer_gl0_inv
	v_cndmask_b32_e32 v21, 0, v21, vcc_lo
	s_delay_alu instid0(VALU_DEP_1) | instskip(SKIP_2) | instid1(VALU_DEP_1)
	v_add_nc_u32_e32 v37, v20, v21
	ds_load_b64 v[19:20], v19 offset:12672
	v_add_nc_u32_e32 v35, v37, v28
	v_add_nc_u32_e32 v33, v35, v30
	s_delay_alu instid0(VALU_DEP_1) | instskip(NEXT) | instid1(VALU_DEP_1)
	v_add_nc_u32_e32 v31, v33, v32
	v_add_nc_u32_e32 v29, v31, v34
	s_delay_alu instid0(VALU_DEP_1) | instskip(NEXT) | instid1(VALU_DEP_1)
	v_add_nc_u32_e32 v27, v29, v36
	v_add_nc_u32_e32 v25, v27, v38
	s_delay_alu instid0(VALU_DEP_1)
	v_add_nc_u32_e32 v23, v25, v40
	s_load_b64 s[8:9], s[0:1], 0x28
	v_lshrrev_b64 v[21:22], 24, v[17:18]
	s_branch .LBB1131_104
.LBB1131_94:
                                        ; implicit-def: $vgpr23
                                        ; implicit-def: $vgpr25
                                        ; implicit-def: $vgpr27
                                        ; implicit-def: $vgpr29
                                        ; implicit-def: $vgpr31
                                        ; implicit-def: $vgpr33
                                        ; implicit-def: $vgpr35
                                        ; implicit-def: $vgpr37
                                        ; implicit-def: $vgpr20
	s_load_b64 s[8:9], s[0:1], 0x28
	v_lshrrev_b64 v[21:22], 24, v[17:18]
	s_and_b32 vcc_lo, exec_lo, s19
	s_cbranch_vccz .LBB1131_104
; %bb.95:
	s_waitcnt lgkmcnt(0)
	v_mov_b32_dpp v19, v43 row_shr:1 row_mask:0xf bank_mask:0xf
	s_delay_alu instid0(VALU_DEP_1) | instskip(NEXT) | instid1(VALU_DEP_1)
	v_cndmask_b32_e64 v19, v19, 0, s4
	v_add_nc_u32_e32 v19, v19, v43
	s_delay_alu instid0(VALU_DEP_1) | instskip(NEXT) | instid1(VALU_DEP_1)
	v_mov_b32_dpp v20, v19 row_shr:2 row_mask:0xf bank_mask:0xf
	v_cndmask_b32_e64 v20, 0, v20, s5
	s_delay_alu instid0(VALU_DEP_1) | instskip(NEXT) | instid1(VALU_DEP_1)
	v_add_nc_u32_e32 v19, v19, v20
	v_mov_b32_dpp v20, v19 row_shr:4 row_mask:0xf bank_mask:0xf
	s_delay_alu instid0(VALU_DEP_1) | instskip(NEXT) | instid1(VALU_DEP_1)
	v_cndmask_b32_e64 v20, 0, v20, s3
	v_add_nc_u32_e32 v19, v19, v20
	s_delay_alu instid0(VALU_DEP_1) | instskip(NEXT) | instid1(VALU_DEP_1)
	v_mov_b32_dpp v20, v19 row_shr:8 row_mask:0xf bank_mask:0xf
	v_cndmask_b32_e64 v20, 0, v20, s2
	s_delay_alu instid0(VALU_DEP_1) | instskip(SKIP_3) | instid1(VALU_DEP_1)
	v_add_nc_u32_e32 v19, v19, v20
	ds_swizzle_b32 v20, v19 offset:swizzle(BROADCAST,32,15)
	s_waitcnt lgkmcnt(0)
	v_cndmask_b32_e64 v20, v20, 0, s7
	v_add_nc_u32_e32 v19, v19, v20
	s_and_saveexec_b32 s0, s6
	s_cbranch_execz .LBB1131_97
; %bb.96:
	v_lshlrev_b32_e32 v20, 2, v42
	ds_store_b32 v20, v19
.LBB1131_97:
	s_or_b32 exec_lo, exec_lo, s0
	s_delay_alu instid0(SALU_CYCLE_1)
	s_mov_b32 s0, exec_lo
	s_waitcnt lgkmcnt(0)
	s_barrier
	buffer_gl0_inv
	v_cmpx_gt_u32_e32 12, v0
	s_cbranch_execz .LBB1131_99
; %bb.98:
	v_lshlrev_b32_e32 v20, 2, v0
	ds_load_b32 v22, v20
	s_waitcnt lgkmcnt(0)
	v_mov_b32_dpp v23, v22 row_shr:1 row_mask:0xf bank_mask:0xf
	s_delay_alu instid0(VALU_DEP_1) | instskip(NEXT) | instid1(VALU_DEP_1)
	v_cndmask_b32_e64 v23, v23, 0, s4
	v_add_nc_u32_e32 v22, v23, v22
	s_delay_alu instid0(VALU_DEP_1) | instskip(NEXT) | instid1(VALU_DEP_1)
	v_mov_b32_dpp v23, v22 row_shr:2 row_mask:0xf bank_mask:0xf
	v_cndmask_b32_e64 v23, 0, v23, s5
	s_delay_alu instid0(VALU_DEP_1) | instskip(NEXT) | instid1(VALU_DEP_1)
	v_add_nc_u32_e32 v22, v22, v23
	v_mov_b32_dpp v23, v22 row_shr:4 row_mask:0xf bank_mask:0xf
	s_delay_alu instid0(VALU_DEP_1) | instskip(NEXT) | instid1(VALU_DEP_1)
	v_cndmask_b32_e64 v23, 0, v23, s3
	v_add_nc_u32_e32 v22, v22, v23
	s_delay_alu instid0(VALU_DEP_1) | instskip(NEXT) | instid1(VALU_DEP_1)
	v_mov_b32_dpp v23, v22 row_shr:8 row_mask:0xf bank_mask:0xf
	v_cndmask_b32_e64 v23, 0, v23, s2
	s_delay_alu instid0(VALU_DEP_1)
	v_add_nc_u32_e32 v22, v22, v23
	ds_store_b32 v20, v22
.LBB1131_99:
	s_or_b32 exec_lo, exec_lo, s0
	v_mov_b32_e32 v20, 0
	v_mov_b32_e32 v22, 0
	s_mov_b32 s0, exec_lo
	s_waitcnt lgkmcnt(0)
	s_barrier
	buffer_gl0_inv
	v_cmpx_lt_u32_e32 31, v0
	s_cbranch_execz .LBB1131_101
; %bb.100:
	v_lshl_add_u32 v22, v42, 2, -4
	ds_load_b32 v22, v22
.LBB1131_101:
	s_or_b32 exec_lo, exec_lo, s0
	v_add_nc_u32_e32 v23, -1, v41
	s_waitcnt lgkmcnt(0)
	v_add_nc_u32_e32 v19, v22, v19
	s_delay_alu instid0(VALU_DEP_2) | instskip(SKIP_2) | instid1(VALU_DEP_2)
	v_cmp_gt_i32_e32 vcc_lo, 0, v23
	v_cndmask_b32_e32 v23, v23, v41, vcc_lo
	v_cmp_eq_u32_e32 vcc_lo, 0, v0
	v_lshlrev_b32_e32 v23, 2, v23
	ds_bpermute_b32 v23, v23, v19
	ds_load_b32 v19, v20 offset:44
	s_and_saveexec_b32 s0, vcc_lo
	s_cbranch_execz .LBB1131_103
; %bb.102:
	v_mov_b32_e32 v24, 0
	v_mov_b32_e32 v20, 2
	s_waitcnt lgkmcnt(0)
	global_store_b64 v24, v[19:20], s[12:13] offset:256
.LBB1131_103:
	s_or_b32 exec_lo, exec_lo, s0
	v_cmp_eq_u32_e64 s0, 0, v41
	s_waitcnt lgkmcnt(0)
	s_waitcnt_vscnt null, 0x0
	s_barrier
	buffer_gl0_inv
	v_cndmask_b32_e64 v20, v23, v22, s0
	s_delay_alu instid0(VALU_DEP_1) | instskip(NEXT) | instid1(VALU_DEP_1)
	v_cndmask_b32_e64 v37, v20, 0, vcc_lo
	v_dual_mov_b32 v20, 0 :: v_dual_add_nc_u32 v35, v37, v28
	s_delay_alu instid0(VALU_DEP_1) | instskip(NEXT) | instid1(VALU_DEP_1)
	v_add_nc_u32_e32 v33, v35, v30
	v_add_nc_u32_e32 v31, v33, v32
	s_delay_alu instid0(VALU_DEP_1) | instskip(NEXT) | instid1(VALU_DEP_1)
	v_add_nc_u32_e32 v29, v31, v34
	v_add_nc_u32_e32 v27, v29, v36
	;; [unrolled: 3-line block ×3, first 2 shown]
.LBB1131_104:
	s_waitcnt lgkmcnt(0)
	v_cmp_gt_u32_e32 vcc_lo, 0x181, v19
	v_lshrrev_b32_e32 v42, 8, v17
	v_lshrrev_b32_e32 v41, 16, v17
	;; [unrolled: 1-line block ×4, first 2 shown]
	v_cmp_lt_u32_e64 s0, 0x180, v19
	s_mov_b32 s1, -1
	s_cbranch_vccz .LBB1131_130
; %bb.105:
	v_add_nc_u32_e32 v24, v20, v19
	s_lshl_b64 s[2:3], s[10:11], 2
	s_delay_alu instid0(SALU_CYCLE_1) | instskip(SKIP_1) | instid1(VALU_DEP_1)
	s_add_u32 s1, s8, s2
	s_addc_u32 s2, s9, s3
	v_cmp_lt_u32_e32 vcc_lo, v37, v24
	s_or_b32 s4, s18, vcc_lo
	s_delay_alu instid0(SALU_CYCLE_1)
	s_and_saveexec_b32 s3, s4
	s_cbranch_execz .LBB1131_108
; %bb.106:
	v_and_b32_e32 v26, 1, v17
	s_delay_alu instid0(VALU_DEP_1)
	v_cmp_eq_u32_e32 vcc_lo, 1, v26
	s_and_b32 exec_lo, exec_lo, vcc_lo
	s_cbranch_execz .LBB1131_108
; %bb.107:
	v_mov_b32_e32 v38, 0
	s_delay_alu instid0(VALU_DEP_1) | instskip(NEXT) | instid1(VALU_DEP_1)
	v_lshlrev_b64 v[43:44], 2, v[37:38]
	v_add_co_u32 v43, vcc_lo, s1, v43
	s_delay_alu instid0(VALU_DEP_2)
	v_add_co_ci_u32_e32 v44, vcc_lo, s2, v44, vcc_lo
	global_store_b32 v[43:44], v7, off
.LBB1131_108:
	s_or_b32 exec_lo, exec_lo, s3
	v_cmp_lt_u32_e32 vcc_lo, v35, v24
	s_or_b32 s4, s18, vcc_lo
	s_delay_alu instid0(SALU_CYCLE_1)
	s_and_saveexec_b32 s3, s4
	s_cbranch_execz .LBB1131_111
; %bb.109:
	v_and_b32_e32 v26, 1, v42
	s_delay_alu instid0(VALU_DEP_1)
	v_cmp_eq_u32_e32 vcc_lo, 1, v26
	s_and_b32 exec_lo, exec_lo, vcc_lo
	s_cbranch_execz .LBB1131_111
; %bb.110:
	v_mov_b32_e32 v36, 0
	s_delay_alu instid0(VALU_DEP_1) | instskip(NEXT) | instid1(VALU_DEP_1)
	v_lshlrev_b64 v[43:44], 2, v[35:36]
	v_add_co_u32 v43, vcc_lo, s1, v43
	s_delay_alu instid0(VALU_DEP_2)
	v_add_co_ci_u32_e32 v44, vcc_lo, s2, v44, vcc_lo
	global_store_b32 v[43:44], v8, off
.LBB1131_111:
	s_or_b32 exec_lo, exec_lo, s3
	;; [unrolled: 21-line block ×8, first 2 shown]
	s_mov_b32 s1, 0
.LBB1131_130:
	v_and_b32_e32 v17, 1, v17
	s_and_b32 vcc_lo, exec_lo, s1
	s_delay_alu instid0(VALU_DEP_1)
	v_cmp_eq_u32_e64 s1, 1, v17
	s_cbranch_vccz .LBB1131_151
; %bb.131:
	s_delay_alu instid0(VALU_DEP_1)
	s_and_saveexec_b32 s2, s1
	s_cbranch_execz .LBB1131_133
; %bb.132:
	v_sub_nc_u32_e32 v24, v37, v20
	s_delay_alu instid0(VALU_DEP_1)
	v_lshlrev_b32_e32 v24, 2, v24
	ds_store_b32 v24, v7
.LBB1131_133:
	s_or_b32 exec_lo, exec_lo, s2
	v_and_b32_e32 v7, 1, v42
	s_mov_b32 s1, exec_lo
	s_delay_alu instid0(VALU_DEP_1)
	v_cmpx_eq_u32_e32 1, v7
	s_cbranch_execz .LBB1131_135
; %bb.134:
	v_sub_nc_u32_e32 v7, v35, v20
	s_delay_alu instid0(VALU_DEP_1)
	v_lshlrev_b32_e32 v7, 2, v7
	ds_store_b32 v7, v8
.LBB1131_135:
	s_or_b32 exec_lo, exec_lo, s1
	v_and_b32_e32 v7, 1, v41
	s_mov_b32 s1, exec_lo
	s_delay_alu instid0(VALU_DEP_1)
	v_cmpx_eq_u32_e32 1, v7
	;; [unrolled: 12-line block ×7, first 2 shown]
	s_cbranch_execz .LBB1131_147
; %bb.146:
	v_sub_nc_u32_e32 v1, v23, v20
	s_delay_alu instid0(VALU_DEP_1)
	v_lshlrev_b32_e32 v1, 2, v1
	ds_store_b32 v1, v2
.LBB1131_147:
	s_or_b32 exec_lo, exec_lo, s1
	s_delay_alu instid0(SALU_CYCLE_1)
	s_mov_b32 s2, exec_lo
	s_waitcnt lgkmcnt(0)
	s_waitcnt_vscnt null, 0x0
	s_barrier
	buffer_gl0_inv
	v_cmpx_lt_u32_e64 v0, v19
	s_cbranch_execz .LBB1131_150
; %bb.148:
	v_dual_mov_b32 v2, 0 :: v_dual_mov_b32 v1, v20
	s_lshl_b64 s[4:5], s[10:11], 2
	v_lshlrev_b32_e32 v3, 2, v0
	s_add_u32 s1, s8, s4
	s_addc_u32 s3, s9, s5
	v_lshlrev_b64 v[4:5], 2, v[1:2]
	v_mov_b32_e32 v1, v0
	s_delay_alu instid0(VALU_DEP_2) | instskip(NEXT) | instid1(VALU_DEP_3)
	v_add_co_u32 v4, vcc_lo, s1, v4
	v_add_co_ci_u32_e32 v5, vcc_lo, s3, v5, vcc_lo
	s_mov_b32 s3, 0
	.p2align	6
.LBB1131_149:                           ; =>This Inner Loop Header: Depth=1
	ds_load_b32 v8, v3
	v_lshlrev_b64 v[6:7], 2, v[1:2]
	v_add_nc_u32_e32 v1, 0x180, v1
	v_add_nc_u32_e32 v3, 0x600, v3
	s_delay_alu instid0(VALU_DEP_2) | instskip(NEXT) | instid1(VALU_DEP_4)
	v_cmp_ge_u32_e32 vcc_lo, v1, v19
	v_add_co_u32 v6, s1, v4, v6
	s_delay_alu instid0(VALU_DEP_1)
	v_add_co_ci_u32_e64 v7, s1, v5, v7, s1
	s_or_b32 s3, vcc_lo, s3
	s_waitcnt lgkmcnt(0)
	global_store_b32 v[6:7], v8, off
	s_and_not1_b32 exec_lo, exec_lo, s3
	s_cbranch_execnz .LBB1131_149
.LBB1131_150:
	s_or_b32 exec_lo, exec_lo, s2
.LBB1131_151:
	s_delay_alu instid0(SALU_CYCLE_1)
	s_and_not1_b32 vcc_lo, exec_lo, s0
	s_waitcnt_vscnt null, 0x0
	s_barrier
	buffer_gl0_inv
	s_cbranch_vccnz .LBB1131_170
; %bb.152:
	s_mov_b32 s0, exec_lo
	v_cmpx_eq_u32_e32 1, v17
	s_cbranch_execz .LBB1131_154
; %bb.153:
	v_sub_nc_u32_e32 v1, v37, v20
	s_delay_alu instid0(VALU_DEP_1)
	v_lshlrev_b32_e32 v1, 2, v1
	ds_store_b32 v1, v15
.LBB1131_154:
	s_or_b32 exec_lo, exec_lo, s0
	v_and_b32_e32 v1, 1, v42
	s_mov_b32 s0, exec_lo
	s_delay_alu instid0(VALU_DEP_1)
	v_cmpx_eq_u32_e32 1, v1
	s_cbranch_execz .LBB1131_156
; %bb.155:
	v_sub_nc_u32_e32 v1, v35, v20
	s_delay_alu instid0(VALU_DEP_1)
	v_lshlrev_b32_e32 v1, 2, v1
	ds_store_b32 v1, v16
.LBB1131_156:
	s_or_b32 exec_lo, exec_lo, s0
	v_and_b32_e32 v1, 1, v41
	s_mov_b32 s0, exec_lo
	s_delay_alu instid0(VALU_DEP_1)
	;; [unrolled: 12-line block ×7, first 2 shown]
	v_cmpx_eq_u32_e32 1, v1
	s_cbranch_execz .LBB1131_168
; %bb.167:
	v_sub_nc_u32_e32 v1, v23, v20
	s_delay_alu instid0(VALU_DEP_1)
	v_lshlrev_b32_e32 v1, 2, v1
	ds_store_b32 v1, v10
.LBB1131_168:
	s_or_b32 exec_lo, exec_lo, s0
	s_waitcnt lgkmcnt(0)
	s_barrier
	buffer_gl0_inv
	v_cmp_eq_u32_e32 vcc_lo, 0, v0
	s_and_b32 s0, vcc_lo, s14
	s_delay_alu instid0(SALU_CYCLE_1)
	s_and_saveexec_b32 s1, s0
	s_cbranch_execnz .LBB1131_171
.LBB1131_169:
	s_endpgm
.LBB1131_170:
	v_cmp_eq_u32_e32 vcc_lo, 0, v0
	s_and_b32 s0, vcc_lo, s14
	s_delay_alu instid0(SALU_CYCLE_1)
	s_and_saveexec_b32 s1, s0
	s_cbranch_execz .LBB1131_169
.LBB1131_171:
	v_add_co_u32 v0, s0, s10, v19
	s_delay_alu instid0(VALU_DEP_1) | instskip(SKIP_1) | instid1(VALU_DEP_3)
	v_add_co_ci_u32_e64 v1, null, s11, 0, s0
	v_mov_b32_e32 v2, 0
	v_add_co_u32 v0, vcc_lo, v0, v20
	s_delay_alu instid0(VALU_DEP_3)
	v_add_co_ci_u32_e32 v1, vcc_lo, 0, v1, vcc_lo
	global_store_b64 v2, v[0:1], s[16:17]
	s_nop 0
	s_sendmsg sendmsg(MSG_DEALLOC_VGPRS)
	s_endpgm
	.section	.rodata,"a",@progbits
	.p2align	6, 0x0
	.amdhsa_kernel _ZN7rocprim17ROCPRIM_400000_NS6detail17trampoline_kernelINS0_14default_configENS1_25partition_config_selectorILNS1_17partition_subalgoE9EijbEEZZNS1_14partition_implILS5_9ELb0ES3_jN6thrust23THRUST_200600_302600_NS6detail15normal_iteratorINS9_10device_ptrIiEEEENSB_INSC_IjEEEEPNS0_10empty_typeENS0_5tupleIJSE_SH_EEENSJ_IJNS9_16discard_iteratorINS9_11use_defaultEEESI_EEENS0_18inequality_wrapperINS9_8equal_toIiEEEEPmJSH_EEE10hipError_tPvRmT3_T4_T5_T6_T7_T9_mT8_P12ihipStream_tbDpT10_ENKUlT_T0_E_clISt17integral_constantIbLb1EES1C_IbLb0EEEEDaS18_S19_EUlS18_E_NS1_11comp_targetILNS1_3genE9ELNS1_11target_archE1100ELNS1_3gpuE3ELNS1_3repE0EEENS1_30default_config_static_selectorELNS0_4arch9wavefront6targetE0EEEvT1_
		.amdhsa_group_segment_fixed_size 12680
		.amdhsa_private_segment_fixed_size 0
		.amdhsa_kernarg_size 120
		.amdhsa_user_sgpr_count 15
		.amdhsa_user_sgpr_dispatch_ptr 0
		.amdhsa_user_sgpr_queue_ptr 0
		.amdhsa_user_sgpr_kernarg_segment_ptr 1
		.amdhsa_user_sgpr_dispatch_id 0
		.amdhsa_user_sgpr_private_segment_size 0
		.amdhsa_wavefront_size32 1
		.amdhsa_uses_dynamic_stack 0
		.amdhsa_enable_private_segment 0
		.amdhsa_system_sgpr_workgroup_id_x 1
		.amdhsa_system_sgpr_workgroup_id_y 0
		.amdhsa_system_sgpr_workgroup_id_z 0
		.amdhsa_system_sgpr_workgroup_info 0
		.amdhsa_system_vgpr_workitem_id 0
		.amdhsa_next_free_vgpr 51
		.amdhsa_next_free_sgpr 25
		.amdhsa_reserve_vcc 1
		.amdhsa_float_round_mode_32 0
		.amdhsa_float_round_mode_16_64 0
		.amdhsa_float_denorm_mode_32 3
		.amdhsa_float_denorm_mode_16_64 3
		.amdhsa_dx10_clamp 1
		.amdhsa_ieee_mode 1
		.amdhsa_fp16_overflow 0
		.amdhsa_workgroup_processor_mode 1
		.amdhsa_memory_ordered 1
		.amdhsa_forward_progress 0
		.amdhsa_shared_vgpr_count 0
		.amdhsa_exception_fp_ieee_invalid_op 0
		.amdhsa_exception_fp_denorm_src 0
		.amdhsa_exception_fp_ieee_div_zero 0
		.amdhsa_exception_fp_ieee_overflow 0
		.amdhsa_exception_fp_ieee_underflow 0
		.amdhsa_exception_fp_ieee_inexact 0
		.amdhsa_exception_int_div_zero 0
	.end_amdhsa_kernel
	.section	.text._ZN7rocprim17ROCPRIM_400000_NS6detail17trampoline_kernelINS0_14default_configENS1_25partition_config_selectorILNS1_17partition_subalgoE9EijbEEZZNS1_14partition_implILS5_9ELb0ES3_jN6thrust23THRUST_200600_302600_NS6detail15normal_iteratorINS9_10device_ptrIiEEEENSB_INSC_IjEEEEPNS0_10empty_typeENS0_5tupleIJSE_SH_EEENSJ_IJNS9_16discard_iteratorINS9_11use_defaultEEESI_EEENS0_18inequality_wrapperINS9_8equal_toIiEEEEPmJSH_EEE10hipError_tPvRmT3_T4_T5_T6_T7_T9_mT8_P12ihipStream_tbDpT10_ENKUlT_T0_E_clISt17integral_constantIbLb1EES1C_IbLb0EEEEDaS18_S19_EUlS18_E_NS1_11comp_targetILNS1_3genE9ELNS1_11target_archE1100ELNS1_3gpuE3ELNS1_3repE0EEENS1_30default_config_static_selectorELNS0_4arch9wavefront6targetE0EEEvT1_,"axG",@progbits,_ZN7rocprim17ROCPRIM_400000_NS6detail17trampoline_kernelINS0_14default_configENS1_25partition_config_selectorILNS1_17partition_subalgoE9EijbEEZZNS1_14partition_implILS5_9ELb0ES3_jN6thrust23THRUST_200600_302600_NS6detail15normal_iteratorINS9_10device_ptrIiEEEENSB_INSC_IjEEEEPNS0_10empty_typeENS0_5tupleIJSE_SH_EEENSJ_IJNS9_16discard_iteratorINS9_11use_defaultEEESI_EEENS0_18inequality_wrapperINS9_8equal_toIiEEEEPmJSH_EEE10hipError_tPvRmT3_T4_T5_T6_T7_T9_mT8_P12ihipStream_tbDpT10_ENKUlT_T0_E_clISt17integral_constantIbLb1EES1C_IbLb0EEEEDaS18_S19_EUlS18_E_NS1_11comp_targetILNS1_3genE9ELNS1_11target_archE1100ELNS1_3gpuE3ELNS1_3repE0EEENS1_30default_config_static_selectorELNS0_4arch9wavefront6targetE0EEEvT1_,comdat
.Lfunc_end1131:
	.size	_ZN7rocprim17ROCPRIM_400000_NS6detail17trampoline_kernelINS0_14default_configENS1_25partition_config_selectorILNS1_17partition_subalgoE9EijbEEZZNS1_14partition_implILS5_9ELb0ES3_jN6thrust23THRUST_200600_302600_NS6detail15normal_iteratorINS9_10device_ptrIiEEEENSB_INSC_IjEEEEPNS0_10empty_typeENS0_5tupleIJSE_SH_EEENSJ_IJNS9_16discard_iteratorINS9_11use_defaultEEESI_EEENS0_18inequality_wrapperINS9_8equal_toIiEEEEPmJSH_EEE10hipError_tPvRmT3_T4_T5_T6_T7_T9_mT8_P12ihipStream_tbDpT10_ENKUlT_T0_E_clISt17integral_constantIbLb1EES1C_IbLb0EEEEDaS18_S19_EUlS18_E_NS1_11comp_targetILNS1_3genE9ELNS1_11target_archE1100ELNS1_3gpuE3ELNS1_3repE0EEENS1_30default_config_static_selectorELNS0_4arch9wavefront6targetE0EEEvT1_, .Lfunc_end1131-_ZN7rocprim17ROCPRIM_400000_NS6detail17trampoline_kernelINS0_14default_configENS1_25partition_config_selectorILNS1_17partition_subalgoE9EijbEEZZNS1_14partition_implILS5_9ELb0ES3_jN6thrust23THRUST_200600_302600_NS6detail15normal_iteratorINS9_10device_ptrIiEEEENSB_INSC_IjEEEEPNS0_10empty_typeENS0_5tupleIJSE_SH_EEENSJ_IJNS9_16discard_iteratorINS9_11use_defaultEEESI_EEENS0_18inequality_wrapperINS9_8equal_toIiEEEEPmJSH_EEE10hipError_tPvRmT3_T4_T5_T6_T7_T9_mT8_P12ihipStream_tbDpT10_ENKUlT_T0_E_clISt17integral_constantIbLb1EES1C_IbLb0EEEEDaS18_S19_EUlS18_E_NS1_11comp_targetILNS1_3genE9ELNS1_11target_archE1100ELNS1_3gpuE3ELNS1_3repE0EEENS1_30default_config_static_selectorELNS0_4arch9wavefront6targetE0EEEvT1_
                                        ; -- End function
	.section	.AMDGPU.csdata,"",@progbits
; Kernel info:
; codeLenInByte = 8468
; NumSgprs: 27
; NumVgprs: 51
; ScratchSize: 0
; MemoryBound: 0
; FloatMode: 240
; IeeeMode: 1
; LDSByteSize: 12680 bytes/workgroup (compile time only)
; SGPRBlocks: 3
; VGPRBlocks: 6
; NumSGPRsForWavesPerEU: 27
; NumVGPRsForWavesPerEU: 51
; Occupancy: 15
; WaveLimiterHint : 1
; COMPUTE_PGM_RSRC2:SCRATCH_EN: 0
; COMPUTE_PGM_RSRC2:USER_SGPR: 15
; COMPUTE_PGM_RSRC2:TRAP_HANDLER: 0
; COMPUTE_PGM_RSRC2:TGID_X_EN: 1
; COMPUTE_PGM_RSRC2:TGID_Y_EN: 0
; COMPUTE_PGM_RSRC2:TGID_Z_EN: 0
; COMPUTE_PGM_RSRC2:TIDIG_COMP_CNT: 0
	.section	.text._ZN7rocprim17ROCPRIM_400000_NS6detail17trampoline_kernelINS0_14default_configENS1_25partition_config_selectorILNS1_17partition_subalgoE9EijbEEZZNS1_14partition_implILS5_9ELb0ES3_jN6thrust23THRUST_200600_302600_NS6detail15normal_iteratorINS9_10device_ptrIiEEEENSB_INSC_IjEEEEPNS0_10empty_typeENS0_5tupleIJSE_SH_EEENSJ_IJNS9_16discard_iteratorINS9_11use_defaultEEESI_EEENS0_18inequality_wrapperINS9_8equal_toIiEEEEPmJSH_EEE10hipError_tPvRmT3_T4_T5_T6_T7_T9_mT8_P12ihipStream_tbDpT10_ENKUlT_T0_E_clISt17integral_constantIbLb1EES1C_IbLb0EEEEDaS18_S19_EUlS18_E_NS1_11comp_targetILNS1_3genE8ELNS1_11target_archE1030ELNS1_3gpuE2ELNS1_3repE0EEENS1_30default_config_static_selectorELNS0_4arch9wavefront6targetE0EEEvT1_,"axG",@progbits,_ZN7rocprim17ROCPRIM_400000_NS6detail17trampoline_kernelINS0_14default_configENS1_25partition_config_selectorILNS1_17partition_subalgoE9EijbEEZZNS1_14partition_implILS5_9ELb0ES3_jN6thrust23THRUST_200600_302600_NS6detail15normal_iteratorINS9_10device_ptrIiEEEENSB_INSC_IjEEEEPNS0_10empty_typeENS0_5tupleIJSE_SH_EEENSJ_IJNS9_16discard_iteratorINS9_11use_defaultEEESI_EEENS0_18inequality_wrapperINS9_8equal_toIiEEEEPmJSH_EEE10hipError_tPvRmT3_T4_T5_T6_T7_T9_mT8_P12ihipStream_tbDpT10_ENKUlT_T0_E_clISt17integral_constantIbLb1EES1C_IbLb0EEEEDaS18_S19_EUlS18_E_NS1_11comp_targetILNS1_3genE8ELNS1_11target_archE1030ELNS1_3gpuE2ELNS1_3repE0EEENS1_30default_config_static_selectorELNS0_4arch9wavefront6targetE0EEEvT1_,comdat
	.protected	_ZN7rocprim17ROCPRIM_400000_NS6detail17trampoline_kernelINS0_14default_configENS1_25partition_config_selectorILNS1_17partition_subalgoE9EijbEEZZNS1_14partition_implILS5_9ELb0ES3_jN6thrust23THRUST_200600_302600_NS6detail15normal_iteratorINS9_10device_ptrIiEEEENSB_INSC_IjEEEEPNS0_10empty_typeENS0_5tupleIJSE_SH_EEENSJ_IJNS9_16discard_iteratorINS9_11use_defaultEEESI_EEENS0_18inequality_wrapperINS9_8equal_toIiEEEEPmJSH_EEE10hipError_tPvRmT3_T4_T5_T6_T7_T9_mT8_P12ihipStream_tbDpT10_ENKUlT_T0_E_clISt17integral_constantIbLb1EES1C_IbLb0EEEEDaS18_S19_EUlS18_E_NS1_11comp_targetILNS1_3genE8ELNS1_11target_archE1030ELNS1_3gpuE2ELNS1_3repE0EEENS1_30default_config_static_selectorELNS0_4arch9wavefront6targetE0EEEvT1_ ; -- Begin function _ZN7rocprim17ROCPRIM_400000_NS6detail17trampoline_kernelINS0_14default_configENS1_25partition_config_selectorILNS1_17partition_subalgoE9EijbEEZZNS1_14partition_implILS5_9ELb0ES3_jN6thrust23THRUST_200600_302600_NS6detail15normal_iteratorINS9_10device_ptrIiEEEENSB_INSC_IjEEEEPNS0_10empty_typeENS0_5tupleIJSE_SH_EEENSJ_IJNS9_16discard_iteratorINS9_11use_defaultEEESI_EEENS0_18inequality_wrapperINS9_8equal_toIiEEEEPmJSH_EEE10hipError_tPvRmT3_T4_T5_T6_T7_T9_mT8_P12ihipStream_tbDpT10_ENKUlT_T0_E_clISt17integral_constantIbLb1EES1C_IbLb0EEEEDaS18_S19_EUlS18_E_NS1_11comp_targetILNS1_3genE8ELNS1_11target_archE1030ELNS1_3gpuE2ELNS1_3repE0EEENS1_30default_config_static_selectorELNS0_4arch9wavefront6targetE0EEEvT1_
	.globl	_ZN7rocprim17ROCPRIM_400000_NS6detail17trampoline_kernelINS0_14default_configENS1_25partition_config_selectorILNS1_17partition_subalgoE9EijbEEZZNS1_14partition_implILS5_9ELb0ES3_jN6thrust23THRUST_200600_302600_NS6detail15normal_iteratorINS9_10device_ptrIiEEEENSB_INSC_IjEEEEPNS0_10empty_typeENS0_5tupleIJSE_SH_EEENSJ_IJNS9_16discard_iteratorINS9_11use_defaultEEESI_EEENS0_18inequality_wrapperINS9_8equal_toIiEEEEPmJSH_EEE10hipError_tPvRmT3_T4_T5_T6_T7_T9_mT8_P12ihipStream_tbDpT10_ENKUlT_T0_E_clISt17integral_constantIbLb1EES1C_IbLb0EEEEDaS18_S19_EUlS18_E_NS1_11comp_targetILNS1_3genE8ELNS1_11target_archE1030ELNS1_3gpuE2ELNS1_3repE0EEENS1_30default_config_static_selectorELNS0_4arch9wavefront6targetE0EEEvT1_
	.p2align	8
	.type	_ZN7rocprim17ROCPRIM_400000_NS6detail17trampoline_kernelINS0_14default_configENS1_25partition_config_selectorILNS1_17partition_subalgoE9EijbEEZZNS1_14partition_implILS5_9ELb0ES3_jN6thrust23THRUST_200600_302600_NS6detail15normal_iteratorINS9_10device_ptrIiEEEENSB_INSC_IjEEEEPNS0_10empty_typeENS0_5tupleIJSE_SH_EEENSJ_IJNS9_16discard_iteratorINS9_11use_defaultEEESI_EEENS0_18inequality_wrapperINS9_8equal_toIiEEEEPmJSH_EEE10hipError_tPvRmT3_T4_T5_T6_T7_T9_mT8_P12ihipStream_tbDpT10_ENKUlT_T0_E_clISt17integral_constantIbLb1EES1C_IbLb0EEEEDaS18_S19_EUlS18_E_NS1_11comp_targetILNS1_3genE8ELNS1_11target_archE1030ELNS1_3gpuE2ELNS1_3repE0EEENS1_30default_config_static_selectorELNS0_4arch9wavefront6targetE0EEEvT1_,@function
_ZN7rocprim17ROCPRIM_400000_NS6detail17trampoline_kernelINS0_14default_configENS1_25partition_config_selectorILNS1_17partition_subalgoE9EijbEEZZNS1_14partition_implILS5_9ELb0ES3_jN6thrust23THRUST_200600_302600_NS6detail15normal_iteratorINS9_10device_ptrIiEEEENSB_INSC_IjEEEEPNS0_10empty_typeENS0_5tupleIJSE_SH_EEENSJ_IJNS9_16discard_iteratorINS9_11use_defaultEEESI_EEENS0_18inequality_wrapperINS9_8equal_toIiEEEEPmJSH_EEE10hipError_tPvRmT3_T4_T5_T6_T7_T9_mT8_P12ihipStream_tbDpT10_ENKUlT_T0_E_clISt17integral_constantIbLb1EES1C_IbLb0EEEEDaS18_S19_EUlS18_E_NS1_11comp_targetILNS1_3genE8ELNS1_11target_archE1030ELNS1_3gpuE2ELNS1_3repE0EEENS1_30default_config_static_selectorELNS0_4arch9wavefront6targetE0EEEvT1_: ; @_ZN7rocprim17ROCPRIM_400000_NS6detail17trampoline_kernelINS0_14default_configENS1_25partition_config_selectorILNS1_17partition_subalgoE9EijbEEZZNS1_14partition_implILS5_9ELb0ES3_jN6thrust23THRUST_200600_302600_NS6detail15normal_iteratorINS9_10device_ptrIiEEEENSB_INSC_IjEEEEPNS0_10empty_typeENS0_5tupleIJSE_SH_EEENSJ_IJNS9_16discard_iteratorINS9_11use_defaultEEESI_EEENS0_18inequality_wrapperINS9_8equal_toIiEEEEPmJSH_EEE10hipError_tPvRmT3_T4_T5_T6_T7_T9_mT8_P12ihipStream_tbDpT10_ENKUlT_T0_E_clISt17integral_constantIbLb1EES1C_IbLb0EEEEDaS18_S19_EUlS18_E_NS1_11comp_targetILNS1_3genE8ELNS1_11target_archE1030ELNS1_3gpuE2ELNS1_3repE0EEENS1_30default_config_static_selectorELNS0_4arch9wavefront6targetE0EEEvT1_
; %bb.0:
	.section	.rodata,"a",@progbits
	.p2align	6, 0x0
	.amdhsa_kernel _ZN7rocprim17ROCPRIM_400000_NS6detail17trampoline_kernelINS0_14default_configENS1_25partition_config_selectorILNS1_17partition_subalgoE9EijbEEZZNS1_14partition_implILS5_9ELb0ES3_jN6thrust23THRUST_200600_302600_NS6detail15normal_iteratorINS9_10device_ptrIiEEEENSB_INSC_IjEEEEPNS0_10empty_typeENS0_5tupleIJSE_SH_EEENSJ_IJNS9_16discard_iteratorINS9_11use_defaultEEESI_EEENS0_18inequality_wrapperINS9_8equal_toIiEEEEPmJSH_EEE10hipError_tPvRmT3_T4_T5_T6_T7_T9_mT8_P12ihipStream_tbDpT10_ENKUlT_T0_E_clISt17integral_constantIbLb1EES1C_IbLb0EEEEDaS18_S19_EUlS18_E_NS1_11comp_targetILNS1_3genE8ELNS1_11target_archE1030ELNS1_3gpuE2ELNS1_3repE0EEENS1_30default_config_static_selectorELNS0_4arch9wavefront6targetE0EEEvT1_
		.amdhsa_group_segment_fixed_size 0
		.amdhsa_private_segment_fixed_size 0
		.amdhsa_kernarg_size 120
		.amdhsa_user_sgpr_count 15
		.amdhsa_user_sgpr_dispatch_ptr 0
		.amdhsa_user_sgpr_queue_ptr 0
		.amdhsa_user_sgpr_kernarg_segment_ptr 1
		.amdhsa_user_sgpr_dispatch_id 0
		.amdhsa_user_sgpr_private_segment_size 0
		.amdhsa_wavefront_size32 1
		.amdhsa_uses_dynamic_stack 0
		.amdhsa_enable_private_segment 0
		.amdhsa_system_sgpr_workgroup_id_x 1
		.amdhsa_system_sgpr_workgroup_id_y 0
		.amdhsa_system_sgpr_workgroup_id_z 0
		.amdhsa_system_sgpr_workgroup_info 0
		.amdhsa_system_vgpr_workitem_id 0
		.amdhsa_next_free_vgpr 1
		.amdhsa_next_free_sgpr 1
		.amdhsa_reserve_vcc 0
		.amdhsa_float_round_mode_32 0
		.amdhsa_float_round_mode_16_64 0
		.amdhsa_float_denorm_mode_32 3
		.amdhsa_float_denorm_mode_16_64 3
		.amdhsa_dx10_clamp 1
		.amdhsa_ieee_mode 1
		.amdhsa_fp16_overflow 0
		.amdhsa_workgroup_processor_mode 1
		.amdhsa_memory_ordered 1
		.amdhsa_forward_progress 0
		.amdhsa_shared_vgpr_count 0
		.amdhsa_exception_fp_ieee_invalid_op 0
		.amdhsa_exception_fp_denorm_src 0
		.amdhsa_exception_fp_ieee_div_zero 0
		.amdhsa_exception_fp_ieee_overflow 0
		.amdhsa_exception_fp_ieee_underflow 0
		.amdhsa_exception_fp_ieee_inexact 0
		.amdhsa_exception_int_div_zero 0
	.end_amdhsa_kernel
	.section	.text._ZN7rocprim17ROCPRIM_400000_NS6detail17trampoline_kernelINS0_14default_configENS1_25partition_config_selectorILNS1_17partition_subalgoE9EijbEEZZNS1_14partition_implILS5_9ELb0ES3_jN6thrust23THRUST_200600_302600_NS6detail15normal_iteratorINS9_10device_ptrIiEEEENSB_INSC_IjEEEEPNS0_10empty_typeENS0_5tupleIJSE_SH_EEENSJ_IJNS9_16discard_iteratorINS9_11use_defaultEEESI_EEENS0_18inequality_wrapperINS9_8equal_toIiEEEEPmJSH_EEE10hipError_tPvRmT3_T4_T5_T6_T7_T9_mT8_P12ihipStream_tbDpT10_ENKUlT_T0_E_clISt17integral_constantIbLb1EES1C_IbLb0EEEEDaS18_S19_EUlS18_E_NS1_11comp_targetILNS1_3genE8ELNS1_11target_archE1030ELNS1_3gpuE2ELNS1_3repE0EEENS1_30default_config_static_selectorELNS0_4arch9wavefront6targetE0EEEvT1_,"axG",@progbits,_ZN7rocprim17ROCPRIM_400000_NS6detail17trampoline_kernelINS0_14default_configENS1_25partition_config_selectorILNS1_17partition_subalgoE9EijbEEZZNS1_14partition_implILS5_9ELb0ES3_jN6thrust23THRUST_200600_302600_NS6detail15normal_iteratorINS9_10device_ptrIiEEEENSB_INSC_IjEEEEPNS0_10empty_typeENS0_5tupleIJSE_SH_EEENSJ_IJNS9_16discard_iteratorINS9_11use_defaultEEESI_EEENS0_18inequality_wrapperINS9_8equal_toIiEEEEPmJSH_EEE10hipError_tPvRmT3_T4_T5_T6_T7_T9_mT8_P12ihipStream_tbDpT10_ENKUlT_T0_E_clISt17integral_constantIbLb1EES1C_IbLb0EEEEDaS18_S19_EUlS18_E_NS1_11comp_targetILNS1_3genE8ELNS1_11target_archE1030ELNS1_3gpuE2ELNS1_3repE0EEENS1_30default_config_static_selectorELNS0_4arch9wavefront6targetE0EEEvT1_,comdat
.Lfunc_end1132:
	.size	_ZN7rocprim17ROCPRIM_400000_NS6detail17trampoline_kernelINS0_14default_configENS1_25partition_config_selectorILNS1_17partition_subalgoE9EijbEEZZNS1_14partition_implILS5_9ELb0ES3_jN6thrust23THRUST_200600_302600_NS6detail15normal_iteratorINS9_10device_ptrIiEEEENSB_INSC_IjEEEEPNS0_10empty_typeENS0_5tupleIJSE_SH_EEENSJ_IJNS9_16discard_iteratorINS9_11use_defaultEEESI_EEENS0_18inequality_wrapperINS9_8equal_toIiEEEEPmJSH_EEE10hipError_tPvRmT3_T4_T5_T6_T7_T9_mT8_P12ihipStream_tbDpT10_ENKUlT_T0_E_clISt17integral_constantIbLb1EES1C_IbLb0EEEEDaS18_S19_EUlS18_E_NS1_11comp_targetILNS1_3genE8ELNS1_11target_archE1030ELNS1_3gpuE2ELNS1_3repE0EEENS1_30default_config_static_selectorELNS0_4arch9wavefront6targetE0EEEvT1_, .Lfunc_end1132-_ZN7rocprim17ROCPRIM_400000_NS6detail17trampoline_kernelINS0_14default_configENS1_25partition_config_selectorILNS1_17partition_subalgoE9EijbEEZZNS1_14partition_implILS5_9ELb0ES3_jN6thrust23THRUST_200600_302600_NS6detail15normal_iteratorINS9_10device_ptrIiEEEENSB_INSC_IjEEEEPNS0_10empty_typeENS0_5tupleIJSE_SH_EEENSJ_IJNS9_16discard_iteratorINS9_11use_defaultEEESI_EEENS0_18inequality_wrapperINS9_8equal_toIiEEEEPmJSH_EEE10hipError_tPvRmT3_T4_T5_T6_T7_T9_mT8_P12ihipStream_tbDpT10_ENKUlT_T0_E_clISt17integral_constantIbLb1EES1C_IbLb0EEEEDaS18_S19_EUlS18_E_NS1_11comp_targetILNS1_3genE8ELNS1_11target_archE1030ELNS1_3gpuE2ELNS1_3repE0EEENS1_30default_config_static_selectorELNS0_4arch9wavefront6targetE0EEEvT1_
                                        ; -- End function
	.section	.AMDGPU.csdata,"",@progbits
; Kernel info:
; codeLenInByte = 0
; NumSgprs: 0
; NumVgprs: 0
; ScratchSize: 0
; MemoryBound: 0
; FloatMode: 240
; IeeeMode: 1
; LDSByteSize: 0 bytes/workgroup (compile time only)
; SGPRBlocks: 0
; VGPRBlocks: 0
; NumSGPRsForWavesPerEU: 1
; NumVGPRsForWavesPerEU: 1
; Occupancy: 16
; WaveLimiterHint : 0
; COMPUTE_PGM_RSRC2:SCRATCH_EN: 0
; COMPUTE_PGM_RSRC2:USER_SGPR: 15
; COMPUTE_PGM_RSRC2:TRAP_HANDLER: 0
; COMPUTE_PGM_RSRC2:TGID_X_EN: 1
; COMPUTE_PGM_RSRC2:TGID_Y_EN: 0
; COMPUTE_PGM_RSRC2:TGID_Z_EN: 0
; COMPUTE_PGM_RSRC2:TIDIG_COMP_CNT: 0
	.section	.text._ZN7rocprim17ROCPRIM_400000_NS6detail17trampoline_kernelINS0_14default_configENS1_25partition_config_selectorILNS1_17partition_subalgoE9EijbEEZZNS1_14partition_implILS5_9ELb0ES3_jN6thrust23THRUST_200600_302600_NS6detail15normal_iteratorINS9_10device_ptrIiEEEENSB_INSC_IjEEEEPNS0_10empty_typeENS0_5tupleIJSE_SH_EEENSJ_IJNS9_16discard_iteratorINS9_11use_defaultEEESI_EEENS0_18inequality_wrapperINS9_8equal_toIiEEEEPmJSH_EEE10hipError_tPvRmT3_T4_T5_T6_T7_T9_mT8_P12ihipStream_tbDpT10_ENKUlT_T0_E_clISt17integral_constantIbLb0EES1C_IbLb1EEEEDaS18_S19_EUlS18_E_NS1_11comp_targetILNS1_3genE0ELNS1_11target_archE4294967295ELNS1_3gpuE0ELNS1_3repE0EEENS1_30default_config_static_selectorELNS0_4arch9wavefront6targetE0EEEvT1_,"axG",@progbits,_ZN7rocprim17ROCPRIM_400000_NS6detail17trampoline_kernelINS0_14default_configENS1_25partition_config_selectorILNS1_17partition_subalgoE9EijbEEZZNS1_14partition_implILS5_9ELb0ES3_jN6thrust23THRUST_200600_302600_NS6detail15normal_iteratorINS9_10device_ptrIiEEEENSB_INSC_IjEEEEPNS0_10empty_typeENS0_5tupleIJSE_SH_EEENSJ_IJNS9_16discard_iteratorINS9_11use_defaultEEESI_EEENS0_18inequality_wrapperINS9_8equal_toIiEEEEPmJSH_EEE10hipError_tPvRmT3_T4_T5_T6_T7_T9_mT8_P12ihipStream_tbDpT10_ENKUlT_T0_E_clISt17integral_constantIbLb0EES1C_IbLb1EEEEDaS18_S19_EUlS18_E_NS1_11comp_targetILNS1_3genE0ELNS1_11target_archE4294967295ELNS1_3gpuE0ELNS1_3repE0EEENS1_30default_config_static_selectorELNS0_4arch9wavefront6targetE0EEEvT1_,comdat
	.protected	_ZN7rocprim17ROCPRIM_400000_NS6detail17trampoline_kernelINS0_14default_configENS1_25partition_config_selectorILNS1_17partition_subalgoE9EijbEEZZNS1_14partition_implILS5_9ELb0ES3_jN6thrust23THRUST_200600_302600_NS6detail15normal_iteratorINS9_10device_ptrIiEEEENSB_INSC_IjEEEEPNS0_10empty_typeENS0_5tupleIJSE_SH_EEENSJ_IJNS9_16discard_iteratorINS9_11use_defaultEEESI_EEENS0_18inequality_wrapperINS9_8equal_toIiEEEEPmJSH_EEE10hipError_tPvRmT3_T4_T5_T6_T7_T9_mT8_P12ihipStream_tbDpT10_ENKUlT_T0_E_clISt17integral_constantIbLb0EES1C_IbLb1EEEEDaS18_S19_EUlS18_E_NS1_11comp_targetILNS1_3genE0ELNS1_11target_archE4294967295ELNS1_3gpuE0ELNS1_3repE0EEENS1_30default_config_static_selectorELNS0_4arch9wavefront6targetE0EEEvT1_ ; -- Begin function _ZN7rocprim17ROCPRIM_400000_NS6detail17trampoline_kernelINS0_14default_configENS1_25partition_config_selectorILNS1_17partition_subalgoE9EijbEEZZNS1_14partition_implILS5_9ELb0ES3_jN6thrust23THRUST_200600_302600_NS6detail15normal_iteratorINS9_10device_ptrIiEEEENSB_INSC_IjEEEEPNS0_10empty_typeENS0_5tupleIJSE_SH_EEENSJ_IJNS9_16discard_iteratorINS9_11use_defaultEEESI_EEENS0_18inequality_wrapperINS9_8equal_toIiEEEEPmJSH_EEE10hipError_tPvRmT3_T4_T5_T6_T7_T9_mT8_P12ihipStream_tbDpT10_ENKUlT_T0_E_clISt17integral_constantIbLb0EES1C_IbLb1EEEEDaS18_S19_EUlS18_E_NS1_11comp_targetILNS1_3genE0ELNS1_11target_archE4294967295ELNS1_3gpuE0ELNS1_3repE0EEENS1_30default_config_static_selectorELNS0_4arch9wavefront6targetE0EEEvT1_
	.globl	_ZN7rocprim17ROCPRIM_400000_NS6detail17trampoline_kernelINS0_14default_configENS1_25partition_config_selectorILNS1_17partition_subalgoE9EijbEEZZNS1_14partition_implILS5_9ELb0ES3_jN6thrust23THRUST_200600_302600_NS6detail15normal_iteratorINS9_10device_ptrIiEEEENSB_INSC_IjEEEEPNS0_10empty_typeENS0_5tupleIJSE_SH_EEENSJ_IJNS9_16discard_iteratorINS9_11use_defaultEEESI_EEENS0_18inequality_wrapperINS9_8equal_toIiEEEEPmJSH_EEE10hipError_tPvRmT3_T4_T5_T6_T7_T9_mT8_P12ihipStream_tbDpT10_ENKUlT_T0_E_clISt17integral_constantIbLb0EES1C_IbLb1EEEEDaS18_S19_EUlS18_E_NS1_11comp_targetILNS1_3genE0ELNS1_11target_archE4294967295ELNS1_3gpuE0ELNS1_3repE0EEENS1_30default_config_static_selectorELNS0_4arch9wavefront6targetE0EEEvT1_
	.p2align	8
	.type	_ZN7rocprim17ROCPRIM_400000_NS6detail17trampoline_kernelINS0_14default_configENS1_25partition_config_selectorILNS1_17partition_subalgoE9EijbEEZZNS1_14partition_implILS5_9ELb0ES3_jN6thrust23THRUST_200600_302600_NS6detail15normal_iteratorINS9_10device_ptrIiEEEENSB_INSC_IjEEEEPNS0_10empty_typeENS0_5tupleIJSE_SH_EEENSJ_IJNS9_16discard_iteratorINS9_11use_defaultEEESI_EEENS0_18inequality_wrapperINS9_8equal_toIiEEEEPmJSH_EEE10hipError_tPvRmT3_T4_T5_T6_T7_T9_mT8_P12ihipStream_tbDpT10_ENKUlT_T0_E_clISt17integral_constantIbLb0EES1C_IbLb1EEEEDaS18_S19_EUlS18_E_NS1_11comp_targetILNS1_3genE0ELNS1_11target_archE4294967295ELNS1_3gpuE0ELNS1_3repE0EEENS1_30default_config_static_selectorELNS0_4arch9wavefront6targetE0EEEvT1_,@function
_ZN7rocprim17ROCPRIM_400000_NS6detail17trampoline_kernelINS0_14default_configENS1_25partition_config_selectorILNS1_17partition_subalgoE9EijbEEZZNS1_14partition_implILS5_9ELb0ES3_jN6thrust23THRUST_200600_302600_NS6detail15normal_iteratorINS9_10device_ptrIiEEEENSB_INSC_IjEEEEPNS0_10empty_typeENS0_5tupleIJSE_SH_EEENSJ_IJNS9_16discard_iteratorINS9_11use_defaultEEESI_EEENS0_18inequality_wrapperINS9_8equal_toIiEEEEPmJSH_EEE10hipError_tPvRmT3_T4_T5_T6_T7_T9_mT8_P12ihipStream_tbDpT10_ENKUlT_T0_E_clISt17integral_constantIbLb0EES1C_IbLb1EEEEDaS18_S19_EUlS18_E_NS1_11comp_targetILNS1_3genE0ELNS1_11target_archE4294967295ELNS1_3gpuE0ELNS1_3repE0EEENS1_30default_config_static_selectorELNS0_4arch9wavefront6targetE0EEEvT1_: ; @_ZN7rocprim17ROCPRIM_400000_NS6detail17trampoline_kernelINS0_14default_configENS1_25partition_config_selectorILNS1_17partition_subalgoE9EijbEEZZNS1_14partition_implILS5_9ELb0ES3_jN6thrust23THRUST_200600_302600_NS6detail15normal_iteratorINS9_10device_ptrIiEEEENSB_INSC_IjEEEEPNS0_10empty_typeENS0_5tupleIJSE_SH_EEENSJ_IJNS9_16discard_iteratorINS9_11use_defaultEEESI_EEENS0_18inequality_wrapperINS9_8equal_toIiEEEEPmJSH_EEE10hipError_tPvRmT3_T4_T5_T6_T7_T9_mT8_P12ihipStream_tbDpT10_ENKUlT_T0_E_clISt17integral_constantIbLb0EES1C_IbLb1EEEEDaS18_S19_EUlS18_E_NS1_11comp_targetILNS1_3genE0ELNS1_11target_archE4294967295ELNS1_3gpuE0ELNS1_3repE0EEENS1_30default_config_static_selectorELNS0_4arch9wavefront6targetE0EEEvT1_
; %bb.0:
	.section	.rodata,"a",@progbits
	.p2align	6, 0x0
	.amdhsa_kernel _ZN7rocprim17ROCPRIM_400000_NS6detail17trampoline_kernelINS0_14default_configENS1_25partition_config_selectorILNS1_17partition_subalgoE9EijbEEZZNS1_14partition_implILS5_9ELb0ES3_jN6thrust23THRUST_200600_302600_NS6detail15normal_iteratorINS9_10device_ptrIiEEEENSB_INSC_IjEEEEPNS0_10empty_typeENS0_5tupleIJSE_SH_EEENSJ_IJNS9_16discard_iteratorINS9_11use_defaultEEESI_EEENS0_18inequality_wrapperINS9_8equal_toIiEEEEPmJSH_EEE10hipError_tPvRmT3_T4_T5_T6_T7_T9_mT8_P12ihipStream_tbDpT10_ENKUlT_T0_E_clISt17integral_constantIbLb0EES1C_IbLb1EEEEDaS18_S19_EUlS18_E_NS1_11comp_targetILNS1_3genE0ELNS1_11target_archE4294967295ELNS1_3gpuE0ELNS1_3repE0EEENS1_30default_config_static_selectorELNS0_4arch9wavefront6targetE0EEEvT1_
		.amdhsa_group_segment_fixed_size 0
		.amdhsa_private_segment_fixed_size 0
		.amdhsa_kernarg_size 136
		.amdhsa_user_sgpr_count 15
		.amdhsa_user_sgpr_dispatch_ptr 0
		.amdhsa_user_sgpr_queue_ptr 0
		.amdhsa_user_sgpr_kernarg_segment_ptr 1
		.amdhsa_user_sgpr_dispatch_id 0
		.amdhsa_user_sgpr_private_segment_size 0
		.amdhsa_wavefront_size32 1
		.amdhsa_uses_dynamic_stack 0
		.amdhsa_enable_private_segment 0
		.amdhsa_system_sgpr_workgroup_id_x 1
		.amdhsa_system_sgpr_workgroup_id_y 0
		.amdhsa_system_sgpr_workgroup_id_z 0
		.amdhsa_system_sgpr_workgroup_info 0
		.amdhsa_system_vgpr_workitem_id 0
		.amdhsa_next_free_vgpr 1
		.amdhsa_next_free_sgpr 1
		.amdhsa_reserve_vcc 0
		.amdhsa_float_round_mode_32 0
		.amdhsa_float_round_mode_16_64 0
		.amdhsa_float_denorm_mode_32 3
		.amdhsa_float_denorm_mode_16_64 3
		.amdhsa_dx10_clamp 1
		.amdhsa_ieee_mode 1
		.amdhsa_fp16_overflow 0
		.amdhsa_workgroup_processor_mode 1
		.amdhsa_memory_ordered 1
		.amdhsa_forward_progress 0
		.amdhsa_shared_vgpr_count 0
		.amdhsa_exception_fp_ieee_invalid_op 0
		.amdhsa_exception_fp_denorm_src 0
		.amdhsa_exception_fp_ieee_div_zero 0
		.amdhsa_exception_fp_ieee_overflow 0
		.amdhsa_exception_fp_ieee_underflow 0
		.amdhsa_exception_fp_ieee_inexact 0
		.amdhsa_exception_int_div_zero 0
	.end_amdhsa_kernel
	.section	.text._ZN7rocprim17ROCPRIM_400000_NS6detail17trampoline_kernelINS0_14default_configENS1_25partition_config_selectorILNS1_17partition_subalgoE9EijbEEZZNS1_14partition_implILS5_9ELb0ES3_jN6thrust23THRUST_200600_302600_NS6detail15normal_iteratorINS9_10device_ptrIiEEEENSB_INSC_IjEEEEPNS0_10empty_typeENS0_5tupleIJSE_SH_EEENSJ_IJNS9_16discard_iteratorINS9_11use_defaultEEESI_EEENS0_18inequality_wrapperINS9_8equal_toIiEEEEPmJSH_EEE10hipError_tPvRmT3_T4_T5_T6_T7_T9_mT8_P12ihipStream_tbDpT10_ENKUlT_T0_E_clISt17integral_constantIbLb0EES1C_IbLb1EEEEDaS18_S19_EUlS18_E_NS1_11comp_targetILNS1_3genE0ELNS1_11target_archE4294967295ELNS1_3gpuE0ELNS1_3repE0EEENS1_30default_config_static_selectorELNS0_4arch9wavefront6targetE0EEEvT1_,"axG",@progbits,_ZN7rocprim17ROCPRIM_400000_NS6detail17trampoline_kernelINS0_14default_configENS1_25partition_config_selectorILNS1_17partition_subalgoE9EijbEEZZNS1_14partition_implILS5_9ELb0ES3_jN6thrust23THRUST_200600_302600_NS6detail15normal_iteratorINS9_10device_ptrIiEEEENSB_INSC_IjEEEEPNS0_10empty_typeENS0_5tupleIJSE_SH_EEENSJ_IJNS9_16discard_iteratorINS9_11use_defaultEEESI_EEENS0_18inequality_wrapperINS9_8equal_toIiEEEEPmJSH_EEE10hipError_tPvRmT3_T4_T5_T6_T7_T9_mT8_P12ihipStream_tbDpT10_ENKUlT_T0_E_clISt17integral_constantIbLb0EES1C_IbLb1EEEEDaS18_S19_EUlS18_E_NS1_11comp_targetILNS1_3genE0ELNS1_11target_archE4294967295ELNS1_3gpuE0ELNS1_3repE0EEENS1_30default_config_static_selectorELNS0_4arch9wavefront6targetE0EEEvT1_,comdat
.Lfunc_end1133:
	.size	_ZN7rocprim17ROCPRIM_400000_NS6detail17trampoline_kernelINS0_14default_configENS1_25partition_config_selectorILNS1_17partition_subalgoE9EijbEEZZNS1_14partition_implILS5_9ELb0ES3_jN6thrust23THRUST_200600_302600_NS6detail15normal_iteratorINS9_10device_ptrIiEEEENSB_INSC_IjEEEEPNS0_10empty_typeENS0_5tupleIJSE_SH_EEENSJ_IJNS9_16discard_iteratorINS9_11use_defaultEEESI_EEENS0_18inequality_wrapperINS9_8equal_toIiEEEEPmJSH_EEE10hipError_tPvRmT3_T4_T5_T6_T7_T9_mT8_P12ihipStream_tbDpT10_ENKUlT_T0_E_clISt17integral_constantIbLb0EES1C_IbLb1EEEEDaS18_S19_EUlS18_E_NS1_11comp_targetILNS1_3genE0ELNS1_11target_archE4294967295ELNS1_3gpuE0ELNS1_3repE0EEENS1_30default_config_static_selectorELNS0_4arch9wavefront6targetE0EEEvT1_, .Lfunc_end1133-_ZN7rocprim17ROCPRIM_400000_NS6detail17trampoline_kernelINS0_14default_configENS1_25partition_config_selectorILNS1_17partition_subalgoE9EijbEEZZNS1_14partition_implILS5_9ELb0ES3_jN6thrust23THRUST_200600_302600_NS6detail15normal_iteratorINS9_10device_ptrIiEEEENSB_INSC_IjEEEEPNS0_10empty_typeENS0_5tupleIJSE_SH_EEENSJ_IJNS9_16discard_iteratorINS9_11use_defaultEEESI_EEENS0_18inequality_wrapperINS9_8equal_toIiEEEEPmJSH_EEE10hipError_tPvRmT3_T4_T5_T6_T7_T9_mT8_P12ihipStream_tbDpT10_ENKUlT_T0_E_clISt17integral_constantIbLb0EES1C_IbLb1EEEEDaS18_S19_EUlS18_E_NS1_11comp_targetILNS1_3genE0ELNS1_11target_archE4294967295ELNS1_3gpuE0ELNS1_3repE0EEENS1_30default_config_static_selectorELNS0_4arch9wavefront6targetE0EEEvT1_
                                        ; -- End function
	.section	.AMDGPU.csdata,"",@progbits
; Kernel info:
; codeLenInByte = 0
; NumSgprs: 0
; NumVgprs: 0
; ScratchSize: 0
; MemoryBound: 0
; FloatMode: 240
; IeeeMode: 1
; LDSByteSize: 0 bytes/workgroup (compile time only)
; SGPRBlocks: 0
; VGPRBlocks: 0
; NumSGPRsForWavesPerEU: 1
; NumVGPRsForWavesPerEU: 1
; Occupancy: 16
; WaveLimiterHint : 0
; COMPUTE_PGM_RSRC2:SCRATCH_EN: 0
; COMPUTE_PGM_RSRC2:USER_SGPR: 15
; COMPUTE_PGM_RSRC2:TRAP_HANDLER: 0
; COMPUTE_PGM_RSRC2:TGID_X_EN: 1
; COMPUTE_PGM_RSRC2:TGID_Y_EN: 0
; COMPUTE_PGM_RSRC2:TGID_Z_EN: 0
; COMPUTE_PGM_RSRC2:TIDIG_COMP_CNT: 0
	.section	.text._ZN7rocprim17ROCPRIM_400000_NS6detail17trampoline_kernelINS0_14default_configENS1_25partition_config_selectorILNS1_17partition_subalgoE9EijbEEZZNS1_14partition_implILS5_9ELb0ES3_jN6thrust23THRUST_200600_302600_NS6detail15normal_iteratorINS9_10device_ptrIiEEEENSB_INSC_IjEEEEPNS0_10empty_typeENS0_5tupleIJSE_SH_EEENSJ_IJNS9_16discard_iteratorINS9_11use_defaultEEESI_EEENS0_18inequality_wrapperINS9_8equal_toIiEEEEPmJSH_EEE10hipError_tPvRmT3_T4_T5_T6_T7_T9_mT8_P12ihipStream_tbDpT10_ENKUlT_T0_E_clISt17integral_constantIbLb0EES1C_IbLb1EEEEDaS18_S19_EUlS18_E_NS1_11comp_targetILNS1_3genE5ELNS1_11target_archE942ELNS1_3gpuE9ELNS1_3repE0EEENS1_30default_config_static_selectorELNS0_4arch9wavefront6targetE0EEEvT1_,"axG",@progbits,_ZN7rocprim17ROCPRIM_400000_NS6detail17trampoline_kernelINS0_14default_configENS1_25partition_config_selectorILNS1_17partition_subalgoE9EijbEEZZNS1_14partition_implILS5_9ELb0ES3_jN6thrust23THRUST_200600_302600_NS6detail15normal_iteratorINS9_10device_ptrIiEEEENSB_INSC_IjEEEEPNS0_10empty_typeENS0_5tupleIJSE_SH_EEENSJ_IJNS9_16discard_iteratorINS9_11use_defaultEEESI_EEENS0_18inequality_wrapperINS9_8equal_toIiEEEEPmJSH_EEE10hipError_tPvRmT3_T4_T5_T6_T7_T9_mT8_P12ihipStream_tbDpT10_ENKUlT_T0_E_clISt17integral_constantIbLb0EES1C_IbLb1EEEEDaS18_S19_EUlS18_E_NS1_11comp_targetILNS1_3genE5ELNS1_11target_archE942ELNS1_3gpuE9ELNS1_3repE0EEENS1_30default_config_static_selectorELNS0_4arch9wavefront6targetE0EEEvT1_,comdat
	.protected	_ZN7rocprim17ROCPRIM_400000_NS6detail17trampoline_kernelINS0_14default_configENS1_25partition_config_selectorILNS1_17partition_subalgoE9EijbEEZZNS1_14partition_implILS5_9ELb0ES3_jN6thrust23THRUST_200600_302600_NS6detail15normal_iteratorINS9_10device_ptrIiEEEENSB_INSC_IjEEEEPNS0_10empty_typeENS0_5tupleIJSE_SH_EEENSJ_IJNS9_16discard_iteratorINS9_11use_defaultEEESI_EEENS0_18inequality_wrapperINS9_8equal_toIiEEEEPmJSH_EEE10hipError_tPvRmT3_T4_T5_T6_T7_T9_mT8_P12ihipStream_tbDpT10_ENKUlT_T0_E_clISt17integral_constantIbLb0EES1C_IbLb1EEEEDaS18_S19_EUlS18_E_NS1_11comp_targetILNS1_3genE5ELNS1_11target_archE942ELNS1_3gpuE9ELNS1_3repE0EEENS1_30default_config_static_selectorELNS0_4arch9wavefront6targetE0EEEvT1_ ; -- Begin function _ZN7rocprim17ROCPRIM_400000_NS6detail17trampoline_kernelINS0_14default_configENS1_25partition_config_selectorILNS1_17partition_subalgoE9EijbEEZZNS1_14partition_implILS5_9ELb0ES3_jN6thrust23THRUST_200600_302600_NS6detail15normal_iteratorINS9_10device_ptrIiEEEENSB_INSC_IjEEEEPNS0_10empty_typeENS0_5tupleIJSE_SH_EEENSJ_IJNS9_16discard_iteratorINS9_11use_defaultEEESI_EEENS0_18inequality_wrapperINS9_8equal_toIiEEEEPmJSH_EEE10hipError_tPvRmT3_T4_T5_T6_T7_T9_mT8_P12ihipStream_tbDpT10_ENKUlT_T0_E_clISt17integral_constantIbLb0EES1C_IbLb1EEEEDaS18_S19_EUlS18_E_NS1_11comp_targetILNS1_3genE5ELNS1_11target_archE942ELNS1_3gpuE9ELNS1_3repE0EEENS1_30default_config_static_selectorELNS0_4arch9wavefront6targetE0EEEvT1_
	.globl	_ZN7rocprim17ROCPRIM_400000_NS6detail17trampoline_kernelINS0_14default_configENS1_25partition_config_selectorILNS1_17partition_subalgoE9EijbEEZZNS1_14partition_implILS5_9ELb0ES3_jN6thrust23THRUST_200600_302600_NS6detail15normal_iteratorINS9_10device_ptrIiEEEENSB_INSC_IjEEEEPNS0_10empty_typeENS0_5tupleIJSE_SH_EEENSJ_IJNS9_16discard_iteratorINS9_11use_defaultEEESI_EEENS0_18inequality_wrapperINS9_8equal_toIiEEEEPmJSH_EEE10hipError_tPvRmT3_T4_T5_T6_T7_T9_mT8_P12ihipStream_tbDpT10_ENKUlT_T0_E_clISt17integral_constantIbLb0EES1C_IbLb1EEEEDaS18_S19_EUlS18_E_NS1_11comp_targetILNS1_3genE5ELNS1_11target_archE942ELNS1_3gpuE9ELNS1_3repE0EEENS1_30default_config_static_selectorELNS0_4arch9wavefront6targetE0EEEvT1_
	.p2align	8
	.type	_ZN7rocprim17ROCPRIM_400000_NS6detail17trampoline_kernelINS0_14default_configENS1_25partition_config_selectorILNS1_17partition_subalgoE9EijbEEZZNS1_14partition_implILS5_9ELb0ES3_jN6thrust23THRUST_200600_302600_NS6detail15normal_iteratorINS9_10device_ptrIiEEEENSB_INSC_IjEEEEPNS0_10empty_typeENS0_5tupleIJSE_SH_EEENSJ_IJNS9_16discard_iteratorINS9_11use_defaultEEESI_EEENS0_18inequality_wrapperINS9_8equal_toIiEEEEPmJSH_EEE10hipError_tPvRmT3_T4_T5_T6_T7_T9_mT8_P12ihipStream_tbDpT10_ENKUlT_T0_E_clISt17integral_constantIbLb0EES1C_IbLb1EEEEDaS18_S19_EUlS18_E_NS1_11comp_targetILNS1_3genE5ELNS1_11target_archE942ELNS1_3gpuE9ELNS1_3repE0EEENS1_30default_config_static_selectorELNS0_4arch9wavefront6targetE0EEEvT1_,@function
_ZN7rocprim17ROCPRIM_400000_NS6detail17trampoline_kernelINS0_14default_configENS1_25partition_config_selectorILNS1_17partition_subalgoE9EijbEEZZNS1_14partition_implILS5_9ELb0ES3_jN6thrust23THRUST_200600_302600_NS6detail15normal_iteratorINS9_10device_ptrIiEEEENSB_INSC_IjEEEEPNS0_10empty_typeENS0_5tupleIJSE_SH_EEENSJ_IJNS9_16discard_iteratorINS9_11use_defaultEEESI_EEENS0_18inequality_wrapperINS9_8equal_toIiEEEEPmJSH_EEE10hipError_tPvRmT3_T4_T5_T6_T7_T9_mT8_P12ihipStream_tbDpT10_ENKUlT_T0_E_clISt17integral_constantIbLb0EES1C_IbLb1EEEEDaS18_S19_EUlS18_E_NS1_11comp_targetILNS1_3genE5ELNS1_11target_archE942ELNS1_3gpuE9ELNS1_3repE0EEENS1_30default_config_static_selectorELNS0_4arch9wavefront6targetE0EEEvT1_: ; @_ZN7rocprim17ROCPRIM_400000_NS6detail17trampoline_kernelINS0_14default_configENS1_25partition_config_selectorILNS1_17partition_subalgoE9EijbEEZZNS1_14partition_implILS5_9ELb0ES3_jN6thrust23THRUST_200600_302600_NS6detail15normal_iteratorINS9_10device_ptrIiEEEENSB_INSC_IjEEEEPNS0_10empty_typeENS0_5tupleIJSE_SH_EEENSJ_IJNS9_16discard_iteratorINS9_11use_defaultEEESI_EEENS0_18inequality_wrapperINS9_8equal_toIiEEEEPmJSH_EEE10hipError_tPvRmT3_T4_T5_T6_T7_T9_mT8_P12ihipStream_tbDpT10_ENKUlT_T0_E_clISt17integral_constantIbLb0EES1C_IbLb1EEEEDaS18_S19_EUlS18_E_NS1_11comp_targetILNS1_3genE5ELNS1_11target_archE942ELNS1_3gpuE9ELNS1_3repE0EEENS1_30default_config_static_selectorELNS0_4arch9wavefront6targetE0EEEvT1_
; %bb.0:
	.section	.rodata,"a",@progbits
	.p2align	6, 0x0
	.amdhsa_kernel _ZN7rocprim17ROCPRIM_400000_NS6detail17trampoline_kernelINS0_14default_configENS1_25partition_config_selectorILNS1_17partition_subalgoE9EijbEEZZNS1_14partition_implILS5_9ELb0ES3_jN6thrust23THRUST_200600_302600_NS6detail15normal_iteratorINS9_10device_ptrIiEEEENSB_INSC_IjEEEEPNS0_10empty_typeENS0_5tupleIJSE_SH_EEENSJ_IJNS9_16discard_iteratorINS9_11use_defaultEEESI_EEENS0_18inequality_wrapperINS9_8equal_toIiEEEEPmJSH_EEE10hipError_tPvRmT3_T4_T5_T6_T7_T9_mT8_P12ihipStream_tbDpT10_ENKUlT_T0_E_clISt17integral_constantIbLb0EES1C_IbLb1EEEEDaS18_S19_EUlS18_E_NS1_11comp_targetILNS1_3genE5ELNS1_11target_archE942ELNS1_3gpuE9ELNS1_3repE0EEENS1_30default_config_static_selectorELNS0_4arch9wavefront6targetE0EEEvT1_
		.amdhsa_group_segment_fixed_size 0
		.amdhsa_private_segment_fixed_size 0
		.amdhsa_kernarg_size 136
		.amdhsa_user_sgpr_count 15
		.amdhsa_user_sgpr_dispatch_ptr 0
		.amdhsa_user_sgpr_queue_ptr 0
		.amdhsa_user_sgpr_kernarg_segment_ptr 1
		.amdhsa_user_sgpr_dispatch_id 0
		.amdhsa_user_sgpr_private_segment_size 0
		.amdhsa_wavefront_size32 1
		.amdhsa_uses_dynamic_stack 0
		.amdhsa_enable_private_segment 0
		.amdhsa_system_sgpr_workgroup_id_x 1
		.amdhsa_system_sgpr_workgroup_id_y 0
		.amdhsa_system_sgpr_workgroup_id_z 0
		.amdhsa_system_sgpr_workgroup_info 0
		.amdhsa_system_vgpr_workitem_id 0
		.amdhsa_next_free_vgpr 1
		.amdhsa_next_free_sgpr 1
		.amdhsa_reserve_vcc 0
		.amdhsa_float_round_mode_32 0
		.amdhsa_float_round_mode_16_64 0
		.amdhsa_float_denorm_mode_32 3
		.amdhsa_float_denorm_mode_16_64 3
		.amdhsa_dx10_clamp 1
		.amdhsa_ieee_mode 1
		.amdhsa_fp16_overflow 0
		.amdhsa_workgroup_processor_mode 1
		.amdhsa_memory_ordered 1
		.amdhsa_forward_progress 0
		.amdhsa_shared_vgpr_count 0
		.amdhsa_exception_fp_ieee_invalid_op 0
		.amdhsa_exception_fp_denorm_src 0
		.amdhsa_exception_fp_ieee_div_zero 0
		.amdhsa_exception_fp_ieee_overflow 0
		.amdhsa_exception_fp_ieee_underflow 0
		.amdhsa_exception_fp_ieee_inexact 0
		.amdhsa_exception_int_div_zero 0
	.end_amdhsa_kernel
	.section	.text._ZN7rocprim17ROCPRIM_400000_NS6detail17trampoline_kernelINS0_14default_configENS1_25partition_config_selectorILNS1_17partition_subalgoE9EijbEEZZNS1_14partition_implILS5_9ELb0ES3_jN6thrust23THRUST_200600_302600_NS6detail15normal_iteratorINS9_10device_ptrIiEEEENSB_INSC_IjEEEEPNS0_10empty_typeENS0_5tupleIJSE_SH_EEENSJ_IJNS9_16discard_iteratorINS9_11use_defaultEEESI_EEENS0_18inequality_wrapperINS9_8equal_toIiEEEEPmJSH_EEE10hipError_tPvRmT3_T4_T5_T6_T7_T9_mT8_P12ihipStream_tbDpT10_ENKUlT_T0_E_clISt17integral_constantIbLb0EES1C_IbLb1EEEEDaS18_S19_EUlS18_E_NS1_11comp_targetILNS1_3genE5ELNS1_11target_archE942ELNS1_3gpuE9ELNS1_3repE0EEENS1_30default_config_static_selectorELNS0_4arch9wavefront6targetE0EEEvT1_,"axG",@progbits,_ZN7rocprim17ROCPRIM_400000_NS6detail17trampoline_kernelINS0_14default_configENS1_25partition_config_selectorILNS1_17partition_subalgoE9EijbEEZZNS1_14partition_implILS5_9ELb0ES3_jN6thrust23THRUST_200600_302600_NS6detail15normal_iteratorINS9_10device_ptrIiEEEENSB_INSC_IjEEEEPNS0_10empty_typeENS0_5tupleIJSE_SH_EEENSJ_IJNS9_16discard_iteratorINS9_11use_defaultEEESI_EEENS0_18inequality_wrapperINS9_8equal_toIiEEEEPmJSH_EEE10hipError_tPvRmT3_T4_T5_T6_T7_T9_mT8_P12ihipStream_tbDpT10_ENKUlT_T0_E_clISt17integral_constantIbLb0EES1C_IbLb1EEEEDaS18_S19_EUlS18_E_NS1_11comp_targetILNS1_3genE5ELNS1_11target_archE942ELNS1_3gpuE9ELNS1_3repE0EEENS1_30default_config_static_selectorELNS0_4arch9wavefront6targetE0EEEvT1_,comdat
.Lfunc_end1134:
	.size	_ZN7rocprim17ROCPRIM_400000_NS6detail17trampoline_kernelINS0_14default_configENS1_25partition_config_selectorILNS1_17partition_subalgoE9EijbEEZZNS1_14partition_implILS5_9ELb0ES3_jN6thrust23THRUST_200600_302600_NS6detail15normal_iteratorINS9_10device_ptrIiEEEENSB_INSC_IjEEEEPNS0_10empty_typeENS0_5tupleIJSE_SH_EEENSJ_IJNS9_16discard_iteratorINS9_11use_defaultEEESI_EEENS0_18inequality_wrapperINS9_8equal_toIiEEEEPmJSH_EEE10hipError_tPvRmT3_T4_T5_T6_T7_T9_mT8_P12ihipStream_tbDpT10_ENKUlT_T0_E_clISt17integral_constantIbLb0EES1C_IbLb1EEEEDaS18_S19_EUlS18_E_NS1_11comp_targetILNS1_3genE5ELNS1_11target_archE942ELNS1_3gpuE9ELNS1_3repE0EEENS1_30default_config_static_selectorELNS0_4arch9wavefront6targetE0EEEvT1_, .Lfunc_end1134-_ZN7rocprim17ROCPRIM_400000_NS6detail17trampoline_kernelINS0_14default_configENS1_25partition_config_selectorILNS1_17partition_subalgoE9EijbEEZZNS1_14partition_implILS5_9ELb0ES3_jN6thrust23THRUST_200600_302600_NS6detail15normal_iteratorINS9_10device_ptrIiEEEENSB_INSC_IjEEEEPNS0_10empty_typeENS0_5tupleIJSE_SH_EEENSJ_IJNS9_16discard_iteratorINS9_11use_defaultEEESI_EEENS0_18inequality_wrapperINS9_8equal_toIiEEEEPmJSH_EEE10hipError_tPvRmT3_T4_T5_T6_T7_T9_mT8_P12ihipStream_tbDpT10_ENKUlT_T0_E_clISt17integral_constantIbLb0EES1C_IbLb1EEEEDaS18_S19_EUlS18_E_NS1_11comp_targetILNS1_3genE5ELNS1_11target_archE942ELNS1_3gpuE9ELNS1_3repE0EEENS1_30default_config_static_selectorELNS0_4arch9wavefront6targetE0EEEvT1_
                                        ; -- End function
	.section	.AMDGPU.csdata,"",@progbits
; Kernel info:
; codeLenInByte = 0
; NumSgprs: 0
; NumVgprs: 0
; ScratchSize: 0
; MemoryBound: 0
; FloatMode: 240
; IeeeMode: 1
; LDSByteSize: 0 bytes/workgroup (compile time only)
; SGPRBlocks: 0
; VGPRBlocks: 0
; NumSGPRsForWavesPerEU: 1
; NumVGPRsForWavesPerEU: 1
; Occupancy: 16
; WaveLimiterHint : 0
; COMPUTE_PGM_RSRC2:SCRATCH_EN: 0
; COMPUTE_PGM_RSRC2:USER_SGPR: 15
; COMPUTE_PGM_RSRC2:TRAP_HANDLER: 0
; COMPUTE_PGM_RSRC2:TGID_X_EN: 1
; COMPUTE_PGM_RSRC2:TGID_Y_EN: 0
; COMPUTE_PGM_RSRC2:TGID_Z_EN: 0
; COMPUTE_PGM_RSRC2:TIDIG_COMP_CNT: 0
	.section	.text._ZN7rocprim17ROCPRIM_400000_NS6detail17trampoline_kernelINS0_14default_configENS1_25partition_config_selectorILNS1_17partition_subalgoE9EijbEEZZNS1_14partition_implILS5_9ELb0ES3_jN6thrust23THRUST_200600_302600_NS6detail15normal_iteratorINS9_10device_ptrIiEEEENSB_INSC_IjEEEEPNS0_10empty_typeENS0_5tupleIJSE_SH_EEENSJ_IJNS9_16discard_iteratorINS9_11use_defaultEEESI_EEENS0_18inequality_wrapperINS9_8equal_toIiEEEEPmJSH_EEE10hipError_tPvRmT3_T4_T5_T6_T7_T9_mT8_P12ihipStream_tbDpT10_ENKUlT_T0_E_clISt17integral_constantIbLb0EES1C_IbLb1EEEEDaS18_S19_EUlS18_E_NS1_11comp_targetILNS1_3genE4ELNS1_11target_archE910ELNS1_3gpuE8ELNS1_3repE0EEENS1_30default_config_static_selectorELNS0_4arch9wavefront6targetE0EEEvT1_,"axG",@progbits,_ZN7rocprim17ROCPRIM_400000_NS6detail17trampoline_kernelINS0_14default_configENS1_25partition_config_selectorILNS1_17partition_subalgoE9EijbEEZZNS1_14partition_implILS5_9ELb0ES3_jN6thrust23THRUST_200600_302600_NS6detail15normal_iteratorINS9_10device_ptrIiEEEENSB_INSC_IjEEEEPNS0_10empty_typeENS0_5tupleIJSE_SH_EEENSJ_IJNS9_16discard_iteratorINS9_11use_defaultEEESI_EEENS0_18inequality_wrapperINS9_8equal_toIiEEEEPmJSH_EEE10hipError_tPvRmT3_T4_T5_T6_T7_T9_mT8_P12ihipStream_tbDpT10_ENKUlT_T0_E_clISt17integral_constantIbLb0EES1C_IbLb1EEEEDaS18_S19_EUlS18_E_NS1_11comp_targetILNS1_3genE4ELNS1_11target_archE910ELNS1_3gpuE8ELNS1_3repE0EEENS1_30default_config_static_selectorELNS0_4arch9wavefront6targetE0EEEvT1_,comdat
	.protected	_ZN7rocprim17ROCPRIM_400000_NS6detail17trampoline_kernelINS0_14default_configENS1_25partition_config_selectorILNS1_17partition_subalgoE9EijbEEZZNS1_14partition_implILS5_9ELb0ES3_jN6thrust23THRUST_200600_302600_NS6detail15normal_iteratorINS9_10device_ptrIiEEEENSB_INSC_IjEEEEPNS0_10empty_typeENS0_5tupleIJSE_SH_EEENSJ_IJNS9_16discard_iteratorINS9_11use_defaultEEESI_EEENS0_18inequality_wrapperINS9_8equal_toIiEEEEPmJSH_EEE10hipError_tPvRmT3_T4_T5_T6_T7_T9_mT8_P12ihipStream_tbDpT10_ENKUlT_T0_E_clISt17integral_constantIbLb0EES1C_IbLb1EEEEDaS18_S19_EUlS18_E_NS1_11comp_targetILNS1_3genE4ELNS1_11target_archE910ELNS1_3gpuE8ELNS1_3repE0EEENS1_30default_config_static_selectorELNS0_4arch9wavefront6targetE0EEEvT1_ ; -- Begin function _ZN7rocprim17ROCPRIM_400000_NS6detail17trampoline_kernelINS0_14default_configENS1_25partition_config_selectorILNS1_17partition_subalgoE9EijbEEZZNS1_14partition_implILS5_9ELb0ES3_jN6thrust23THRUST_200600_302600_NS6detail15normal_iteratorINS9_10device_ptrIiEEEENSB_INSC_IjEEEEPNS0_10empty_typeENS0_5tupleIJSE_SH_EEENSJ_IJNS9_16discard_iteratorINS9_11use_defaultEEESI_EEENS0_18inequality_wrapperINS9_8equal_toIiEEEEPmJSH_EEE10hipError_tPvRmT3_T4_T5_T6_T7_T9_mT8_P12ihipStream_tbDpT10_ENKUlT_T0_E_clISt17integral_constantIbLb0EES1C_IbLb1EEEEDaS18_S19_EUlS18_E_NS1_11comp_targetILNS1_3genE4ELNS1_11target_archE910ELNS1_3gpuE8ELNS1_3repE0EEENS1_30default_config_static_selectorELNS0_4arch9wavefront6targetE0EEEvT1_
	.globl	_ZN7rocprim17ROCPRIM_400000_NS6detail17trampoline_kernelINS0_14default_configENS1_25partition_config_selectorILNS1_17partition_subalgoE9EijbEEZZNS1_14partition_implILS5_9ELb0ES3_jN6thrust23THRUST_200600_302600_NS6detail15normal_iteratorINS9_10device_ptrIiEEEENSB_INSC_IjEEEEPNS0_10empty_typeENS0_5tupleIJSE_SH_EEENSJ_IJNS9_16discard_iteratorINS9_11use_defaultEEESI_EEENS0_18inequality_wrapperINS9_8equal_toIiEEEEPmJSH_EEE10hipError_tPvRmT3_T4_T5_T6_T7_T9_mT8_P12ihipStream_tbDpT10_ENKUlT_T0_E_clISt17integral_constantIbLb0EES1C_IbLb1EEEEDaS18_S19_EUlS18_E_NS1_11comp_targetILNS1_3genE4ELNS1_11target_archE910ELNS1_3gpuE8ELNS1_3repE0EEENS1_30default_config_static_selectorELNS0_4arch9wavefront6targetE0EEEvT1_
	.p2align	8
	.type	_ZN7rocprim17ROCPRIM_400000_NS6detail17trampoline_kernelINS0_14default_configENS1_25partition_config_selectorILNS1_17partition_subalgoE9EijbEEZZNS1_14partition_implILS5_9ELb0ES3_jN6thrust23THRUST_200600_302600_NS6detail15normal_iteratorINS9_10device_ptrIiEEEENSB_INSC_IjEEEEPNS0_10empty_typeENS0_5tupleIJSE_SH_EEENSJ_IJNS9_16discard_iteratorINS9_11use_defaultEEESI_EEENS0_18inequality_wrapperINS9_8equal_toIiEEEEPmJSH_EEE10hipError_tPvRmT3_T4_T5_T6_T7_T9_mT8_P12ihipStream_tbDpT10_ENKUlT_T0_E_clISt17integral_constantIbLb0EES1C_IbLb1EEEEDaS18_S19_EUlS18_E_NS1_11comp_targetILNS1_3genE4ELNS1_11target_archE910ELNS1_3gpuE8ELNS1_3repE0EEENS1_30default_config_static_selectorELNS0_4arch9wavefront6targetE0EEEvT1_,@function
_ZN7rocprim17ROCPRIM_400000_NS6detail17trampoline_kernelINS0_14default_configENS1_25partition_config_selectorILNS1_17partition_subalgoE9EijbEEZZNS1_14partition_implILS5_9ELb0ES3_jN6thrust23THRUST_200600_302600_NS6detail15normal_iteratorINS9_10device_ptrIiEEEENSB_INSC_IjEEEEPNS0_10empty_typeENS0_5tupleIJSE_SH_EEENSJ_IJNS9_16discard_iteratorINS9_11use_defaultEEESI_EEENS0_18inequality_wrapperINS9_8equal_toIiEEEEPmJSH_EEE10hipError_tPvRmT3_T4_T5_T6_T7_T9_mT8_P12ihipStream_tbDpT10_ENKUlT_T0_E_clISt17integral_constantIbLb0EES1C_IbLb1EEEEDaS18_S19_EUlS18_E_NS1_11comp_targetILNS1_3genE4ELNS1_11target_archE910ELNS1_3gpuE8ELNS1_3repE0EEENS1_30default_config_static_selectorELNS0_4arch9wavefront6targetE0EEEvT1_: ; @_ZN7rocprim17ROCPRIM_400000_NS6detail17trampoline_kernelINS0_14default_configENS1_25partition_config_selectorILNS1_17partition_subalgoE9EijbEEZZNS1_14partition_implILS5_9ELb0ES3_jN6thrust23THRUST_200600_302600_NS6detail15normal_iteratorINS9_10device_ptrIiEEEENSB_INSC_IjEEEEPNS0_10empty_typeENS0_5tupleIJSE_SH_EEENSJ_IJNS9_16discard_iteratorINS9_11use_defaultEEESI_EEENS0_18inequality_wrapperINS9_8equal_toIiEEEEPmJSH_EEE10hipError_tPvRmT3_T4_T5_T6_T7_T9_mT8_P12ihipStream_tbDpT10_ENKUlT_T0_E_clISt17integral_constantIbLb0EES1C_IbLb1EEEEDaS18_S19_EUlS18_E_NS1_11comp_targetILNS1_3genE4ELNS1_11target_archE910ELNS1_3gpuE8ELNS1_3repE0EEENS1_30default_config_static_selectorELNS0_4arch9wavefront6targetE0EEEvT1_
; %bb.0:
	.section	.rodata,"a",@progbits
	.p2align	6, 0x0
	.amdhsa_kernel _ZN7rocprim17ROCPRIM_400000_NS6detail17trampoline_kernelINS0_14default_configENS1_25partition_config_selectorILNS1_17partition_subalgoE9EijbEEZZNS1_14partition_implILS5_9ELb0ES3_jN6thrust23THRUST_200600_302600_NS6detail15normal_iteratorINS9_10device_ptrIiEEEENSB_INSC_IjEEEEPNS0_10empty_typeENS0_5tupleIJSE_SH_EEENSJ_IJNS9_16discard_iteratorINS9_11use_defaultEEESI_EEENS0_18inequality_wrapperINS9_8equal_toIiEEEEPmJSH_EEE10hipError_tPvRmT3_T4_T5_T6_T7_T9_mT8_P12ihipStream_tbDpT10_ENKUlT_T0_E_clISt17integral_constantIbLb0EES1C_IbLb1EEEEDaS18_S19_EUlS18_E_NS1_11comp_targetILNS1_3genE4ELNS1_11target_archE910ELNS1_3gpuE8ELNS1_3repE0EEENS1_30default_config_static_selectorELNS0_4arch9wavefront6targetE0EEEvT1_
		.amdhsa_group_segment_fixed_size 0
		.amdhsa_private_segment_fixed_size 0
		.amdhsa_kernarg_size 136
		.amdhsa_user_sgpr_count 15
		.amdhsa_user_sgpr_dispatch_ptr 0
		.amdhsa_user_sgpr_queue_ptr 0
		.amdhsa_user_sgpr_kernarg_segment_ptr 1
		.amdhsa_user_sgpr_dispatch_id 0
		.amdhsa_user_sgpr_private_segment_size 0
		.amdhsa_wavefront_size32 1
		.amdhsa_uses_dynamic_stack 0
		.amdhsa_enable_private_segment 0
		.amdhsa_system_sgpr_workgroup_id_x 1
		.amdhsa_system_sgpr_workgroup_id_y 0
		.amdhsa_system_sgpr_workgroup_id_z 0
		.amdhsa_system_sgpr_workgroup_info 0
		.amdhsa_system_vgpr_workitem_id 0
		.amdhsa_next_free_vgpr 1
		.amdhsa_next_free_sgpr 1
		.amdhsa_reserve_vcc 0
		.amdhsa_float_round_mode_32 0
		.amdhsa_float_round_mode_16_64 0
		.amdhsa_float_denorm_mode_32 3
		.amdhsa_float_denorm_mode_16_64 3
		.amdhsa_dx10_clamp 1
		.amdhsa_ieee_mode 1
		.amdhsa_fp16_overflow 0
		.amdhsa_workgroup_processor_mode 1
		.amdhsa_memory_ordered 1
		.amdhsa_forward_progress 0
		.amdhsa_shared_vgpr_count 0
		.amdhsa_exception_fp_ieee_invalid_op 0
		.amdhsa_exception_fp_denorm_src 0
		.amdhsa_exception_fp_ieee_div_zero 0
		.amdhsa_exception_fp_ieee_overflow 0
		.amdhsa_exception_fp_ieee_underflow 0
		.amdhsa_exception_fp_ieee_inexact 0
		.amdhsa_exception_int_div_zero 0
	.end_amdhsa_kernel
	.section	.text._ZN7rocprim17ROCPRIM_400000_NS6detail17trampoline_kernelINS0_14default_configENS1_25partition_config_selectorILNS1_17partition_subalgoE9EijbEEZZNS1_14partition_implILS5_9ELb0ES3_jN6thrust23THRUST_200600_302600_NS6detail15normal_iteratorINS9_10device_ptrIiEEEENSB_INSC_IjEEEEPNS0_10empty_typeENS0_5tupleIJSE_SH_EEENSJ_IJNS9_16discard_iteratorINS9_11use_defaultEEESI_EEENS0_18inequality_wrapperINS9_8equal_toIiEEEEPmJSH_EEE10hipError_tPvRmT3_T4_T5_T6_T7_T9_mT8_P12ihipStream_tbDpT10_ENKUlT_T0_E_clISt17integral_constantIbLb0EES1C_IbLb1EEEEDaS18_S19_EUlS18_E_NS1_11comp_targetILNS1_3genE4ELNS1_11target_archE910ELNS1_3gpuE8ELNS1_3repE0EEENS1_30default_config_static_selectorELNS0_4arch9wavefront6targetE0EEEvT1_,"axG",@progbits,_ZN7rocprim17ROCPRIM_400000_NS6detail17trampoline_kernelINS0_14default_configENS1_25partition_config_selectorILNS1_17partition_subalgoE9EijbEEZZNS1_14partition_implILS5_9ELb0ES3_jN6thrust23THRUST_200600_302600_NS6detail15normal_iteratorINS9_10device_ptrIiEEEENSB_INSC_IjEEEEPNS0_10empty_typeENS0_5tupleIJSE_SH_EEENSJ_IJNS9_16discard_iteratorINS9_11use_defaultEEESI_EEENS0_18inequality_wrapperINS9_8equal_toIiEEEEPmJSH_EEE10hipError_tPvRmT3_T4_T5_T6_T7_T9_mT8_P12ihipStream_tbDpT10_ENKUlT_T0_E_clISt17integral_constantIbLb0EES1C_IbLb1EEEEDaS18_S19_EUlS18_E_NS1_11comp_targetILNS1_3genE4ELNS1_11target_archE910ELNS1_3gpuE8ELNS1_3repE0EEENS1_30default_config_static_selectorELNS0_4arch9wavefront6targetE0EEEvT1_,comdat
.Lfunc_end1135:
	.size	_ZN7rocprim17ROCPRIM_400000_NS6detail17trampoline_kernelINS0_14default_configENS1_25partition_config_selectorILNS1_17partition_subalgoE9EijbEEZZNS1_14partition_implILS5_9ELb0ES3_jN6thrust23THRUST_200600_302600_NS6detail15normal_iteratorINS9_10device_ptrIiEEEENSB_INSC_IjEEEEPNS0_10empty_typeENS0_5tupleIJSE_SH_EEENSJ_IJNS9_16discard_iteratorINS9_11use_defaultEEESI_EEENS0_18inequality_wrapperINS9_8equal_toIiEEEEPmJSH_EEE10hipError_tPvRmT3_T4_T5_T6_T7_T9_mT8_P12ihipStream_tbDpT10_ENKUlT_T0_E_clISt17integral_constantIbLb0EES1C_IbLb1EEEEDaS18_S19_EUlS18_E_NS1_11comp_targetILNS1_3genE4ELNS1_11target_archE910ELNS1_3gpuE8ELNS1_3repE0EEENS1_30default_config_static_selectorELNS0_4arch9wavefront6targetE0EEEvT1_, .Lfunc_end1135-_ZN7rocprim17ROCPRIM_400000_NS6detail17trampoline_kernelINS0_14default_configENS1_25partition_config_selectorILNS1_17partition_subalgoE9EijbEEZZNS1_14partition_implILS5_9ELb0ES3_jN6thrust23THRUST_200600_302600_NS6detail15normal_iteratorINS9_10device_ptrIiEEEENSB_INSC_IjEEEEPNS0_10empty_typeENS0_5tupleIJSE_SH_EEENSJ_IJNS9_16discard_iteratorINS9_11use_defaultEEESI_EEENS0_18inequality_wrapperINS9_8equal_toIiEEEEPmJSH_EEE10hipError_tPvRmT3_T4_T5_T6_T7_T9_mT8_P12ihipStream_tbDpT10_ENKUlT_T0_E_clISt17integral_constantIbLb0EES1C_IbLb1EEEEDaS18_S19_EUlS18_E_NS1_11comp_targetILNS1_3genE4ELNS1_11target_archE910ELNS1_3gpuE8ELNS1_3repE0EEENS1_30default_config_static_selectorELNS0_4arch9wavefront6targetE0EEEvT1_
                                        ; -- End function
	.section	.AMDGPU.csdata,"",@progbits
; Kernel info:
; codeLenInByte = 0
; NumSgprs: 0
; NumVgprs: 0
; ScratchSize: 0
; MemoryBound: 0
; FloatMode: 240
; IeeeMode: 1
; LDSByteSize: 0 bytes/workgroup (compile time only)
; SGPRBlocks: 0
; VGPRBlocks: 0
; NumSGPRsForWavesPerEU: 1
; NumVGPRsForWavesPerEU: 1
; Occupancy: 15
; WaveLimiterHint : 0
; COMPUTE_PGM_RSRC2:SCRATCH_EN: 0
; COMPUTE_PGM_RSRC2:USER_SGPR: 15
; COMPUTE_PGM_RSRC2:TRAP_HANDLER: 0
; COMPUTE_PGM_RSRC2:TGID_X_EN: 1
; COMPUTE_PGM_RSRC2:TGID_Y_EN: 0
; COMPUTE_PGM_RSRC2:TGID_Z_EN: 0
; COMPUTE_PGM_RSRC2:TIDIG_COMP_CNT: 0
	.section	.text._ZN7rocprim17ROCPRIM_400000_NS6detail17trampoline_kernelINS0_14default_configENS1_25partition_config_selectorILNS1_17partition_subalgoE9EijbEEZZNS1_14partition_implILS5_9ELb0ES3_jN6thrust23THRUST_200600_302600_NS6detail15normal_iteratorINS9_10device_ptrIiEEEENSB_INSC_IjEEEEPNS0_10empty_typeENS0_5tupleIJSE_SH_EEENSJ_IJNS9_16discard_iteratorINS9_11use_defaultEEESI_EEENS0_18inequality_wrapperINS9_8equal_toIiEEEEPmJSH_EEE10hipError_tPvRmT3_T4_T5_T6_T7_T9_mT8_P12ihipStream_tbDpT10_ENKUlT_T0_E_clISt17integral_constantIbLb0EES1C_IbLb1EEEEDaS18_S19_EUlS18_E_NS1_11comp_targetILNS1_3genE3ELNS1_11target_archE908ELNS1_3gpuE7ELNS1_3repE0EEENS1_30default_config_static_selectorELNS0_4arch9wavefront6targetE0EEEvT1_,"axG",@progbits,_ZN7rocprim17ROCPRIM_400000_NS6detail17trampoline_kernelINS0_14default_configENS1_25partition_config_selectorILNS1_17partition_subalgoE9EijbEEZZNS1_14partition_implILS5_9ELb0ES3_jN6thrust23THRUST_200600_302600_NS6detail15normal_iteratorINS9_10device_ptrIiEEEENSB_INSC_IjEEEEPNS0_10empty_typeENS0_5tupleIJSE_SH_EEENSJ_IJNS9_16discard_iteratorINS9_11use_defaultEEESI_EEENS0_18inequality_wrapperINS9_8equal_toIiEEEEPmJSH_EEE10hipError_tPvRmT3_T4_T5_T6_T7_T9_mT8_P12ihipStream_tbDpT10_ENKUlT_T0_E_clISt17integral_constantIbLb0EES1C_IbLb1EEEEDaS18_S19_EUlS18_E_NS1_11comp_targetILNS1_3genE3ELNS1_11target_archE908ELNS1_3gpuE7ELNS1_3repE0EEENS1_30default_config_static_selectorELNS0_4arch9wavefront6targetE0EEEvT1_,comdat
	.protected	_ZN7rocprim17ROCPRIM_400000_NS6detail17trampoline_kernelINS0_14default_configENS1_25partition_config_selectorILNS1_17partition_subalgoE9EijbEEZZNS1_14partition_implILS5_9ELb0ES3_jN6thrust23THRUST_200600_302600_NS6detail15normal_iteratorINS9_10device_ptrIiEEEENSB_INSC_IjEEEEPNS0_10empty_typeENS0_5tupleIJSE_SH_EEENSJ_IJNS9_16discard_iteratorINS9_11use_defaultEEESI_EEENS0_18inequality_wrapperINS9_8equal_toIiEEEEPmJSH_EEE10hipError_tPvRmT3_T4_T5_T6_T7_T9_mT8_P12ihipStream_tbDpT10_ENKUlT_T0_E_clISt17integral_constantIbLb0EES1C_IbLb1EEEEDaS18_S19_EUlS18_E_NS1_11comp_targetILNS1_3genE3ELNS1_11target_archE908ELNS1_3gpuE7ELNS1_3repE0EEENS1_30default_config_static_selectorELNS0_4arch9wavefront6targetE0EEEvT1_ ; -- Begin function _ZN7rocprim17ROCPRIM_400000_NS6detail17trampoline_kernelINS0_14default_configENS1_25partition_config_selectorILNS1_17partition_subalgoE9EijbEEZZNS1_14partition_implILS5_9ELb0ES3_jN6thrust23THRUST_200600_302600_NS6detail15normal_iteratorINS9_10device_ptrIiEEEENSB_INSC_IjEEEEPNS0_10empty_typeENS0_5tupleIJSE_SH_EEENSJ_IJNS9_16discard_iteratorINS9_11use_defaultEEESI_EEENS0_18inequality_wrapperINS9_8equal_toIiEEEEPmJSH_EEE10hipError_tPvRmT3_T4_T5_T6_T7_T9_mT8_P12ihipStream_tbDpT10_ENKUlT_T0_E_clISt17integral_constantIbLb0EES1C_IbLb1EEEEDaS18_S19_EUlS18_E_NS1_11comp_targetILNS1_3genE3ELNS1_11target_archE908ELNS1_3gpuE7ELNS1_3repE0EEENS1_30default_config_static_selectorELNS0_4arch9wavefront6targetE0EEEvT1_
	.globl	_ZN7rocprim17ROCPRIM_400000_NS6detail17trampoline_kernelINS0_14default_configENS1_25partition_config_selectorILNS1_17partition_subalgoE9EijbEEZZNS1_14partition_implILS5_9ELb0ES3_jN6thrust23THRUST_200600_302600_NS6detail15normal_iteratorINS9_10device_ptrIiEEEENSB_INSC_IjEEEEPNS0_10empty_typeENS0_5tupleIJSE_SH_EEENSJ_IJNS9_16discard_iteratorINS9_11use_defaultEEESI_EEENS0_18inequality_wrapperINS9_8equal_toIiEEEEPmJSH_EEE10hipError_tPvRmT3_T4_T5_T6_T7_T9_mT8_P12ihipStream_tbDpT10_ENKUlT_T0_E_clISt17integral_constantIbLb0EES1C_IbLb1EEEEDaS18_S19_EUlS18_E_NS1_11comp_targetILNS1_3genE3ELNS1_11target_archE908ELNS1_3gpuE7ELNS1_3repE0EEENS1_30default_config_static_selectorELNS0_4arch9wavefront6targetE0EEEvT1_
	.p2align	8
	.type	_ZN7rocprim17ROCPRIM_400000_NS6detail17trampoline_kernelINS0_14default_configENS1_25partition_config_selectorILNS1_17partition_subalgoE9EijbEEZZNS1_14partition_implILS5_9ELb0ES3_jN6thrust23THRUST_200600_302600_NS6detail15normal_iteratorINS9_10device_ptrIiEEEENSB_INSC_IjEEEEPNS0_10empty_typeENS0_5tupleIJSE_SH_EEENSJ_IJNS9_16discard_iteratorINS9_11use_defaultEEESI_EEENS0_18inequality_wrapperINS9_8equal_toIiEEEEPmJSH_EEE10hipError_tPvRmT3_T4_T5_T6_T7_T9_mT8_P12ihipStream_tbDpT10_ENKUlT_T0_E_clISt17integral_constantIbLb0EES1C_IbLb1EEEEDaS18_S19_EUlS18_E_NS1_11comp_targetILNS1_3genE3ELNS1_11target_archE908ELNS1_3gpuE7ELNS1_3repE0EEENS1_30default_config_static_selectorELNS0_4arch9wavefront6targetE0EEEvT1_,@function
_ZN7rocprim17ROCPRIM_400000_NS6detail17trampoline_kernelINS0_14default_configENS1_25partition_config_selectorILNS1_17partition_subalgoE9EijbEEZZNS1_14partition_implILS5_9ELb0ES3_jN6thrust23THRUST_200600_302600_NS6detail15normal_iteratorINS9_10device_ptrIiEEEENSB_INSC_IjEEEEPNS0_10empty_typeENS0_5tupleIJSE_SH_EEENSJ_IJNS9_16discard_iteratorINS9_11use_defaultEEESI_EEENS0_18inequality_wrapperINS9_8equal_toIiEEEEPmJSH_EEE10hipError_tPvRmT3_T4_T5_T6_T7_T9_mT8_P12ihipStream_tbDpT10_ENKUlT_T0_E_clISt17integral_constantIbLb0EES1C_IbLb1EEEEDaS18_S19_EUlS18_E_NS1_11comp_targetILNS1_3genE3ELNS1_11target_archE908ELNS1_3gpuE7ELNS1_3repE0EEENS1_30default_config_static_selectorELNS0_4arch9wavefront6targetE0EEEvT1_: ; @_ZN7rocprim17ROCPRIM_400000_NS6detail17trampoline_kernelINS0_14default_configENS1_25partition_config_selectorILNS1_17partition_subalgoE9EijbEEZZNS1_14partition_implILS5_9ELb0ES3_jN6thrust23THRUST_200600_302600_NS6detail15normal_iteratorINS9_10device_ptrIiEEEENSB_INSC_IjEEEEPNS0_10empty_typeENS0_5tupleIJSE_SH_EEENSJ_IJNS9_16discard_iteratorINS9_11use_defaultEEESI_EEENS0_18inequality_wrapperINS9_8equal_toIiEEEEPmJSH_EEE10hipError_tPvRmT3_T4_T5_T6_T7_T9_mT8_P12ihipStream_tbDpT10_ENKUlT_T0_E_clISt17integral_constantIbLb0EES1C_IbLb1EEEEDaS18_S19_EUlS18_E_NS1_11comp_targetILNS1_3genE3ELNS1_11target_archE908ELNS1_3gpuE7ELNS1_3repE0EEENS1_30default_config_static_selectorELNS0_4arch9wavefront6targetE0EEEvT1_
; %bb.0:
	.section	.rodata,"a",@progbits
	.p2align	6, 0x0
	.amdhsa_kernel _ZN7rocprim17ROCPRIM_400000_NS6detail17trampoline_kernelINS0_14default_configENS1_25partition_config_selectorILNS1_17partition_subalgoE9EijbEEZZNS1_14partition_implILS5_9ELb0ES3_jN6thrust23THRUST_200600_302600_NS6detail15normal_iteratorINS9_10device_ptrIiEEEENSB_INSC_IjEEEEPNS0_10empty_typeENS0_5tupleIJSE_SH_EEENSJ_IJNS9_16discard_iteratorINS9_11use_defaultEEESI_EEENS0_18inequality_wrapperINS9_8equal_toIiEEEEPmJSH_EEE10hipError_tPvRmT3_T4_T5_T6_T7_T9_mT8_P12ihipStream_tbDpT10_ENKUlT_T0_E_clISt17integral_constantIbLb0EES1C_IbLb1EEEEDaS18_S19_EUlS18_E_NS1_11comp_targetILNS1_3genE3ELNS1_11target_archE908ELNS1_3gpuE7ELNS1_3repE0EEENS1_30default_config_static_selectorELNS0_4arch9wavefront6targetE0EEEvT1_
		.amdhsa_group_segment_fixed_size 0
		.amdhsa_private_segment_fixed_size 0
		.amdhsa_kernarg_size 136
		.amdhsa_user_sgpr_count 15
		.amdhsa_user_sgpr_dispatch_ptr 0
		.amdhsa_user_sgpr_queue_ptr 0
		.amdhsa_user_sgpr_kernarg_segment_ptr 1
		.amdhsa_user_sgpr_dispatch_id 0
		.amdhsa_user_sgpr_private_segment_size 0
		.amdhsa_wavefront_size32 1
		.amdhsa_uses_dynamic_stack 0
		.amdhsa_enable_private_segment 0
		.amdhsa_system_sgpr_workgroup_id_x 1
		.amdhsa_system_sgpr_workgroup_id_y 0
		.amdhsa_system_sgpr_workgroup_id_z 0
		.amdhsa_system_sgpr_workgroup_info 0
		.amdhsa_system_vgpr_workitem_id 0
		.amdhsa_next_free_vgpr 1
		.amdhsa_next_free_sgpr 1
		.amdhsa_reserve_vcc 0
		.amdhsa_float_round_mode_32 0
		.amdhsa_float_round_mode_16_64 0
		.amdhsa_float_denorm_mode_32 3
		.amdhsa_float_denorm_mode_16_64 3
		.amdhsa_dx10_clamp 1
		.amdhsa_ieee_mode 1
		.amdhsa_fp16_overflow 0
		.amdhsa_workgroup_processor_mode 1
		.amdhsa_memory_ordered 1
		.amdhsa_forward_progress 0
		.amdhsa_shared_vgpr_count 0
		.amdhsa_exception_fp_ieee_invalid_op 0
		.amdhsa_exception_fp_denorm_src 0
		.amdhsa_exception_fp_ieee_div_zero 0
		.amdhsa_exception_fp_ieee_overflow 0
		.amdhsa_exception_fp_ieee_underflow 0
		.amdhsa_exception_fp_ieee_inexact 0
		.amdhsa_exception_int_div_zero 0
	.end_amdhsa_kernel
	.section	.text._ZN7rocprim17ROCPRIM_400000_NS6detail17trampoline_kernelINS0_14default_configENS1_25partition_config_selectorILNS1_17partition_subalgoE9EijbEEZZNS1_14partition_implILS5_9ELb0ES3_jN6thrust23THRUST_200600_302600_NS6detail15normal_iteratorINS9_10device_ptrIiEEEENSB_INSC_IjEEEEPNS0_10empty_typeENS0_5tupleIJSE_SH_EEENSJ_IJNS9_16discard_iteratorINS9_11use_defaultEEESI_EEENS0_18inequality_wrapperINS9_8equal_toIiEEEEPmJSH_EEE10hipError_tPvRmT3_T4_T5_T6_T7_T9_mT8_P12ihipStream_tbDpT10_ENKUlT_T0_E_clISt17integral_constantIbLb0EES1C_IbLb1EEEEDaS18_S19_EUlS18_E_NS1_11comp_targetILNS1_3genE3ELNS1_11target_archE908ELNS1_3gpuE7ELNS1_3repE0EEENS1_30default_config_static_selectorELNS0_4arch9wavefront6targetE0EEEvT1_,"axG",@progbits,_ZN7rocprim17ROCPRIM_400000_NS6detail17trampoline_kernelINS0_14default_configENS1_25partition_config_selectorILNS1_17partition_subalgoE9EijbEEZZNS1_14partition_implILS5_9ELb0ES3_jN6thrust23THRUST_200600_302600_NS6detail15normal_iteratorINS9_10device_ptrIiEEEENSB_INSC_IjEEEEPNS0_10empty_typeENS0_5tupleIJSE_SH_EEENSJ_IJNS9_16discard_iteratorINS9_11use_defaultEEESI_EEENS0_18inequality_wrapperINS9_8equal_toIiEEEEPmJSH_EEE10hipError_tPvRmT3_T4_T5_T6_T7_T9_mT8_P12ihipStream_tbDpT10_ENKUlT_T0_E_clISt17integral_constantIbLb0EES1C_IbLb1EEEEDaS18_S19_EUlS18_E_NS1_11comp_targetILNS1_3genE3ELNS1_11target_archE908ELNS1_3gpuE7ELNS1_3repE0EEENS1_30default_config_static_selectorELNS0_4arch9wavefront6targetE0EEEvT1_,comdat
.Lfunc_end1136:
	.size	_ZN7rocprim17ROCPRIM_400000_NS6detail17trampoline_kernelINS0_14default_configENS1_25partition_config_selectorILNS1_17partition_subalgoE9EijbEEZZNS1_14partition_implILS5_9ELb0ES3_jN6thrust23THRUST_200600_302600_NS6detail15normal_iteratorINS9_10device_ptrIiEEEENSB_INSC_IjEEEEPNS0_10empty_typeENS0_5tupleIJSE_SH_EEENSJ_IJNS9_16discard_iteratorINS9_11use_defaultEEESI_EEENS0_18inequality_wrapperINS9_8equal_toIiEEEEPmJSH_EEE10hipError_tPvRmT3_T4_T5_T6_T7_T9_mT8_P12ihipStream_tbDpT10_ENKUlT_T0_E_clISt17integral_constantIbLb0EES1C_IbLb1EEEEDaS18_S19_EUlS18_E_NS1_11comp_targetILNS1_3genE3ELNS1_11target_archE908ELNS1_3gpuE7ELNS1_3repE0EEENS1_30default_config_static_selectorELNS0_4arch9wavefront6targetE0EEEvT1_, .Lfunc_end1136-_ZN7rocprim17ROCPRIM_400000_NS6detail17trampoline_kernelINS0_14default_configENS1_25partition_config_selectorILNS1_17partition_subalgoE9EijbEEZZNS1_14partition_implILS5_9ELb0ES3_jN6thrust23THRUST_200600_302600_NS6detail15normal_iteratorINS9_10device_ptrIiEEEENSB_INSC_IjEEEEPNS0_10empty_typeENS0_5tupleIJSE_SH_EEENSJ_IJNS9_16discard_iteratorINS9_11use_defaultEEESI_EEENS0_18inequality_wrapperINS9_8equal_toIiEEEEPmJSH_EEE10hipError_tPvRmT3_T4_T5_T6_T7_T9_mT8_P12ihipStream_tbDpT10_ENKUlT_T0_E_clISt17integral_constantIbLb0EES1C_IbLb1EEEEDaS18_S19_EUlS18_E_NS1_11comp_targetILNS1_3genE3ELNS1_11target_archE908ELNS1_3gpuE7ELNS1_3repE0EEENS1_30default_config_static_selectorELNS0_4arch9wavefront6targetE0EEEvT1_
                                        ; -- End function
	.section	.AMDGPU.csdata,"",@progbits
; Kernel info:
; codeLenInByte = 0
; NumSgprs: 0
; NumVgprs: 0
; ScratchSize: 0
; MemoryBound: 0
; FloatMode: 240
; IeeeMode: 1
; LDSByteSize: 0 bytes/workgroup (compile time only)
; SGPRBlocks: 0
; VGPRBlocks: 0
; NumSGPRsForWavesPerEU: 1
; NumVGPRsForWavesPerEU: 1
; Occupancy: 16
; WaveLimiterHint : 0
; COMPUTE_PGM_RSRC2:SCRATCH_EN: 0
; COMPUTE_PGM_RSRC2:USER_SGPR: 15
; COMPUTE_PGM_RSRC2:TRAP_HANDLER: 0
; COMPUTE_PGM_RSRC2:TGID_X_EN: 1
; COMPUTE_PGM_RSRC2:TGID_Y_EN: 0
; COMPUTE_PGM_RSRC2:TGID_Z_EN: 0
; COMPUTE_PGM_RSRC2:TIDIG_COMP_CNT: 0
	.section	.text._ZN7rocprim17ROCPRIM_400000_NS6detail17trampoline_kernelINS0_14default_configENS1_25partition_config_selectorILNS1_17partition_subalgoE9EijbEEZZNS1_14partition_implILS5_9ELb0ES3_jN6thrust23THRUST_200600_302600_NS6detail15normal_iteratorINS9_10device_ptrIiEEEENSB_INSC_IjEEEEPNS0_10empty_typeENS0_5tupleIJSE_SH_EEENSJ_IJNS9_16discard_iteratorINS9_11use_defaultEEESI_EEENS0_18inequality_wrapperINS9_8equal_toIiEEEEPmJSH_EEE10hipError_tPvRmT3_T4_T5_T6_T7_T9_mT8_P12ihipStream_tbDpT10_ENKUlT_T0_E_clISt17integral_constantIbLb0EES1C_IbLb1EEEEDaS18_S19_EUlS18_E_NS1_11comp_targetILNS1_3genE2ELNS1_11target_archE906ELNS1_3gpuE6ELNS1_3repE0EEENS1_30default_config_static_selectorELNS0_4arch9wavefront6targetE0EEEvT1_,"axG",@progbits,_ZN7rocprim17ROCPRIM_400000_NS6detail17trampoline_kernelINS0_14default_configENS1_25partition_config_selectorILNS1_17partition_subalgoE9EijbEEZZNS1_14partition_implILS5_9ELb0ES3_jN6thrust23THRUST_200600_302600_NS6detail15normal_iteratorINS9_10device_ptrIiEEEENSB_INSC_IjEEEEPNS0_10empty_typeENS0_5tupleIJSE_SH_EEENSJ_IJNS9_16discard_iteratorINS9_11use_defaultEEESI_EEENS0_18inequality_wrapperINS9_8equal_toIiEEEEPmJSH_EEE10hipError_tPvRmT3_T4_T5_T6_T7_T9_mT8_P12ihipStream_tbDpT10_ENKUlT_T0_E_clISt17integral_constantIbLb0EES1C_IbLb1EEEEDaS18_S19_EUlS18_E_NS1_11comp_targetILNS1_3genE2ELNS1_11target_archE906ELNS1_3gpuE6ELNS1_3repE0EEENS1_30default_config_static_selectorELNS0_4arch9wavefront6targetE0EEEvT1_,comdat
	.protected	_ZN7rocprim17ROCPRIM_400000_NS6detail17trampoline_kernelINS0_14default_configENS1_25partition_config_selectorILNS1_17partition_subalgoE9EijbEEZZNS1_14partition_implILS5_9ELb0ES3_jN6thrust23THRUST_200600_302600_NS6detail15normal_iteratorINS9_10device_ptrIiEEEENSB_INSC_IjEEEEPNS0_10empty_typeENS0_5tupleIJSE_SH_EEENSJ_IJNS9_16discard_iteratorINS9_11use_defaultEEESI_EEENS0_18inequality_wrapperINS9_8equal_toIiEEEEPmJSH_EEE10hipError_tPvRmT3_T4_T5_T6_T7_T9_mT8_P12ihipStream_tbDpT10_ENKUlT_T0_E_clISt17integral_constantIbLb0EES1C_IbLb1EEEEDaS18_S19_EUlS18_E_NS1_11comp_targetILNS1_3genE2ELNS1_11target_archE906ELNS1_3gpuE6ELNS1_3repE0EEENS1_30default_config_static_selectorELNS0_4arch9wavefront6targetE0EEEvT1_ ; -- Begin function _ZN7rocprim17ROCPRIM_400000_NS6detail17trampoline_kernelINS0_14default_configENS1_25partition_config_selectorILNS1_17partition_subalgoE9EijbEEZZNS1_14partition_implILS5_9ELb0ES3_jN6thrust23THRUST_200600_302600_NS6detail15normal_iteratorINS9_10device_ptrIiEEEENSB_INSC_IjEEEEPNS0_10empty_typeENS0_5tupleIJSE_SH_EEENSJ_IJNS9_16discard_iteratorINS9_11use_defaultEEESI_EEENS0_18inequality_wrapperINS9_8equal_toIiEEEEPmJSH_EEE10hipError_tPvRmT3_T4_T5_T6_T7_T9_mT8_P12ihipStream_tbDpT10_ENKUlT_T0_E_clISt17integral_constantIbLb0EES1C_IbLb1EEEEDaS18_S19_EUlS18_E_NS1_11comp_targetILNS1_3genE2ELNS1_11target_archE906ELNS1_3gpuE6ELNS1_3repE0EEENS1_30default_config_static_selectorELNS0_4arch9wavefront6targetE0EEEvT1_
	.globl	_ZN7rocprim17ROCPRIM_400000_NS6detail17trampoline_kernelINS0_14default_configENS1_25partition_config_selectorILNS1_17partition_subalgoE9EijbEEZZNS1_14partition_implILS5_9ELb0ES3_jN6thrust23THRUST_200600_302600_NS6detail15normal_iteratorINS9_10device_ptrIiEEEENSB_INSC_IjEEEEPNS0_10empty_typeENS0_5tupleIJSE_SH_EEENSJ_IJNS9_16discard_iteratorINS9_11use_defaultEEESI_EEENS0_18inequality_wrapperINS9_8equal_toIiEEEEPmJSH_EEE10hipError_tPvRmT3_T4_T5_T6_T7_T9_mT8_P12ihipStream_tbDpT10_ENKUlT_T0_E_clISt17integral_constantIbLb0EES1C_IbLb1EEEEDaS18_S19_EUlS18_E_NS1_11comp_targetILNS1_3genE2ELNS1_11target_archE906ELNS1_3gpuE6ELNS1_3repE0EEENS1_30default_config_static_selectorELNS0_4arch9wavefront6targetE0EEEvT1_
	.p2align	8
	.type	_ZN7rocprim17ROCPRIM_400000_NS6detail17trampoline_kernelINS0_14default_configENS1_25partition_config_selectorILNS1_17partition_subalgoE9EijbEEZZNS1_14partition_implILS5_9ELb0ES3_jN6thrust23THRUST_200600_302600_NS6detail15normal_iteratorINS9_10device_ptrIiEEEENSB_INSC_IjEEEEPNS0_10empty_typeENS0_5tupleIJSE_SH_EEENSJ_IJNS9_16discard_iteratorINS9_11use_defaultEEESI_EEENS0_18inequality_wrapperINS9_8equal_toIiEEEEPmJSH_EEE10hipError_tPvRmT3_T4_T5_T6_T7_T9_mT8_P12ihipStream_tbDpT10_ENKUlT_T0_E_clISt17integral_constantIbLb0EES1C_IbLb1EEEEDaS18_S19_EUlS18_E_NS1_11comp_targetILNS1_3genE2ELNS1_11target_archE906ELNS1_3gpuE6ELNS1_3repE0EEENS1_30default_config_static_selectorELNS0_4arch9wavefront6targetE0EEEvT1_,@function
_ZN7rocprim17ROCPRIM_400000_NS6detail17trampoline_kernelINS0_14default_configENS1_25partition_config_selectorILNS1_17partition_subalgoE9EijbEEZZNS1_14partition_implILS5_9ELb0ES3_jN6thrust23THRUST_200600_302600_NS6detail15normal_iteratorINS9_10device_ptrIiEEEENSB_INSC_IjEEEEPNS0_10empty_typeENS0_5tupleIJSE_SH_EEENSJ_IJNS9_16discard_iteratorINS9_11use_defaultEEESI_EEENS0_18inequality_wrapperINS9_8equal_toIiEEEEPmJSH_EEE10hipError_tPvRmT3_T4_T5_T6_T7_T9_mT8_P12ihipStream_tbDpT10_ENKUlT_T0_E_clISt17integral_constantIbLb0EES1C_IbLb1EEEEDaS18_S19_EUlS18_E_NS1_11comp_targetILNS1_3genE2ELNS1_11target_archE906ELNS1_3gpuE6ELNS1_3repE0EEENS1_30default_config_static_selectorELNS0_4arch9wavefront6targetE0EEEvT1_: ; @_ZN7rocprim17ROCPRIM_400000_NS6detail17trampoline_kernelINS0_14default_configENS1_25partition_config_selectorILNS1_17partition_subalgoE9EijbEEZZNS1_14partition_implILS5_9ELb0ES3_jN6thrust23THRUST_200600_302600_NS6detail15normal_iteratorINS9_10device_ptrIiEEEENSB_INSC_IjEEEEPNS0_10empty_typeENS0_5tupleIJSE_SH_EEENSJ_IJNS9_16discard_iteratorINS9_11use_defaultEEESI_EEENS0_18inequality_wrapperINS9_8equal_toIiEEEEPmJSH_EEE10hipError_tPvRmT3_T4_T5_T6_T7_T9_mT8_P12ihipStream_tbDpT10_ENKUlT_T0_E_clISt17integral_constantIbLb0EES1C_IbLb1EEEEDaS18_S19_EUlS18_E_NS1_11comp_targetILNS1_3genE2ELNS1_11target_archE906ELNS1_3gpuE6ELNS1_3repE0EEENS1_30default_config_static_selectorELNS0_4arch9wavefront6targetE0EEEvT1_
; %bb.0:
	.section	.rodata,"a",@progbits
	.p2align	6, 0x0
	.amdhsa_kernel _ZN7rocprim17ROCPRIM_400000_NS6detail17trampoline_kernelINS0_14default_configENS1_25partition_config_selectorILNS1_17partition_subalgoE9EijbEEZZNS1_14partition_implILS5_9ELb0ES3_jN6thrust23THRUST_200600_302600_NS6detail15normal_iteratorINS9_10device_ptrIiEEEENSB_INSC_IjEEEEPNS0_10empty_typeENS0_5tupleIJSE_SH_EEENSJ_IJNS9_16discard_iteratorINS9_11use_defaultEEESI_EEENS0_18inequality_wrapperINS9_8equal_toIiEEEEPmJSH_EEE10hipError_tPvRmT3_T4_T5_T6_T7_T9_mT8_P12ihipStream_tbDpT10_ENKUlT_T0_E_clISt17integral_constantIbLb0EES1C_IbLb1EEEEDaS18_S19_EUlS18_E_NS1_11comp_targetILNS1_3genE2ELNS1_11target_archE906ELNS1_3gpuE6ELNS1_3repE0EEENS1_30default_config_static_selectorELNS0_4arch9wavefront6targetE0EEEvT1_
		.amdhsa_group_segment_fixed_size 0
		.amdhsa_private_segment_fixed_size 0
		.amdhsa_kernarg_size 136
		.amdhsa_user_sgpr_count 15
		.amdhsa_user_sgpr_dispatch_ptr 0
		.amdhsa_user_sgpr_queue_ptr 0
		.amdhsa_user_sgpr_kernarg_segment_ptr 1
		.amdhsa_user_sgpr_dispatch_id 0
		.amdhsa_user_sgpr_private_segment_size 0
		.amdhsa_wavefront_size32 1
		.amdhsa_uses_dynamic_stack 0
		.amdhsa_enable_private_segment 0
		.amdhsa_system_sgpr_workgroup_id_x 1
		.amdhsa_system_sgpr_workgroup_id_y 0
		.amdhsa_system_sgpr_workgroup_id_z 0
		.amdhsa_system_sgpr_workgroup_info 0
		.amdhsa_system_vgpr_workitem_id 0
		.amdhsa_next_free_vgpr 1
		.amdhsa_next_free_sgpr 1
		.amdhsa_reserve_vcc 0
		.amdhsa_float_round_mode_32 0
		.amdhsa_float_round_mode_16_64 0
		.amdhsa_float_denorm_mode_32 3
		.amdhsa_float_denorm_mode_16_64 3
		.amdhsa_dx10_clamp 1
		.amdhsa_ieee_mode 1
		.amdhsa_fp16_overflow 0
		.amdhsa_workgroup_processor_mode 1
		.amdhsa_memory_ordered 1
		.amdhsa_forward_progress 0
		.amdhsa_shared_vgpr_count 0
		.amdhsa_exception_fp_ieee_invalid_op 0
		.amdhsa_exception_fp_denorm_src 0
		.amdhsa_exception_fp_ieee_div_zero 0
		.amdhsa_exception_fp_ieee_overflow 0
		.amdhsa_exception_fp_ieee_underflow 0
		.amdhsa_exception_fp_ieee_inexact 0
		.amdhsa_exception_int_div_zero 0
	.end_amdhsa_kernel
	.section	.text._ZN7rocprim17ROCPRIM_400000_NS6detail17trampoline_kernelINS0_14default_configENS1_25partition_config_selectorILNS1_17partition_subalgoE9EijbEEZZNS1_14partition_implILS5_9ELb0ES3_jN6thrust23THRUST_200600_302600_NS6detail15normal_iteratorINS9_10device_ptrIiEEEENSB_INSC_IjEEEEPNS0_10empty_typeENS0_5tupleIJSE_SH_EEENSJ_IJNS9_16discard_iteratorINS9_11use_defaultEEESI_EEENS0_18inequality_wrapperINS9_8equal_toIiEEEEPmJSH_EEE10hipError_tPvRmT3_T4_T5_T6_T7_T9_mT8_P12ihipStream_tbDpT10_ENKUlT_T0_E_clISt17integral_constantIbLb0EES1C_IbLb1EEEEDaS18_S19_EUlS18_E_NS1_11comp_targetILNS1_3genE2ELNS1_11target_archE906ELNS1_3gpuE6ELNS1_3repE0EEENS1_30default_config_static_selectorELNS0_4arch9wavefront6targetE0EEEvT1_,"axG",@progbits,_ZN7rocprim17ROCPRIM_400000_NS6detail17trampoline_kernelINS0_14default_configENS1_25partition_config_selectorILNS1_17partition_subalgoE9EijbEEZZNS1_14partition_implILS5_9ELb0ES3_jN6thrust23THRUST_200600_302600_NS6detail15normal_iteratorINS9_10device_ptrIiEEEENSB_INSC_IjEEEEPNS0_10empty_typeENS0_5tupleIJSE_SH_EEENSJ_IJNS9_16discard_iteratorINS9_11use_defaultEEESI_EEENS0_18inequality_wrapperINS9_8equal_toIiEEEEPmJSH_EEE10hipError_tPvRmT3_T4_T5_T6_T7_T9_mT8_P12ihipStream_tbDpT10_ENKUlT_T0_E_clISt17integral_constantIbLb0EES1C_IbLb1EEEEDaS18_S19_EUlS18_E_NS1_11comp_targetILNS1_3genE2ELNS1_11target_archE906ELNS1_3gpuE6ELNS1_3repE0EEENS1_30default_config_static_selectorELNS0_4arch9wavefront6targetE0EEEvT1_,comdat
.Lfunc_end1137:
	.size	_ZN7rocprim17ROCPRIM_400000_NS6detail17trampoline_kernelINS0_14default_configENS1_25partition_config_selectorILNS1_17partition_subalgoE9EijbEEZZNS1_14partition_implILS5_9ELb0ES3_jN6thrust23THRUST_200600_302600_NS6detail15normal_iteratorINS9_10device_ptrIiEEEENSB_INSC_IjEEEEPNS0_10empty_typeENS0_5tupleIJSE_SH_EEENSJ_IJNS9_16discard_iteratorINS9_11use_defaultEEESI_EEENS0_18inequality_wrapperINS9_8equal_toIiEEEEPmJSH_EEE10hipError_tPvRmT3_T4_T5_T6_T7_T9_mT8_P12ihipStream_tbDpT10_ENKUlT_T0_E_clISt17integral_constantIbLb0EES1C_IbLb1EEEEDaS18_S19_EUlS18_E_NS1_11comp_targetILNS1_3genE2ELNS1_11target_archE906ELNS1_3gpuE6ELNS1_3repE0EEENS1_30default_config_static_selectorELNS0_4arch9wavefront6targetE0EEEvT1_, .Lfunc_end1137-_ZN7rocprim17ROCPRIM_400000_NS6detail17trampoline_kernelINS0_14default_configENS1_25partition_config_selectorILNS1_17partition_subalgoE9EijbEEZZNS1_14partition_implILS5_9ELb0ES3_jN6thrust23THRUST_200600_302600_NS6detail15normal_iteratorINS9_10device_ptrIiEEEENSB_INSC_IjEEEEPNS0_10empty_typeENS0_5tupleIJSE_SH_EEENSJ_IJNS9_16discard_iteratorINS9_11use_defaultEEESI_EEENS0_18inequality_wrapperINS9_8equal_toIiEEEEPmJSH_EEE10hipError_tPvRmT3_T4_T5_T6_T7_T9_mT8_P12ihipStream_tbDpT10_ENKUlT_T0_E_clISt17integral_constantIbLb0EES1C_IbLb1EEEEDaS18_S19_EUlS18_E_NS1_11comp_targetILNS1_3genE2ELNS1_11target_archE906ELNS1_3gpuE6ELNS1_3repE0EEENS1_30default_config_static_selectorELNS0_4arch9wavefront6targetE0EEEvT1_
                                        ; -- End function
	.section	.AMDGPU.csdata,"",@progbits
; Kernel info:
; codeLenInByte = 0
; NumSgprs: 0
; NumVgprs: 0
; ScratchSize: 0
; MemoryBound: 0
; FloatMode: 240
; IeeeMode: 1
; LDSByteSize: 0 bytes/workgroup (compile time only)
; SGPRBlocks: 0
; VGPRBlocks: 0
; NumSGPRsForWavesPerEU: 1
; NumVGPRsForWavesPerEU: 1
; Occupancy: 16
; WaveLimiterHint : 0
; COMPUTE_PGM_RSRC2:SCRATCH_EN: 0
; COMPUTE_PGM_RSRC2:USER_SGPR: 15
; COMPUTE_PGM_RSRC2:TRAP_HANDLER: 0
; COMPUTE_PGM_RSRC2:TGID_X_EN: 1
; COMPUTE_PGM_RSRC2:TGID_Y_EN: 0
; COMPUTE_PGM_RSRC2:TGID_Z_EN: 0
; COMPUTE_PGM_RSRC2:TIDIG_COMP_CNT: 0
	.section	.text._ZN7rocprim17ROCPRIM_400000_NS6detail17trampoline_kernelINS0_14default_configENS1_25partition_config_selectorILNS1_17partition_subalgoE9EijbEEZZNS1_14partition_implILS5_9ELb0ES3_jN6thrust23THRUST_200600_302600_NS6detail15normal_iteratorINS9_10device_ptrIiEEEENSB_INSC_IjEEEEPNS0_10empty_typeENS0_5tupleIJSE_SH_EEENSJ_IJNS9_16discard_iteratorINS9_11use_defaultEEESI_EEENS0_18inequality_wrapperINS9_8equal_toIiEEEEPmJSH_EEE10hipError_tPvRmT3_T4_T5_T6_T7_T9_mT8_P12ihipStream_tbDpT10_ENKUlT_T0_E_clISt17integral_constantIbLb0EES1C_IbLb1EEEEDaS18_S19_EUlS18_E_NS1_11comp_targetILNS1_3genE10ELNS1_11target_archE1200ELNS1_3gpuE4ELNS1_3repE0EEENS1_30default_config_static_selectorELNS0_4arch9wavefront6targetE0EEEvT1_,"axG",@progbits,_ZN7rocprim17ROCPRIM_400000_NS6detail17trampoline_kernelINS0_14default_configENS1_25partition_config_selectorILNS1_17partition_subalgoE9EijbEEZZNS1_14partition_implILS5_9ELb0ES3_jN6thrust23THRUST_200600_302600_NS6detail15normal_iteratorINS9_10device_ptrIiEEEENSB_INSC_IjEEEEPNS0_10empty_typeENS0_5tupleIJSE_SH_EEENSJ_IJNS9_16discard_iteratorINS9_11use_defaultEEESI_EEENS0_18inequality_wrapperINS9_8equal_toIiEEEEPmJSH_EEE10hipError_tPvRmT3_T4_T5_T6_T7_T9_mT8_P12ihipStream_tbDpT10_ENKUlT_T0_E_clISt17integral_constantIbLb0EES1C_IbLb1EEEEDaS18_S19_EUlS18_E_NS1_11comp_targetILNS1_3genE10ELNS1_11target_archE1200ELNS1_3gpuE4ELNS1_3repE0EEENS1_30default_config_static_selectorELNS0_4arch9wavefront6targetE0EEEvT1_,comdat
	.protected	_ZN7rocprim17ROCPRIM_400000_NS6detail17trampoline_kernelINS0_14default_configENS1_25partition_config_selectorILNS1_17partition_subalgoE9EijbEEZZNS1_14partition_implILS5_9ELb0ES3_jN6thrust23THRUST_200600_302600_NS6detail15normal_iteratorINS9_10device_ptrIiEEEENSB_INSC_IjEEEEPNS0_10empty_typeENS0_5tupleIJSE_SH_EEENSJ_IJNS9_16discard_iteratorINS9_11use_defaultEEESI_EEENS0_18inequality_wrapperINS9_8equal_toIiEEEEPmJSH_EEE10hipError_tPvRmT3_T4_T5_T6_T7_T9_mT8_P12ihipStream_tbDpT10_ENKUlT_T0_E_clISt17integral_constantIbLb0EES1C_IbLb1EEEEDaS18_S19_EUlS18_E_NS1_11comp_targetILNS1_3genE10ELNS1_11target_archE1200ELNS1_3gpuE4ELNS1_3repE0EEENS1_30default_config_static_selectorELNS0_4arch9wavefront6targetE0EEEvT1_ ; -- Begin function _ZN7rocprim17ROCPRIM_400000_NS6detail17trampoline_kernelINS0_14default_configENS1_25partition_config_selectorILNS1_17partition_subalgoE9EijbEEZZNS1_14partition_implILS5_9ELb0ES3_jN6thrust23THRUST_200600_302600_NS6detail15normal_iteratorINS9_10device_ptrIiEEEENSB_INSC_IjEEEEPNS0_10empty_typeENS0_5tupleIJSE_SH_EEENSJ_IJNS9_16discard_iteratorINS9_11use_defaultEEESI_EEENS0_18inequality_wrapperINS9_8equal_toIiEEEEPmJSH_EEE10hipError_tPvRmT3_T4_T5_T6_T7_T9_mT8_P12ihipStream_tbDpT10_ENKUlT_T0_E_clISt17integral_constantIbLb0EES1C_IbLb1EEEEDaS18_S19_EUlS18_E_NS1_11comp_targetILNS1_3genE10ELNS1_11target_archE1200ELNS1_3gpuE4ELNS1_3repE0EEENS1_30default_config_static_selectorELNS0_4arch9wavefront6targetE0EEEvT1_
	.globl	_ZN7rocprim17ROCPRIM_400000_NS6detail17trampoline_kernelINS0_14default_configENS1_25partition_config_selectorILNS1_17partition_subalgoE9EijbEEZZNS1_14partition_implILS5_9ELb0ES3_jN6thrust23THRUST_200600_302600_NS6detail15normal_iteratorINS9_10device_ptrIiEEEENSB_INSC_IjEEEEPNS0_10empty_typeENS0_5tupleIJSE_SH_EEENSJ_IJNS9_16discard_iteratorINS9_11use_defaultEEESI_EEENS0_18inequality_wrapperINS9_8equal_toIiEEEEPmJSH_EEE10hipError_tPvRmT3_T4_T5_T6_T7_T9_mT8_P12ihipStream_tbDpT10_ENKUlT_T0_E_clISt17integral_constantIbLb0EES1C_IbLb1EEEEDaS18_S19_EUlS18_E_NS1_11comp_targetILNS1_3genE10ELNS1_11target_archE1200ELNS1_3gpuE4ELNS1_3repE0EEENS1_30default_config_static_selectorELNS0_4arch9wavefront6targetE0EEEvT1_
	.p2align	8
	.type	_ZN7rocprim17ROCPRIM_400000_NS6detail17trampoline_kernelINS0_14default_configENS1_25partition_config_selectorILNS1_17partition_subalgoE9EijbEEZZNS1_14partition_implILS5_9ELb0ES3_jN6thrust23THRUST_200600_302600_NS6detail15normal_iteratorINS9_10device_ptrIiEEEENSB_INSC_IjEEEEPNS0_10empty_typeENS0_5tupleIJSE_SH_EEENSJ_IJNS9_16discard_iteratorINS9_11use_defaultEEESI_EEENS0_18inequality_wrapperINS9_8equal_toIiEEEEPmJSH_EEE10hipError_tPvRmT3_T4_T5_T6_T7_T9_mT8_P12ihipStream_tbDpT10_ENKUlT_T0_E_clISt17integral_constantIbLb0EES1C_IbLb1EEEEDaS18_S19_EUlS18_E_NS1_11comp_targetILNS1_3genE10ELNS1_11target_archE1200ELNS1_3gpuE4ELNS1_3repE0EEENS1_30default_config_static_selectorELNS0_4arch9wavefront6targetE0EEEvT1_,@function
_ZN7rocprim17ROCPRIM_400000_NS6detail17trampoline_kernelINS0_14default_configENS1_25partition_config_selectorILNS1_17partition_subalgoE9EijbEEZZNS1_14partition_implILS5_9ELb0ES3_jN6thrust23THRUST_200600_302600_NS6detail15normal_iteratorINS9_10device_ptrIiEEEENSB_INSC_IjEEEEPNS0_10empty_typeENS0_5tupleIJSE_SH_EEENSJ_IJNS9_16discard_iteratorINS9_11use_defaultEEESI_EEENS0_18inequality_wrapperINS9_8equal_toIiEEEEPmJSH_EEE10hipError_tPvRmT3_T4_T5_T6_T7_T9_mT8_P12ihipStream_tbDpT10_ENKUlT_T0_E_clISt17integral_constantIbLb0EES1C_IbLb1EEEEDaS18_S19_EUlS18_E_NS1_11comp_targetILNS1_3genE10ELNS1_11target_archE1200ELNS1_3gpuE4ELNS1_3repE0EEENS1_30default_config_static_selectorELNS0_4arch9wavefront6targetE0EEEvT1_: ; @_ZN7rocprim17ROCPRIM_400000_NS6detail17trampoline_kernelINS0_14default_configENS1_25partition_config_selectorILNS1_17partition_subalgoE9EijbEEZZNS1_14partition_implILS5_9ELb0ES3_jN6thrust23THRUST_200600_302600_NS6detail15normal_iteratorINS9_10device_ptrIiEEEENSB_INSC_IjEEEEPNS0_10empty_typeENS0_5tupleIJSE_SH_EEENSJ_IJNS9_16discard_iteratorINS9_11use_defaultEEESI_EEENS0_18inequality_wrapperINS9_8equal_toIiEEEEPmJSH_EEE10hipError_tPvRmT3_T4_T5_T6_T7_T9_mT8_P12ihipStream_tbDpT10_ENKUlT_T0_E_clISt17integral_constantIbLb0EES1C_IbLb1EEEEDaS18_S19_EUlS18_E_NS1_11comp_targetILNS1_3genE10ELNS1_11target_archE1200ELNS1_3gpuE4ELNS1_3repE0EEENS1_30default_config_static_selectorELNS0_4arch9wavefront6targetE0EEEvT1_
; %bb.0:
	.section	.rodata,"a",@progbits
	.p2align	6, 0x0
	.amdhsa_kernel _ZN7rocprim17ROCPRIM_400000_NS6detail17trampoline_kernelINS0_14default_configENS1_25partition_config_selectorILNS1_17partition_subalgoE9EijbEEZZNS1_14partition_implILS5_9ELb0ES3_jN6thrust23THRUST_200600_302600_NS6detail15normal_iteratorINS9_10device_ptrIiEEEENSB_INSC_IjEEEEPNS0_10empty_typeENS0_5tupleIJSE_SH_EEENSJ_IJNS9_16discard_iteratorINS9_11use_defaultEEESI_EEENS0_18inequality_wrapperINS9_8equal_toIiEEEEPmJSH_EEE10hipError_tPvRmT3_T4_T5_T6_T7_T9_mT8_P12ihipStream_tbDpT10_ENKUlT_T0_E_clISt17integral_constantIbLb0EES1C_IbLb1EEEEDaS18_S19_EUlS18_E_NS1_11comp_targetILNS1_3genE10ELNS1_11target_archE1200ELNS1_3gpuE4ELNS1_3repE0EEENS1_30default_config_static_selectorELNS0_4arch9wavefront6targetE0EEEvT1_
		.amdhsa_group_segment_fixed_size 0
		.amdhsa_private_segment_fixed_size 0
		.amdhsa_kernarg_size 136
		.amdhsa_user_sgpr_count 15
		.amdhsa_user_sgpr_dispatch_ptr 0
		.amdhsa_user_sgpr_queue_ptr 0
		.amdhsa_user_sgpr_kernarg_segment_ptr 1
		.amdhsa_user_sgpr_dispatch_id 0
		.amdhsa_user_sgpr_private_segment_size 0
		.amdhsa_wavefront_size32 1
		.amdhsa_uses_dynamic_stack 0
		.amdhsa_enable_private_segment 0
		.amdhsa_system_sgpr_workgroup_id_x 1
		.amdhsa_system_sgpr_workgroup_id_y 0
		.amdhsa_system_sgpr_workgroup_id_z 0
		.amdhsa_system_sgpr_workgroup_info 0
		.amdhsa_system_vgpr_workitem_id 0
		.amdhsa_next_free_vgpr 1
		.amdhsa_next_free_sgpr 1
		.amdhsa_reserve_vcc 0
		.amdhsa_float_round_mode_32 0
		.amdhsa_float_round_mode_16_64 0
		.amdhsa_float_denorm_mode_32 3
		.amdhsa_float_denorm_mode_16_64 3
		.amdhsa_dx10_clamp 1
		.amdhsa_ieee_mode 1
		.amdhsa_fp16_overflow 0
		.amdhsa_workgroup_processor_mode 1
		.amdhsa_memory_ordered 1
		.amdhsa_forward_progress 0
		.amdhsa_shared_vgpr_count 0
		.amdhsa_exception_fp_ieee_invalid_op 0
		.amdhsa_exception_fp_denorm_src 0
		.amdhsa_exception_fp_ieee_div_zero 0
		.amdhsa_exception_fp_ieee_overflow 0
		.amdhsa_exception_fp_ieee_underflow 0
		.amdhsa_exception_fp_ieee_inexact 0
		.amdhsa_exception_int_div_zero 0
	.end_amdhsa_kernel
	.section	.text._ZN7rocprim17ROCPRIM_400000_NS6detail17trampoline_kernelINS0_14default_configENS1_25partition_config_selectorILNS1_17partition_subalgoE9EijbEEZZNS1_14partition_implILS5_9ELb0ES3_jN6thrust23THRUST_200600_302600_NS6detail15normal_iteratorINS9_10device_ptrIiEEEENSB_INSC_IjEEEEPNS0_10empty_typeENS0_5tupleIJSE_SH_EEENSJ_IJNS9_16discard_iteratorINS9_11use_defaultEEESI_EEENS0_18inequality_wrapperINS9_8equal_toIiEEEEPmJSH_EEE10hipError_tPvRmT3_T4_T5_T6_T7_T9_mT8_P12ihipStream_tbDpT10_ENKUlT_T0_E_clISt17integral_constantIbLb0EES1C_IbLb1EEEEDaS18_S19_EUlS18_E_NS1_11comp_targetILNS1_3genE10ELNS1_11target_archE1200ELNS1_3gpuE4ELNS1_3repE0EEENS1_30default_config_static_selectorELNS0_4arch9wavefront6targetE0EEEvT1_,"axG",@progbits,_ZN7rocprim17ROCPRIM_400000_NS6detail17trampoline_kernelINS0_14default_configENS1_25partition_config_selectorILNS1_17partition_subalgoE9EijbEEZZNS1_14partition_implILS5_9ELb0ES3_jN6thrust23THRUST_200600_302600_NS6detail15normal_iteratorINS9_10device_ptrIiEEEENSB_INSC_IjEEEEPNS0_10empty_typeENS0_5tupleIJSE_SH_EEENSJ_IJNS9_16discard_iteratorINS9_11use_defaultEEESI_EEENS0_18inequality_wrapperINS9_8equal_toIiEEEEPmJSH_EEE10hipError_tPvRmT3_T4_T5_T6_T7_T9_mT8_P12ihipStream_tbDpT10_ENKUlT_T0_E_clISt17integral_constantIbLb0EES1C_IbLb1EEEEDaS18_S19_EUlS18_E_NS1_11comp_targetILNS1_3genE10ELNS1_11target_archE1200ELNS1_3gpuE4ELNS1_3repE0EEENS1_30default_config_static_selectorELNS0_4arch9wavefront6targetE0EEEvT1_,comdat
.Lfunc_end1138:
	.size	_ZN7rocprim17ROCPRIM_400000_NS6detail17trampoline_kernelINS0_14default_configENS1_25partition_config_selectorILNS1_17partition_subalgoE9EijbEEZZNS1_14partition_implILS5_9ELb0ES3_jN6thrust23THRUST_200600_302600_NS6detail15normal_iteratorINS9_10device_ptrIiEEEENSB_INSC_IjEEEEPNS0_10empty_typeENS0_5tupleIJSE_SH_EEENSJ_IJNS9_16discard_iteratorINS9_11use_defaultEEESI_EEENS0_18inequality_wrapperINS9_8equal_toIiEEEEPmJSH_EEE10hipError_tPvRmT3_T4_T5_T6_T7_T9_mT8_P12ihipStream_tbDpT10_ENKUlT_T0_E_clISt17integral_constantIbLb0EES1C_IbLb1EEEEDaS18_S19_EUlS18_E_NS1_11comp_targetILNS1_3genE10ELNS1_11target_archE1200ELNS1_3gpuE4ELNS1_3repE0EEENS1_30default_config_static_selectorELNS0_4arch9wavefront6targetE0EEEvT1_, .Lfunc_end1138-_ZN7rocprim17ROCPRIM_400000_NS6detail17trampoline_kernelINS0_14default_configENS1_25partition_config_selectorILNS1_17partition_subalgoE9EijbEEZZNS1_14partition_implILS5_9ELb0ES3_jN6thrust23THRUST_200600_302600_NS6detail15normal_iteratorINS9_10device_ptrIiEEEENSB_INSC_IjEEEEPNS0_10empty_typeENS0_5tupleIJSE_SH_EEENSJ_IJNS9_16discard_iteratorINS9_11use_defaultEEESI_EEENS0_18inequality_wrapperINS9_8equal_toIiEEEEPmJSH_EEE10hipError_tPvRmT3_T4_T5_T6_T7_T9_mT8_P12ihipStream_tbDpT10_ENKUlT_T0_E_clISt17integral_constantIbLb0EES1C_IbLb1EEEEDaS18_S19_EUlS18_E_NS1_11comp_targetILNS1_3genE10ELNS1_11target_archE1200ELNS1_3gpuE4ELNS1_3repE0EEENS1_30default_config_static_selectorELNS0_4arch9wavefront6targetE0EEEvT1_
                                        ; -- End function
	.section	.AMDGPU.csdata,"",@progbits
; Kernel info:
; codeLenInByte = 0
; NumSgprs: 0
; NumVgprs: 0
; ScratchSize: 0
; MemoryBound: 0
; FloatMode: 240
; IeeeMode: 1
; LDSByteSize: 0 bytes/workgroup (compile time only)
; SGPRBlocks: 0
; VGPRBlocks: 0
; NumSGPRsForWavesPerEU: 1
; NumVGPRsForWavesPerEU: 1
; Occupancy: 15
; WaveLimiterHint : 0
; COMPUTE_PGM_RSRC2:SCRATCH_EN: 0
; COMPUTE_PGM_RSRC2:USER_SGPR: 15
; COMPUTE_PGM_RSRC2:TRAP_HANDLER: 0
; COMPUTE_PGM_RSRC2:TGID_X_EN: 1
; COMPUTE_PGM_RSRC2:TGID_Y_EN: 0
; COMPUTE_PGM_RSRC2:TGID_Z_EN: 0
; COMPUTE_PGM_RSRC2:TIDIG_COMP_CNT: 0
	.section	.text._ZN7rocprim17ROCPRIM_400000_NS6detail17trampoline_kernelINS0_14default_configENS1_25partition_config_selectorILNS1_17partition_subalgoE9EijbEEZZNS1_14partition_implILS5_9ELb0ES3_jN6thrust23THRUST_200600_302600_NS6detail15normal_iteratorINS9_10device_ptrIiEEEENSB_INSC_IjEEEEPNS0_10empty_typeENS0_5tupleIJSE_SH_EEENSJ_IJNS9_16discard_iteratorINS9_11use_defaultEEESI_EEENS0_18inequality_wrapperINS9_8equal_toIiEEEEPmJSH_EEE10hipError_tPvRmT3_T4_T5_T6_T7_T9_mT8_P12ihipStream_tbDpT10_ENKUlT_T0_E_clISt17integral_constantIbLb0EES1C_IbLb1EEEEDaS18_S19_EUlS18_E_NS1_11comp_targetILNS1_3genE9ELNS1_11target_archE1100ELNS1_3gpuE3ELNS1_3repE0EEENS1_30default_config_static_selectorELNS0_4arch9wavefront6targetE0EEEvT1_,"axG",@progbits,_ZN7rocprim17ROCPRIM_400000_NS6detail17trampoline_kernelINS0_14default_configENS1_25partition_config_selectorILNS1_17partition_subalgoE9EijbEEZZNS1_14partition_implILS5_9ELb0ES3_jN6thrust23THRUST_200600_302600_NS6detail15normal_iteratorINS9_10device_ptrIiEEEENSB_INSC_IjEEEEPNS0_10empty_typeENS0_5tupleIJSE_SH_EEENSJ_IJNS9_16discard_iteratorINS9_11use_defaultEEESI_EEENS0_18inequality_wrapperINS9_8equal_toIiEEEEPmJSH_EEE10hipError_tPvRmT3_T4_T5_T6_T7_T9_mT8_P12ihipStream_tbDpT10_ENKUlT_T0_E_clISt17integral_constantIbLb0EES1C_IbLb1EEEEDaS18_S19_EUlS18_E_NS1_11comp_targetILNS1_3genE9ELNS1_11target_archE1100ELNS1_3gpuE3ELNS1_3repE0EEENS1_30default_config_static_selectorELNS0_4arch9wavefront6targetE0EEEvT1_,comdat
	.protected	_ZN7rocprim17ROCPRIM_400000_NS6detail17trampoline_kernelINS0_14default_configENS1_25partition_config_selectorILNS1_17partition_subalgoE9EijbEEZZNS1_14partition_implILS5_9ELb0ES3_jN6thrust23THRUST_200600_302600_NS6detail15normal_iteratorINS9_10device_ptrIiEEEENSB_INSC_IjEEEEPNS0_10empty_typeENS0_5tupleIJSE_SH_EEENSJ_IJNS9_16discard_iteratorINS9_11use_defaultEEESI_EEENS0_18inequality_wrapperINS9_8equal_toIiEEEEPmJSH_EEE10hipError_tPvRmT3_T4_T5_T6_T7_T9_mT8_P12ihipStream_tbDpT10_ENKUlT_T0_E_clISt17integral_constantIbLb0EES1C_IbLb1EEEEDaS18_S19_EUlS18_E_NS1_11comp_targetILNS1_3genE9ELNS1_11target_archE1100ELNS1_3gpuE3ELNS1_3repE0EEENS1_30default_config_static_selectorELNS0_4arch9wavefront6targetE0EEEvT1_ ; -- Begin function _ZN7rocprim17ROCPRIM_400000_NS6detail17trampoline_kernelINS0_14default_configENS1_25partition_config_selectorILNS1_17partition_subalgoE9EijbEEZZNS1_14partition_implILS5_9ELb0ES3_jN6thrust23THRUST_200600_302600_NS6detail15normal_iteratorINS9_10device_ptrIiEEEENSB_INSC_IjEEEEPNS0_10empty_typeENS0_5tupleIJSE_SH_EEENSJ_IJNS9_16discard_iteratorINS9_11use_defaultEEESI_EEENS0_18inequality_wrapperINS9_8equal_toIiEEEEPmJSH_EEE10hipError_tPvRmT3_T4_T5_T6_T7_T9_mT8_P12ihipStream_tbDpT10_ENKUlT_T0_E_clISt17integral_constantIbLb0EES1C_IbLb1EEEEDaS18_S19_EUlS18_E_NS1_11comp_targetILNS1_3genE9ELNS1_11target_archE1100ELNS1_3gpuE3ELNS1_3repE0EEENS1_30default_config_static_selectorELNS0_4arch9wavefront6targetE0EEEvT1_
	.globl	_ZN7rocprim17ROCPRIM_400000_NS6detail17trampoline_kernelINS0_14default_configENS1_25partition_config_selectorILNS1_17partition_subalgoE9EijbEEZZNS1_14partition_implILS5_9ELb0ES3_jN6thrust23THRUST_200600_302600_NS6detail15normal_iteratorINS9_10device_ptrIiEEEENSB_INSC_IjEEEEPNS0_10empty_typeENS0_5tupleIJSE_SH_EEENSJ_IJNS9_16discard_iteratorINS9_11use_defaultEEESI_EEENS0_18inequality_wrapperINS9_8equal_toIiEEEEPmJSH_EEE10hipError_tPvRmT3_T4_T5_T6_T7_T9_mT8_P12ihipStream_tbDpT10_ENKUlT_T0_E_clISt17integral_constantIbLb0EES1C_IbLb1EEEEDaS18_S19_EUlS18_E_NS1_11comp_targetILNS1_3genE9ELNS1_11target_archE1100ELNS1_3gpuE3ELNS1_3repE0EEENS1_30default_config_static_selectorELNS0_4arch9wavefront6targetE0EEEvT1_
	.p2align	8
	.type	_ZN7rocprim17ROCPRIM_400000_NS6detail17trampoline_kernelINS0_14default_configENS1_25partition_config_selectorILNS1_17partition_subalgoE9EijbEEZZNS1_14partition_implILS5_9ELb0ES3_jN6thrust23THRUST_200600_302600_NS6detail15normal_iteratorINS9_10device_ptrIiEEEENSB_INSC_IjEEEEPNS0_10empty_typeENS0_5tupleIJSE_SH_EEENSJ_IJNS9_16discard_iteratorINS9_11use_defaultEEESI_EEENS0_18inequality_wrapperINS9_8equal_toIiEEEEPmJSH_EEE10hipError_tPvRmT3_T4_T5_T6_T7_T9_mT8_P12ihipStream_tbDpT10_ENKUlT_T0_E_clISt17integral_constantIbLb0EES1C_IbLb1EEEEDaS18_S19_EUlS18_E_NS1_11comp_targetILNS1_3genE9ELNS1_11target_archE1100ELNS1_3gpuE3ELNS1_3repE0EEENS1_30default_config_static_selectorELNS0_4arch9wavefront6targetE0EEEvT1_,@function
_ZN7rocprim17ROCPRIM_400000_NS6detail17trampoline_kernelINS0_14default_configENS1_25partition_config_selectorILNS1_17partition_subalgoE9EijbEEZZNS1_14partition_implILS5_9ELb0ES3_jN6thrust23THRUST_200600_302600_NS6detail15normal_iteratorINS9_10device_ptrIiEEEENSB_INSC_IjEEEEPNS0_10empty_typeENS0_5tupleIJSE_SH_EEENSJ_IJNS9_16discard_iteratorINS9_11use_defaultEEESI_EEENS0_18inequality_wrapperINS9_8equal_toIiEEEEPmJSH_EEE10hipError_tPvRmT3_T4_T5_T6_T7_T9_mT8_P12ihipStream_tbDpT10_ENKUlT_T0_E_clISt17integral_constantIbLb0EES1C_IbLb1EEEEDaS18_S19_EUlS18_E_NS1_11comp_targetILNS1_3genE9ELNS1_11target_archE1100ELNS1_3gpuE3ELNS1_3repE0EEENS1_30default_config_static_selectorELNS0_4arch9wavefront6targetE0EEEvT1_: ; @_ZN7rocprim17ROCPRIM_400000_NS6detail17trampoline_kernelINS0_14default_configENS1_25partition_config_selectorILNS1_17partition_subalgoE9EijbEEZZNS1_14partition_implILS5_9ELb0ES3_jN6thrust23THRUST_200600_302600_NS6detail15normal_iteratorINS9_10device_ptrIiEEEENSB_INSC_IjEEEEPNS0_10empty_typeENS0_5tupleIJSE_SH_EEENSJ_IJNS9_16discard_iteratorINS9_11use_defaultEEESI_EEENS0_18inequality_wrapperINS9_8equal_toIiEEEEPmJSH_EEE10hipError_tPvRmT3_T4_T5_T6_T7_T9_mT8_P12ihipStream_tbDpT10_ENKUlT_T0_E_clISt17integral_constantIbLb0EES1C_IbLb1EEEEDaS18_S19_EUlS18_E_NS1_11comp_targetILNS1_3genE9ELNS1_11target_archE1100ELNS1_3gpuE3ELNS1_3repE0EEENS1_30default_config_static_selectorELNS0_4arch9wavefront6targetE0EEEvT1_
; %bb.0:
	s_clause 0x5
	s_load_b128 s[4:7], s[0:1], 0x8
	s_load_b64 s[8:9], s[0:1], 0x18
	s_load_b64 s[10:11], s[0:1], 0x28
	s_load_b128 s[12:15], s[0:1], 0x48
	s_load_b64 s[18:19], s[0:1], 0x58
	s_load_b64 s[16:17], s[0:1], 0x68
	v_cmp_ne_u32_e64 s3, 0, v0
	v_cmp_eq_u32_e64 s2, 0, v0
	s_delay_alu instid0(VALU_DEP_1)
	s_and_saveexec_b32 s20, s2
	s_cbranch_execz .LBB1139_4
; %bb.1:
	s_mov_b32 s22, exec_lo
	s_mov_b32 s21, exec_lo
	v_mbcnt_lo_u32_b32 v1, s22, 0
                                        ; implicit-def: $vgpr2
	s_delay_alu instid0(VALU_DEP_1)
	v_cmpx_eq_u32_e32 0, v1
	s_cbranch_execz .LBB1139_3
; %bb.2:
	s_load_b64 s[24:25], s[0:1], 0x78
	s_bcnt1_i32_b32 s22, s22
	s_delay_alu instid0(SALU_CYCLE_1)
	v_dual_mov_b32 v2, 0 :: v_dual_mov_b32 v3, s22
	s_waitcnt lgkmcnt(0)
	global_atomic_add_u32 v2, v2, v3, s[24:25] glc
.LBB1139_3:
	s_or_b32 exec_lo, exec_lo, s21
	s_waitcnt vmcnt(0)
	v_readfirstlane_b32 s21, v2
	s_delay_alu instid0(VALU_DEP_1)
	v_dual_mov_b32 v2, 0 :: v_dual_add_nc_u32 v1, s21, v1
	ds_store_b32 v2, v1
.LBB1139_4:
	s_or_b32 exec_lo, exec_lo, s20
	v_dual_mov_b32 v1, 0 :: v_dual_add_nc_u32 v18, 0x180, v0
	s_waitcnt lgkmcnt(0)
	s_barrier
	buffer_gl0_inv
	ds_load_b32 v2, v1
	s_waitcnt lgkmcnt(0)
	s_barrier
	buffer_gl0_inv
	global_load_b64 v[9:10], v1, s[14:15]
	s_load_b32 s0, s[0:1], 0x70
	s_lshl_b64 s[14:15], s[6:7], 2
	v_lshrrev_b32_e32 v16, 3, v0
	s_add_u32 s23, s4, s14
	s_addc_u32 s24, s5, s15
	v_add_nc_u32_e32 v17, 0x300, v0
	v_add_nc_u32_e32 v15, 0x480, v0
	v_or_b32_e32 v14, 0x600, v0
	v_add_nc_u32_e32 v13, 0x780, v0
	v_add_nc_u32_e32 v12, 0x900, v0
	;; [unrolled: 1-line block ×3, first 2 shown]
	v_readfirstlane_b32 s20, v2
	s_waitcnt lgkmcnt(0)
	s_mul_i32 s1, s0, 0xc00
	s_delay_alu instid0(SALU_CYCLE_1) | instskip(NEXT) | instid1(SALU_CYCLE_1)
	s_add_i32 s4, s1, s6
	s_sub_i32 s21, s18, s4
	s_add_i32 s4, s0, -1
	s_addk_i32 s21, 0xc00
	s_add_u32 s0, s6, s1
	s_addc_u32 s1, s7, 0
	s_cmp_eq_u32 s20, s4
	v_cmp_ge_u64_e64 s5, s[0:1], s[18:19]
	s_cselect_b32 s18, -1, 0
	s_mul_i32 s0, s20, 0xc00
	s_mov_b32 s1, 0
	s_delay_alu instid0(VALU_DEP_1)
	s_and_b32 s22, s5, s18
	s_lshl_b64 s[4:5], s[0:1], 2
	s_xor_b32 s19, s22, -1
	s_add_u32 s23, s23, s4
	s_addc_u32 s1, s24, s5
	s_and_b32 vcc_lo, exec_lo, s19
	s_mov_b32 s24, -1
	s_cbranch_vccz .LBB1139_6
; %bb.5:
	v_lshlrev_b32_e32 v7, 2, v0
	v_lshrrev_b32_e32 v21, 3, v18
	v_lshrrev_b32_e32 v22, 3, v17
	;; [unrolled: 1-line block ×4, first 2 shown]
	v_add_co_u32 v1, s0, s23, v7
	s_delay_alu instid0(VALU_DEP_1) | instskip(SKIP_1) | instid1(VALU_DEP_3)
	v_add_co_ci_u32_e64 v2, null, s1, 0, s0
	v_lshrrev_b32_e32 v25, 3, v13
	v_add_co_u32 v3, vcc_lo, 0x1000, v1
	s_delay_alu instid0(VALU_DEP_3)
	v_add_co_ci_u32_e32 v4, vcc_lo, 0, v2, vcc_lo
	v_add_co_u32 v5, vcc_lo, 0x2000, v1
	v_add_co_ci_u32_e32 v6, vcc_lo, 0, v2, vcc_lo
	s_clause 0x7
	flat_load_b32 v8, v[1:2]
	flat_load_b32 v19, v[1:2] offset:1536
	flat_load_b32 v1, v[1:2] offset:3072
	;; [unrolled: 1-line block ×7, first 2 shown]
	v_and_b32_e32 v6, 60, v16
	v_lshrrev_b32_e32 v26, 3, v12
	v_lshrrev_b32_e32 v27, 3, v11
	v_and_b32_e32 v21, 0x7c, v21
	v_and_b32_e32 v22, 0xfc, v22
	;; [unrolled: 1-line block ×4, first 2 shown]
	v_add_nc_u32_e32 v6, v6, v7
	v_and_b32_e32 v25, 0x1fc, v25
	v_and_b32_e32 v26, 0x17c, v26
	;; [unrolled: 1-line block ×3, first 2 shown]
	v_add_nc_u32_e32 v21, v21, v7
	v_add_nc_u32_e32 v22, v22, v7
	;; [unrolled: 1-line block ×4, first 2 shown]
	s_mov_b32 s24, 0
	v_add_nc_u32_e32 v25, v25, v7
	v_add_nc_u32_e32 v26, v26, v7
	;; [unrolled: 1-line block ×3, first 2 shown]
	s_waitcnt vmcnt(7) lgkmcnt(7)
	ds_store_b32 v6, v8
	s_waitcnt vmcnt(6) lgkmcnt(7)
	ds_store_b32 v21, v19 offset:1536
	s_waitcnt vmcnt(5) lgkmcnt(7)
	ds_store_b32 v22, v1 offset:3072
	;; [unrolled: 2-line block ×7, first 2 shown]
	s_waitcnt lgkmcnt(0)
	s_barrier
.LBB1139_6:
	v_cmp_gt_u32_e64 s0, s21, v0
	s_and_not1_b32 vcc_lo, exec_lo, s24
	s_cbranch_vccnz .LBB1139_24
; %bb.7:
                                        ; implicit-def: $vgpr1_vgpr2_vgpr3_vgpr4_vgpr5_vgpr6_vgpr7_vgpr8
	s_delay_alu instid0(VALU_DEP_1)
	s_and_saveexec_b32 s24, s0
	s_cbranch_execz .LBB1139_15
; %bb.8:
	v_lshlrev_b32_e32 v1, 2, v0
	s_delay_alu instid0(VALU_DEP_1) | instskip(NEXT) | instid1(VALU_DEP_1)
	v_add_co_u32 v1, s0, s23, v1
	v_add_co_ci_u32_e64 v2, null, s1, 0, s0
	flat_load_b32 v1, v[1:2]
	s_or_b32 exec_lo, exec_lo, s24
	s_delay_alu instid0(SALU_CYCLE_1)
	s_mov_b32 s0, exec_lo
	v_cmpx_gt_u32_e64 s21, v18
	s_cbranch_execnz .LBB1139_16
.LBB1139_9:
	s_or_b32 exec_lo, exec_lo, s0
	s_delay_alu instid0(SALU_CYCLE_1)
	s_mov_b32 s0, exec_lo
	v_cmpx_gt_u32_e64 s21, v17
	s_cbranch_execz .LBB1139_17
.LBB1139_10:
	v_lshlrev_b32_e32 v3, 2, v0
	s_delay_alu instid0(VALU_DEP_1) | instskip(NEXT) | instid1(VALU_DEP_1)
	v_add_co_u32 v19, s24, s23, v3
	v_add_co_ci_u32_e64 v20, null, s1, 0, s24
	flat_load_b32 v3, v[19:20] offset:3072
	s_or_b32 exec_lo, exec_lo, s0
	s_delay_alu instid0(SALU_CYCLE_1)
	s_mov_b32 s0, exec_lo
	v_cmpx_gt_u32_e64 s21, v15
	s_cbranch_execnz .LBB1139_18
.LBB1139_11:
	s_or_b32 exec_lo, exec_lo, s0
	s_delay_alu instid0(SALU_CYCLE_1)
	s_mov_b32 s0, exec_lo
	v_cmpx_gt_u32_e64 s21, v14
	s_cbranch_execz .LBB1139_19
.LBB1139_12:
	v_lshlrev_b32_e32 v5, 2, v14
	s_delay_alu instid0(VALU_DEP_1) | instskip(NEXT) | instid1(VALU_DEP_1)
	v_add_co_u32 v19, s24, s23, v5
	v_add_co_ci_u32_e64 v20, null, s1, 0, s24
	flat_load_b32 v5, v[19:20]
	s_or_b32 exec_lo, exec_lo, s0
	s_delay_alu instid0(SALU_CYCLE_1)
	s_mov_b32 s0, exec_lo
	v_cmpx_gt_u32_e64 s21, v13
	s_cbranch_execnz .LBB1139_20
.LBB1139_13:
	s_or_b32 exec_lo, exec_lo, s0
	s_delay_alu instid0(SALU_CYCLE_1)
	s_mov_b32 s0, exec_lo
	v_cmpx_gt_u32_e64 s21, v12
	s_cbranch_execz .LBB1139_21
.LBB1139_14:
	v_lshlrev_b32_e32 v7, 2, v12
	s_delay_alu instid0(VALU_DEP_1) | instskip(NEXT) | instid1(VALU_DEP_1)
	v_add_co_u32 v19, s24, s23, v7
	v_add_co_ci_u32_e64 v20, null, s1, 0, s24
	flat_load_b32 v7, v[19:20]
	s_or_b32 exec_lo, exec_lo, s0
	s_delay_alu instid0(SALU_CYCLE_1)
	s_mov_b32 s0, exec_lo
	v_cmpx_gt_u32_e64 s21, v11
	s_cbranch_execnz .LBB1139_22
	s_branch .LBB1139_23
.LBB1139_15:
	s_or_b32 exec_lo, exec_lo, s24
	s_delay_alu instid0(SALU_CYCLE_1)
	s_mov_b32 s0, exec_lo
	v_cmpx_gt_u32_e64 s21, v18
	s_cbranch_execz .LBB1139_9
.LBB1139_16:
	v_lshlrev_b32_e32 v2, 2, v0
	s_delay_alu instid0(VALU_DEP_1) | instskip(NEXT) | instid1(VALU_DEP_1)
	v_add_co_u32 v19, s24, s23, v2
	v_add_co_ci_u32_e64 v20, null, s1, 0, s24
	flat_load_b32 v2, v[19:20] offset:1536
	s_or_b32 exec_lo, exec_lo, s0
	s_delay_alu instid0(SALU_CYCLE_1)
	s_mov_b32 s0, exec_lo
	v_cmpx_gt_u32_e64 s21, v17
	s_cbranch_execnz .LBB1139_10
.LBB1139_17:
	s_or_b32 exec_lo, exec_lo, s0
	s_delay_alu instid0(SALU_CYCLE_1)
	s_mov_b32 s0, exec_lo
	v_cmpx_gt_u32_e64 s21, v15
	s_cbranch_execz .LBB1139_11
.LBB1139_18:
	v_lshlrev_b32_e32 v4, 2, v15
	s_delay_alu instid0(VALU_DEP_1) | instskip(NEXT) | instid1(VALU_DEP_1)
	v_add_co_u32 v19, s24, s23, v4
	v_add_co_ci_u32_e64 v20, null, s1, 0, s24
	flat_load_b32 v4, v[19:20]
	s_or_b32 exec_lo, exec_lo, s0
	s_delay_alu instid0(SALU_CYCLE_1)
	s_mov_b32 s0, exec_lo
	v_cmpx_gt_u32_e64 s21, v14
	s_cbranch_execnz .LBB1139_12
.LBB1139_19:
	s_or_b32 exec_lo, exec_lo, s0
	s_delay_alu instid0(SALU_CYCLE_1)
	s_mov_b32 s0, exec_lo
	v_cmpx_gt_u32_e64 s21, v13
	s_cbranch_execz .LBB1139_13
.LBB1139_20:
	v_lshlrev_b32_e32 v6, 2, v13
	s_delay_alu instid0(VALU_DEP_1) | instskip(NEXT) | instid1(VALU_DEP_1)
	v_add_co_u32 v19, s24, s23, v6
	v_add_co_ci_u32_e64 v20, null, s1, 0, s24
	flat_load_b32 v6, v[19:20]
	s_or_b32 exec_lo, exec_lo, s0
	s_delay_alu instid0(SALU_CYCLE_1)
	s_mov_b32 s0, exec_lo
	v_cmpx_gt_u32_e64 s21, v12
	s_cbranch_execnz .LBB1139_14
.LBB1139_21:
	s_or_b32 exec_lo, exec_lo, s0
	s_delay_alu instid0(SALU_CYCLE_1)
	s_mov_b32 s0, exec_lo
	v_cmpx_gt_u32_e64 s21, v11
	s_cbranch_execz .LBB1139_23
.LBB1139_22:
	v_lshlrev_b32_e32 v8, 2, v11
	s_delay_alu instid0(VALU_DEP_1) | instskip(NEXT) | instid1(VALU_DEP_1)
	v_add_co_u32 v19, s24, s23, v8
	v_add_co_ci_u32_e64 v20, null, s1, 0, s24
	flat_load_b32 v8, v[19:20]
.LBB1139_23:
	s_or_b32 exec_lo, exec_lo, s0
	v_lshrrev_b32_e32 v19, 3, v18
	v_lshrrev_b32_e32 v20, 3, v17
	;; [unrolled: 1-line block ×4, first 2 shown]
	v_and_b32_e32 v21, 60, v16
	v_lshlrev_b32_e32 v22, 2, v0
	v_lshrrev_b32_e32 v25, 3, v13
	v_lshrrev_b32_e32 v26, 3, v12
	v_lshrrev_b32_e32 v27, 3, v11
	v_and_b32_e32 v19, 0x7c, v19
	v_and_b32_e32 v20, 0xfc, v20
	;; [unrolled: 1-line block ×4, first 2 shown]
	v_add_nc_u32_e32 v21, v21, v22
	v_and_b32_e32 v25, 0x1fc, v25
	v_and_b32_e32 v26, 0x1fc, v26
	;; [unrolled: 1-line block ×3, first 2 shown]
	v_add_nc_u32_e32 v19, v19, v22
	v_add_nc_u32_e32 v20, v20, v22
	;; [unrolled: 1-line block ×7, first 2 shown]
	s_waitcnt vmcnt(0) lgkmcnt(0)
	ds_store_b32 v21, v1
	ds_store_b32 v19, v2 offset:1536
	ds_store_b32 v20, v3 offset:3072
	;; [unrolled: 1-line block ×7, first 2 shown]
	s_waitcnt lgkmcnt(0)
	s_barrier
.LBB1139_24:
	v_lshlrev_b32_e32 v21, 3, v0
	v_lshrrev_b32_e32 v1, 2, v0
	s_waitcnt vmcnt(0)
	buffer_gl0_inv
	s_add_u32 s0, s8, s14
	s_addc_u32 s8, s9, s15
	s_add_u32 s0, s0, s4
	v_add_lshl_u32 v19, v1, v21, 2
	s_addc_u32 s4, s8, s5
	s_and_b32 vcc_lo, exec_lo, s19
	s_mov_b32 s5, -1
	ds_load_2addr_b32 v[7:8], v19 offset1:1
	ds_load_2addr_b32 v[5:6], v19 offset0:2 offset1:3
	ds_load_2addr_b32 v[3:4], v19 offset0:4 offset1:5
	;; [unrolled: 1-line block ×3, first 2 shown]
	s_waitcnt lgkmcnt(0)
	s_barrier
	buffer_gl0_inv
	s_cbranch_vccz .LBB1139_26
; %bb.25:
	v_lshlrev_b32_e32 v20, 2, v0
	v_lshrrev_b32_e32 v31, 3, v18
	v_lshrrev_b32_e32 v32, 3, v17
	;; [unrolled: 1-line block ×4, first 2 shown]
	v_add_co_u32 v22, s5, s0, v20
	s_delay_alu instid0(VALU_DEP_1) | instskip(SKIP_1) | instid1(VALU_DEP_3)
	v_add_co_ci_u32_e64 v23, null, s4, 0, s5
	v_lshrrev_b32_e32 v35, 3, v13
	v_add_co_u32 v24, vcc_lo, 0x1000, v22
	s_delay_alu instid0(VALU_DEP_3)
	v_add_co_ci_u32_e32 v25, vcc_lo, 0, v23, vcc_lo
	v_add_co_u32 v26, vcc_lo, 0x2000, v22
	v_add_co_ci_u32_e32 v27, vcc_lo, 0, v23, vcc_lo
	s_clause 0x7
	flat_load_b32 v28, v[22:23]
	flat_load_b32 v29, v[22:23] offset:1536
	flat_load_b32 v22, v[22:23] offset:3072
	;; [unrolled: 1-line block ×7, first 2 shown]
	v_and_b32_e32 v27, 60, v16
	v_lshrrev_b32_e32 v36, 3, v12
	v_lshrrev_b32_e32 v37, 3, v11
	v_and_b32_e32 v31, 0x7c, v31
	v_and_b32_e32 v32, 0xfc, v32
	;; [unrolled: 1-line block ×4, first 2 shown]
	v_add_nc_u32_e32 v27, v27, v20
	v_and_b32_e32 v35, 0x1fc, v35
	v_and_b32_e32 v36, 0x17c, v36
	v_and_b32_e32 v37, 0x1fc, v37
	v_add_nc_u32_e32 v31, v31, v20
	v_add_nc_u32_e32 v32, v32, v20
	;; [unrolled: 1-line block ×4, first 2 shown]
	s_mov_b32 s5, 0
	v_add_nc_u32_e32 v35, v35, v20
	v_add_nc_u32_e32 v36, v36, v20
	;; [unrolled: 1-line block ×3, first 2 shown]
	s_waitcnt vmcnt(7) lgkmcnt(7)
	ds_store_b32 v27, v28
	s_waitcnt vmcnt(6) lgkmcnt(7)
	ds_store_b32 v31, v29 offset:1536
	s_waitcnt vmcnt(5) lgkmcnt(7)
	ds_store_b32 v32, v22 offset:3072
	;; [unrolled: 2-line block ×7, first 2 shown]
	s_waitcnt lgkmcnt(0)
	s_barrier
.LBB1139_26:
	s_and_not1_b32 vcc_lo, exec_lo, s5
	s_cbranch_vccnz .LBB1139_44
; %bb.27:
	s_mov_b32 s5, exec_lo
                                        ; implicit-def: $vgpr20
	v_cmpx_gt_u32_e64 s21, v0
	s_cbranch_execz .LBB1139_29
; %bb.28:
	v_lshlrev_b32_e32 v20, 2, v0
	s_delay_alu instid0(VALU_DEP_1) | instskip(NEXT) | instid1(VALU_DEP_1)
	v_add_co_u32 v22, s8, s0, v20
	v_add_co_ci_u32_e64 v23, null, s4, 0, s8
	flat_load_b32 v20, v[22:23]
.LBB1139_29:
	s_or_b32 exec_lo, exec_lo, s5
	s_delay_alu instid0(SALU_CYCLE_1)
	s_mov_b32 s5, exec_lo
                                        ; implicit-def: $vgpr22
	v_cmpx_gt_u32_e64 s21, v18
	s_cbranch_execz .LBB1139_31
; %bb.30:
	v_lshlrev_b32_e32 v22, 2, v0
	s_delay_alu instid0(VALU_DEP_1) | instskip(NEXT) | instid1(VALU_DEP_1)
	v_add_co_u32 v22, s8, s0, v22
	v_add_co_ci_u32_e64 v23, null, s4, 0, s8
	flat_load_b32 v22, v[22:23] offset:1536
.LBB1139_31:
	s_or_b32 exec_lo, exec_lo, s5
	s_delay_alu instid0(SALU_CYCLE_1)
	s_mov_b32 s5, exec_lo
                                        ; implicit-def: $vgpr23
	v_cmpx_gt_u32_e64 s21, v17
	s_cbranch_execz .LBB1139_33
; %bb.32:
	v_lshlrev_b32_e32 v23, 2, v0
	s_delay_alu instid0(VALU_DEP_1) | instskip(NEXT) | instid1(VALU_DEP_1)
	v_add_co_u32 v23, s8, s0, v23
	v_add_co_ci_u32_e64 v24, null, s4, 0, s8
	flat_load_b32 v23, v[23:24] offset:3072
.LBB1139_33:
	s_or_b32 exec_lo, exec_lo, s5
	s_delay_alu instid0(SALU_CYCLE_1)
	s_mov_b32 s5, exec_lo
                                        ; implicit-def: $vgpr24
	v_cmpx_gt_u32_e64 s21, v15
	s_cbranch_execz .LBB1139_35
; %bb.34:
	v_lshlrev_b32_e32 v24, 2, v15
	s_delay_alu instid0(VALU_DEP_1) | instskip(NEXT) | instid1(VALU_DEP_1)
	v_add_co_u32 v24, s8, s0, v24
	v_add_co_ci_u32_e64 v25, null, s4, 0, s8
	flat_load_b32 v24, v[24:25]
.LBB1139_35:
	s_or_b32 exec_lo, exec_lo, s5
	s_delay_alu instid0(SALU_CYCLE_1)
	s_mov_b32 s5, exec_lo
                                        ; implicit-def: $vgpr25
	v_cmpx_gt_u32_e64 s21, v14
	s_cbranch_execz .LBB1139_37
; %bb.36:
	v_lshlrev_b32_e32 v25, 2, v14
	s_delay_alu instid0(VALU_DEP_1) | instskip(NEXT) | instid1(VALU_DEP_1)
	v_add_co_u32 v25, s8, s0, v25
	v_add_co_ci_u32_e64 v26, null, s4, 0, s8
	flat_load_b32 v25, v[25:26]
.LBB1139_37:
	s_or_b32 exec_lo, exec_lo, s5
	s_delay_alu instid0(SALU_CYCLE_1)
	s_mov_b32 s5, exec_lo
                                        ; implicit-def: $vgpr26
	v_cmpx_gt_u32_e64 s21, v13
	s_cbranch_execz .LBB1139_39
; %bb.38:
	v_lshlrev_b32_e32 v26, 2, v13
	s_delay_alu instid0(VALU_DEP_1) | instskip(NEXT) | instid1(VALU_DEP_1)
	v_add_co_u32 v26, s8, s0, v26
	v_add_co_ci_u32_e64 v27, null, s4, 0, s8
	flat_load_b32 v26, v[26:27]
.LBB1139_39:
	s_or_b32 exec_lo, exec_lo, s5
	s_delay_alu instid0(SALU_CYCLE_1)
	s_mov_b32 s5, exec_lo
                                        ; implicit-def: $vgpr27
	v_cmpx_gt_u32_e64 s21, v12
	s_cbranch_execz .LBB1139_41
; %bb.40:
	v_lshlrev_b32_e32 v27, 2, v12
	s_delay_alu instid0(VALU_DEP_1) | instskip(NEXT) | instid1(VALU_DEP_1)
	v_add_co_u32 v27, s8, s0, v27
	v_add_co_ci_u32_e64 v28, null, s4, 0, s8
	flat_load_b32 v27, v[27:28]
.LBB1139_41:
	s_or_b32 exec_lo, exec_lo, s5
	s_delay_alu instid0(SALU_CYCLE_1)
	s_mov_b32 s5, exec_lo
                                        ; implicit-def: $vgpr28
	v_cmpx_gt_u32_e64 s21, v11
	s_cbranch_execz .LBB1139_43
; %bb.42:
	v_lshlrev_b32_e32 v28, 2, v11
	s_delay_alu instid0(VALU_DEP_1) | instskip(NEXT) | instid1(VALU_DEP_1)
	v_add_co_u32 v28, s0, s0, v28
	v_add_co_ci_u32_e64 v29, null, s4, 0, s0
	flat_load_b32 v28, v[28:29]
.LBB1139_43:
	s_or_b32 exec_lo, exec_lo, s5
	v_lshrrev_b32_e32 v18, 3, v18
	v_lshrrev_b32_e32 v17, 3, v17
	;; [unrolled: 1-line block ×4, first 2 shown]
	v_and_b32_e32 v16, 60, v16
	v_lshlrev_b32_e32 v29, 2, v0
	v_lshrrev_b32_e32 v13, 3, v13
	v_lshrrev_b32_e32 v12, 3, v12
	;; [unrolled: 1-line block ×3, first 2 shown]
	v_and_b32_e32 v18, 0x7c, v18
	v_and_b32_e32 v17, 0xfc, v17
	v_and_b32_e32 v15, 0xfc, v15
	v_and_b32_e32 v14, 0xfc, v14
	v_add_nc_u32_e32 v16, v16, v29
	v_and_b32_e32 v13, 0x1fc, v13
	v_and_b32_e32 v12, 0x1fc, v12
	;; [unrolled: 1-line block ×3, first 2 shown]
	v_add_nc_u32_e32 v18, v18, v29
	v_add_nc_u32_e32 v17, v17, v29
	v_add_nc_u32_e32 v15, v15, v29
	v_add_nc_u32_e32 v14, v14, v29
	v_add_nc_u32_e32 v13, v13, v29
	v_add_nc_u32_e32 v12, v12, v29
	v_add_nc_u32_e32 v11, v11, v29
	s_waitcnt vmcnt(0) lgkmcnt(0)
	ds_store_b32 v16, v20
	ds_store_b32 v18, v22 offset:1536
	ds_store_b32 v17, v23 offset:3072
	;; [unrolled: 1-line block ×7, first 2 shown]
	s_waitcnt lgkmcnt(0)
	s_barrier
.LBB1139_44:
	buffer_gl0_inv
	ds_load_2addr_b32 v[17:18], v19 offset1:1
	ds_load_2addr_b32 v[15:16], v19 offset0:2 offset1:3
	ds_load_2addr_b32 v[13:14], v19 offset0:4 offset1:5
	ds_load_2addr_b32 v[11:12], v19 offset0:6 offset1:7
	s_cmp_lg_u32 s20, 0
	s_mov_b32 s14, 0
	s_cselect_b32 s9, -1, 0
	s_cmp_lg_u64 s[6:7], 0
	s_waitcnt lgkmcnt(0)
	s_cselect_b32 s0, -1, 0
	s_barrier
	s_or_b32 s0, s0, s9
	buffer_gl0_inv
	s_and_b32 vcc_lo, exec_lo, s0
	s_cbranch_vccz .LBB1139_49
; %bb.45:
	v_add_co_u32 v19, s0, -4, s23
	s_delay_alu instid0(VALU_DEP_1)
	v_add_co_ci_u32_e64 v20, null, -1, s1, s0
	v_lshlrev_b32_e32 v23, 2, v0
	s_mov_b32 s1, -1
	s_and_b32 vcc_lo, exec_lo, s19
	flat_load_b32 v22, v[19:20]
	ds_store_b32 v23, v2
	s_cbranch_vccz .LBB1139_50
; %bb.46:
	s_waitcnt vmcnt(0) lgkmcnt(1)
	v_mov_b32_e32 v19, v22
	s_waitcnt lgkmcnt(0)
	s_barrier
	buffer_gl0_inv
	s_and_saveexec_b32 s0, s3
	s_cbranch_execz .LBB1139_48
; %bb.47:
	v_add_nc_u32_e32 v19, -4, v23
	ds_load_b32 v19, v19
.LBB1139_48:
	s_or_b32 exec_lo, exec_lo, s0
	v_cmp_ne_u32_e32 vcc_lo, v1, v2
	s_waitcnt lgkmcnt(0)
	v_cmp_ne_u32_e64 s0, v19, v7
	v_cndmask_b32_e64 v20, 0, 1, vcc_lo
	v_cmp_ne_u32_e32 vcc_lo, v4, v1
	s_delay_alu instid0(VALU_DEP_2) | instskip(SKIP_2) | instid1(VALU_DEP_2)
	v_lshlrev_b16 v20, 8, v20
	v_cndmask_b32_e64 v24, 0, 1, vcc_lo
	v_cmp_ne_u32_e32 vcc_lo, v3, v4
	v_or_b32_e32 v20, v24, v20
	v_cndmask_b32_e64 v25, 0, 1, vcc_lo
	v_cmp_ne_u32_e32 vcc_lo, v5, v6
	s_delay_alu instid0(VALU_DEP_3) | instskip(NEXT) | instid1(VALU_DEP_3)
	v_lshlrev_b32_e32 v20, 16, v20
	v_lshlrev_b16 v25, 8, v25
	v_cndmask_b32_e64 v26, 0, 1, vcc_lo
	v_cmp_ne_u32_e32 vcc_lo, v6, v3
	s_delay_alu instid0(VALU_DEP_2) | instskip(SKIP_2) | instid1(VALU_DEP_2)
	v_lshlrev_b16 v26, 8, v26
	v_cndmask_b32_e64 v27, 0, 1, vcc_lo
	v_cmp_ne_u32_e32 vcc_lo, v8, v5
	v_or_b32_e32 v25, v27, v25
	v_cndmask_b32_e64 v28, 0, 1, vcc_lo
	v_cmp_ne_u32_e32 vcc_lo, v7, v8
	s_delay_alu instid0(VALU_DEP_3) | instskip(NEXT) | instid1(VALU_DEP_3)
	v_and_b32_e32 v25, 0xffff, v25
	v_or_b32_e32 v26, v28, v26
	v_cndmask_b32_e64 v29, 0, 1, vcc_lo
	s_delay_alu instid0(VALU_DEP_3) | instskip(NEXT) | instid1(VALU_DEP_3)
	v_or_b32_e32 v20, v25, v20
	v_lshlrev_b32_e32 v24, 16, v26
	s_delay_alu instid0(VALU_DEP_3) | instskip(NEXT) | instid1(VALU_DEP_1)
	v_lshlrev_b16 v28, 8, v29
	v_and_b32_e32 v26, 0xffff, v28
	s_delay_alu instid0(VALU_DEP_1)
	v_or_b32_e32 v19, v26, v24
	s_branch .LBB1139_54
.LBB1139_49:
                                        ; implicit-def: $sgpr0
                                        ; implicit-def: $vgpr20
	s_branch .LBB1139_55
.LBB1139_50:
                                        ; implicit-def: $sgpr0
                                        ; implicit-def: $vgpr20
	s_and_b32 vcc_lo, exec_lo, s1
	s_cbranch_vccz .LBB1139_54
; %bb.51:
	s_waitcnt vmcnt(0) lgkmcnt(0)
	s_barrier
	buffer_gl0_inv
	s_and_saveexec_b32 s0, s3
	s_cbranch_execz .LBB1139_53
; %bb.52:
	v_add_nc_u32_e32 v19, -4, v23
	ds_load_b32 v22, v19
.LBB1139_53:
	s_or_b32 exec_lo, exec_lo, s0
	v_or_b32_e32 v19, 7, v21
	v_or_b32_e32 v20, 6, v21
	v_or_b32_e32 v23, 5, v21
	v_cmp_ne_u32_e32 vcc_lo, v1, v2
	v_cmp_ne_u32_e64 s1, v4, v1
	v_cmp_gt_u32_e64 s0, s21, v19
	v_cmp_gt_u32_e64 s5, s21, v20
	v_cmp_ne_u32_e64 s4, v3, v4
	v_cmp_gt_u32_e64 s6, s21, v23
	v_or_b32_e32 v20, 3, v21
	s_and_b32 s0, s0, vcc_lo
	v_or_b32_e32 v24, 4, v21
	v_cndmask_b32_e64 v19, 0, 1, s0
	s_and_b32 s0, s5, s1
	v_cmp_gt_u32_e32 vcc_lo, s21, v20
	v_cndmask_b32_e64 v23, 0, 1, s0
	s_and_b32 s0, s6, s4
	v_or_b32_e32 v20, 2, v21
	v_cndmask_b32_e64 v25, 0, 1, s0
	v_cmp_ne_u32_e64 s0, v5, v6
	v_cmp_gt_u32_e64 s1, s21, v24
	v_or_b32_e32 v24, 1, v21
	v_cmp_ne_u32_e64 s4, v6, v3
	v_cmp_ne_u32_e64 s6, v7, v8
	s_and_b32 s0, vcc_lo, s0
	v_cmp_gt_u32_e32 vcc_lo, s21, v20
	v_cndmask_b32_e64 v26, 0, 1, s0
	v_cmp_ne_u32_e64 s0, v8, v5
	v_cmp_gt_u32_e64 s5, s21, v24
	s_and_b32 s1, s1, s4
	v_lshlrev_b16 v25, 8, v25
	v_cndmask_b32_e64 v20, 0, 1, s1
	s_and_b32 s0, vcc_lo, s0
	v_lshlrev_b16 v26, 8, v26
	v_cndmask_b32_e64 v24, 0, 1, s0
	s_and_b32 s0, s5, s6
	v_lshlrev_b16 v19, 8, v19
	v_cndmask_b32_e64 v27, 0, 1, s0
	v_or_b32_e32 v20, v20, v25
	v_or_b32_e32 v24, v24, v26
	v_cmp_gt_u32_e32 vcc_lo, s21, v21
	v_or_b32_e32 v19, v23, v19
	v_lshlrev_b16 v26, 8, v27
	v_and_b32_e32 v20, 0xffff, v20
	v_lshlrev_b32_e32 v23, 16, v24
	s_waitcnt lgkmcnt(0)
	v_cmp_ne_u32_e64 s0, v22, v7
	v_lshlrev_b32_e32 v25, 16, v19
	v_and_b32_e32 v24, 0xffff, v26
	s_delay_alu instid0(VALU_DEP_3) | instskip(NEXT) | instid1(VALU_DEP_2)
	s_and_b32 s0, vcc_lo, s0
	v_or_b32_e32 v20, v20, v25
	s_delay_alu instid0(VALU_DEP_2)
	v_or_b32_e32 v19, v24, v23
.LBB1139_54:
	s_mov_b32 s14, -1
	s_cbranch_execnz .LBB1139_63
.LBB1139_55:
	s_waitcnt vmcnt(0) lgkmcnt(1)
	v_lshlrev_b32_e32 v22, 2, v0
	v_cmp_ne_u32_e64 s1, v1, v2
	v_cmp_ne_u32_e64 s4, v4, v1
	;; [unrolled: 1-line block ×7, first 2 shown]
	s_and_b32 vcc_lo, exec_lo, s19
	ds_store_b32 v22, v2
	s_cbranch_vccz .LBB1139_59
; %bb.56:
	v_cndmask_b32_e64 v19, 0, 1, s1
	v_cndmask_b32_e64 v23, 0, 1, s5
	;; [unrolled: 1-line block ×7, first 2 shown]
	v_lshlrev_b16 v23, 8, v23
	v_lshlrev_b16 v19, 8, v19
	;; [unrolled: 1-line block ×4, first 2 shown]
	s_waitcnt lgkmcnt(0)
	v_or_b32_e32 v23, v24, v23
	v_or_b32_e32 v19, v20, v19
	;; [unrolled: 1-line block ×4, first 2 shown]
	s_barrier
	v_and_b32_e32 v23, 0xffff, v23
	v_lshlrev_b32_e32 v19, 16, v19
	v_lshlrev_b32_e32 v25, 16, v20
	v_and_b32_e32 v24, 0xffff, v24
	buffer_gl0_inv
                                        ; implicit-def: $sgpr0
	v_or_b32_e32 v20, v23, v19
	v_or_b32_e32 v19, v24, v25
	s_and_saveexec_b32 s1, s3
	s_delay_alu instid0(SALU_CYCLE_1)
	s_xor_b32 s1, exec_lo, s1
	s_cbranch_execz .LBB1139_58
; %bb.57:
	v_add_nc_u32_e32 v23, -4, v22
	s_or_b32 s14, s14, exec_lo
	ds_load_b32 v23, v23
	s_waitcnt lgkmcnt(0)
	v_cmp_ne_u32_e32 vcc_lo, v23, v7
	s_and_b32 s0, vcc_lo, exec_lo
.LBB1139_58:
	s_or_b32 exec_lo, exec_lo, s1
	s_branch .LBB1139_63
.LBB1139_59:
                                        ; implicit-def: $sgpr0
                                        ; implicit-def: $vgpr20
	s_cbranch_execz .LBB1139_63
; %bb.60:
	v_or_b32_e32 v19, 7, v21
	v_or_b32_e32 v20, 6, v21
	v_cmp_ne_u32_e32 vcc_lo, v1, v2
	v_cmp_ne_u32_e64 s1, v4, v1
	v_or_b32_e32 v23, 5, v21
	v_cmp_gt_u32_e64 s0, s21, v19
	v_cmp_gt_u32_e64 s4, s21, v20
	v_or_b32_e32 v19, 4, v21
	v_or_b32_e32 v24, 3, v21
	v_cmp_gt_u32_e64 s5, s21, v23
	s_and_b32 s0, s0, vcc_lo
	v_cmp_ne_u32_e32 vcc_lo, v3, v4
	v_cndmask_b32_e64 v20, 0, 1, s0
	s_and_b32 s0, s4, s1
	v_cmp_ne_u32_e64 s1, v6, v3
	v_cndmask_b32_e64 v23, 0, 1, s0
	v_cmp_gt_u32_e64 s0, s21, v19
	v_or_b32_e32 v25, 1, v21
	s_and_b32 s4, s5, vcc_lo
	v_cmp_gt_u32_e32 vcc_lo, s21, v24
	v_cndmask_b32_e64 v19, 0, 1, s4
	s_and_b32 s0, s0, s1
	v_or_b32_e32 v27, 2, v21
	v_cndmask_b32_e64 v26, 0, 1, s0
	v_cmp_ne_u32_e64 s0, v5, v6
	v_cmp_gt_u32_e64 s1, s21, v25
	v_cmp_ne_u32_e64 s4, v7, v8
	v_cmp_gt_u32_e64 s5, s21, v27
	v_cmp_ne_u32_e64 s6, v8, v5
	s_and_b32 s0, vcc_lo, s0
	v_lshlrev_b16 v19, 8, v19
	v_cndmask_b32_e64 v24, 0, 1, s0
	s_and_b32 s0, s1, s4
	v_lshlrev_b16 v20, 8, v20
	v_cndmask_b32_e64 v25, 0, 1, s0
	s_and_b32 s0, s5, s6
	v_lshlrev_b16 v24, 8, v24
	v_cndmask_b32_e64 v27, 0, 1, s0
	v_or_b32_e32 v19, v26, v19
	v_lshlrev_b16 v25, 8, v25
	v_or_b32_e32 v20, v23, v20
	s_waitcnt lgkmcnt(0)
	v_or_b32_e32 v23, v27, v24
	v_and_b32_e32 v19, 0xffff, v19
	v_or_b32_e32 v24, 1, v25
	v_lshlrev_b32_e32 v20, 16, v20
	s_barrier
	v_lshlrev_b32_e32 v23, 16, v23
	buffer_gl0_inv
	v_and_b32_e32 v24, 0xffff, v24
	v_or_b32_e32 v20, v19, v20
                                        ; implicit-def: $sgpr0
	s_delay_alu instid0(VALU_DEP_2)
	v_or_b32_e32 v19, v24, v23
	s_and_saveexec_b32 s1, s3
	s_cbranch_execz .LBB1139_62
; %bb.61:
	v_add_nc_u32_e32 v22, -4, v22
	v_cmp_gt_u32_e32 vcc_lo, s21, v21
	s_or_b32 s14, s14, exec_lo
	ds_load_b32 v22, v22
	s_waitcnt lgkmcnt(0)
	v_cmp_ne_u32_e64 s0, v22, v7
	s_delay_alu instid0(VALU_DEP_1) | instskip(NEXT) | instid1(SALU_CYCLE_1)
	s_and_b32 s0, vcc_lo, s0
	s_and_b32 s0, s0, exec_lo
.LBB1139_62:
	s_or_b32 exec_lo, exec_lo, s1
.LBB1139_63:
	s_and_saveexec_b32 s1, s14
	s_cbranch_execz .LBB1139_65
; %bb.64:
	s_waitcnt vmcnt(0) lgkmcnt(1)
	v_and_b32_e32 v22, 0xffffff00, v19
	v_cndmask_b32_e64 v23, 0, 1, s0
	s_delay_alu instid0(VALU_DEP_1) | instskip(NEXT) | instid1(VALU_DEP_1)
	v_or_b32_e32 v22, v23, v22
	v_and_b32_e32 v22, 0xffff, v22
	s_delay_alu instid0(VALU_DEP_1)
	v_and_or_b32 v19, 0xffff0000, v19, v22
.LBB1139_65:
	s_or_b32 exec_lo, exec_lo, s1
	s_delay_alu instid0(SALU_CYCLE_1)
	s_and_not1_b32 vcc_lo, exec_lo, s22
	s_cbranch_vccnz .LBB1139_67
; %bb.66:
	v_cmp_gt_u32_e32 vcc_lo, s21, v21
	v_or_b32_e32 v23, 1, v21
	v_and_b32_e32 v24, 0xffffff00, v20
	v_or_b32_e32 v25, 2, v21
	s_waitcnt vmcnt(0) lgkmcnt(1)
	v_cndmask_b32_e32 v22, 0, v19, vcc_lo
	v_cmp_gt_u32_e32 vcc_lo, s21, v23
	v_or_b32_e32 v23, 4, v21
	v_cmp_gt_u32_e64 s0, s21, v25
	v_or_b32_e32 v25, 3, v21
	v_and_b32_e32 v22, 0xff, v22
	s_delay_alu instid0(VALU_DEP_2) | instskip(NEXT) | instid1(VALU_DEP_2)
	v_cmp_gt_u32_e64 s1, s21, v25
	v_cndmask_b32_e32 v22, v22, v19, vcc_lo
	v_cmp_gt_u32_e32 vcc_lo, s21, v23
	s_delay_alu instid0(VALU_DEP_2) | instskip(SKIP_1) | instid1(VALU_DEP_2)
	v_dual_cndmask_b32 v23, v24, v20 :: v_dual_and_b32 v22, 0xffff, v22
	v_or_b32_e32 v24, 5, v21
	v_cndmask_b32_e64 v22, v22, v19, s0
	s_delay_alu instid0(VALU_DEP_3) | instskip(NEXT) | instid1(VALU_DEP_3)
	v_and_b32_e32 v23, 0xffff00ff, v23
	v_cmp_gt_u32_e64 s0, s21, v24
	v_or_b32_e32 v24, 6, v21
	v_or_b32_e32 v21, 7, v21
	v_and_b32_e32 v22, 0xffffff, v22
	s_delay_alu instid0(VALU_DEP_4) | instskip(NEXT) | instid1(VALU_DEP_2)
	v_cndmask_b32_e64 v23, v23, v20, s0
	v_cndmask_b32_e64 v22, v22, v19, s1
	s_delay_alu instid0(VALU_DEP_2) | instskip(NEXT) | instid1(VALU_DEP_2)
	v_and_b32_e32 v23, 0xff00ffff, v23
	v_cndmask_b32_e32 v22, v22, v19, vcc_lo
	v_cmp_gt_u32_e32 vcc_lo, s21, v24
	s_delay_alu instid0(VALU_DEP_2) | instskip(NEXT) | instid1(VALU_DEP_1)
	v_cndmask_b32_e64 v22, v22, v19, s0
	v_dual_cndmask_b32 v23, v23, v20 :: v_dual_cndmask_b32 v22, v22, v19
	s_delay_alu instid0(VALU_DEP_1) | instskip(SKIP_1) | instid1(VALU_DEP_2)
	v_and_b32_e32 v23, 0xffffff, v23
	v_cmp_gt_u32_e32 vcc_lo, s21, v21
	v_dual_cndmask_b32 v20, v23, v20 :: v_dual_cndmask_b32 v19, v22, v19
.LBB1139_67:
	s_delay_alu instid0(VALU_DEP_1) | instskip(NEXT) | instid1(VALU_DEP_2)
	v_and_b32_e32 v30, 0xff, v19
	v_alignbit_b32 v21, v20, v19, 24
	v_bfe_u32 v32, v19, 8, 8
	v_bfe_u32 v34, v19, 16, 8
	v_and_b32_e32 v38, 0xff, v20
	v_bfe_u32 v40, v20, 8, 8
	v_and_b32_e32 v36, 0xff, v21
	v_add_nc_u32_e32 v21, v32, v30
	s_waitcnt vmcnt(0) lgkmcnt(1)
	v_and_b32_e32 v22, 0x1e0, v0
	v_mbcnt_lo_u32_b32 v43, -1, 0
	v_bfe_u32 v42, v20, 16, 8
	v_lshrrev_b32_e32 v41, 24, v20
	v_add3_u32 v21, v21, v34, v36
	v_min_u32_e32 v22, 0x160, v22
	v_and_b32_e32 v23, 15, v43
	v_lshrrev_b32_e32 v44, 5, v0
	s_and_b32 vcc_lo, exec_lo, s9
	v_add3_u32 v21, v21, v38, v40
	v_or_b32_e32 v22, 31, v22
	v_cmp_eq_u32_e64 s3, 0, v23
	v_cmp_lt_u32_e64 s4, 1, v23
	v_cmp_lt_u32_e64 s1, 3, v23
	v_add3_u32 v45, v21, v42, v41
	v_and_b32_e32 v21, 16, v43
	v_cmp_lt_u32_e64 s0, 7, v23
	v_cmp_eq_u32_e64 s5, v22, v0
	s_mov_b32 s7, -1
	s_waitcnt lgkmcnt(0)
	v_cmp_eq_u32_e64 s6, 0, v21
	s_barrier
	buffer_gl0_inv
	s_cbranch_vccz .LBB1139_93
; %bb.68:
	v_mov_b32_dpp v21, v45 row_shr:1 row_mask:0xf bank_mask:0xf
	s_delay_alu instid0(VALU_DEP_1) | instskip(NEXT) | instid1(VALU_DEP_1)
	v_cndmask_b32_e64 v21, v21, 0, s3
	v_add_nc_u32_e32 v21, v21, v45
	s_delay_alu instid0(VALU_DEP_1) | instskip(NEXT) | instid1(VALU_DEP_1)
	v_mov_b32_dpp v22, v21 row_shr:2 row_mask:0xf bank_mask:0xf
	v_cndmask_b32_e64 v22, 0, v22, s4
	s_delay_alu instid0(VALU_DEP_1) | instskip(NEXT) | instid1(VALU_DEP_1)
	v_add_nc_u32_e32 v21, v21, v22
	v_mov_b32_dpp v22, v21 row_shr:4 row_mask:0xf bank_mask:0xf
	s_delay_alu instid0(VALU_DEP_1) | instskip(NEXT) | instid1(VALU_DEP_1)
	v_cndmask_b32_e64 v22, 0, v22, s1
	v_add_nc_u32_e32 v21, v21, v22
	s_delay_alu instid0(VALU_DEP_1) | instskip(NEXT) | instid1(VALU_DEP_1)
	v_mov_b32_dpp v22, v21 row_shr:8 row_mask:0xf bank_mask:0xf
	v_cndmask_b32_e64 v22, 0, v22, s0
	s_delay_alu instid0(VALU_DEP_1) | instskip(SKIP_3) | instid1(VALU_DEP_1)
	v_add_nc_u32_e32 v21, v21, v22
	ds_swizzle_b32 v22, v21 offset:swizzle(BROADCAST,32,15)
	s_waitcnt lgkmcnt(0)
	v_cndmask_b32_e64 v22, v22, 0, s6
	v_add_nc_u32_e32 v21, v21, v22
	s_and_saveexec_b32 s7, s5
	s_cbranch_execz .LBB1139_70
; %bb.69:
	v_lshlrev_b32_e32 v22, 2, v44
	ds_store_b32 v22, v21
.LBB1139_70:
	s_or_b32 exec_lo, exec_lo, s7
	s_delay_alu instid0(SALU_CYCLE_1)
	s_mov_b32 s7, exec_lo
	s_waitcnt lgkmcnt(0)
	s_barrier
	buffer_gl0_inv
	v_cmpx_gt_u32_e32 12, v0
	s_cbranch_execz .LBB1139_72
; %bb.71:
	v_lshlrev_b32_e32 v22, 2, v0
	ds_load_b32 v23, v22
	s_waitcnt lgkmcnt(0)
	v_mov_b32_dpp v24, v23 row_shr:1 row_mask:0xf bank_mask:0xf
	s_delay_alu instid0(VALU_DEP_1) | instskip(NEXT) | instid1(VALU_DEP_1)
	v_cndmask_b32_e64 v24, v24, 0, s3
	v_add_nc_u32_e32 v23, v24, v23
	s_delay_alu instid0(VALU_DEP_1) | instskip(NEXT) | instid1(VALU_DEP_1)
	v_mov_b32_dpp v24, v23 row_shr:2 row_mask:0xf bank_mask:0xf
	v_cndmask_b32_e64 v24, 0, v24, s4
	s_delay_alu instid0(VALU_DEP_1) | instskip(NEXT) | instid1(VALU_DEP_1)
	v_add_nc_u32_e32 v23, v23, v24
	v_mov_b32_dpp v24, v23 row_shr:4 row_mask:0xf bank_mask:0xf
	s_delay_alu instid0(VALU_DEP_1) | instskip(NEXT) | instid1(VALU_DEP_1)
	v_cndmask_b32_e64 v24, 0, v24, s1
	v_add_nc_u32_e32 v23, v23, v24
	s_delay_alu instid0(VALU_DEP_1) | instskip(NEXT) | instid1(VALU_DEP_1)
	v_mov_b32_dpp v24, v23 row_shr:8 row_mask:0xf bank_mask:0xf
	v_cndmask_b32_e64 v24, 0, v24, s0
	s_delay_alu instid0(VALU_DEP_1)
	v_add_nc_u32_e32 v23, v23, v24
	ds_store_b32 v22, v23
.LBB1139_72:
	s_or_b32 exec_lo, exec_lo, s7
	v_cmp_gt_u32_e32 vcc_lo, 32, v0
	s_mov_b32 s8, exec_lo
	s_waitcnt lgkmcnt(0)
	s_barrier
	buffer_gl0_inv
                                        ; implicit-def: $vgpr29
	v_cmpx_lt_u32_e32 31, v0
	s_cbranch_execz .LBB1139_74
; %bb.73:
	v_lshl_add_u32 v22, v44, 2, -4
	ds_load_b32 v29, v22
	s_waitcnt lgkmcnt(0)
	v_add_nc_u32_e32 v21, v29, v21
.LBB1139_74:
	s_or_b32 exec_lo, exec_lo, s8
	v_add_nc_u32_e32 v22, -1, v43
	s_delay_alu instid0(VALU_DEP_1) | instskip(NEXT) | instid1(VALU_DEP_1)
	v_cmp_gt_i32_e64 s7, 0, v22
	v_cndmask_b32_e64 v22, v22, v43, s7
	v_cmp_eq_u32_e64 s7, 0, v43
	s_delay_alu instid0(VALU_DEP_2)
	v_lshlrev_b32_e32 v22, 2, v22
	ds_bpermute_b32 v31, v22, v21
	s_and_saveexec_b32 s8, vcc_lo
	s_cbranch_execz .LBB1139_92
; %bb.75:
	v_mov_b32_e32 v25, 0
	ds_load_b32 v21, v25 offset:44
	s_and_saveexec_b32 s9, s7
	s_cbranch_execz .LBB1139_77
; %bb.76:
	s_add_i32 s14, s20, 32
	s_mov_b32 s15, 0
	v_mov_b32_e32 v22, 1
	s_lshl_b64 s[14:15], s[14:15], 3
	s_delay_alu instid0(SALU_CYCLE_1)
	s_add_u32 s14, s16, s14
	s_addc_u32 s15, s17, s15
	s_waitcnt lgkmcnt(0)
	global_store_b64 v25, v[21:22], s[14:15]
.LBB1139_77:
	s_or_b32 exec_lo, exec_lo, s9
	v_xad_u32 v23, v43, -1, s20
	s_mov_b32 s14, 0
	s_mov_b32 s9, exec_lo
	s_delay_alu instid0(VALU_DEP_1) | instskip(NEXT) | instid1(VALU_DEP_1)
	v_add_nc_u32_e32 v24, 32, v23
	v_lshlrev_b64 v[24:25], 3, v[24:25]
	s_delay_alu instid0(VALU_DEP_1) | instskip(NEXT) | instid1(VALU_DEP_2)
	v_add_co_u32 v27, vcc_lo, s16, v24
	v_add_co_ci_u32_e32 v28, vcc_lo, s17, v25, vcc_lo
	global_load_b64 v[25:26], v[27:28], off glc
	s_waitcnt vmcnt(0)
	v_and_b32_e32 v22, 0xff, v26
	s_delay_alu instid0(VALU_DEP_1)
	v_cmpx_eq_u16_e32 0, v22
	s_cbranch_execz .LBB1139_80
.LBB1139_78:                            ; =>This Inner Loop Header: Depth=1
	global_load_b64 v[25:26], v[27:28], off glc
	s_waitcnt vmcnt(0)
	v_and_b32_e32 v22, 0xff, v26
	s_delay_alu instid0(VALU_DEP_1) | instskip(SKIP_1) | instid1(SALU_CYCLE_1)
	v_cmp_ne_u16_e32 vcc_lo, 0, v22
	s_or_b32 s14, vcc_lo, s14
	s_and_not1_b32 exec_lo, exec_lo, s14
	s_cbranch_execnz .LBB1139_78
; %bb.79:
	s_or_b32 exec_lo, exec_lo, s14
.LBB1139_80:
	s_delay_alu instid0(SALU_CYCLE_1)
	s_or_b32 exec_lo, exec_lo, s9
	v_cmp_ne_u32_e32 vcc_lo, 31, v43
	v_lshlrev_b32_e64 v35, v43, -1
	v_add_nc_u32_e32 v39, 2, v43
	v_add_nc_u32_e32 v47, 4, v43
	;; [unrolled: 1-line block ×3, first 2 shown]
	v_add_co_ci_u32_e32 v22, vcc_lo, 0, v43, vcc_lo
	v_add_nc_u32_e32 v51, 16, v43
	s_delay_alu instid0(VALU_DEP_2)
	v_lshlrev_b32_e32 v33, 2, v22
	v_and_b32_e32 v22, 0xff, v26
	ds_bpermute_b32 v24, v33, v25
	v_cmp_eq_u16_e32 vcc_lo, 2, v22
	v_and_or_b32 v22, vcc_lo, v35, 0x80000000
	v_cmp_gt_u32_e32 vcc_lo, 30, v43
	s_delay_alu instid0(VALU_DEP_2) | instskip(SKIP_1) | instid1(VALU_DEP_2)
	v_ctz_i32_b32_e32 v22, v22
	v_cndmask_b32_e64 v27, 0, 1, vcc_lo
	v_cmp_lt_u32_e32 vcc_lo, v43, v22
	s_waitcnt lgkmcnt(0)
	s_delay_alu instid0(VALU_DEP_2) | instskip(NEXT) | instid1(VALU_DEP_1)
	v_dual_cndmask_b32 v24, 0, v24 :: v_dual_lshlrev_b32 v27, 1, v27
	v_add_lshl_u32 v37, v27, v43, 2
	v_cmp_gt_u32_e32 vcc_lo, 28, v43
	s_delay_alu instid0(VALU_DEP_3) | instskip(SKIP_4) | instid1(VALU_DEP_1)
	v_add_nc_u32_e32 v24, v24, v25
	v_cndmask_b32_e64 v27, 0, 1, vcc_lo
	v_cmp_le_u32_e32 vcc_lo, v39, v22
	ds_bpermute_b32 v25, v37, v24
	v_lshlrev_b32_e32 v27, 2, v27
	v_add_lshl_u32 v46, v27, v43, 2
	s_waitcnt lgkmcnt(0)
	v_cndmask_b32_e32 v25, 0, v25, vcc_lo
	v_cmp_gt_u32_e32 vcc_lo, 24, v43
	s_delay_alu instid0(VALU_DEP_2) | instskip(SKIP_4) | instid1(VALU_DEP_1)
	v_add_nc_u32_e32 v24, v24, v25
	v_cndmask_b32_e64 v27, 0, 1, vcc_lo
	v_cmp_le_u32_e32 vcc_lo, v47, v22
	ds_bpermute_b32 v25, v46, v24
	v_lshlrev_b32_e32 v27, 3, v27
	v_add_lshl_u32 v48, v27, v43, 2
	s_waitcnt lgkmcnt(0)
	v_cndmask_b32_e32 v25, 0, v25, vcc_lo
	v_cmp_gt_u32_e32 vcc_lo, 16, v43
	s_delay_alu instid0(VALU_DEP_2) | instskip(SKIP_4) | instid1(VALU_DEP_1)
	v_add_nc_u32_e32 v24, v24, v25
	v_cndmask_b32_e64 v27, 0, 1, vcc_lo
	v_cmp_le_u32_e32 vcc_lo, v49, v22
	ds_bpermute_b32 v25, v48, v24
	v_lshlrev_b32_e32 v27, 4, v27
	v_add_lshl_u32 v50, v27, v43, 2
	s_waitcnt lgkmcnt(0)
	v_cndmask_b32_e32 v25, 0, v25, vcc_lo
	v_cmp_le_u32_e32 vcc_lo, v51, v22
	s_delay_alu instid0(VALU_DEP_2) | instskip(SKIP_3) | instid1(VALU_DEP_1)
	v_add_nc_u32_e32 v24, v24, v25
	ds_bpermute_b32 v25, v50, v24
	s_waitcnt lgkmcnt(0)
	v_cndmask_b32_e32 v22, 0, v25, vcc_lo
	v_dual_mov_b32 v24, 0 :: v_dual_add_nc_u32 v25, v24, v22
	s_branch .LBB1139_82
.LBB1139_81:                            ;   in Loop: Header=BB1139_82 Depth=1
	s_or_b32 exec_lo, exec_lo, s9
	ds_bpermute_b32 v28, v33, v25
	v_and_b32_e32 v27, 0xff, v26
	v_subrev_nc_u32_e32 v23, 32, v23
	s_delay_alu instid0(VALU_DEP_2) | instskip(SKIP_1) | instid1(VALU_DEP_1)
	v_cmp_eq_u16_e32 vcc_lo, 2, v27
	v_and_or_b32 v27, vcc_lo, v35, 0x80000000
	v_ctz_i32_b32_e32 v27, v27
	s_delay_alu instid0(VALU_DEP_1) | instskip(SKIP_3) | instid1(VALU_DEP_2)
	v_cmp_lt_u32_e32 vcc_lo, v43, v27
	s_waitcnt lgkmcnt(0)
	v_cndmask_b32_e32 v28, 0, v28, vcc_lo
	v_cmp_le_u32_e32 vcc_lo, v39, v27
	v_add_nc_u32_e32 v25, v28, v25
	ds_bpermute_b32 v28, v37, v25
	s_waitcnt lgkmcnt(0)
	v_cndmask_b32_e32 v28, 0, v28, vcc_lo
	v_cmp_le_u32_e32 vcc_lo, v47, v27
	s_delay_alu instid0(VALU_DEP_2) | instskip(SKIP_4) | instid1(VALU_DEP_2)
	v_add_nc_u32_e32 v25, v25, v28
	ds_bpermute_b32 v28, v46, v25
	s_waitcnt lgkmcnt(0)
	v_cndmask_b32_e32 v28, 0, v28, vcc_lo
	v_cmp_le_u32_e32 vcc_lo, v49, v27
	v_add_nc_u32_e32 v25, v25, v28
	ds_bpermute_b32 v28, v48, v25
	s_waitcnt lgkmcnt(0)
	v_cndmask_b32_e32 v28, 0, v28, vcc_lo
	v_cmp_le_u32_e32 vcc_lo, v51, v27
	s_delay_alu instid0(VALU_DEP_2) | instskip(SKIP_3) | instid1(VALU_DEP_1)
	v_add_nc_u32_e32 v25, v25, v28
	ds_bpermute_b32 v28, v50, v25
	s_waitcnt lgkmcnt(0)
	v_cndmask_b32_e32 v27, 0, v28, vcc_lo
	v_add3_u32 v25, v27, v22, v25
.LBB1139_82:                            ; =>This Loop Header: Depth=1
                                        ;     Child Loop BB1139_85 Depth 2
	v_and_b32_e32 v22, 0xff, v26
	s_delay_alu instid0(VALU_DEP_1) | instskip(SKIP_2) | instid1(VALU_DEP_1)
	v_cmp_ne_u16_e32 vcc_lo, 2, v22
	v_cndmask_b32_e64 v22, 0, 1, vcc_lo
	;;#ASMSTART
	;;#ASMEND
	v_cmp_ne_u32_e32 vcc_lo, 0, v22
	v_mov_b32_e32 v22, v25
	s_cmp_lg_u32 vcc_lo, exec_lo
	s_cbranch_scc1 .LBB1139_87
; %bb.83:                               ;   in Loop: Header=BB1139_82 Depth=1
	v_lshlrev_b64 v[25:26], 3, v[23:24]
	s_mov_b32 s9, exec_lo
	s_delay_alu instid0(VALU_DEP_1) | instskip(NEXT) | instid1(VALU_DEP_2)
	v_add_co_u32 v27, vcc_lo, s16, v25
	v_add_co_ci_u32_e32 v28, vcc_lo, s17, v26, vcc_lo
	global_load_b64 v[25:26], v[27:28], off glc
	s_waitcnt vmcnt(0)
	v_and_b32_e32 v52, 0xff, v26
	s_delay_alu instid0(VALU_DEP_1)
	v_cmpx_eq_u16_e32 0, v52
	s_cbranch_execz .LBB1139_81
; %bb.84:                               ;   in Loop: Header=BB1139_82 Depth=1
	s_mov_b32 s14, 0
.LBB1139_85:                            ;   Parent Loop BB1139_82 Depth=1
                                        ; =>  This Inner Loop Header: Depth=2
	global_load_b64 v[25:26], v[27:28], off glc
	s_waitcnt vmcnt(0)
	v_and_b32_e32 v52, 0xff, v26
	s_delay_alu instid0(VALU_DEP_1) | instskip(SKIP_1) | instid1(SALU_CYCLE_1)
	v_cmp_ne_u16_e32 vcc_lo, 0, v52
	s_or_b32 s14, vcc_lo, s14
	s_and_not1_b32 exec_lo, exec_lo, s14
	s_cbranch_execnz .LBB1139_85
; %bb.86:                               ;   in Loop: Header=BB1139_82 Depth=1
	s_or_b32 exec_lo, exec_lo, s14
	s_branch .LBB1139_81
.LBB1139_87:                            ;   in Loop: Header=BB1139_82 Depth=1
                                        ; implicit-def: $vgpr25
                                        ; implicit-def: $vgpr26
	s_cbranch_execz .LBB1139_82
; %bb.88:
	s_and_saveexec_b32 s9, s7
	s_cbranch_execz .LBB1139_90
; %bb.89:
	s_add_i32 s14, s20, 32
	s_mov_b32 s15, 0
	v_dual_mov_b32 v24, 2 :: v_dual_add_nc_u32 v23, v22, v21
	s_lshl_b64 s[14:15], s[14:15], 3
	v_mov_b32_e32 v25, 0
	s_add_u32 s14, s16, s14
	s_addc_u32 s15, s17, s15
	global_store_b64 v25, v[23:24], s[14:15]
	ds_store_b64 v25, v[21:22] offset:12672
.LBB1139_90:
	s_or_b32 exec_lo, exec_lo, s9
	s_delay_alu instid0(SALU_CYCLE_1)
	s_and_b32 exec_lo, exec_lo, s2
	s_cbranch_execz .LBB1139_92
; %bb.91:
	v_mov_b32_e32 v21, 0
	ds_store_b32 v21, v22 offset:44
.LBB1139_92:
	s_or_b32 exec_lo, exec_lo, s8
	v_mov_b32_e32 v21, 0
	s_waitcnt lgkmcnt(0)
	s_waitcnt_vscnt null, 0x0
	s_barrier
	buffer_gl0_inv
	v_cndmask_b32_e64 v23, v31, v29, s7
	ds_load_b32 v22, v21 offset:44
	s_waitcnt lgkmcnt(0)
	s_barrier
	buffer_gl0_inv
	v_cndmask_b32_e64 v23, v23, 0, s2
	s_delay_alu instid0(VALU_DEP_1) | instskip(SKIP_2) | instid1(VALU_DEP_1)
	v_add_nc_u32_e32 v39, v22, v23
	ds_load_b64 v[21:22], v21 offset:12672
	v_add_nc_u32_e32 v37, v39, v30
	v_add_nc_u32_e32 v35, v37, v32
	s_delay_alu instid0(VALU_DEP_1) | instskip(NEXT) | instid1(VALU_DEP_1)
	v_add_nc_u32_e32 v33, v35, v34
	v_add_nc_u32_e32 v31, v33, v36
	s_delay_alu instid0(VALU_DEP_1) | instskip(NEXT) | instid1(VALU_DEP_1)
	v_add_nc_u32_e32 v29, v31, v38
	v_add_nc_u32_e32 v27, v29, v40
	s_delay_alu instid0(VALU_DEP_1)
	v_add_nc_u32_e32 v25, v27, v42
	v_lshrrev_b64 v[23:24], 24, v[19:20]
	s_branch .LBB1139_103
.LBB1139_93:
                                        ; implicit-def: $vgpr25
                                        ; implicit-def: $vgpr27
                                        ; implicit-def: $vgpr29
                                        ; implicit-def: $vgpr31
                                        ; implicit-def: $vgpr33
                                        ; implicit-def: $vgpr35
                                        ; implicit-def: $vgpr37
                                        ; implicit-def: $vgpr39
                                        ; implicit-def: $vgpr22
	v_lshrrev_b64 v[23:24], 24, v[19:20]
	s_and_b32 vcc_lo, exec_lo, s7
	s_cbranch_vccz .LBB1139_103
; %bb.94:
	s_waitcnt lgkmcnt(0)
	v_mov_b32_dpp v21, v45 row_shr:1 row_mask:0xf bank_mask:0xf
	s_delay_alu instid0(VALU_DEP_1) | instskip(NEXT) | instid1(VALU_DEP_1)
	v_cndmask_b32_e64 v21, v21, 0, s3
	v_add_nc_u32_e32 v21, v21, v45
	s_delay_alu instid0(VALU_DEP_1) | instskip(NEXT) | instid1(VALU_DEP_1)
	v_mov_b32_dpp v22, v21 row_shr:2 row_mask:0xf bank_mask:0xf
	v_cndmask_b32_e64 v22, 0, v22, s4
	s_delay_alu instid0(VALU_DEP_1) | instskip(NEXT) | instid1(VALU_DEP_1)
	v_add_nc_u32_e32 v21, v21, v22
	v_mov_b32_dpp v22, v21 row_shr:4 row_mask:0xf bank_mask:0xf
	s_delay_alu instid0(VALU_DEP_1) | instskip(NEXT) | instid1(VALU_DEP_1)
	v_cndmask_b32_e64 v22, 0, v22, s1
	v_add_nc_u32_e32 v21, v21, v22
	s_delay_alu instid0(VALU_DEP_1) | instskip(NEXT) | instid1(VALU_DEP_1)
	v_mov_b32_dpp v22, v21 row_shr:8 row_mask:0xf bank_mask:0xf
	v_cndmask_b32_e64 v22, 0, v22, s0
	s_delay_alu instid0(VALU_DEP_1) | instskip(SKIP_3) | instid1(VALU_DEP_1)
	v_add_nc_u32_e32 v21, v21, v22
	ds_swizzle_b32 v22, v21 offset:swizzle(BROADCAST,32,15)
	s_waitcnt lgkmcnt(0)
	v_cndmask_b32_e64 v22, v22, 0, s6
	v_add_nc_u32_e32 v21, v21, v22
	s_and_saveexec_b32 s6, s5
	s_cbranch_execz .LBB1139_96
; %bb.95:
	v_lshlrev_b32_e32 v22, 2, v44
	ds_store_b32 v22, v21
.LBB1139_96:
	s_or_b32 exec_lo, exec_lo, s6
	s_delay_alu instid0(SALU_CYCLE_1)
	s_mov_b32 s5, exec_lo
	s_waitcnt lgkmcnt(0)
	s_barrier
	buffer_gl0_inv
	v_cmpx_gt_u32_e32 12, v0
	s_cbranch_execz .LBB1139_98
; %bb.97:
	v_lshlrev_b32_e32 v22, 2, v0
	ds_load_b32 v24, v22
	s_waitcnt lgkmcnt(0)
	v_mov_b32_dpp v25, v24 row_shr:1 row_mask:0xf bank_mask:0xf
	s_delay_alu instid0(VALU_DEP_1) | instskip(NEXT) | instid1(VALU_DEP_1)
	v_cndmask_b32_e64 v25, v25, 0, s3
	v_add_nc_u32_e32 v24, v25, v24
	s_delay_alu instid0(VALU_DEP_1) | instskip(NEXT) | instid1(VALU_DEP_1)
	v_mov_b32_dpp v25, v24 row_shr:2 row_mask:0xf bank_mask:0xf
	v_cndmask_b32_e64 v25, 0, v25, s4
	s_delay_alu instid0(VALU_DEP_1) | instskip(NEXT) | instid1(VALU_DEP_1)
	v_add_nc_u32_e32 v24, v24, v25
	v_mov_b32_dpp v25, v24 row_shr:4 row_mask:0xf bank_mask:0xf
	s_delay_alu instid0(VALU_DEP_1) | instskip(NEXT) | instid1(VALU_DEP_1)
	v_cndmask_b32_e64 v25, 0, v25, s1
	v_add_nc_u32_e32 v24, v24, v25
	s_delay_alu instid0(VALU_DEP_1) | instskip(NEXT) | instid1(VALU_DEP_1)
	v_mov_b32_dpp v25, v24 row_shr:8 row_mask:0xf bank_mask:0xf
	v_cndmask_b32_e64 v25, 0, v25, s0
	s_delay_alu instid0(VALU_DEP_1)
	v_add_nc_u32_e32 v24, v24, v25
	ds_store_b32 v22, v24
.LBB1139_98:
	s_or_b32 exec_lo, exec_lo, s5
	v_mov_b32_e32 v22, 0
	v_mov_b32_e32 v24, 0
	s_mov_b32 s0, exec_lo
	s_waitcnt lgkmcnt(0)
	s_barrier
	buffer_gl0_inv
	v_cmpx_lt_u32_e32 31, v0
	s_cbranch_execz .LBB1139_100
; %bb.99:
	v_lshl_add_u32 v24, v44, 2, -4
	ds_load_b32 v24, v24
.LBB1139_100:
	s_or_b32 exec_lo, exec_lo, s0
	v_add_nc_u32_e32 v25, -1, v43
	s_waitcnt lgkmcnt(0)
	v_add_nc_u32_e32 v21, v24, v21
	s_delay_alu instid0(VALU_DEP_2) | instskip(SKIP_1) | instid1(VALU_DEP_1)
	v_cmp_gt_i32_e32 vcc_lo, 0, v25
	v_cndmask_b32_e32 v25, v25, v43, vcc_lo
	v_lshlrev_b32_e32 v25, 2, v25
	ds_bpermute_b32 v25, v25, v21
	ds_load_b32 v21, v22 offset:44
	s_and_saveexec_b32 s0, s2
	s_cbranch_execz .LBB1139_102
; %bb.101:
	v_mov_b32_e32 v26, 0
	v_mov_b32_e32 v22, 2
	s_waitcnt lgkmcnt(0)
	global_store_b64 v26, v[21:22], s[16:17] offset:256
.LBB1139_102:
	s_or_b32 exec_lo, exec_lo, s0
	v_cmp_eq_u32_e32 vcc_lo, 0, v43
	s_waitcnt lgkmcnt(0)
	s_waitcnt_vscnt null, 0x0
	s_barrier
	buffer_gl0_inv
	v_cndmask_b32_e32 v22, v25, v24, vcc_lo
	s_delay_alu instid0(VALU_DEP_1) | instskip(NEXT) | instid1(VALU_DEP_1)
	v_cndmask_b32_e64 v39, v22, 0, s2
	v_dual_mov_b32 v22, 0 :: v_dual_add_nc_u32 v37, v39, v30
	s_delay_alu instid0(VALU_DEP_1) | instskip(NEXT) | instid1(VALU_DEP_1)
	v_add_nc_u32_e32 v35, v37, v32
	v_add_nc_u32_e32 v33, v35, v34
	s_delay_alu instid0(VALU_DEP_1) | instskip(NEXT) | instid1(VALU_DEP_1)
	v_add_nc_u32_e32 v31, v33, v36
	v_add_nc_u32_e32 v29, v31, v38
	;; [unrolled: 3-line block ×3, first 2 shown]
.LBB1139_103:
	s_waitcnt lgkmcnt(0)
	v_cmp_gt_u32_e32 vcc_lo, 0x181, v21
	v_lshrrev_b32_e32 v44, 8, v19
	v_lshrrev_b32_e32 v43, 16, v19
	;; [unrolled: 1-line block ×4, first 2 shown]
	v_cmp_lt_u32_e64 s0, 0x180, v21
	s_mov_b32 s1, -1
	s_cbranch_vccz .LBB1139_129
; %bb.104:
	v_lshlrev_b64 v[45:46], 2, v[9:10]
	v_add_nc_u32_e32 v26, v22, v21
	s_delay_alu instid0(VALU_DEP_1) | instskip(NEXT) | instid1(VALU_DEP_3)
	v_cmp_lt_u32_e32 vcc_lo, v39, v26
	v_add_co_u32 v45, s1, s10, v45
	s_delay_alu instid0(VALU_DEP_1) | instskip(SKIP_1) | instid1(SALU_CYCLE_1)
	v_add_co_ci_u32_e64 v46, s1, s11, v46, s1
	s_or_b32 s3, s19, vcc_lo
	s_and_saveexec_b32 s1, s3
	s_cbranch_execz .LBB1139_107
; %bb.105:
	v_and_b32_e32 v28, 1, v19
	s_delay_alu instid0(VALU_DEP_1)
	v_cmp_eq_u32_e32 vcc_lo, 1, v28
	s_and_b32 exec_lo, exec_lo, vcc_lo
	s_cbranch_execz .LBB1139_107
; %bb.106:
	v_mov_b32_e32 v40, 0
	s_delay_alu instid0(VALU_DEP_1) | instskip(NEXT) | instid1(VALU_DEP_1)
	v_lshlrev_b64 v[47:48], 2, v[39:40]
	v_add_co_u32 v47, vcc_lo, v45, v47
	s_delay_alu instid0(VALU_DEP_2)
	v_add_co_ci_u32_e32 v48, vcc_lo, v46, v48, vcc_lo
	global_store_b32 v[47:48], v7, off
.LBB1139_107:
	s_or_b32 exec_lo, exec_lo, s1
	v_cmp_lt_u32_e32 vcc_lo, v37, v26
	s_or_b32 s3, s19, vcc_lo
	s_delay_alu instid0(SALU_CYCLE_1)
	s_and_saveexec_b32 s1, s3
	s_cbranch_execz .LBB1139_110
; %bb.108:
	v_and_b32_e32 v28, 1, v44
	s_delay_alu instid0(VALU_DEP_1)
	v_cmp_eq_u32_e32 vcc_lo, 1, v28
	s_and_b32 exec_lo, exec_lo, vcc_lo
	s_cbranch_execz .LBB1139_110
; %bb.109:
	v_mov_b32_e32 v38, 0
	s_delay_alu instid0(VALU_DEP_1) | instskip(NEXT) | instid1(VALU_DEP_1)
	v_lshlrev_b64 v[47:48], 2, v[37:38]
	v_add_co_u32 v47, vcc_lo, v45, v47
	s_delay_alu instid0(VALU_DEP_2)
	v_add_co_ci_u32_e32 v48, vcc_lo, v46, v48, vcc_lo
	global_store_b32 v[47:48], v8, off
.LBB1139_110:
	s_or_b32 exec_lo, exec_lo, s1
	v_cmp_lt_u32_e32 vcc_lo, v35, v26
	s_or_b32 s3, s19, vcc_lo
	s_delay_alu instid0(SALU_CYCLE_1)
	;; [unrolled: 21-line block ×7, first 2 shown]
	s_and_saveexec_b32 s1, s3
	s_cbranch_execz .LBB1139_128
; %bb.126:
	v_and_b32_e32 v26, 1, v41
	s_delay_alu instid0(VALU_DEP_1)
	v_cmp_eq_u32_e32 vcc_lo, 1, v26
	s_and_b32 exec_lo, exec_lo, vcc_lo
	s_cbranch_execz .LBB1139_128
; %bb.127:
	v_mov_b32_e32 v26, 0
	s_delay_alu instid0(VALU_DEP_1) | instskip(NEXT) | instid1(VALU_DEP_1)
	v_lshlrev_b64 v[47:48], 2, v[25:26]
	v_add_co_u32 v45, vcc_lo, v45, v47
	s_delay_alu instid0(VALU_DEP_2)
	v_add_co_ci_u32_e32 v46, vcc_lo, v46, v48, vcc_lo
	global_store_b32 v[45:46], v2, off
.LBB1139_128:
	s_or_b32 exec_lo, exec_lo, s1
	s_mov_b32 s1, 0
.LBB1139_129:
	v_and_b32_e32 v19, 1, v19
	s_and_b32 vcc_lo, exec_lo, s1
	s_delay_alu instid0(VALU_DEP_1)
	v_cmp_eq_u32_e64 s1, 1, v19
	s_cbranch_vccz .LBB1139_150
; %bb.130:
	s_delay_alu instid0(VALU_DEP_1)
	s_and_saveexec_b32 s3, s1
	s_cbranch_execz .LBB1139_132
; %bb.131:
	v_sub_nc_u32_e32 v26, v39, v22
	s_delay_alu instid0(VALU_DEP_1)
	v_lshlrev_b32_e32 v26, 2, v26
	ds_store_b32 v26, v7
.LBB1139_132:
	s_or_b32 exec_lo, exec_lo, s3
	v_and_b32_e32 v7, 1, v44
	s_mov_b32 s1, exec_lo
	s_delay_alu instid0(VALU_DEP_1)
	v_cmpx_eq_u32_e32 1, v7
	s_cbranch_execz .LBB1139_134
; %bb.133:
	v_sub_nc_u32_e32 v7, v37, v22
	s_delay_alu instid0(VALU_DEP_1)
	v_lshlrev_b32_e32 v7, 2, v7
	ds_store_b32 v7, v8
.LBB1139_134:
	s_or_b32 exec_lo, exec_lo, s1
	v_and_b32_e32 v7, 1, v43
	s_mov_b32 s1, exec_lo
	s_delay_alu instid0(VALU_DEP_1)
	v_cmpx_eq_u32_e32 1, v7
	;; [unrolled: 12-line block ×7, first 2 shown]
	s_cbranch_execz .LBB1139_146
; %bb.145:
	v_sub_nc_u32_e32 v1, v25, v22
	s_delay_alu instid0(VALU_DEP_1)
	v_lshlrev_b32_e32 v1, 2, v1
	ds_store_b32 v1, v2
.LBB1139_146:
	s_or_b32 exec_lo, exec_lo, s1
	s_delay_alu instid0(SALU_CYCLE_1)
	s_mov_b32 s3, exec_lo
	s_waitcnt lgkmcnt(0)
	s_waitcnt_vscnt null, 0x0
	s_barrier
	buffer_gl0_inv
	v_cmpx_lt_u32_e64 v0, v21
	s_cbranch_execz .LBB1139_149
; %bb.147:
	v_dual_mov_b32 v1, 0 :: v_dual_mov_b32 v2, v22
	v_lshlrev_b64 v[4:5], 2, v[9:10]
	s_mov_b32 s4, 0
	s_delay_alu instid0(VALU_DEP_2) | instskip(NEXT) | instid1(VALU_DEP_2)
	v_mov_b32_e32 v3, v1
	v_add_co_u32 v4, vcc_lo, s10, v4
	s_delay_alu instid0(VALU_DEP_2) | instskip(NEXT) | instid1(VALU_DEP_4)
	v_lshlrev_b64 v[2:3], 2, v[2:3]
	v_add_co_ci_u32_e32 v5, vcc_lo, s11, v5, vcc_lo
	s_delay_alu instid0(VALU_DEP_2) | instskip(SKIP_1) | instid1(VALU_DEP_3)
	v_add_co_u32 v2, vcc_lo, v4, v2
	v_lshlrev_b32_e32 v4, 2, v0
	v_add_co_ci_u32_e32 v3, vcc_lo, v5, v3, vcc_lo
	.p2align	6
.LBB1139_148:                           ; =>This Inner Loop Header: Depth=1
	ds_load_b32 v7, v4
	v_lshlrev_b64 v[5:6], 2, v[0:1]
	v_add_nc_u32_e32 v0, 0x180, v0
	v_add_nc_u32_e32 v4, 0x600, v4
	s_delay_alu instid0(VALU_DEP_2) | instskip(NEXT) | instid1(VALU_DEP_4)
	v_cmp_ge_u32_e32 vcc_lo, v0, v21
	v_add_co_u32 v5, s1, v2, v5
	s_delay_alu instid0(VALU_DEP_1)
	v_add_co_ci_u32_e64 v6, s1, v3, v6, s1
	s_or_b32 s4, vcc_lo, s4
	s_waitcnt lgkmcnt(0)
	global_store_b32 v[5:6], v7, off
	s_and_not1_b32 exec_lo, exec_lo, s4
	s_cbranch_execnz .LBB1139_148
.LBB1139_149:
	s_or_b32 exec_lo, exec_lo, s3
.LBB1139_150:
	s_delay_alu instid0(SALU_CYCLE_1)
	s_and_not1_b32 vcc_lo, exec_lo, s0
	s_waitcnt_vscnt null, 0x0
	s_barrier
	buffer_gl0_inv
	s_cbranch_vccnz .LBB1139_169
; %bb.151:
	s_mov_b32 s0, exec_lo
	v_cmpx_eq_u32_e32 1, v19
	s_cbranch_execz .LBB1139_153
; %bb.152:
	v_sub_nc_u32_e32 v0, v39, v22
	s_delay_alu instid0(VALU_DEP_1)
	v_lshlrev_b32_e32 v0, 2, v0
	ds_store_b32 v0, v17
.LBB1139_153:
	s_or_b32 exec_lo, exec_lo, s0
	v_and_b32_e32 v0, 1, v44
	s_mov_b32 s0, exec_lo
	s_delay_alu instid0(VALU_DEP_1)
	v_cmpx_eq_u32_e32 1, v0
	s_cbranch_execz .LBB1139_155
; %bb.154:
	v_sub_nc_u32_e32 v0, v37, v22
	s_delay_alu instid0(VALU_DEP_1)
	v_lshlrev_b32_e32 v0, 2, v0
	ds_store_b32 v0, v18
.LBB1139_155:
	s_or_b32 exec_lo, exec_lo, s0
	v_and_b32_e32 v0, 1, v43
	s_mov_b32 s0, exec_lo
	s_delay_alu instid0(VALU_DEP_1)
	;; [unrolled: 12-line block ×7, first 2 shown]
	v_cmpx_eq_u32_e32 1, v0
	s_cbranch_execz .LBB1139_167
; %bb.166:
	v_sub_nc_u32_e32 v0, v25, v22
	s_delay_alu instid0(VALU_DEP_1)
	v_lshlrev_b32_e32 v0, 2, v0
	ds_store_b32 v0, v12
.LBB1139_167:
	s_or_b32 exec_lo, exec_lo, s0
	s_waitcnt lgkmcnt(0)
	s_barrier
	buffer_gl0_inv
	s_and_b32 s0, s2, s18
	s_delay_alu instid0(SALU_CYCLE_1)
	s_and_saveexec_b32 s1, s0
	s_cbranch_execnz .LBB1139_170
.LBB1139_168:
	s_endpgm
.LBB1139_169:
	s_and_b32 s0, s2, s18
	s_delay_alu instid0(SALU_CYCLE_1)
	s_and_saveexec_b32 s1, s0
	s_cbranch_execz .LBB1139_168
.LBB1139_170:
	v_add_co_u32 v0, vcc_lo, v9, v21
	v_add_co_ci_u32_e32 v1, vcc_lo, 0, v10, vcc_lo
	v_mov_b32_e32 v2, 0
	s_delay_alu instid0(VALU_DEP_3) | instskip(NEXT) | instid1(VALU_DEP_3)
	v_add_co_u32 v0, vcc_lo, v0, v22
	v_add_co_ci_u32_e32 v1, vcc_lo, 0, v1, vcc_lo
	global_store_b64 v2, v[0:1], s[12:13]
	s_nop 0
	s_sendmsg sendmsg(MSG_DEALLOC_VGPRS)
	s_endpgm
	.section	.rodata,"a",@progbits
	.p2align	6, 0x0
	.amdhsa_kernel _ZN7rocprim17ROCPRIM_400000_NS6detail17trampoline_kernelINS0_14default_configENS1_25partition_config_selectorILNS1_17partition_subalgoE9EijbEEZZNS1_14partition_implILS5_9ELb0ES3_jN6thrust23THRUST_200600_302600_NS6detail15normal_iteratorINS9_10device_ptrIiEEEENSB_INSC_IjEEEEPNS0_10empty_typeENS0_5tupleIJSE_SH_EEENSJ_IJNS9_16discard_iteratorINS9_11use_defaultEEESI_EEENS0_18inequality_wrapperINS9_8equal_toIiEEEEPmJSH_EEE10hipError_tPvRmT3_T4_T5_T6_T7_T9_mT8_P12ihipStream_tbDpT10_ENKUlT_T0_E_clISt17integral_constantIbLb0EES1C_IbLb1EEEEDaS18_S19_EUlS18_E_NS1_11comp_targetILNS1_3genE9ELNS1_11target_archE1100ELNS1_3gpuE3ELNS1_3repE0EEENS1_30default_config_static_selectorELNS0_4arch9wavefront6targetE0EEEvT1_
		.amdhsa_group_segment_fixed_size 12680
		.amdhsa_private_segment_fixed_size 0
		.amdhsa_kernarg_size 136
		.amdhsa_user_sgpr_count 15
		.amdhsa_user_sgpr_dispatch_ptr 0
		.amdhsa_user_sgpr_queue_ptr 0
		.amdhsa_user_sgpr_kernarg_segment_ptr 1
		.amdhsa_user_sgpr_dispatch_id 0
		.amdhsa_user_sgpr_private_segment_size 0
		.amdhsa_wavefront_size32 1
		.amdhsa_uses_dynamic_stack 0
		.amdhsa_enable_private_segment 0
		.amdhsa_system_sgpr_workgroup_id_x 1
		.amdhsa_system_sgpr_workgroup_id_y 0
		.amdhsa_system_sgpr_workgroup_id_z 0
		.amdhsa_system_sgpr_workgroup_info 0
		.amdhsa_system_vgpr_workitem_id 0
		.amdhsa_next_free_vgpr 53
		.amdhsa_next_free_sgpr 26
		.amdhsa_reserve_vcc 1
		.amdhsa_float_round_mode_32 0
		.amdhsa_float_round_mode_16_64 0
		.amdhsa_float_denorm_mode_32 3
		.amdhsa_float_denorm_mode_16_64 3
		.amdhsa_dx10_clamp 1
		.amdhsa_ieee_mode 1
		.amdhsa_fp16_overflow 0
		.amdhsa_workgroup_processor_mode 1
		.amdhsa_memory_ordered 1
		.amdhsa_forward_progress 0
		.amdhsa_shared_vgpr_count 0
		.amdhsa_exception_fp_ieee_invalid_op 0
		.amdhsa_exception_fp_denorm_src 0
		.amdhsa_exception_fp_ieee_div_zero 0
		.amdhsa_exception_fp_ieee_overflow 0
		.amdhsa_exception_fp_ieee_underflow 0
		.amdhsa_exception_fp_ieee_inexact 0
		.amdhsa_exception_int_div_zero 0
	.end_amdhsa_kernel
	.section	.text._ZN7rocprim17ROCPRIM_400000_NS6detail17trampoline_kernelINS0_14default_configENS1_25partition_config_selectorILNS1_17partition_subalgoE9EijbEEZZNS1_14partition_implILS5_9ELb0ES3_jN6thrust23THRUST_200600_302600_NS6detail15normal_iteratorINS9_10device_ptrIiEEEENSB_INSC_IjEEEEPNS0_10empty_typeENS0_5tupleIJSE_SH_EEENSJ_IJNS9_16discard_iteratorINS9_11use_defaultEEESI_EEENS0_18inequality_wrapperINS9_8equal_toIiEEEEPmJSH_EEE10hipError_tPvRmT3_T4_T5_T6_T7_T9_mT8_P12ihipStream_tbDpT10_ENKUlT_T0_E_clISt17integral_constantIbLb0EES1C_IbLb1EEEEDaS18_S19_EUlS18_E_NS1_11comp_targetILNS1_3genE9ELNS1_11target_archE1100ELNS1_3gpuE3ELNS1_3repE0EEENS1_30default_config_static_selectorELNS0_4arch9wavefront6targetE0EEEvT1_,"axG",@progbits,_ZN7rocprim17ROCPRIM_400000_NS6detail17trampoline_kernelINS0_14default_configENS1_25partition_config_selectorILNS1_17partition_subalgoE9EijbEEZZNS1_14partition_implILS5_9ELb0ES3_jN6thrust23THRUST_200600_302600_NS6detail15normal_iteratorINS9_10device_ptrIiEEEENSB_INSC_IjEEEEPNS0_10empty_typeENS0_5tupleIJSE_SH_EEENSJ_IJNS9_16discard_iteratorINS9_11use_defaultEEESI_EEENS0_18inequality_wrapperINS9_8equal_toIiEEEEPmJSH_EEE10hipError_tPvRmT3_T4_T5_T6_T7_T9_mT8_P12ihipStream_tbDpT10_ENKUlT_T0_E_clISt17integral_constantIbLb0EES1C_IbLb1EEEEDaS18_S19_EUlS18_E_NS1_11comp_targetILNS1_3genE9ELNS1_11target_archE1100ELNS1_3gpuE3ELNS1_3repE0EEENS1_30default_config_static_selectorELNS0_4arch9wavefront6targetE0EEEvT1_,comdat
.Lfunc_end1139:
	.size	_ZN7rocprim17ROCPRIM_400000_NS6detail17trampoline_kernelINS0_14default_configENS1_25partition_config_selectorILNS1_17partition_subalgoE9EijbEEZZNS1_14partition_implILS5_9ELb0ES3_jN6thrust23THRUST_200600_302600_NS6detail15normal_iteratorINS9_10device_ptrIiEEEENSB_INSC_IjEEEEPNS0_10empty_typeENS0_5tupleIJSE_SH_EEENSJ_IJNS9_16discard_iteratorINS9_11use_defaultEEESI_EEENS0_18inequality_wrapperINS9_8equal_toIiEEEEPmJSH_EEE10hipError_tPvRmT3_T4_T5_T6_T7_T9_mT8_P12ihipStream_tbDpT10_ENKUlT_T0_E_clISt17integral_constantIbLb0EES1C_IbLb1EEEEDaS18_S19_EUlS18_E_NS1_11comp_targetILNS1_3genE9ELNS1_11target_archE1100ELNS1_3gpuE3ELNS1_3repE0EEENS1_30default_config_static_selectorELNS0_4arch9wavefront6targetE0EEEvT1_, .Lfunc_end1139-_ZN7rocprim17ROCPRIM_400000_NS6detail17trampoline_kernelINS0_14default_configENS1_25partition_config_selectorILNS1_17partition_subalgoE9EijbEEZZNS1_14partition_implILS5_9ELb0ES3_jN6thrust23THRUST_200600_302600_NS6detail15normal_iteratorINS9_10device_ptrIiEEEENSB_INSC_IjEEEEPNS0_10empty_typeENS0_5tupleIJSE_SH_EEENSJ_IJNS9_16discard_iteratorINS9_11use_defaultEEESI_EEENS0_18inequality_wrapperINS9_8equal_toIiEEEEPmJSH_EEE10hipError_tPvRmT3_T4_T5_T6_T7_T9_mT8_P12ihipStream_tbDpT10_ENKUlT_T0_E_clISt17integral_constantIbLb0EES1C_IbLb1EEEEDaS18_S19_EUlS18_E_NS1_11comp_targetILNS1_3genE9ELNS1_11target_archE1100ELNS1_3gpuE3ELNS1_3repE0EEENS1_30default_config_static_selectorELNS0_4arch9wavefront6targetE0EEEvT1_
                                        ; -- End function
	.section	.AMDGPU.csdata,"",@progbits
; Kernel info:
; codeLenInByte = 8508
; NumSgprs: 28
; NumVgprs: 53
; ScratchSize: 0
; MemoryBound: 0
; FloatMode: 240
; IeeeMode: 1
; LDSByteSize: 12680 bytes/workgroup (compile time only)
; SGPRBlocks: 3
; VGPRBlocks: 6
; NumSGPRsForWavesPerEU: 28
; NumVGPRsForWavesPerEU: 53
; Occupancy: 15
; WaveLimiterHint : 1
; COMPUTE_PGM_RSRC2:SCRATCH_EN: 0
; COMPUTE_PGM_RSRC2:USER_SGPR: 15
; COMPUTE_PGM_RSRC2:TRAP_HANDLER: 0
; COMPUTE_PGM_RSRC2:TGID_X_EN: 1
; COMPUTE_PGM_RSRC2:TGID_Y_EN: 0
; COMPUTE_PGM_RSRC2:TGID_Z_EN: 0
; COMPUTE_PGM_RSRC2:TIDIG_COMP_CNT: 0
	.section	.text._ZN7rocprim17ROCPRIM_400000_NS6detail17trampoline_kernelINS0_14default_configENS1_25partition_config_selectorILNS1_17partition_subalgoE9EijbEEZZNS1_14partition_implILS5_9ELb0ES3_jN6thrust23THRUST_200600_302600_NS6detail15normal_iteratorINS9_10device_ptrIiEEEENSB_INSC_IjEEEEPNS0_10empty_typeENS0_5tupleIJSE_SH_EEENSJ_IJNS9_16discard_iteratorINS9_11use_defaultEEESI_EEENS0_18inequality_wrapperINS9_8equal_toIiEEEEPmJSH_EEE10hipError_tPvRmT3_T4_T5_T6_T7_T9_mT8_P12ihipStream_tbDpT10_ENKUlT_T0_E_clISt17integral_constantIbLb0EES1C_IbLb1EEEEDaS18_S19_EUlS18_E_NS1_11comp_targetILNS1_3genE8ELNS1_11target_archE1030ELNS1_3gpuE2ELNS1_3repE0EEENS1_30default_config_static_selectorELNS0_4arch9wavefront6targetE0EEEvT1_,"axG",@progbits,_ZN7rocprim17ROCPRIM_400000_NS6detail17trampoline_kernelINS0_14default_configENS1_25partition_config_selectorILNS1_17partition_subalgoE9EijbEEZZNS1_14partition_implILS5_9ELb0ES3_jN6thrust23THRUST_200600_302600_NS6detail15normal_iteratorINS9_10device_ptrIiEEEENSB_INSC_IjEEEEPNS0_10empty_typeENS0_5tupleIJSE_SH_EEENSJ_IJNS9_16discard_iteratorINS9_11use_defaultEEESI_EEENS0_18inequality_wrapperINS9_8equal_toIiEEEEPmJSH_EEE10hipError_tPvRmT3_T4_T5_T6_T7_T9_mT8_P12ihipStream_tbDpT10_ENKUlT_T0_E_clISt17integral_constantIbLb0EES1C_IbLb1EEEEDaS18_S19_EUlS18_E_NS1_11comp_targetILNS1_3genE8ELNS1_11target_archE1030ELNS1_3gpuE2ELNS1_3repE0EEENS1_30default_config_static_selectorELNS0_4arch9wavefront6targetE0EEEvT1_,comdat
	.protected	_ZN7rocprim17ROCPRIM_400000_NS6detail17trampoline_kernelINS0_14default_configENS1_25partition_config_selectorILNS1_17partition_subalgoE9EijbEEZZNS1_14partition_implILS5_9ELb0ES3_jN6thrust23THRUST_200600_302600_NS6detail15normal_iteratorINS9_10device_ptrIiEEEENSB_INSC_IjEEEEPNS0_10empty_typeENS0_5tupleIJSE_SH_EEENSJ_IJNS9_16discard_iteratorINS9_11use_defaultEEESI_EEENS0_18inequality_wrapperINS9_8equal_toIiEEEEPmJSH_EEE10hipError_tPvRmT3_T4_T5_T6_T7_T9_mT8_P12ihipStream_tbDpT10_ENKUlT_T0_E_clISt17integral_constantIbLb0EES1C_IbLb1EEEEDaS18_S19_EUlS18_E_NS1_11comp_targetILNS1_3genE8ELNS1_11target_archE1030ELNS1_3gpuE2ELNS1_3repE0EEENS1_30default_config_static_selectorELNS0_4arch9wavefront6targetE0EEEvT1_ ; -- Begin function _ZN7rocprim17ROCPRIM_400000_NS6detail17trampoline_kernelINS0_14default_configENS1_25partition_config_selectorILNS1_17partition_subalgoE9EijbEEZZNS1_14partition_implILS5_9ELb0ES3_jN6thrust23THRUST_200600_302600_NS6detail15normal_iteratorINS9_10device_ptrIiEEEENSB_INSC_IjEEEEPNS0_10empty_typeENS0_5tupleIJSE_SH_EEENSJ_IJNS9_16discard_iteratorINS9_11use_defaultEEESI_EEENS0_18inequality_wrapperINS9_8equal_toIiEEEEPmJSH_EEE10hipError_tPvRmT3_T4_T5_T6_T7_T9_mT8_P12ihipStream_tbDpT10_ENKUlT_T0_E_clISt17integral_constantIbLb0EES1C_IbLb1EEEEDaS18_S19_EUlS18_E_NS1_11comp_targetILNS1_3genE8ELNS1_11target_archE1030ELNS1_3gpuE2ELNS1_3repE0EEENS1_30default_config_static_selectorELNS0_4arch9wavefront6targetE0EEEvT1_
	.globl	_ZN7rocprim17ROCPRIM_400000_NS6detail17trampoline_kernelINS0_14default_configENS1_25partition_config_selectorILNS1_17partition_subalgoE9EijbEEZZNS1_14partition_implILS5_9ELb0ES3_jN6thrust23THRUST_200600_302600_NS6detail15normal_iteratorINS9_10device_ptrIiEEEENSB_INSC_IjEEEEPNS0_10empty_typeENS0_5tupleIJSE_SH_EEENSJ_IJNS9_16discard_iteratorINS9_11use_defaultEEESI_EEENS0_18inequality_wrapperINS9_8equal_toIiEEEEPmJSH_EEE10hipError_tPvRmT3_T4_T5_T6_T7_T9_mT8_P12ihipStream_tbDpT10_ENKUlT_T0_E_clISt17integral_constantIbLb0EES1C_IbLb1EEEEDaS18_S19_EUlS18_E_NS1_11comp_targetILNS1_3genE8ELNS1_11target_archE1030ELNS1_3gpuE2ELNS1_3repE0EEENS1_30default_config_static_selectorELNS0_4arch9wavefront6targetE0EEEvT1_
	.p2align	8
	.type	_ZN7rocprim17ROCPRIM_400000_NS6detail17trampoline_kernelINS0_14default_configENS1_25partition_config_selectorILNS1_17partition_subalgoE9EijbEEZZNS1_14partition_implILS5_9ELb0ES3_jN6thrust23THRUST_200600_302600_NS6detail15normal_iteratorINS9_10device_ptrIiEEEENSB_INSC_IjEEEEPNS0_10empty_typeENS0_5tupleIJSE_SH_EEENSJ_IJNS9_16discard_iteratorINS9_11use_defaultEEESI_EEENS0_18inequality_wrapperINS9_8equal_toIiEEEEPmJSH_EEE10hipError_tPvRmT3_T4_T5_T6_T7_T9_mT8_P12ihipStream_tbDpT10_ENKUlT_T0_E_clISt17integral_constantIbLb0EES1C_IbLb1EEEEDaS18_S19_EUlS18_E_NS1_11comp_targetILNS1_3genE8ELNS1_11target_archE1030ELNS1_3gpuE2ELNS1_3repE0EEENS1_30default_config_static_selectorELNS0_4arch9wavefront6targetE0EEEvT1_,@function
_ZN7rocprim17ROCPRIM_400000_NS6detail17trampoline_kernelINS0_14default_configENS1_25partition_config_selectorILNS1_17partition_subalgoE9EijbEEZZNS1_14partition_implILS5_9ELb0ES3_jN6thrust23THRUST_200600_302600_NS6detail15normal_iteratorINS9_10device_ptrIiEEEENSB_INSC_IjEEEEPNS0_10empty_typeENS0_5tupleIJSE_SH_EEENSJ_IJNS9_16discard_iteratorINS9_11use_defaultEEESI_EEENS0_18inequality_wrapperINS9_8equal_toIiEEEEPmJSH_EEE10hipError_tPvRmT3_T4_T5_T6_T7_T9_mT8_P12ihipStream_tbDpT10_ENKUlT_T0_E_clISt17integral_constantIbLb0EES1C_IbLb1EEEEDaS18_S19_EUlS18_E_NS1_11comp_targetILNS1_3genE8ELNS1_11target_archE1030ELNS1_3gpuE2ELNS1_3repE0EEENS1_30default_config_static_selectorELNS0_4arch9wavefront6targetE0EEEvT1_: ; @_ZN7rocprim17ROCPRIM_400000_NS6detail17trampoline_kernelINS0_14default_configENS1_25partition_config_selectorILNS1_17partition_subalgoE9EijbEEZZNS1_14partition_implILS5_9ELb0ES3_jN6thrust23THRUST_200600_302600_NS6detail15normal_iteratorINS9_10device_ptrIiEEEENSB_INSC_IjEEEEPNS0_10empty_typeENS0_5tupleIJSE_SH_EEENSJ_IJNS9_16discard_iteratorINS9_11use_defaultEEESI_EEENS0_18inequality_wrapperINS9_8equal_toIiEEEEPmJSH_EEE10hipError_tPvRmT3_T4_T5_T6_T7_T9_mT8_P12ihipStream_tbDpT10_ENKUlT_T0_E_clISt17integral_constantIbLb0EES1C_IbLb1EEEEDaS18_S19_EUlS18_E_NS1_11comp_targetILNS1_3genE8ELNS1_11target_archE1030ELNS1_3gpuE2ELNS1_3repE0EEENS1_30default_config_static_selectorELNS0_4arch9wavefront6targetE0EEEvT1_
; %bb.0:
	.section	.rodata,"a",@progbits
	.p2align	6, 0x0
	.amdhsa_kernel _ZN7rocprim17ROCPRIM_400000_NS6detail17trampoline_kernelINS0_14default_configENS1_25partition_config_selectorILNS1_17partition_subalgoE9EijbEEZZNS1_14partition_implILS5_9ELb0ES3_jN6thrust23THRUST_200600_302600_NS6detail15normal_iteratorINS9_10device_ptrIiEEEENSB_INSC_IjEEEEPNS0_10empty_typeENS0_5tupleIJSE_SH_EEENSJ_IJNS9_16discard_iteratorINS9_11use_defaultEEESI_EEENS0_18inequality_wrapperINS9_8equal_toIiEEEEPmJSH_EEE10hipError_tPvRmT3_T4_T5_T6_T7_T9_mT8_P12ihipStream_tbDpT10_ENKUlT_T0_E_clISt17integral_constantIbLb0EES1C_IbLb1EEEEDaS18_S19_EUlS18_E_NS1_11comp_targetILNS1_3genE8ELNS1_11target_archE1030ELNS1_3gpuE2ELNS1_3repE0EEENS1_30default_config_static_selectorELNS0_4arch9wavefront6targetE0EEEvT1_
		.amdhsa_group_segment_fixed_size 0
		.amdhsa_private_segment_fixed_size 0
		.amdhsa_kernarg_size 136
		.amdhsa_user_sgpr_count 15
		.amdhsa_user_sgpr_dispatch_ptr 0
		.amdhsa_user_sgpr_queue_ptr 0
		.amdhsa_user_sgpr_kernarg_segment_ptr 1
		.amdhsa_user_sgpr_dispatch_id 0
		.amdhsa_user_sgpr_private_segment_size 0
		.amdhsa_wavefront_size32 1
		.amdhsa_uses_dynamic_stack 0
		.amdhsa_enable_private_segment 0
		.amdhsa_system_sgpr_workgroup_id_x 1
		.amdhsa_system_sgpr_workgroup_id_y 0
		.amdhsa_system_sgpr_workgroup_id_z 0
		.amdhsa_system_sgpr_workgroup_info 0
		.amdhsa_system_vgpr_workitem_id 0
		.amdhsa_next_free_vgpr 1
		.amdhsa_next_free_sgpr 1
		.amdhsa_reserve_vcc 0
		.amdhsa_float_round_mode_32 0
		.amdhsa_float_round_mode_16_64 0
		.amdhsa_float_denorm_mode_32 3
		.amdhsa_float_denorm_mode_16_64 3
		.amdhsa_dx10_clamp 1
		.amdhsa_ieee_mode 1
		.amdhsa_fp16_overflow 0
		.amdhsa_workgroup_processor_mode 1
		.amdhsa_memory_ordered 1
		.amdhsa_forward_progress 0
		.amdhsa_shared_vgpr_count 0
		.amdhsa_exception_fp_ieee_invalid_op 0
		.amdhsa_exception_fp_denorm_src 0
		.amdhsa_exception_fp_ieee_div_zero 0
		.amdhsa_exception_fp_ieee_overflow 0
		.amdhsa_exception_fp_ieee_underflow 0
		.amdhsa_exception_fp_ieee_inexact 0
		.amdhsa_exception_int_div_zero 0
	.end_amdhsa_kernel
	.section	.text._ZN7rocprim17ROCPRIM_400000_NS6detail17trampoline_kernelINS0_14default_configENS1_25partition_config_selectorILNS1_17partition_subalgoE9EijbEEZZNS1_14partition_implILS5_9ELb0ES3_jN6thrust23THRUST_200600_302600_NS6detail15normal_iteratorINS9_10device_ptrIiEEEENSB_INSC_IjEEEEPNS0_10empty_typeENS0_5tupleIJSE_SH_EEENSJ_IJNS9_16discard_iteratorINS9_11use_defaultEEESI_EEENS0_18inequality_wrapperINS9_8equal_toIiEEEEPmJSH_EEE10hipError_tPvRmT3_T4_T5_T6_T7_T9_mT8_P12ihipStream_tbDpT10_ENKUlT_T0_E_clISt17integral_constantIbLb0EES1C_IbLb1EEEEDaS18_S19_EUlS18_E_NS1_11comp_targetILNS1_3genE8ELNS1_11target_archE1030ELNS1_3gpuE2ELNS1_3repE0EEENS1_30default_config_static_selectorELNS0_4arch9wavefront6targetE0EEEvT1_,"axG",@progbits,_ZN7rocprim17ROCPRIM_400000_NS6detail17trampoline_kernelINS0_14default_configENS1_25partition_config_selectorILNS1_17partition_subalgoE9EijbEEZZNS1_14partition_implILS5_9ELb0ES3_jN6thrust23THRUST_200600_302600_NS6detail15normal_iteratorINS9_10device_ptrIiEEEENSB_INSC_IjEEEEPNS0_10empty_typeENS0_5tupleIJSE_SH_EEENSJ_IJNS9_16discard_iteratorINS9_11use_defaultEEESI_EEENS0_18inequality_wrapperINS9_8equal_toIiEEEEPmJSH_EEE10hipError_tPvRmT3_T4_T5_T6_T7_T9_mT8_P12ihipStream_tbDpT10_ENKUlT_T0_E_clISt17integral_constantIbLb0EES1C_IbLb1EEEEDaS18_S19_EUlS18_E_NS1_11comp_targetILNS1_3genE8ELNS1_11target_archE1030ELNS1_3gpuE2ELNS1_3repE0EEENS1_30default_config_static_selectorELNS0_4arch9wavefront6targetE0EEEvT1_,comdat
.Lfunc_end1140:
	.size	_ZN7rocprim17ROCPRIM_400000_NS6detail17trampoline_kernelINS0_14default_configENS1_25partition_config_selectorILNS1_17partition_subalgoE9EijbEEZZNS1_14partition_implILS5_9ELb0ES3_jN6thrust23THRUST_200600_302600_NS6detail15normal_iteratorINS9_10device_ptrIiEEEENSB_INSC_IjEEEEPNS0_10empty_typeENS0_5tupleIJSE_SH_EEENSJ_IJNS9_16discard_iteratorINS9_11use_defaultEEESI_EEENS0_18inequality_wrapperINS9_8equal_toIiEEEEPmJSH_EEE10hipError_tPvRmT3_T4_T5_T6_T7_T9_mT8_P12ihipStream_tbDpT10_ENKUlT_T0_E_clISt17integral_constantIbLb0EES1C_IbLb1EEEEDaS18_S19_EUlS18_E_NS1_11comp_targetILNS1_3genE8ELNS1_11target_archE1030ELNS1_3gpuE2ELNS1_3repE0EEENS1_30default_config_static_selectorELNS0_4arch9wavefront6targetE0EEEvT1_, .Lfunc_end1140-_ZN7rocprim17ROCPRIM_400000_NS6detail17trampoline_kernelINS0_14default_configENS1_25partition_config_selectorILNS1_17partition_subalgoE9EijbEEZZNS1_14partition_implILS5_9ELb0ES3_jN6thrust23THRUST_200600_302600_NS6detail15normal_iteratorINS9_10device_ptrIiEEEENSB_INSC_IjEEEEPNS0_10empty_typeENS0_5tupleIJSE_SH_EEENSJ_IJNS9_16discard_iteratorINS9_11use_defaultEEESI_EEENS0_18inequality_wrapperINS9_8equal_toIiEEEEPmJSH_EEE10hipError_tPvRmT3_T4_T5_T6_T7_T9_mT8_P12ihipStream_tbDpT10_ENKUlT_T0_E_clISt17integral_constantIbLb0EES1C_IbLb1EEEEDaS18_S19_EUlS18_E_NS1_11comp_targetILNS1_3genE8ELNS1_11target_archE1030ELNS1_3gpuE2ELNS1_3repE0EEENS1_30default_config_static_selectorELNS0_4arch9wavefront6targetE0EEEvT1_
                                        ; -- End function
	.section	.AMDGPU.csdata,"",@progbits
; Kernel info:
; codeLenInByte = 0
; NumSgprs: 0
; NumVgprs: 0
; ScratchSize: 0
; MemoryBound: 0
; FloatMode: 240
; IeeeMode: 1
; LDSByteSize: 0 bytes/workgroup (compile time only)
; SGPRBlocks: 0
; VGPRBlocks: 0
; NumSGPRsForWavesPerEU: 1
; NumVGPRsForWavesPerEU: 1
; Occupancy: 16
; WaveLimiterHint : 0
; COMPUTE_PGM_RSRC2:SCRATCH_EN: 0
; COMPUTE_PGM_RSRC2:USER_SGPR: 15
; COMPUTE_PGM_RSRC2:TRAP_HANDLER: 0
; COMPUTE_PGM_RSRC2:TGID_X_EN: 1
; COMPUTE_PGM_RSRC2:TGID_Y_EN: 0
; COMPUTE_PGM_RSRC2:TGID_Z_EN: 0
; COMPUTE_PGM_RSRC2:TIDIG_COMP_CNT: 0
	.section	.text._ZN7rocprim17ROCPRIM_400000_NS6detail17trampoline_kernelINS0_14default_configENS1_25partition_config_selectorILNS1_17partition_subalgoE9EijbEEZZNS1_14partition_implILS5_9ELb0ES3_jN6thrust23THRUST_200600_302600_NS6detail15normal_iteratorINS9_10device_ptrIiEEEENSB_INSC_IjEEEEPNS0_10empty_typeENS0_5tupleIJNS9_16discard_iteratorINS9_11use_defaultEEESH_EEENSJ_IJSG_SI_EEENS0_18inequality_wrapperINS9_8equal_toIiEEEEPmJSH_EEE10hipError_tPvRmT3_T4_T5_T6_T7_T9_mT8_P12ihipStream_tbDpT10_ENKUlT_T0_E_clISt17integral_constantIbLb0EES1D_EEDaS18_S19_EUlS18_E_NS1_11comp_targetILNS1_3genE0ELNS1_11target_archE4294967295ELNS1_3gpuE0ELNS1_3repE0EEENS1_30default_config_static_selectorELNS0_4arch9wavefront6targetE0EEEvT1_,"axG",@progbits,_ZN7rocprim17ROCPRIM_400000_NS6detail17trampoline_kernelINS0_14default_configENS1_25partition_config_selectorILNS1_17partition_subalgoE9EijbEEZZNS1_14partition_implILS5_9ELb0ES3_jN6thrust23THRUST_200600_302600_NS6detail15normal_iteratorINS9_10device_ptrIiEEEENSB_INSC_IjEEEEPNS0_10empty_typeENS0_5tupleIJNS9_16discard_iteratorINS9_11use_defaultEEESH_EEENSJ_IJSG_SI_EEENS0_18inequality_wrapperINS9_8equal_toIiEEEEPmJSH_EEE10hipError_tPvRmT3_T4_T5_T6_T7_T9_mT8_P12ihipStream_tbDpT10_ENKUlT_T0_E_clISt17integral_constantIbLb0EES1D_EEDaS18_S19_EUlS18_E_NS1_11comp_targetILNS1_3genE0ELNS1_11target_archE4294967295ELNS1_3gpuE0ELNS1_3repE0EEENS1_30default_config_static_selectorELNS0_4arch9wavefront6targetE0EEEvT1_,comdat
	.protected	_ZN7rocprim17ROCPRIM_400000_NS6detail17trampoline_kernelINS0_14default_configENS1_25partition_config_selectorILNS1_17partition_subalgoE9EijbEEZZNS1_14partition_implILS5_9ELb0ES3_jN6thrust23THRUST_200600_302600_NS6detail15normal_iteratorINS9_10device_ptrIiEEEENSB_INSC_IjEEEEPNS0_10empty_typeENS0_5tupleIJNS9_16discard_iteratorINS9_11use_defaultEEESH_EEENSJ_IJSG_SI_EEENS0_18inequality_wrapperINS9_8equal_toIiEEEEPmJSH_EEE10hipError_tPvRmT3_T4_T5_T6_T7_T9_mT8_P12ihipStream_tbDpT10_ENKUlT_T0_E_clISt17integral_constantIbLb0EES1D_EEDaS18_S19_EUlS18_E_NS1_11comp_targetILNS1_3genE0ELNS1_11target_archE4294967295ELNS1_3gpuE0ELNS1_3repE0EEENS1_30default_config_static_selectorELNS0_4arch9wavefront6targetE0EEEvT1_ ; -- Begin function _ZN7rocprim17ROCPRIM_400000_NS6detail17trampoline_kernelINS0_14default_configENS1_25partition_config_selectorILNS1_17partition_subalgoE9EijbEEZZNS1_14partition_implILS5_9ELb0ES3_jN6thrust23THRUST_200600_302600_NS6detail15normal_iteratorINS9_10device_ptrIiEEEENSB_INSC_IjEEEEPNS0_10empty_typeENS0_5tupleIJNS9_16discard_iteratorINS9_11use_defaultEEESH_EEENSJ_IJSG_SI_EEENS0_18inequality_wrapperINS9_8equal_toIiEEEEPmJSH_EEE10hipError_tPvRmT3_T4_T5_T6_T7_T9_mT8_P12ihipStream_tbDpT10_ENKUlT_T0_E_clISt17integral_constantIbLb0EES1D_EEDaS18_S19_EUlS18_E_NS1_11comp_targetILNS1_3genE0ELNS1_11target_archE4294967295ELNS1_3gpuE0ELNS1_3repE0EEENS1_30default_config_static_selectorELNS0_4arch9wavefront6targetE0EEEvT1_
	.globl	_ZN7rocprim17ROCPRIM_400000_NS6detail17trampoline_kernelINS0_14default_configENS1_25partition_config_selectorILNS1_17partition_subalgoE9EijbEEZZNS1_14partition_implILS5_9ELb0ES3_jN6thrust23THRUST_200600_302600_NS6detail15normal_iteratorINS9_10device_ptrIiEEEENSB_INSC_IjEEEEPNS0_10empty_typeENS0_5tupleIJNS9_16discard_iteratorINS9_11use_defaultEEESH_EEENSJ_IJSG_SI_EEENS0_18inequality_wrapperINS9_8equal_toIiEEEEPmJSH_EEE10hipError_tPvRmT3_T4_T5_T6_T7_T9_mT8_P12ihipStream_tbDpT10_ENKUlT_T0_E_clISt17integral_constantIbLb0EES1D_EEDaS18_S19_EUlS18_E_NS1_11comp_targetILNS1_3genE0ELNS1_11target_archE4294967295ELNS1_3gpuE0ELNS1_3repE0EEENS1_30default_config_static_selectorELNS0_4arch9wavefront6targetE0EEEvT1_
	.p2align	8
	.type	_ZN7rocprim17ROCPRIM_400000_NS6detail17trampoline_kernelINS0_14default_configENS1_25partition_config_selectorILNS1_17partition_subalgoE9EijbEEZZNS1_14partition_implILS5_9ELb0ES3_jN6thrust23THRUST_200600_302600_NS6detail15normal_iteratorINS9_10device_ptrIiEEEENSB_INSC_IjEEEEPNS0_10empty_typeENS0_5tupleIJNS9_16discard_iteratorINS9_11use_defaultEEESH_EEENSJ_IJSG_SI_EEENS0_18inequality_wrapperINS9_8equal_toIiEEEEPmJSH_EEE10hipError_tPvRmT3_T4_T5_T6_T7_T9_mT8_P12ihipStream_tbDpT10_ENKUlT_T0_E_clISt17integral_constantIbLb0EES1D_EEDaS18_S19_EUlS18_E_NS1_11comp_targetILNS1_3genE0ELNS1_11target_archE4294967295ELNS1_3gpuE0ELNS1_3repE0EEENS1_30default_config_static_selectorELNS0_4arch9wavefront6targetE0EEEvT1_,@function
_ZN7rocprim17ROCPRIM_400000_NS6detail17trampoline_kernelINS0_14default_configENS1_25partition_config_selectorILNS1_17partition_subalgoE9EijbEEZZNS1_14partition_implILS5_9ELb0ES3_jN6thrust23THRUST_200600_302600_NS6detail15normal_iteratorINS9_10device_ptrIiEEEENSB_INSC_IjEEEEPNS0_10empty_typeENS0_5tupleIJNS9_16discard_iteratorINS9_11use_defaultEEESH_EEENSJ_IJSG_SI_EEENS0_18inequality_wrapperINS9_8equal_toIiEEEEPmJSH_EEE10hipError_tPvRmT3_T4_T5_T6_T7_T9_mT8_P12ihipStream_tbDpT10_ENKUlT_T0_E_clISt17integral_constantIbLb0EES1D_EEDaS18_S19_EUlS18_E_NS1_11comp_targetILNS1_3genE0ELNS1_11target_archE4294967295ELNS1_3gpuE0ELNS1_3repE0EEENS1_30default_config_static_selectorELNS0_4arch9wavefront6targetE0EEEvT1_: ; @_ZN7rocprim17ROCPRIM_400000_NS6detail17trampoline_kernelINS0_14default_configENS1_25partition_config_selectorILNS1_17partition_subalgoE9EijbEEZZNS1_14partition_implILS5_9ELb0ES3_jN6thrust23THRUST_200600_302600_NS6detail15normal_iteratorINS9_10device_ptrIiEEEENSB_INSC_IjEEEEPNS0_10empty_typeENS0_5tupleIJNS9_16discard_iteratorINS9_11use_defaultEEESH_EEENSJ_IJSG_SI_EEENS0_18inequality_wrapperINS9_8equal_toIiEEEEPmJSH_EEE10hipError_tPvRmT3_T4_T5_T6_T7_T9_mT8_P12ihipStream_tbDpT10_ENKUlT_T0_E_clISt17integral_constantIbLb0EES1D_EEDaS18_S19_EUlS18_E_NS1_11comp_targetILNS1_3genE0ELNS1_11target_archE4294967295ELNS1_3gpuE0ELNS1_3repE0EEENS1_30default_config_static_selectorELNS0_4arch9wavefront6targetE0EEEvT1_
; %bb.0:
	.section	.rodata,"a",@progbits
	.p2align	6, 0x0
	.amdhsa_kernel _ZN7rocprim17ROCPRIM_400000_NS6detail17trampoline_kernelINS0_14default_configENS1_25partition_config_selectorILNS1_17partition_subalgoE9EijbEEZZNS1_14partition_implILS5_9ELb0ES3_jN6thrust23THRUST_200600_302600_NS6detail15normal_iteratorINS9_10device_ptrIiEEEENSB_INSC_IjEEEEPNS0_10empty_typeENS0_5tupleIJNS9_16discard_iteratorINS9_11use_defaultEEESH_EEENSJ_IJSG_SI_EEENS0_18inequality_wrapperINS9_8equal_toIiEEEEPmJSH_EEE10hipError_tPvRmT3_T4_T5_T6_T7_T9_mT8_P12ihipStream_tbDpT10_ENKUlT_T0_E_clISt17integral_constantIbLb0EES1D_EEDaS18_S19_EUlS18_E_NS1_11comp_targetILNS1_3genE0ELNS1_11target_archE4294967295ELNS1_3gpuE0ELNS1_3repE0EEENS1_30default_config_static_selectorELNS0_4arch9wavefront6targetE0EEEvT1_
		.amdhsa_group_segment_fixed_size 0
		.amdhsa_private_segment_fixed_size 0
		.amdhsa_kernarg_size 120
		.amdhsa_user_sgpr_count 15
		.amdhsa_user_sgpr_dispatch_ptr 0
		.amdhsa_user_sgpr_queue_ptr 0
		.amdhsa_user_sgpr_kernarg_segment_ptr 1
		.amdhsa_user_sgpr_dispatch_id 0
		.amdhsa_user_sgpr_private_segment_size 0
		.amdhsa_wavefront_size32 1
		.amdhsa_uses_dynamic_stack 0
		.amdhsa_enable_private_segment 0
		.amdhsa_system_sgpr_workgroup_id_x 1
		.amdhsa_system_sgpr_workgroup_id_y 0
		.amdhsa_system_sgpr_workgroup_id_z 0
		.amdhsa_system_sgpr_workgroup_info 0
		.amdhsa_system_vgpr_workitem_id 0
		.amdhsa_next_free_vgpr 1
		.amdhsa_next_free_sgpr 1
		.amdhsa_reserve_vcc 0
		.amdhsa_float_round_mode_32 0
		.amdhsa_float_round_mode_16_64 0
		.amdhsa_float_denorm_mode_32 3
		.amdhsa_float_denorm_mode_16_64 3
		.amdhsa_dx10_clamp 1
		.amdhsa_ieee_mode 1
		.amdhsa_fp16_overflow 0
		.amdhsa_workgroup_processor_mode 1
		.amdhsa_memory_ordered 1
		.amdhsa_forward_progress 0
		.amdhsa_shared_vgpr_count 0
		.amdhsa_exception_fp_ieee_invalid_op 0
		.amdhsa_exception_fp_denorm_src 0
		.amdhsa_exception_fp_ieee_div_zero 0
		.amdhsa_exception_fp_ieee_overflow 0
		.amdhsa_exception_fp_ieee_underflow 0
		.amdhsa_exception_fp_ieee_inexact 0
		.amdhsa_exception_int_div_zero 0
	.end_amdhsa_kernel
	.section	.text._ZN7rocprim17ROCPRIM_400000_NS6detail17trampoline_kernelINS0_14default_configENS1_25partition_config_selectorILNS1_17partition_subalgoE9EijbEEZZNS1_14partition_implILS5_9ELb0ES3_jN6thrust23THRUST_200600_302600_NS6detail15normal_iteratorINS9_10device_ptrIiEEEENSB_INSC_IjEEEEPNS0_10empty_typeENS0_5tupleIJNS9_16discard_iteratorINS9_11use_defaultEEESH_EEENSJ_IJSG_SI_EEENS0_18inequality_wrapperINS9_8equal_toIiEEEEPmJSH_EEE10hipError_tPvRmT3_T4_T5_T6_T7_T9_mT8_P12ihipStream_tbDpT10_ENKUlT_T0_E_clISt17integral_constantIbLb0EES1D_EEDaS18_S19_EUlS18_E_NS1_11comp_targetILNS1_3genE0ELNS1_11target_archE4294967295ELNS1_3gpuE0ELNS1_3repE0EEENS1_30default_config_static_selectorELNS0_4arch9wavefront6targetE0EEEvT1_,"axG",@progbits,_ZN7rocprim17ROCPRIM_400000_NS6detail17trampoline_kernelINS0_14default_configENS1_25partition_config_selectorILNS1_17partition_subalgoE9EijbEEZZNS1_14partition_implILS5_9ELb0ES3_jN6thrust23THRUST_200600_302600_NS6detail15normal_iteratorINS9_10device_ptrIiEEEENSB_INSC_IjEEEEPNS0_10empty_typeENS0_5tupleIJNS9_16discard_iteratorINS9_11use_defaultEEESH_EEENSJ_IJSG_SI_EEENS0_18inequality_wrapperINS9_8equal_toIiEEEEPmJSH_EEE10hipError_tPvRmT3_T4_T5_T6_T7_T9_mT8_P12ihipStream_tbDpT10_ENKUlT_T0_E_clISt17integral_constantIbLb0EES1D_EEDaS18_S19_EUlS18_E_NS1_11comp_targetILNS1_3genE0ELNS1_11target_archE4294967295ELNS1_3gpuE0ELNS1_3repE0EEENS1_30default_config_static_selectorELNS0_4arch9wavefront6targetE0EEEvT1_,comdat
.Lfunc_end1141:
	.size	_ZN7rocprim17ROCPRIM_400000_NS6detail17trampoline_kernelINS0_14default_configENS1_25partition_config_selectorILNS1_17partition_subalgoE9EijbEEZZNS1_14partition_implILS5_9ELb0ES3_jN6thrust23THRUST_200600_302600_NS6detail15normal_iteratorINS9_10device_ptrIiEEEENSB_INSC_IjEEEEPNS0_10empty_typeENS0_5tupleIJNS9_16discard_iteratorINS9_11use_defaultEEESH_EEENSJ_IJSG_SI_EEENS0_18inequality_wrapperINS9_8equal_toIiEEEEPmJSH_EEE10hipError_tPvRmT3_T4_T5_T6_T7_T9_mT8_P12ihipStream_tbDpT10_ENKUlT_T0_E_clISt17integral_constantIbLb0EES1D_EEDaS18_S19_EUlS18_E_NS1_11comp_targetILNS1_3genE0ELNS1_11target_archE4294967295ELNS1_3gpuE0ELNS1_3repE0EEENS1_30default_config_static_selectorELNS0_4arch9wavefront6targetE0EEEvT1_, .Lfunc_end1141-_ZN7rocprim17ROCPRIM_400000_NS6detail17trampoline_kernelINS0_14default_configENS1_25partition_config_selectorILNS1_17partition_subalgoE9EijbEEZZNS1_14partition_implILS5_9ELb0ES3_jN6thrust23THRUST_200600_302600_NS6detail15normal_iteratorINS9_10device_ptrIiEEEENSB_INSC_IjEEEEPNS0_10empty_typeENS0_5tupleIJNS9_16discard_iteratorINS9_11use_defaultEEESH_EEENSJ_IJSG_SI_EEENS0_18inequality_wrapperINS9_8equal_toIiEEEEPmJSH_EEE10hipError_tPvRmT3_T4_T5_T6_T7_T9_mT8_P12ihipStream_tbDpT10_ENKUlT_T0_E_clISt17integral_constantIbLb0EES1D_EEDaS18_S19_EUlS18_E_NS1_11comp_targetILNS1_3genE0ELNS1_11target_archE4294967295ELNS1_3gpuE0ELNS1_3repE0EEENS1_30default_config_static_selectorELNS0_4arch9wavefront6targetE0EEEvT1_
                                        ; -- End function
	.section	.AMDGPU.csdata,"",@progbits
; Kernel info:
; codeLenInByte = 0
; NumSgprs: 0
; NumVgprs: 0
; ScratchSize: 0
; MemoryBound: 0
; FloatMode: 240
; IeeeMode: 1
; LDSByteSize: 0 bytes/workgroup (compile time only)
; SGPRBlocks: 0
; VGPRBlocks: 0
; NumSGPRsForWavesPerEU: 1
; NumVGPRsForWavesPerEU: 1
; Occupancy: 16
; WaveLimiterHint : 0
; COMPUTE_PGM_RSRC2:SCRATCH_EN: 0
; COMPUTE_PGM_RSRC2:USER_SGPR: 15
; COMPUTE_PGM_RSRC2:TRAP_HANDLER: 0
; COMPUTE_PGM_RSRC2:TGID_X_EN: 1
; COMPUTE_PGM_RSRC2:TGID_Y_EN: 0
; COMPUTE_PGM_RSRC2:TGID_Z_EN: 0
; COMPUTE_PGM_RSRC2:TIDIG_COMP_CNT: 0
	.section	.text._ZN7rocprim17ROCPRIM_400000_NS6detail17trampoline_kernelINS0_14default_configENS1_25partition_config_selectorILNS1_17partition_subalgoE9EijbEEZZNS1_14partition_implILS5_9ELb0ES3_jN6thrust23THRUST_200600_302600_NS6detail15normal_iteratorINS9_10device_ptrIiEEEENSB_INSC_IjEEEEPNS0_10empty_typeENS0_5tupleIJNS9_16discard_iteratorINS9_11use_defaultEEESH_EEENSJ_IJSG_SI_EEENS0_18inequality_wrapperINS9_8equal_toIiEEEEPmJSH_EEE10hipError_tPvRmT3_T4_T5_T6_T7_T9_mT8_P12ihipStream_tbDpT10_ENKUlT_T0_E_clISt17integral_constantIbLb0EES1D_EEDaS18_S19_EUlS18_E_NS1_11comp_targetILNS1_3genE5ELNS1_11target_archE942ELNS1_3gpuE9ELNS1_3repE0EEENS1_30default_config_static_selectorELNS0_4arch9wavefront6targetE0EEEvT1_,"axG",@progbits,_ZN7rocprim17ROCPRIM_400000_NS6detail17trampoline_kernelINS0_14default_configENS1_25partition_config_selectorILNS1_17partition_subalgoE9EijbEEZZNS1_14partition_implILS5_9ELb0ES3_jN6thrust23THRUST_200600_302600_NS6detail15normal_iteratorINS9_10device_ptrIiEEEENSB_INSC_IjEEEEPNS0_10empty_typeENS0_5tupleIJNS9_16discard_iteratorINS9_11use_defaultEEESH_EEENSJ_IJSG_SI_EEENS0_18inequality_wrapperINS9_8equal_toIiEEEEPmJSH_EEE10hipError_tPvRmT3_T4_T5_T6_T7_T9_mT8_P12ihipStream_tbDpT10_ENKUlT_T0_E_clISt17integral_constantIbLb0EES1D_EEDaS18_S19_EUlS18_E_NS1_11comp_targetILNS1_3genE5ELNS1_11target_archE942ELNS1_3gpuE9ELNS1_3repE0EEENS1_30default_config_static_selectorELNS0_4arch9wavefront6targetE0EEEvT1_,comdat
	.protected	_ZN7rocprim17ROCPRIM_400000_NS6detail17trampoline_kernelINS0_14default_configENS1_25partition_config_selectorILNS1_17partition_subalgoE9EijbEEZZNS1_14partition_implILS5_9ELb0ES3_jN6thrust23THRUST_200600_302600_NS6detail15normal_iteratorINS9_10device_ptrIiEEEENSB_INSC_IjEEEEPNS0_10empty_typeENS0_5tupleIJNS9_16discard_iteratorINS9_11use_defaultEEESH_EEENSJ_IJSG_SI_EEENS0_18inequality_wrapperINS9_8equal_toIiEEEEPmJSH_EEE10hipError_tPvRmT3_T4_T5_T6_T7_T9_mT8_P12ihipStream_tbDpT10_ENKUlT_T0_E_clISt17integral_constantIbLb0EES1D_EEDaS18_S19_EUlS18_E_NS1_11comp_targetILNS1_3genE5ELNS1_11target_archE942ELNS1_3gpuE9ELNS1_3repE0EEENS1_30default_config_static_selectorELNS0_4arch9wavefront6targetE0EEEvT1_ ; -- Begin function _ZN7rocprim17ROCPRIM_400000_NS6detail17trampoline_kernelINS0_14default_configENS1_25partition_config_selectorILNS1_17partition_subalgoE9EijbEEZZNS1_14partition_implILS5_9ELb0ES3_jN6thrust23THRUST_200600_302600_NS6detail15normal_iteratorINS9_10device_ptrIiEEEENSB_INSC_IjEEEEPNS0_10empty_typeENS0_5tupleIJNS9_16discard_iteratorINS9_11use_defaultEEESH_EEENSJ_IJSG_SI_EEENS0_18inequality_wrapperINS9_8equal_toIiEEEEPmJSH_EEE10hipError_tPvRmT3_T4_T5_T6_T7_T9_mT8_P12ihipStream_tbDpT10_ENKUlT_T0_E_clISt17integral_constantIbLb0EES1D_EEDaS18_S19_EUlS18_E_NS1_11comp_targetILNS1_3genE5ELNS1_11target_archE942ELNS1_3gpuE9ELNS1_3repE0EEENS1_30default_config_static_selectorELNS0_4arch9wavefront6targetE0EEEvT1_
	.globl	_ZN7rocprim17ROCPRIM_400000_NS6detail17trampoline_kernelINS0_14default_configENS1_25partition_config_selectorILNS1_17partition_subalgoE9EijbEEZZNS1_14partition_implILS5_9ELb0ES3_jN6thrust23THRUST_200600_302600_NS6detail15normal_iteratorINS9_10device_ptrIiEEEENSB_INSC_IjEEEEPNS0_10empty_typeENS0_5tupleIJNS9_16discard_iteratorINS9_11use_defaultEEESH_EEENSJ_IJSG_SI_EEENS0_18inequality_wrapperINS9_8equal_toIiEEEEPmJSH_EEE10hipError_tPvRmT3_T4_T5_T6_T7_T9_mT8_P12ihipStream_tbDpT10_ENKUlT_T0_E_clISt17integral_constantIbLb0EES1D_EEDaS18_S19_EUlS18_E_NS1_11comp_targetILNS1_3genE5ELNS1_11target_archE942ELNS1_3gpuE9ELNS1_3repE0EEENS1_30default_config_static_selectorELNS0_4arch9wavefront6targetE0EEEvT1_
	.p2align	8
	.type	_ZN7rocprim17ROCPRIM_400000_NS6detail17trampoline_kernelINS0_14default_configENS1_25partition_config_selectorILNS1_17partition_subalgoE9EijbEEZZNS1_14partition_implILS5_9ELb0ES3_jN6thrust23THRUST_200600_302600_NS6detail15normal_iteratorINS9_10device_ptrIiEEEENSB_INSC_IjEEEEPNS0_10empty_typeENS0_5tupleIJNS9_16discard_iteratorINS9_11use_defaultEEESH_EEENSJ_IJSG_SI_EEENS0_18inequality_wrapperINS9_8equal_toIiEEEEPmJSH_EEE10hipError_tPvRmT3_T4_T5_T6_T7_T9_mT8_P12ihipStream_tbDpT10_ENKUlT_T0_E_clISt17integral_constantIbLb0EES1D_EEDaS18_S19_EUlS18_E_NS1_11comp_targetILNS1_3genE5ELNS1_11target_archE942ELNS1_3gpuE9ELNS1_3repE0EEENS1_30default_config_static_selectorELNS0_4arch9wavefront6targetE0EEEvT1_,@function
_ZN7rocprim17ROCPRIM_400000_NS6detail17trampoline_kernelINS0_14default_configENS1_25partition_config_selectorILNS1_17partition_subalgoE9EijbEEZZNS1_14partition_implILS5_9ELb0ES3_jN6thrust23THRUST_200600_302600_NS6detail15normal_iteratorINS9_10device_ptrIiEEEENSB_INSC_IjEEEEPNS0_10empty_typeENS0_5tupleIJNS9_16discard_iteratorINS9_11use_defaultEEESH_EEENSJ_IJSG_SI_EEENS0_18inequality_wrapperINS9_8equal_toIiEEEEPmJSH_EEE10hipError_tPvRmT3_T4_T5_T6_T7_T9_mT8_P12ihipStream_tbDpT10_ENKUlT_T0_E_clISt17integral_constantIbLb0EES1D_EEDaS18_S19_EUlS18_E_NS1_11comp_targetILNS1_3genE5ELNS1_11target_archE942ELNS1_3gpuE9ELNS1_3repE0EEENS1_30default_config_static_selectorELNS0_4arch9wavefront6targetE0EEEvT1_: ; @_ZN7rocprim17ROCPRIM_400000_NS6detail17trampoline_kernelINS0_14default_configENS1_25partition_config_selectorILNS1_17partition_subalgoE9EijbEEZZNS1_14partition_implILS5_9ELb0ES3_jN6thrust23THRUST_200600_302600_NS6detail15normal_iteratorINS9_10device_ptrIiEEEENSB_INSC_IjEEEEPNS0_10empty_typeENS0_5tupleIJNS9_16discard_iteratorINS9_11use_defaultEEESH_EEENSJ_IJSG_SI_EEENS0_18inequality_wrapperINS9_8equal_toIiEEEEPmJSH_EEE10hipError_tPvRmT3_T4_T5_T6_T7_T9_mT8_P12ihipStream_tbDpT10_ENKUlT_T0_E_clISt17integral_constantIbLb0EES1D_EEDaS18_S19_EUlS18_E_NS1_11comp_targetILNS1_3genE5ELNS1_11target_archE942ELNS1_3gpuE9ELNS1_3repE0EEENS1_30default_config_static_selectorELNS0_4arch9wavefront6targetE0EEEvT1_
; %bb.0:
	.section	.rodata,"a",@progbits
	.p2align	6, 0x0
	.amdhsa_kernel _ZN7rocprim17ROCPRIM_400000_NS6detail17trampoline_kernelINS0_14default_configENS1_25partition_config_selectorILNS1_17partition_subalgoE9EijbEEZZNS1_14partition_implILS5_9ELb0ES3_jN6thrust23THRUST_200600_302600_NS6detail15normal_iteratorINS9_10device_ptrIiEEEENSB_INSC_IjEEEEPNS0_10empty_typeENS0_5tupleIJNS9_16discard_iteratorINS9_11use_defaultEEESH_EEENSJ_IJSG_SI_EEENS0_18inequality_wrapperINS9_8equal_toIiEEEEPmJSH_EEE10hipError_tPvRmT3_T4_T5_T6_T7_T9_mT8_P12ihipStream_tbDpT10_ENKUlT_T0_E_clISt17integral_constantIbLb0EES1D_EEDaS18_S19_EUlS18_E_NS1_11comp_targetILNS1_3genE5ELNS1_11target_archE942ELNS1_3gpuE9ELNS1_3repE0EEENS1_30default_config_static_selectorELNS0_4arch9wavefront6targetE0EEEvT1_
		.amdhsa_group_segment_fixed_size 0
		.amdhsa_private_segment_fixed_size 0
		.amdhsa_kernarg_size 120
		.amdhsa_user_sgpr_count 15
		.amdhsa_user_sgpr_dispatch_ptr 0
		.amdhsa_user_sgpr_queue_ptr 0
		.amdhsa_user_sgpr_kernarg_segment_ptr 1
		.amdhsa_user_sgpr_dispatch_id 0
		.amdhsa_user_sgpr_private_segment_size 0
		.amdhsa_wavefront_size32 1
		.amdhsa_uses_dynamic_stack 0
		.amdhsa_enable_private_segment 0
		.amdhsa_system_sgpr_workgroup_id_x 1
		.amdhsa_system_sgpr_workgroup_id_y 0
		.amdhsa_system_sgpr_workgroup_id_z 0
		.amdhsa_system_sgpr_workgroup_info 0
		.amdhsa_system_vgpr_workitem_id 0
		.amdhsa_next_free_vgpr 1
		.amdhsa_next_free_sgpr 1
		.amdhsa_reserve_vcc 0
		.amdhsa_float_round_mode_32 0
		.amdhsa_float_round_mode_16_64 0
		.amdhsa_float_denorm_mode_32 3
		.amdhsa_float_denorm_mode_16_64 3
		.amdhsa_dx10_clamp 1
		.amdhsa_ieee_mode 1
		.amdhsa_fp16_overflow 0
		.amdhsa_workgroup_processor_mode 1
		.amdhsa_memory_ordered 1
		.amdhsa_forward_progress 0
		.amdhsa_shared_vgpr_count 0
		.amdhsa_exception_fp_ieee_invalid_op 0
		.amdhsa_exception_fp_denorm_src 0
		.amdhsa_exception_fp_ieee_div_zero 0
		.amdhsa_exception_fp_ieee_overflow 0
		.amdhsa_exception_fp_ieee_underflow 0
		.amdhsa_exception_fp_ieee_inexact 0
		.amdhsa_exception_int_div_zero 0
	.end_amdhsa_kernel
	.section	.text._ZN7rocprim17ROCPRIM_400000_NS6detail17trampoline_kernelINS0_14default_configENS1_25partition_config_selectorILNS1_17partition_subalgoE9EijbEEZZNS1_14partition_implILS5_9ELb0ES3_jN6thrust23THRUST_200600_302600_NS6detail15normal_iteratorINS9_10device_ptrIiEEEENSB_INSC_IjEEEEPNS0_10empty_typeENS0_5tupleIJNS9_16discard_iteratorINS9_11use_defaultEEESH_EEENSJ_IJSG_SI_EEENS0_18inequality_wrapperINS9_8equal_toIiEEEEPmJSH_EEE10hipError_tPvRmT3_T4_T5_T6_T7_T9_mT8_P12ihipStream_tbDpT10_ENKUlT_T0_E_clISt17integral_constantIbLb0EES1D_EEDaS18_S19_EUlS18_E_NS1_11comp_targetILNS1_3genE5ELNS1_11target_archE942ELNS1_3gpuE9ELNS1_3repE0EEENS1_30default_config_static_selectorELNS0_4arch9wavefront6targetE0EEEvT1_,"axG",@progbits,_ZN7rocprim17ROCPRIM_400000_NS6detail17trampoline_kernelINS0_14default_configENS1_25partition_config_selectorILNS1_17partition_subalgoE9EijbEEZZNS1_14partition_implILS5_9ELb0ES3_jN6thrust23THRUST_200600_302600_NS6detail15normal_iteratorINS9_10device_ptrIiEEEENSB_INSC_IjEEEEPNS0_10empty_typeENS0_5tupleIJNS9_16discard_iteratorINS9_11use_defaultEEESH_EEENSJ_IJSG_SI_EEENS0_18inequality_wrapperINS9_8equal_toIiEEEEPmJSH_EEE10hipError_tPvRmT3_T4_T5_T6_T7_T9_mT8_P12ihipStream_tbDpT10_ENKUlT_T0_E_clISt17integral_constantIbLb0EES1D_EEDaS18_S19_EUlS18_E_NS1_11comp_targetILNS1_3genE5ELNS1_11target_archE942ELNS1_3gpuE9ELNS1_3repE0EEENS1_30default_config_static_selectorELNS0_4arch9wavefront6targetE0EEEvT1_,comdat
.Lfunc_end1142:
	.size	_ZN7rocprim17ROCPRIM_400000_NS6detail17trampoline_kernelINS0_14default_configENS1_25partition_config_selectorILNS1_17partition_subalgoE9EijbEEZZNS1_14partition_implILS5_9ELb0ES3_jN6thrust23THRUST_200600_302600_NS6detail15normal_iteratorINS9_10device_ptrIiEEEENSB_INSC_IjEEEEPNS0_10empty_typeENS0_5tupleIJNS9_16discard_iteratorINS9_11use_defaultEEESH_EEENSJ_IJSG_SI_EEENS0_18inequality_wrapperINS9_8equal_toIiEEEEPmJSH_EEE10hipError_tPvRmT3_T4_T5_T6_T7_T9_mT8_P12ihipStream_tbDpT10_ENKUlT_T0_E_clISt17integral_constantIbLb0EES1D_EEDaS18_S19_EUlS18_E_NS1_11comp_targetILNS1_3genE5ELNS1_11target_archE942ELNS1_3gpuE9ELNS1_3repE0EEENS1_30default_config_static_selectorELNS0_4arch9wavefront6targetE0EEEvT1_, .Lfunc_end1142-_ZN7rocprim17ROCPRIM_400000_NS6detail17trampoline_kernelINS0_14default_configENS1_25partition_config_selectorILNS1_17partition_subalgoE9EijbEEZZNS1_14partition_implILS5_9ELb0ES3_jN6thrust23THRUST_200600_302600_NS6detail15normal_iteratorINS9_10device_ptrIiEEEENSB_INSC_IjEEEEPNS0_10empty_typeENS0_5tupleIJNS9_16discard_iteratorINS9_11use_defaultEEESH_EEENSJ_IJSG_SI_EEENS0_18inequality_wrapperINS9_8equal_toIiEEEEPmJSH_EEE10hipError_tPvRmT3_T4_T5_T6_T7_T9_mT8_P12ihipStream_tbDpT10_ENKUlT_T0_E_clISt17integral_constantIbLb0EES1D_EEDaS18_S19_EUlS18_E_NS1_11comp_targetILNS1_3genE5ELNS1_11target_archE942ELNS1_3gpuE9ELNS1_3repE0EEENS1_30default_config_static_selectorELNS0_4arch9wavefront6targetE0EEEvT1_
                                        ; -- End function
	.section	.AMDGPU.csdata,"",@progbits
; Kernel info:
; codeLenInByte = 0
; NumSgprs: 0
; NumVgprs: 0
; ScratchSize: 0
; MemoryBound: 0
; FloatMode: 240
; IeeeMode: 1
; LDSByteSize: 0 bytes/workgroup (compile time only)
; SGPRBlocks: 0
; VGPRBlocks: 0
; NumSGPRsForWavesPerEU: 1
; NumVGPRsForWavesPerEU: 1
; Occupancy: 16
; WaveLimiterHint : 0
; COMPUTE_PGM_RSRC2:SCRATCH_EN: 0
; COMPUTE_PGM_RSRC2:USER_SGPR: 15
; COMPUTE_PGM_RSRC2:TRAP_HANDLER: 0
; COMPUTE_PGM_RSRC2:TGID_X_EN: 1
; COMPUTE_PGM_RSRC2:TGID_Y_EN: 0
; COMPUTE_PGM_RSRC2:TGID_Z_EN: 0
; COMPUTE_PGM_RSRC2:TIDIG_COMP_CNT: 0
	.section	.text._ZN7rocprim17ROCPRIM_400000_NS6detail17trampoline_kernelINS0_14default_configENS1_25partition_config_selectorILNS1_17partition_subalgoE9EijbEEZZNS1_14partition_implILS5_9ELb0ES3_jN6thrust23THRUST_200600_302600_NS6detail15normal_iteratorINS9_10device_ptrIiEEEENSB_INSC_IjEEEEPNS0_10empty_typeENS0_5tupleIJNS9_16discard_iteratorINS9_11use_defaultEEESH_EEENSJ_IJSG_SI_EEENS0_18inequality_wrapperINS9_8equal_toIiEEEEPmJSH_EEE10hipError_tPvRmT3_T4_T5_T6_T7_T9_mT8_P12ihipStream_tbDpT10_ENKUlT_T0_E_clISt17integral_constantIbLb0EES1D_EEDaS18_S19_EUlS18_E_NS1_11comp_targetILNS1_3genE4ELNS1_11target_archE910ELNS1_3gpuE8ELNS1_3repE0EEENS1_30default_config_static_selectorELNS0_4arch9wavefront6targetE0EEEvT1_,"axG",@progbits,_ZN7rocprim17ROCPRIM_400000_NS6detail17trampoline_kernelINS0_14default_configENS1_25partition_config_selectorILNS1_17partition_subalgoE9EijbEEZZNS1_14partition_implILS5_9ELb0ES3_jN6thrust23THRUST_200600_302600_NS6detail15normal_iteratorINS9_10device_ptrIiEEEENSB_INSC_IjEEEEPNS0_10empty_typeENS0_5tupleIJNS9_16discard_iteratorINS9_11use_defaultEEESH_EEENSJ_IJSG_SI_EEENS0_18inequality_wrapperINS9_8equal_toIiEEEEPmJSH_EEE10hipError_tPvRmT3_T4_T5_T6_T7_T9_mT8_P12ihipStream_tbDpT10_ENKUlT_T0_E_clISt17integral_constantIbLb0EES1D_EEDaS18_S19_EUlS18_E_NS1_11comp_targetILNS1_3genE4ELNS1_11target_archE910ELNS1_3gpuE8ELNS1_3repE0EEENS1_30default_config_static_selectorELNS0_4arch9wavefront6targetE0EEEvT1_,comdat
	.protected	_ZN7rocprim17ROCPRIM_400000_NS6detail17trampoline_kernelINS0_14default_configENS1_25partition_config_selectorILNS1_17partition_subalgoE9EijbEEZZNS1_14partition_implILS5_9ELb0ES3_jN6thrust23THRUST_200600_302600_NS6detail15normal_iteratorINS9_10device_ptrIiEEEENSB_INSC_IjEEEEPNS0_10empty_typeENS0_5tupleIJNS9_16discard_iteratorINS9_11use_defaultEEESH_EEENSJ_IJSG_SI_EEENS0_18inequality_wrapperINS9_8equal_toIiEEEEPmJSH_EEE10hipError_tPvRmT3_T4_T5_T6_T7_T9_mT8_P12ihipStream_tbDpT10_ENKUlT_T0_E_clISt17integral_constantIbLb0EES1D_EEDaS18_S19_EUlS18_E_NS1_11comp_targetILNS1_3genE4ELNS1_11target_archE910ELNS1_3gpuE8ELNS1_3repE0EEENS1_30default_config_static_selectorELNS0_4arch9wavefront6targetE0EEEvT1_ ; -- Begin function _ZN7rocprim17ROCPRIM_400000_NS6detail17trampoline_kernelINS0_14default_configENS1_25partition_config_selectorILNS1_17partition_subalgoE9EijbEEZZNS1_14partition_implILS5_9ELb0ES3_jN6thrust23THRUST_200600_302600_NS6detail15normal_iteratorINS9_10device_ptrIiEEEENSB_INSC_IjEEEEPNS0_10empty_typeENS0_5tupleIJNS9_16discard_iteratorINS9_11use_defaultEEESH_EEENSJ_IJSG_SI_EEENS0_18inequality_wrapperINS9_8equal_toIiEEEEPmJSH_EEE10hipError_tPvRmT3_T4_T5_T6_T7_T9_mT8_P12ihipStream_tbDpT10_ENKUlT_T0_E_clISt17integral_constantIbLb0EES1D_EEDaS18_S19_EUlS18_E_NS1_11comp_targetILNS1_3genE4ELNS1_11target_archE910ELNS1_3gpuE8ELNS1_3repE0EEENS1_30default_config_static_selectorELNS0_4arch9wavefront6targetE0EEEvT1_
	.globl	_ZN7rocprim17ROCPRIM_400000_NS6detail17trampoline_kernelINS0_14default_configENS1_25partition_config_selectorILNS1_17partition_subalgoE9EijbEEZZNS1_14partition_implILS5_9ELb0ES3_jN6thrust23THRUST_200600_302600_NS6detail15normal_iteratorINS9_10device_ptrIiEEEENSB_INSC_IjEEEEPNS0_10empty_typeENS0_5tupleIJNS9_16discard_iteratorINS9_11use_defaultEEESH_EEENSJ_IJSG_SI_EEENS0_18inequality_wrapperINS9_8equal_toIiEEEEPmJSH_EEE10hipError_tPvRmT3_T4_T5_T6_T7_T9_mT8_P12ihipStream_tbDpT10_ENKUlT_T0_E_clISt17integral_constantIbLb0EES1D_EEDaS18_S19_EUlS18_E_NS1_11comp_targetILNS1_3genE4ELNS1_11target_archE910ELNS1_3gpuE8ELNS1_3repE0EEENS1_30default_config_static_selectorELNS0_4arch9wavefront6targetE0EEEvT1_
	.p2align	8
	.type	_ZN7rocprim17ROCPRIM_400000_NS6detail17trampoline_kernelINS0_14default_configENS1_25partition_config_selectorILNS1_17partition_subalgoE9EijbEEZZNS1_14partition_implILS5_9ELb0ES3_jN6thrust23THRUST_200600_302600_NS6detail15normal_iteratorINS9_10device_ptrIiEEEENSB_INSC_IjEEEEPNS0_10empty_typeENS0_5tupleIJNS9_16discard_iteratorINS9_11use_defaultEEESH_EEENSJ_IJSG_SI_EEENS0_18inequality_wrapperINS9_8equal_toIiEEEEPmJSH_EEE10hipError_tPvRmT3_T4_T5_T6_T7_T9_mT8_P12ihipStream_tbDpT10_ENKUlT_T0_E_clISt17integral_constantIbLb0EES1D_EEDaS18_S19_EUlS18_E_NS1_11comp_targetILNS1_3genE4ELNS1_11target_archE910ELNS1_3gpuE8ELNS1_3repE0EEENS1_30default_config_static_selectorELNS0_4arch9wavefront6targetE0EEEvT1_,@function
_ZN7rocprim17ROCPRIM_400000_NS6detail17trampoline_kernelINS0_14default_configENS1_25partition_config_selectorILNS1_17partition_subalgoE9EijbEEZZNS1_14partition_implILS5_9ELb0ES3_jN6thrust23THRUST_200600_302600_NS6detail15normal_iteratorINS9_10device_ptrIiEEEENSB_INSC_IjEEEEPNS0_10empty_typeENS0_5tupleIJNS9_16discard_iteratorINS9_11use_defaultEEESH_EEENSJ_IJSG_SI_EEENS0_18inequality_wrapperINS9_8equal_toIiEEEEPmJSH_EEE10hipError_tPvRmT3_T4_T5_T6_T7_T9_mT8_P12ihipStream_tbDpT10_ENKUlT_T0_E_clISt17integral_constantIbLb0EES1D_EEDaS18_S19_EUlS18_E_NS1_11comp_targetILNS1_3genE4ELNS1_11target_archE910ELNS1_3gpuE8ELNS1_3repE0EEENS1_30default_config_static_selectorELNS0_4arch9wavefront6targetE0EEEvT1_: ; @_ZN7rocprim17ROCPRIM_400000_NS6detail17trampoline_kernelINS0_14default_configENS1_25partition_config_selectorILNS1_17partition_subalgoE9EijbEEZZNS1_14partition_implILS5_9ELb0ES3_jN6thrust23THRUST_200600_302600_NS6detail15normal_iteratorINS9_10device_ptrIiEEEENSB_INSC_IjEEEEPNS0_10empty_typeENS0_5tupleIJNS9_16discard_iteratorINS9_11use_defaultEEESH_EEENSJ_IJSG_SI_EEENS0_18inequality_wrapperINS9_8equal_toIiEEEEPmJSH_EEE10hipError_tPvRmT3_T4_T5_T6_T7_T9_mT8_P12ihipStream_tbDpT10_ENKUlT_T0_E_clISt17integral_constantIbLb0EES1D_EEDaS18_S19_EUlS18_E_NS1_11comp_targetILNS1_3genE4ELNS1_11target_archE910ELNS1_3gpuE8ELNS1_3repE0EEENS1_30default_config_static_selectorELNS0_4arch9wavefront6targetE0EEEvT1_
; %bb.0:
	.section	.rodata,"a",@progbits
	.p2align	6, 0x0
	.amdhsa_kernel _ZN7rocprim17ROCPRIM_400000_NS6detail17trampoline_kernelINS0_14default_configENS1_25partition_config_selectorILNS1_17partition_subalgoE9EijbEEZZNS1_14partition_implILS5_9ELb0ES3_jN6thrust23THRUST_200600_302600_NS6detail15normal_iteratorINS9_10device_ptrIiEEEENSB_INSC_IjEEEEPNS0_10empty_typeENS0_5tupleIJNS9_16discard_iteratorINS9_11use_defaultEEESH_EEENSJ_IJSG_SI_EEENS0_18inequality_wrapperINS9_8equal_toIiEEEEPmJSH_EEE10hipError_tPvRmT3_T4_T5_T6_T7_T9_mT8_P12ihipStream_tbDpT10_ENKUlT_T0_E_clISt17integral_constantIbLb0EES1D_EEDaS18_S19_EUlS18_E_NS1_11comp_targetILNS1_3genE4ELNS1_11target_archE910ELNS1_3gpuE8ELNS1_3repE0EEENS1_30default_config_static_selectorELNS0_4arch9wavefront6targetE0EEEvT1_
		.amdhsa_group_segment_fixed_size 0
		.amdhsa_private_segment_fixed_size 0
		.amdhsa_kernarg_size 120
		.amdhsa_user_sgpr_count 15
		.amdhsa_user_sgpr_dispatch_ptr 0
		.amdhsa_user_sgpr_queue_ptr 0
		.amdhsa_user_sgpr_kernarg_segment_ptr 1
		.amdhsa_user_sgpr_dispatch_id 0
		.amdhsa_user_sgpr_private_segment_size 0
		.amdhsa_wavefront_size32 1
		.amdhsa_uses_dynamic_stack 0
		.amdhsa_enable_private_segment 0
		.amdhsa_system_sgpr_workgroup_id_x 1
		.amdhsa_system_sgpr_workgroup_id_y 0
		.amdhsa_system_sgpr_workgroup_id_z 0
		.amdhsa_system_sgpr_workgroup_info 0
		.amdhsa_system_vgpr_workitem_id 0
		.amdhsa_next_free_vgpr 1
		.amdhsa_next_free_sgpr 1
		.amdhsa_reserve_vcc 0
		.amdhsa_float_round_mode_32 0
		.amdhsa_float_round_mode_16_64 0
		.amdhsa_float_denorm_mode_32 3
		.amdhsa_float_denorm_mode_16_64 3
		.amdhsa_dx10_clamp 1
		.amdhsa_ieee_mode 1
		.amdhsa_fp16_overflow 0
		.amdhsa_workgroup_processor_mode 1
		.amdhsa_memory_ordered 1
		.amdhsa_forward_progress 0
		.amdhsa_shared_vgpr_count 0
		.amdhsa_exception_fp_ieee_invalid_op 0
		.amdhsa_exception_fp_denorm_src 0
		.amdhsa_exception_fp_ieee_div_zero 0
		.amdhsa_exception_fp_ieee_overflow 0
		.amdhsa_exception_fp_ieee_underflow 0
		.amdhsa_exception_fp_ieee_inexact 0
		.amdhsa_exception_int_div_zero 0
	.end_amdhsa_kernel
	.section	.text._ZN7rocprim17ROCPRIM_400000_NS6detail17trampoline_kernelINS0_14default_configENS1_25partition_config_selectorILNS1_17partition_subalgoE9EijbEEZZNS1_14partition_implILS5_9ELb0ES3_jN6thrust23THRUST_200600_302600_NS6detail15normal_iteratorINS9_10device_ptrIiEEEENSB_INSC_IjEEEEPNS0_10empty_typeENS0_5tupleIJNS9_16discard_iteratorINS9_11use_defaultEEESH_EEENSJ_IJSG_SI_EEENS0_18inequality_wrapperINS9_8equal_toIiEEEEPmJSH_EEE10hipError_tPvRmT3_T4_T5_T6_T7_T9_mT8_P12ihipStream_tbDpT10_ENKUlT_T0_E_clISt17integral_constantIbLb0EES1D_EEDaS18_S19_EUlS18_E_NS1_11comp_targetILNS1_3genE4ELNS1_11target_archE910ELNS1_3gpuE8ELNS1_3repE0EEENS1_30default_config_static_selectorELNS0_4arch9wavefront6targetE0EEEvT1_,"axG",@progbits,_ZN7rocprim17ROCPRIM_400000_NS6detail17trampoline_kernelINS0_14default_configENS1_25partition_config_selectorILNS1_17partition_subalgoE9EijbEEZZNS1_14partition_implILS5_9ELb0ES3_jN6thrust23THRUST_200600_302600_NS6detail15normal_iteratorINS9_10device_ptrIiEEEENSB_INSC_IjEEEEPNS0_10empty_typeENS0_5tupleIJNS9_16discard_iteratorINS9_11use_defaultEEESH_EEENSJ_IJSG_SI_EEENS0_18inequality_wrapperINS9_8equal_toIiEEEEPmJSH_EEE10hipError_tPvRmT3_T4_T5_T6_T7_T9_mT8_P12ihipStream_tbDpT10_ENKUlT_T0_E_clISt17integral_constantIbLb0EES1D_EEDaS18_S19_EUlS18_E_NS1_11comp_targetILNS1_3genE4ELNS1_11target_archE910ELNS1_3gpuE8ELNS1_3repE0EEENS1_30default_config_static_selectorELNS0_4arch9wavefront6targetE0EEEvT1_,comdat
.Lfunc_end1143:
	.size	_ZN7rocprim17ROCPRIM_400000_NS6detail17trampoline_kernelINS0_14default_configENS1_25partition_config_selectorILNS1_17partition_subalgoE9EijbEEZZNS1_14partition_implILS5_9ELb0ES3_jN6thrust23THRUST_200600_302600_NS6detail15normal_iteratorINS9_10device_ptrIiEEEENSB_INSC_IjEEEEPNS0_10empty_typeENS0_5tupleIJNS9_16discard_iteratorINS9_11use_defaultEEESH_EEENSJ_IJSG_SI_EEENS0_18inequality_wrapperINS9_8equal_toIiEEEEPmJSH_EEE10hipError_tPvRmT3_T4_T5_T6_T7_T9_mT8_P12ihipStream_tbDpT10_ENKUlT_T0_E_clISt17integral_constantIbLb0EES1D_EEDaS18_S19_EUlS18_E_NS1_11comp_targetILNS1_3genE4ELNS1_11target_archE910ELNS1_3gpuE8ELNS1_3repE0EEENS1_30default_config_static_selectorELNS0_4arch9wavefront6targetE0EEEvT1_, .Lfunc_end1143-_ZN7rocprim17ROCPRIM_400000_NS6detail17trampoline_kernelINS0_14default_configENS1_25partition_config_selectorILNS1_17partition_subalgoE9EijbEEZZNS1_14partition_implILS5_9ELb0ES3_jN6thrust23THRUST_200600_302600_NS6detail15normal_iteratorINS9_10device_ptrIiEEEENSB_INSC_IjEEEEPNS0_10empty_typeENS0_5tupleIJNS9_16discard_iteratorINS9_11use_defaultEEESH_EEENSJ_IJSG_SI_EEENS0_18inequality_wrapperINS9_8equal_toIiEEEEPmJSH_EEE10hipError_tPvRmT3_T4_T5_T6_T7_T9_mT8_P12ihipStream_tbDpT10_ENKUlT_T0_E_clISt17integral_constantIbLb0EES1D_EEDaS18_S19_EUlS18_E_NS1_11comp_targetILNS1_3genE4ELNS1_11target_archE910ELNS1_3gpuE8ELNS1_3repE0EEENS1_30default_config_static_selectorELNS0_4arch9wavefront6targetE0EEEvT1_
                                        ; -- End function
	.section	.AMDGPU.csdata,"",@progbits
; Kernel info:
; codeLenInByte = 0
; NumSgprs: 0
; NumVgprs: 0
; ScratchSize: 0
; MemoryBound: 0
; FloatMode: 240
; IeeeMode: 1
; LDSByteSize: 0 bytes/workgroup (compile time only)
; SGPRBlocks: 0
; VGPRBlocks: 0
; NumSGPRsForWavesPerEU: 1
; NumVGPRsForWavesPerEU: 1
; Occupancy: 15
; WaveLimiterHint : 0
; COMPUTE_PGM_RSRC2:SCRATCH_EN: 0
; COMPUTE_PGM_RSRC2:USER_SGPR: 15
; COMPUTE_PGM_RSRC2:TRAP_HANDLER: 0
; COMPUTE_PGM_RSRC2:TGID_X_EN: 1
; COMPUTE_PGM_RSRC2:TGID_Y_EN: 0
; COMPUTE_PGM_RSRC2:TGID_Z_EN: 0
; COMPUTE_PGM_RSRC2:TIDIG_COMP_CNT: 0
	.section	.text._ZN7rocprim17ROCPRIM_400000_NS6detail17trampoline_kernelINS0_14default_configENS1_25partition_config_selectorILNS1_17partition_subalgoE9EijbEEZZNS1_14partition_implILS5_9ELb0ES3_jN6thrust23THRUST_200600_302600_NS6detail15normal_iteratorINS9_10device_ptrIiEEEENSB_INSC_IjEEEEPNS0_10empty_typeENS0_5tupleIJNS9_16discard_iteratorINS9_11use_defaultEEESH_EEENSJ_IJSG_SI_EEENS0_18inequality_wrapperINS9_8equal_toIiEEEEPmJSH_EEE10hipError_tPvRmT3_T4_T5_T6_T7_T9_mT8_P12ihipStream_tbDpT10_ENKUlT_T0_E_clISt17integral_constantIbLb0EES1D_EEDaS18_S19_EUlS18_E_NS1_11comp_targetILNS1_3genE3ELNS1_11target_archE908ELNS1_3gpuE7ELNS1_3repE0EEENS1_30default_config_static_selectorELNS0_4arch9wavefront6targetE0EEEvT1_,"axG",@progbits,_ZN7rocprim17ROCPRIM_400000_NS6detail17trampoline_kernelINS0_14default_configENS1_25partition_config_selectorILNS1_17partition_subalgoE9EijbEEZZNS1_14partition_implILS5_9ELb0ES3_jN6thrust23THRUST_200600_302600_NS6detail15normal_iteratorINS9_10device_ptrIiEEEENSB_INSC_IjEEEEPNS0_10empty_typeENS0_5tupleIJNS9_16discard_iteratorINS9_11use_defaultEEESH_EEENSJ_IJSG_SI_EEENS0_18inequality_wrapperINS9_8equal_toIiEEEEPmJSH_EEE10hipError_tPvRmT3_T4_T5_T6_T7_T9_mT8_P12ihipStream_tbDpT10_ENKUlT_T0_E_clISt17integral_constantIbLb0EES1D_EEDaS18_S19_EUlS18_E_NS1_11comp_targetILNS1_3genE3ELNS1_11target_archE908ELNS1_3gpuE7ELNS1_3repE0EEENS1_30default_config_static_selectorELNS0_4arch9wavefront6targetE0EEEvT1_,comdat
	.protected	_ZN7rocprim17ROCPRIM_400000_NS6detail17trampoline_kernelINS0_14default_configENS1_25partition_config_selectorILNS1_17partition_subalgoE9EijbEEZZNS1_14partition_implILS5_9ELb0ES3_jN6thrust23THRUST_200600_302600_NS6detail15normal_iteratorINS9_10device_ptrIiEEEENSB_INSC_IjEEEEPNS0_10empty_typeENS0_5tupleIJNS9_16discard_iteratorINS9_11use_defaultEEESH_EEENSJ_IJSG_SI_EEENS0_18inequality_wrapperINS9_8equal_toIiEEEEPmJSH_EEE10hipError_tPvRmT3_T4_T5_T6_T7_T9_mT8_P12ihipStream_tbDpT10_ENKUlT_T0_E_clISt17integral_constantIbLb0EES1D_EEDaS18_S19_EUlS18_E_NS1_11comp_targetILNS1_3genE3ELNS1_11target_archE908ELNS1_3gpuE7ELNS1_3repE0EEENS1_30default_config_static_selectorELNS0_4arch9wavefront6targetE0EEEvT1_ ; -- Begin function _ZN7rocprim17ROCPRIM_400000_NS6detail17trampoline_kernelINS0_14default_configENS1_25partition_config_selectorILNS1_17partition_subalgoE9EijbEEZZNS1_14partition_implILS5_9ELb0ES3_jN6thrust23THRUST_200600_302600_NS6detail15normal_iteratorINS9_10device_ptrIiEEEENSB_INSC_IjEEEEPNS0_10empty_typeENS0_5tupleIJNS9_16discard_iteratorINS9_11use_defaultEEESH_EEENSJ_IJSG_SI_EEENS0_18inequality_wrapperINS9_8equal_toIiEEEEPmJSH_EEE10hipError_tPvRmT3_T4_T5_T6_T7_T9_mT8_P12ihipStream_tbDpT10_ENKUlT_T0_E_clISt17integral_constantIbLb0EES1D_EEDaS18_S19_EUlS18_E_NS1_11comp_targetILNS1_3genE3ELNS1_11target_archE908ELNS1_3gpuE7ELNS1_3repE0EEENS1_30default_config_static_selectorELNS0_4arch9wavefront6targetE0EEEvT1_
	.globl	_ZN7rocprim17ROCPRIM_400000_NS6detail17trampoline_kernelINS0_14default_configENS1_25partition_config_selectorILNS1_17partition_subalgoE9EijbEEZZNS1_14partition_implILS5_9ELb0ES3_jN6thrust23THRUST_200600_302600_NS6detail15normal_iteratorINS9_10device_ptrIiEEEENSB_INSC_IjEEEEPNS0_10empty_typeENS0_5tupleIJNS9_16discard_iteratorINS9_11use_defaultEEESH_EEENSJ_IJSG_SI_EEENS0_18inequality_wrapperINS9_8equal_toIiEEEEPmJSH_EEE10hipError_tPvRmT3_T4_T5_T6_T7_T9_mT8_P12ihipStream_tbDpT10_ENKUlT_T0_E_clISt17integral_constantIbLb0EES1D_EEDaS18_S19_EUlS18_E_NS1_11comp_targetILNS1_3genE3ELNS1_11target_archE908ELNS1_3gpuE7ELNS1_3repE0EEENS1_30default_config_static_selectorELNS0_4arch9wavefront6targetE0EEEvT1_
	.p2align	8
	.type	_ZN7rocprim17ROCPRIM_400000_NS6detail17trampoline_kernelINS0_14default_configENS1_25partition_config_selectorILNS1_17partition_subalgoE9EijbEEZZNS1_14partition_implILS5_9ELb0ES3_jN6thrust23THRUST_200600_302600_NS6detail15normal_iteratorINS9_10device_ptrIiEEEENSB_INSC_IjEEEEPNS0_10empty_typeENS0_5tupleIJNS9_16discard_iteratorINS9_11use_defaultEEESH_EEENSJ_IJSG_SI_EEENS0_18inequality_wrapperINS9_8equal_toIiEEEEPmJSH_EEE10hipError_tPvRmT3_T4_T5_T6_T7_T9_mT8_P12ihipStream_tbDpT10_ENKUlT_T0_E_clISt17integral_constantIbLb0EES1D_EEDaS18_S19_EUlS18_E_NS1_11comp_targetILNS1_3genE3ELNS1_11target_archE908ELNS1_3gpuE7ELNS1_3repE0EEENS1_30default_config_static_selectorELNS0_4arch9wavefront6targetE0EEEvT1_,@function
_ZN7rocprim17ROCPRIM_400000_NS6detail17trampoline_kernelINS0_14default_configENS1_25partition_config_selectorILNS1_17partition_subalgoE9EijbEEZZNS1_14partition_implILS5_9ELb0ES3_jN6thrust23THRUST_200600_302600_NS6detail15normal_iteratorINS9_10device_ptrIiEEEENSB_INSC_IjEEEEPNS0_10empty_typeENS0_5tupleIJNS9_16discard_iteratorINS9_11use_defaultEEESH_EEENSJ_IJSG_SI_EEENS0_18inequality_wrapperINS9_8equal_toIiEEEEPmJSH_EEE10hipError_tPvRmT3_T4_T5_T6_T7_T9_mT8_P12ihipStream_tbDpT10_ENKUlT_T0_E_clISt17integral_constantIbLb0EES1D_EEDaS18_S19_EUlS18_E_NS1_11comp_targetILNS1_3genE3ELNS1_11target_archE908ELNS1_3gpuE7ELNS1_3repE0EEENS1_30default_config_static_selectorELNS0_4arch9wavefront6targetE0EEEvT1_: ; @_ZN7rocprim17ROCPRIM_400000_NS6detail17trampoline_kernelINS0_14default_configENS1_25partition_config_selectorILNS1_17partition_subalgoE9EijbEEZZNS1_14partition_implILS5_9ELb0ES3_jN6thrust23THRUST_200600_302600_NS6detail15normal_iteratorINS9_10device_ptrIiEEEENSB_INSC_IjEEEEPNS0_10empty_typeENS0_5tupleIJNS9_16discard_iteratorINS9_11use_defaultEEESH_EEENSJ_IJSG_SI_EEENS0_18inequality_wrapperINS9_8equal_toIiEEEEPmJSH_EEE10hipError_tPvRmT3_T4_T5_T6_T7_T9_mT8_P12ihipStream_tbDpT10_ENKUlT_T0_E_clISt17integral_constantIbLb0EES1D_EEDaS18_S19_EUlS18_E_NS1_11comp_targetILNS1_3genE3ELNS1_11target_archE908ELNS1_3gpuE7ELNS1_3repE0EEENS1_30default_config_static_selectorELNS0_4arch9wavefront6targetE0EEEvT1_
; %bb.0:
	.section	.rodata,"a",@progbits
	.p2align	6, 0x0
	.amdhsa_kernel _ZN7rocprim17ROCPRIM_400000_NS6detail17trampoline_kernelINS0_14default_configENS1_25partition_config_selectorILNS1_17partition_subalgoE9EijbEEZZNS1_14partition_implILS5_9ELb0ES3_jN6thrust23THRUST_200600_302600_NS6detail15normal_iteratorINS9_10device_ptrIiEEEENSB_INSC_IjEEEEPNS0_10empty_typeENS0_5tupleIJNS9_16discard_iteratorINS9_11use_defaultEEESH_EEENSJ_IJSG_SI_EEENS0_18inequality_wrapperINS9_8equal_toIiEEEEPmJSH_EEE10hipError_tPvRmT3_T4_T5_T6_T7_T9_mT8_P12ihipStream_tbDpT10_ENKUlT_T0_E_clISt17integral_constantIbLb0EES1D_EEDaS18_S19_EUlS18_E_NS1_11comp_targetILNS1_3genE3ELNS1_11target_archE908ELNS1_3gpuE7ELNS1_3repE0EEENS1_30default_config_static_selectorELNS0_4arch9wavefront6targetE0EEEvT1_
		.amdhsa_group_segment_fixed_size 0
		.amdhsa_private_segment_fixed_size 0
		.amdhsa_kernarg_size 120
		.amdhsa_user_sgpr_count 15
		.amdhsa_user_sgpr_dispatch_ptr 0
		.amdhsa_user_sgpr_queue_ptr 0
		.amdhsa_user_sgpr_kernarg_segment_ptr 1
		.amdhsa_user_sgpr_dispatch_id 0
		.amdhsa_user_sgpr_private_segment_size 0
		.amdhsa_wavefront_size32 1
		.amdhsa_uses_dynamic_stack 0
		.amdhsa_enable_private_segment 0
		.amdhsa_system_sgpr_workgroup_id_x 1
		.amdhsa_system_sgpr_workgroup_id_y 0
		.amdhsa_system_sgpr_workgroup_id_z 0
		.amdhsa_system_sgpr_workgroup_info 0
		.amdhsa_system_vgpr_workitem_id 0
		.amdhsa_next_free_vgpr 1
		.amdhsa_next_free_sgpr 1
		.amdhsa_reserve_vcc 0
		.amdhsa_float_round_mode_32 0
		.amdhsa_float_round_mode_16_64 0
		.amdhsa_float_denorm_mode_32 3
		.amdhsa_float_denorm_mode_16_64 3
		.amdhsa_dx10_clamp 1
		.amdhsa_ieee_mode 1
		.amdhsa_fp16_overflow 0
		.amdhsa_workgroup_processor_mode 1
		.amdhsa_memory_ordered 1
		.amdhsa_forward_progress 0
		.amdhsa_shared_vgpr_count 0
		.amdhsa_exception_fp_ieee_invalid_op 0
		.amdhsa_exception_fp_denorm_src 0
		.amdhsa_exception_fp_ieee_div_zero 0
		.amdhsa_exception_fp_ieee_overflow 0
		.amdhsa_exception_fp_ieee_underflow 0
		.amdhsa_exception_fp_ieee_inexact 0
		.amdhsa_exception_int_div_zero 0
	.end_amdhsa_kernel
	.section	.text._ZN7rocprim17ROCPRIM_400000_NS6detail17trampoline_kernelINS0_14default_configENS1_25partition_config_selectorILNS1_17partition_subalgoE9EijbEEZZNS1_14partition_implILS5_9ELb0ES3_jN6thrust23THRUST_200600_302600_NS6detail15normal_iteratorINS9_10device_ptrIiEEEENSB_INSC_IjEEEEPNS0_10empty_typeENS0_5tupleIJNS9_16discard_iteratorINS9_11use_defaultEEESH_EEENSJ_IJSG_SI_EEENS0_18inequality_wrapperINS9_8equal_toIiEEEEPmJSH_EEE10hipError_tPvRmT3_T4_T5_T6_T7_T9_mT8_P12ihipStream_tbDpT10_ENKUlT_T0_E_clISt17integral_constantIbLb0EES1D_EEDaS18_S19_EUlS18_E_NS1_11comp_targetILNS1_3genE3ELNS1_11target_archE908ELNS1_3gpuE7ELNS1_3repE0EEENS1_30default_config_static_selectorELNS0_4arch9wavefront6targetE0EEEvT1_,"axG",@progbits,_ZN7rocprim17ROCPRIM_400000_NS6detail17trampoline_kernelINS0_14default_configENS1_25partition_config_selectorILNS1_17partition_subalgoE9EijbEEZZNS1_14partition_implILS5_9ELb0ES3_jN6thrust23THRUST_200600_302600_NS6detail15normal_iteratorINS9_10device_ptrIiEEEENSB_INSC_IjEEEEPNS0_10empty_typeENS0_5tupleIJNS9_16discard_iteratorINS9_11use_defaultEEESH_EEENSJ_IJSG_SI_EEENS0_18inequality_wrapperINS9_8equal_toIiEEEEPmJSH_EEE10hipError_tPvRmT3_T4_T5_T6_T7_T9_mT8_P12ihipStream_tbDpT10_ENKUlT_T0_E_clISt17integral_constantIbLb0EES1D_EEDaS18_S19_EUlS18_E_NS1_11comp_targetILNS1_3genE3ELNS1_11target_archE908ELNS1_3gpuE7ELNS1_3repE0EEENS1_30default_config_static_selectorELNS0_4arch9wavefront6targetE0EEEvT1_,comdat
.Lfunc_end1144:
	.size	_ZN7rocprim17ROCPRIM_400000_NS6detail17trampoline_kernelINS0_14default_configENS1_25partition_config_selectorILNS1_17partition_subalgoE9EijbEEZZNS1_14partition_implILS5_9ELb0ES3_jN6thrust23THRUST_200600_302600_NS6detail15normal_iteratorINS9_10device_ptrIiEEEENSB_INSC_IjEEEEPNS0_10empty_typeENS0_5tupleIJNS9_16discard_iteratorINS9_11use_defaultEEESH_EEENSJ_IJSG_SI_EEENS0_18inequality_wrapperINS9_8equal_toIiEEEEPmJSH_EEE10hipError_tPvRmT3_T4_T5_T6_T7_T9_mT8_P12ihipStream_tbDpT10_ENKUlT_T0_E_clISt17integral_constantIbLb0EES1D_EEDaS18_S19_EUlS18_E_NS1_11comp_targetILNS1_3genE3ELNS1_11target_archE908ELNS1_3gpuE7ELNS1_3repE0EEENS1_30default_config_static_selectorELNS0_4arch9wavefront6targetE0EEEvT1_, .Lfunc_end1144-_ZN7rocprim17ROCPRIM_400000_NS6detail17trampoline_kernelINS0_14default_configENS1_25partition_config_selectorILNS1_17partition_subalgoE9EijbEEZZNS1_14partition_implILS5_9ELb0ES3_jN6thrust23THRUST_200600_302600_NS6detail15normal_iteratorINS9_10device_ptrIiEEEENSB_INSC_IjEEEEPNS0_10empty_typeENS0_5tupleIJNS9_16discard_iteratorINS9_11use_defaultEEESH_EEENSJ_IJSG_SI_EEENS0_18inequality_wrapperINS9_8equal_toIiEEEEPmJSH_EEE10hipError_tPvRmT3_T4_T5_T6_T7_T9_mT8_P12ihipStream_tbDpT10_ENKUlT_T0_E_clISt17integral_constantIbLb0EES1D_EEDaS18_S19_EUlS18_E_NS1_11comp_targetILNS1_3genE3ELNS1_11target_archE908ELNS1_3gpuE7ELNS1_3repE0EEENS1_30default_config_static_selectorELNS0_4arch9wavefront6targetE0EEEvT1_
                                        ; -- End function
	.section	.AMDGPU.csdata,"",@progbits
; Kernel info:
; codeLenInByte = 0
; NumSgprs: 0
; NumVgprs: 0
; ScratchSize: 0
; MemoryBound: 0
; FloatMode: 240
; IeeeMode: 1
; LDSByteSize: 0 bytes/workgroup (compile time only)
; SGPRBlocks: 0
; VGPRBlocks: 0
; NumSGPRsForWavesPerEU: 1
; NumVGPRsForWavesPerEU: 1
; Occupancy: 16
; WaveLimiterHint : 0
; COMPUTE_PGM_RSRC2:SCRATCH_EN: 0
; COMPUTE_PGM_RSRC2:USER_SGPR: 15
; COMPUTE_PGM_RSRC2:TRAP_HANDLER: 0
; COMPUTE_PGM_RSRC2:TGID_X_EN: 1
; COMPUTE_PGM_RSRC2:TGID_Y_EN: 0
; COMPUTE_PGM_RSRC2:TGID_Z_EN: 0
; COMPUTE_PGM_RSRC2:TIDIG_COMP_CNT: 0
	.section	.text._ZN7rocprim17ROCPRIM_400000_NS6detail17trampoline_kernelINS0_14default_configENS1_25partition_config_selectorILNS1_17partition_subalgoE9EijbEEZZNS1_14partition_implILS5_9ELb0ES3_jN6thrust23THRUST_200600_302600_NS6detail15normal_iteratorINS9_10device_ptrIiEEEENSB_INSC_IjEEEEPNS0_10empty_typeENS0_5tupleIJNS9_16discard_iteratorINS9_11use_defaultEEESH_EEENSJ_IJSG_SI_EEENS0_18inequality_wrapperINS9_8equal_toIiEEEEPmJSH_EEE10hipError_tPvRmT3_T4_T5_T6_T7_T9_mT8_P12ihipStream_tbDpT10_ENKUlT_T0_E_clISt17integral_constantIbLb0EES1D_EEDaS18_S19_EUlS18_E_NS1_11comp_targetILNS1_3genE2ELNS1_11target_archE906ELNS1_3gpuE6ELNS1_3repE0EEENS1_30default_config_static_selectorELNS0_4arch9wavefront6targetE0EEEvT1_,"axG",@progbits,_ZN7rocprim17ROCPRIM_400000_NS6detail17trampoline_kernelINS0_14default_configENS1_25partition_config_selectorILNS1_17partition_subalgoE9EijbEEZZNS1_14partition_implILS5_9ELb0ES3_jN6thrust23THRUST_200600_302600_NS6detail15normal_iteratorINS9_10device_ptrIiEEEENSB_INSC_IjEEEEPNS0_10empty_typeENS0_5tupleIJNS9_16discard_iteratorINS9_11use_defaultEEESH_EEENSJ_IJSG_SI_EEENS0_18inequality_wrapperINS9_8equal_toIiEEEEPmJSH_EEE10hipError_tPvRmT3_T4_T5_T6_T7_T9_mT8_P12ihipStream_tbDpT10_ENKUlT_T0_E_clISt17integral_constantIbLb0EES1D_EEDaS18_S19_EUlS18_E_NS1_11comp_targetILNS1_3genE2ELNS1_11target_archE906ELNS1_3gpuE6ELNS1_3repE0EEENS1_30default_config_static_selectorELNS0_4arch9wavefront6targetE0EEEvT1_,comdat
	.protected	_ZN7rocprim17ROCPRIM_400000_NS6detail17trampoline_kernelINS0_14default_configENS1_25partition_config_selectorILNS1_17partition_subalgoE9EijbEEZZNS1_14partition_implILS5_9ELb0ES3_jN6thrust23THRUST_200600_302600_NS6detail15normal_iteratorINS9_10device_ptrIiEEEENSB_INSC_IjEEEEPNS0_10empty_typeENS0_5tupleIJNS9_16discard_iteratorINS9_11use_defaultEEESH_EEENSJ_IJSG_SI_EEENS0_18inequality_wrapperINS9_8equal_toIiEEEEPmJSH_EEE10hipError_tPvRmT3_T4_T5_T6_T7_T9_mT8_P12ihipStream_tbDpT10_ENKUlT_T0_E_clISt17integral_constantIbLb0EES1D_EEDaS18_S19_EUlS18_E_NS1_11comp_targetILNS1_3genE2ELNS1_11target_archE906ELNS1_3gpuE6ELNS1_3repE0EEENS1_30default_config_static_selectorELNS0_4arch9wavefront6targetE0EEEvT1_ ; -- Begin function _ZN7rocprim17ROCPRIM_400000_NS6detail17trampoline_kernelINS0_14default_configENS1_25partition_config_selectorILNS1_17partition_subalgoE9EijbEEZZNS1_14partition_implILS5_9ELb0ES3_jN6thrust23THRUST_200600_302600_NS6detail15normal_iteratorINS9_10device_ptrIiEEEENSB_INSC_IjEEEEPNS0_10empty_typeENS0_5tupleIJNS9_16discard_iteratorINS9_11use_defaultEEESH_EEENSJ_IJSG_SI_EEENS0_18inequality_wrapperINS9_8equal_toIiEEEEPmJSH_EEE10hipError_tPvRmT3_T4_T5_T6_T7_T9_mT8_P12ihipStream_tbDpT10_ENKUlT_T0_E_clISt17integral_constantIbLb0EES1D_EEDaS18_S19_EUlS18_E_NS1_11comp_targetILNS1_3genE2ELNS1_11target_archE906ELNS1_3gpuE6ELNS1_3repE0EEENS1_30default_config_static_selectorELNS0_4arch9wavefront6targetE0EEEvT1_
	.globl	_ZN7rocprim17ROCPRIM_400000_NS6detail17trampoline_kernelINS0_14default_configENS1_25partition_config_selectorILNS1_17partition_subalgoE9EijbEEZZNS1_14partition_implILS5_9ELb0ES3_jN6thrust23THRUST_200600_302600_NS6detail15normal_iteratorINS9_10device_ptrIiEEEENSB_INSC_IjEEEEPNS0_10empty_typeENS0_5tupleIJNS9_16discard_iteratorINS9_11use_defaultEEESH_EEENSJ_IJSG_SI_EEENS0_18inequality_wrapperINS9_8equal_toIiEEEEPmJSH_EEE10hipError_tPvRmT3_T4_T5_T6_T7_T9_mT8_P12ihipStream_tbDpT10_ENKUlT_T0_E_clISt17integral_constantIbLb0EES1D_EEDaS18_S19_EUlS18_E_NS1_11comp_targetILNS1_3genE2ELNS1_11target_archE906ELNS1_3gpuE6ELNS1_3repE0EEENS1_30default_config_static_selectorELNS0_4arch9wavefront6targetE0EEEvT1_
	.p2align	8
	.type	_ZN7rocprim17ROCPRIM_400000_NS6detail17trampoline_kernelINS0_14default_configENS1_25partition_config_selectorILNS1_17partition_subalgoE9EijbEEZZNS1_14partition_implILS5_9ELb0ES3_jN6thrust23THRUST_200600_302600_NS6detail15normal_iteratorINS9_10device_ptrIiEEEENSB_INSC_IjEEEEPNS0_10empty_typeENS0_5tupleIJNS9_16discard_iteratorINS9_11use_defaultEEESH_EEENSJ_IJSG_SI_EEENS0_18inequality_wrapperINS9_8equal_toIiEEEEPmJSH_EEE10hipError_tPvRmT3_T4_T5_T6_T7_T9_mT8_P12ihipStream_tbDpT10_ENKUlT_T0_E_clISt17integral_constantIbLb0EES1D_EEDaS18_S19_EUlS18_E_NS1_11comp_targetILNS1_3genE2ELNS1_11target_archE906ELNS1_3gpuE6ELNS1_3repE0EEENS1_30default_config_static_selectorELNS0_4arch9wavefront6targetE0EEEvT1_,@function
_ZN7rocprim17ROCPRIM_400000_NS6detail17trampoline_kernelINS0_14default_configENS1_25partition_config_selectorILNS1_17partition_subalgoE9EijbEEZZNS1_14partition_implILS5_9ELb0ES3_jN6thrust23THRUST_200600_302600_NS6detail15normal_iteratorINS9_10device_ptrIiEEEENSB_INSC_IjEEEEPNS0_10empty_typeENS0_5tupleIJNS9_16discard_iteratorINS9_11use_defaultEEESH_EEENSJ_IJSG_SI_EEENS0_18inequality_wrapperINS9_8equal_toIiEEEEPmJSH_EEE10hipError_tPvRmT3_T4_T5_T6_T7_T9_mT8_P12ihipStream_tbDpT10_ENKUlT_T0_E_clISt17integral_constantIbLb0EES1D_EEDaS18_S19_EUlS18_E_NS1_11comp_targetILNS1_3genE2ELNS1_11target_archE906ELNS1_3gpuE6ELNS1_3repE0EEENS1_30default_config_static_selectorELNS0_4arch9wavefront6targetE0EEEvT1_: ; @_ZN7rocprim17ROCPRIM_400000_NS6detail17trampoline_kernelINS0_14default_configENS1_25partition_config_selectorILNS1_17partition_subalgoE9EijbEEZZNS1_14partition_implILS5_9ELb0ES3_jN6thrust23THRUST_200600_302600_NS6detail15normal_iteratorINS9_10device_ptrIiEEEENSB_INSC_IjEEEEPNS0_10empty_typeENS0_5tupleIJNS9_16discard_iteratorINS9_11use_defaultEEESH_EEENSJ_IJSG_SI_EEENS0_18inequality_wrapperINS9_8equal_toIiEEEEPmJSH_EEE10hipError_tPvRmT3_T4_T5_T6_T7_T9_mT8_P12ihipStream_tbDpT10_ENKUlT_T0_E_clISt17integral_constantIbLb0EES1D_EEDaS18_S19_EUlS18_E_NS1_11comp_targetILNS1_3genE2ELNS1_11target_archE906ELNS1_3gpuE6ELNS1_3repE0EEENS1_30default_config_static_selectorELNS0_4arch9wavefront6targetE0EEEvT1_
; %bb.0:
	.section	.rodata,"a",@progbits
	.p2align	6, 0x0
	.amdhsa_kernel _ZN7rocprim17ROCPRIM_400000_NS6detail17trampoline_kernelINS0_14default_configENS1_25partition_config_selectorILNS1_17partition_subalgoE9EijbEEZZNS1_14partition_implILS5_9ELb0ES3_jN6thrust23THRUST_200600_302600_NS6detail15normal_iteratorINS9_10device_ptrIiEEEENSB_INSC_IjEEEEPNS0_10empty_typeENS0_5tupleIJNS9_16discard_iteratorINS9_11use_defaultEEESH_EEENSJ_IJSG_SI_EEENS0_18inequality_wrapperINS9_8equal_toIiEEEEPmJSH_EEE10hipError_tPvRmT3_T4_T5_T6_T7_T9_mT8_P12ihipStream_tbDpT10_ENKUlT_T0_E_clISt17integral_constantIbLb0EES1D_EEDaS18_S19_EUlS18_E_NS1_11comp_targetILNS1_3genE2ELNS1_11target_archE906ELNS1_3gpuE6ELNS1_3repE0EEENS1_30default_config_static_selectorELNS0_4arch9wavefront6targetE0EEEvT1_
		.amdhsa_group_segment_fixed_size 0
		.amdhsa_private_segment_fixed_size 0
		.amdhsa_kernarg_size 120
		.amdhsa_user_sgpr_count 15
		.amdhsa_user_sgpr_dispatch_ptr 0
		.amdhsa_user_sgpr_queue_ptr 0
		.amdhsa_user_sgpr_kernarg_segment_ptr 1
		.amdhsa_user_sgpr_dispatch_id 0
		.amdhsa_user_sgpr_private_segment_size 0
		.amdhsa_wavefront_size32 1
		.amdhsa_uses_dynamic_stack 0
		.amdhsa_enable_private_segment 0
		.amdhsa_system_sgpr_workgroup_id_x 1
		.amdhsa_system_sgpr_workgroup_id_y 0
		.amdhsa_system_sgpr_workgroup_id_z 0
		.amdhsa_system_sgpr_workgroup_info 0
		.amdhsa_system_vgpr_workitem_id 0
		.amdhsa_next_free_vgpr 1
		.amdhsa_next_free_sgpr 1
		.amdhsa_reserve_vcc 0
		.amdhsa_float_round_mode_32 0
		.amdhsa_float_round_mode_16_64 0
		.amdhsa_float_denorm_mode_32 3
		.amdhsa_float_denorm_mode_16_64 3
		.amdhsa_dx10_clamp 1
		.amdhsa_ieee_mode 1
		.amdhsa_fp16_overflow 0
		.amdhsa_workgroup_processor_mode 1
		.amdhsa_memory_ordered 1
		.amdhsa_forward_progress 0
		.amdhsa_shared_vgpr_count 0
		.amdhsa_exception_fp_ieee_invalid_op 0
		.amdhsa_exception_fp_denorm_src 0
		.amdhsa_exception_fp_ieee_div_zero 0
		.amdhsa_exception_fp_ieee_overflow 0
		.amdhsa_exception_fp_ieee_underflow 0
		.amdhsa_exception_fp_ieee_inexact 0
		.amdhsa_exception_int_div_zero 0
	.end_amdhsa_kernel
	.section	.text._ZN7rocprim17ROCPRIM_400000_NS6detail17trampoline_kernelINS0_14default_configENS1_25partition_config_selectorILNS1_17partition_subalgoE9EijbEEZZNS1_14partition_implILS5_9ELb0ES3_jN6thrust23THRUST_200600_302600_NS6detail15normal_iteratorINS9_10device_ptrIiEEEENSB_INSC_IjEEEEPNS0_10empty_typeENS0_5tupleIJNS9_16discard_iteratorINS9_11use_defaultEEESH_EEENSJ_IJSG_SI_EEENS0_18inequality_wrapperINS9_8equal_toIiEEEEPmJSH_EEE10hipError_tPvRmT3_T4_T5_T6_T7_T9_mT8_P12ihipStream_tbDpT10_ENKUlT_T0_E_clISt17integral_constantIbLb0EES1D_EEDaS18_S19_EUlS18_E_NS1_11comp_targetILNS1_3genE2ELNS1_11target_archE906ELNS1_3gpuE6ELNS1_3repE0EEENS1_30default_config_static_selectorELNS0_4arch9wavefront6targetE0EEEvT1_,"axG",@progbits,_ZN7rocprim17ROCPRIM_400000_NS6detail17trampoline_kernelINS0_14default_configENS1_25partition_config_selectorILNS1_17partition_subalgoE9EijbEEZZNS1_14partition_implILS5_9ELb0ES3_jN6thrust23THRUST_200600_302600_NS6detail15normal_iteratorINS9_10device_ptrIiEEEENSB_INSC_IjEEEEPNS0_10empty_typeENS0_5tupleIJNS9_16discard_iteratorINS9_11use_defaultEEESH_EEENSJ_IJSG_SI_EEENS0_18inequality_wrapperINS9_8equal_toIiEEEEPmJSH_EEE10hipError_tPvRmT3_T4_T5_T6_T7_T9_mT8_P12ihipStream_tbDpT10_ENKUlT_T0_E_clISt17integral_constantIbLb0EES1D_EEDaS18_S19_EUlS18_E_NS1_11comp_targetILNS1_3genE2ELNS1_11target_archE906ELNS1_3gpuE6ELNS1_3repE0EEENS1_30default_config_static_selectorELNS0_4arch9wavefront6targetE0EEEvT1_,comdat
.Lfunc_end1145:
	.size	_ZN7rocprim17ROCPRIM_400000_NS6detail17trampoline_kernelINS0_14default_configENS1_25partition_config_selectorILNS1_17partition_subalgoE9EijbEEZZNS1_14partition_implILS5_9ELb0ES3_jN6thrust23THRUST_200600_302600_NS6detail15normal_iteratorINS9_10device_ptrIiEEEENSB_INSC_IjEEEEPNS0_10empty_typeENS0_5tupleIJNS9_16discard_iteratorINS9_11use_defaultEEESH_EEENSJ_IJSG_SI_EEENS0_18inequality_wrapperINS9_8equal_toIiEEEEPmJSH_EEE10hipError_tPvRmT3_T4_T5_T6_T7_T9_mT8_P12ihipStream_tbDpT10_ENKUlT_T0_E_clISt17integral_constantIbLb0EES1D_EEDaS18_S19_EUlS18_E_NS1_11comp_targetILNS1_3genE2ELNS1_11target_archE906ELNS1_3gpuE6ELNS1_3repE0EEENS1_30default_config_static_selectorELNS0_4arch9wavefront6targetE0EEEvT1_, .Lfunc_end1145-_ZN7rocprim17ROCPRIM_400000_NS6detail17trampoline_kernelINS0_14default_configENS1_25partition_config_selectorILNS1_17partition_subalgoE9EijbEEZZNS1_14partition_implILS5_9ELb0ES3_jN6thrust23THRUST_200600_302600_NS6detail15normal_iteratorINS9_10device_ptrIiEEEENSB_INSC_IjEEEEPNS0_10empty_typeENS0_5tupleIJNS9_16discard_iteratorINS9_11use_defaultEEESH_EEENSJ_IJSG_SI_EEENS0_18inequality_wrapperINS9_8equal_toIiEEEEPmJSH_EEE10hipError_tPvRmT3_T4_T5_T6_T7_T9_mT8_P12ihipStream_tbDpT10_ENKUlT_T0_E_clISt17integral_constantIbLb0EES1D_EEDaS18_S19_EUlS18_E_NS1_11comp_targetILNS1_3genE2ELNS1_11target_archE906ELNS1_3gpuE6ELNS1_3repE0EEENS1_30default_config_static_selectorELNS0_4arch9wavefront6targetE0EEEvT1_
                                        ; -- End function
	.section	.AMDGPU.csdata,"",@progbits
; Kernel info:
; codeLenInByte = 0
; NumSgprs: 0
; NumVgprs: 0
; ScratchSize: 0
; MemoryBound: 0
; FloatMode: 240
; IeeeMode: 1
; LDSByteSize: 0 bytes/workgroup (compile time only)
; SGPRBlocks: 0
; VGPRBlocks: 0
; NumSGPRsForWavesPerEU: 1
; NumVGPRsForWavesPerEU: 1
; Occupancy: 16
; WaveLimiterHint : 0
; COMPUTE_PGM_RSRC2:SCRATCH_EN: 0
; COMPUTE_PGM_RSRC2:USER_SGPR: 15
; COMPUTE_PGM_RSRC2:TRAP_HANDLER: 0
; COMPUTE_PGM_RSRC2:TGID_X_EN: 1
; COMPUTE_PGM_RSRC2:TGID_Y_EN: 0
; COMPUTE_PGM_RSRC2:TGID_Z_EN: 0
; COMPUTE_PGM_RSRC2:TIDIG_COMP_CNT: 0
	.section	.text._ZN7rocprim17ROCPRIM_400000_NS6detail17trampoline_kernelINS0_14default_configENS1_25partition_config_selectorILNS1_17partition_subalgoE9EijbEEZZNS1_14partition_implILS5_9ELb0ES3_jN6thrust23THRUST_200600_302600_NS6detail15normal_iteratorINS9_10device_ptrIiEEEENSB_INSC_IjEEEEPNS0_10empty_typeENS0_5tupleIJNS9_16discard_iteratorINS9_11use_defaultEEESH_EEENSJ_IJSG_SI_EEENS0_18inequality_wrapperINS9_8equal_toIiEEEEPmJSH_EEE10hipError_tPvRmT3_T4_T5_T6_T7_T9_mT8_P12ihipStream_tbDpT10_ENKUlT_T0_E_clISt17integral_constantIbLb0EES1D_EEDaS18_S19_EUlS18_E_NS1_11comp_targetILNS1_3genE10ELNS1_11target_archE1200ELNS1_3gpuE4ELNS1_3repE0EEENS1_30default_config_static_selectorELNS0_4arch9wavefront6targetE0EEEvT1_,"axG",@progbits,_ZN7rocprim17ROCPRIM_400000_NS6detail17trampoline_kernelINS0_14default_configENS1_25partition_config_selectorILNS1_17partition_subalgoE9EijbEEZZNS1_14partition_implILS5_9ELb0ES3_jN6thrust23THRUST_200600_302600_NS6detail15normal_iteratorINS9_10device_ptrIiEEEENSB_INSC_IjEEEEPNS0_10empty_typeENS0_5tupleIJNS9_16discard_iteratorINS9_11use_defaultEEESH_EEENSJ_IJSG_SI_EEENS0_18inequality_wrapperINS9_8equal_toIiEEEEPmJSH_EEE10hipError_tPvRmT3_T4_T5_T6_T7_T9_mT8_P12ihipStream_tbDpT10_ENKUlT_T0_E_clISt17integral_constantIbLb0EES1D_EEDaS18_S19_EUlS18_E_NS1_11comp_targetILNS1_3genE10ELNS1_11target_archE1200ELNS1_3gpuE4ELNS1_3repE0EEENS1_30default_config_static_selectorELNS0_4arch9wavefront6targetE0EEEvT1_,comdat
	.protected	_ZN7rocprim17ROCPRIM_400000_NS6detail17trampoline_kernelINS0_14default_configENS1_25partition_config_selectorILNS1_17partition_subalgoE9EijbEEZZNS1_14partition_implILS5_9ELb0ES3_jN6thrust23THRUST_200600_302600_NS6detail15normal_iteratorINS9_10device_ptrIiEEEENSB_INSC_IjEEEEPNS0_10empty_typeENS0_5tupleIJNS9_16discard_iteratorINS9_11use_defaultEEESH_EEENSJ_IJSG_SI_EEENS0_18inequality_wrapperINS9_8equal_toIiEEEEPmJSH_EEE10hipError_tPvRmT3_T4_T5_T6_T7_T9_mT8_P12ihipStream_tbDpT10_ENKUlT_T0_E_clISt17integral_constantIbLb0EES1D_EEDaS18_S19_EUlS18_E_NS1_11comp_targetILNS1_3genE10ELNS1_11target_archE1200ELNS1_3gpuE4ELNS1_3repE0EEENS1_30default_config_static_selectorELNS0_4arch9wavefront6targetE0EEEvT1_ ; -- Begin function _ZN7rocprim17ROCPRIM_400000_NS6detail17trampoline_kernelINS0_14default_configENS1_25partition_config_selectorILNS1_17partition_subalgoE9EijbEEZZNS1_14partition_implILS5_9ELb0ES3_jN6thrust23THRUST_200600_302600_NS6detail15normal_iteratorINS9_10device_ptrIiEEEENSB_INSC_IjEEEEPNS0_10empty_typeENS0_5tupleIJNS9_16discard_iteratorINS9_11use_defaultEEESH_EEENSJ_IJSG_SI_EEENS0_18inequality_wrapperINS9_8equal_toIiEEEEPmJSH_EEE10hipError_tPvRmT3_T4_T5_T6_T7_T9_mT8_P12ihipStream_tbDpT10_ENKUlT_T0_E_clISt17integral_constantIbLb0EES1D_EEDaS18_S19_EUlS18_E_NS1_11comp_targetILNS1_3genE10ELNS1_11target_archE1200ELNS1_3gpuE4ELNS1_3repE0EEENS1_30default_config_static_selectorELNS0_4arch9wavefront6targetE0EEEvT1_
	.globl	_ZN7rocprim17ROCPRIM_400000_NS6detail17trampoline_kernelINS0_14default_configENS1_25partition_config_selectorILNS1_17partition_subalgoE9EijbEEZZNS1_14partition_implILS5_9ELb0ES3_jN6thrust23THRUST_200600_302600_NS6detail15normal_iteratorINS9_10device_ptrIiEEEENSB_INSC_IjEEEEPNS0_10empty_typeENS0_5tupleIJNS9_16discard_iteratorINS9_11use_defaultEEESH_EEENSJ_IJSG_SI_EEENS0_18inequality_wrapperINS9_8equal_toIiEEEEPmJSH_EEE10hipError_tPvRmT3_T4_T5_T6_T7_T9_mT8_P12ihipStream_tbDpT10_ENKUlT_T0_E_clISt17integral_constantIbLb0EES1D_EEDaS18_S19_EUlS18_E_NS1_11comp_targetILNS1_3genE10ELNS1_11target_archE1200ELNS1_3gpuE4ELNS1_3repE0EEENS1_30default_config_static_selectorELNS0_4arch9wavefront6targetE0EEEvT1_
	.p2align	8
	.type	_ZN7rocprim17ROCPRIM_400000_NS6detail17trampoline_kernelINS0_14default_configENS1_25partition_config_selectorILNS1_17partition_subalgoE9EijbEEZZNS1_14partition_implILS5_9ELb0ES3_jN6thrust23THRUST_200600_302600_NS6detail15normal_iteratorINS9_10device_ptrIiEEEENSB_INSC_IjEEEEPNS0_10empty_typeENS0_5tupleIJNS9_16discard_iteratorINS9_11use_defaultEEESH_EEENSJ_IJSG_SI_EEENS0_18inequality_wrapperINS9_8equal_toIiEEEEPmJSH_EEE10hipError_tPvRmT3_T4_T5_T6_T7_T9_mT8_P12ihipStream_tbDpT10_ENKUlT_T0_E_clISt17integral_constantIbLb0EES1D_EEDaS18_S19_EUlS18_E_NS1_11comp_targetILNS1_3genE10ELNS1_11target_archE1200ELNS1_3gpuE4ELNS1_3repE0EEENS1_30default_config_static_selectorELNS0_4arch9wavefront6targetE0EEEvT1_,@function
_ZN7rocprim17ROCPRIM_400000_NS6detail17trampoline_kernelINS0_14default_configENS1_25partition_config_selectorILNS1_17partition_subalgoE9EijbEEZZNS1_14partition_implILS5_9ELb0ES3_jN6thrust23THRUST_200600_302600_NS6detail15normal_iteratorINS9_10device_ptrIiEEEENSB_INSC_IjEEEEPNS0_10empty_typeENS0_5tupleIJNS9_16discard_iteratorINS9_11use_defaultEEESH_EEENSJ_IJSG_SI_EEENS0_18inequality_wrapperINS9_8equal_toIiEEEEPmJSH_EEE10hipError_tPvRmT3_T4_T5_T6_T7_T9_mT8_P12ihipStream_tbDpT10_ENKUlT_T0_E_clISt17integral_constantIbLb0EES1D_EEDaS18_S19_EUlS18_E_NS1_11comp_targetILNS1_3genE10ELNS1_11target_archE1200ELNS1_3gpuE4ELNS1_3repE0EEENS1_30default_config_static_selectorELNS0_4arch9wavefront6targetE0EEEvT1_: ; @_ZN7rocprim17ROCPRIM_400000_NS6detail17trampoline_kernelINS0_14default_configENS1_25partition_config_selectorILNS1_17partition_subalgoE9EijbEEZZNS1_14partition_implILS5_9ELb0ES3_jN6thrust23THRUST_200600_302600_NS6detail15normal_iteratorINS9_10device_ptrIiEEEENSB_INSC_IjEEEEPNS0_10empty_typeENS0_5tupleIJNS9_16discard_iteratorINS9_11use_defaultEEESH_EEENSJ_IJSG_SI_EEENS0_18inequality_wrapperINS9_8equal_toIiEEEEPmJSH_EEE10hipError_tPvRmT3_T4_T5_T6_T7_T9_mT8_P12ihipStream_tbDpT10_ENKUlT_T0_E_clISt17integral_constantIbLb0EES1D_EEDaS18_S19_EUlS18_E_NS1_11comp_targetILNS1_3genE10ELNS1_11target_archE1200ELNS1_3gpuE4ELNS1_3repE0EEENS1_30default_config_static_selectorELNS0_4arch9wavefront6targetE0EEEvT1_
; %bb.0:
	.section	.rodata,"a",@progbits
	.p2align	6, 0x0
	.amdhsa_kernel _ZN7rocprim17ROCPRIM_400000_NS6detail17trampoline_kernelINS0_14default_configENS1_25partition_config_selectorILNS1_17partition_subalgoE9EijbEEZZNS1_14partition_implILS5_9ELb0ES3_jN6thrust23THRUST_200600_302600_NS6detail15normal_iteratorINS9_10device_ptrIiEEEENSB_INSC_IjEEEEPNS0_10empty_typeENS0_5tupleIJNS9_16discard_iteratorINS9_11use_defaultEEESH_EEENSJ_IJSG_SI_EEENS0_18inequality_wrapperINS9_8equal_toIiEEEEPmJSH_EEE10hipError_tPvRmT3_T4_T5_T6_T7_T9_mT8_P12ihipStream_tbDpT10_ENKUlT_T0_E_clISt17integral_constantIbLb0EES1D_EEDaS18_S19_EUlS18_E_NS1_11comp_targetILNS1_3genE10ELNS1_11target_archE1200ELNS1_3gpuE4ELNS1_3repE0EEENS1_30default_config_static_selectorELNS0_4arch9wavefront6targetE0EEEvT1_
		.amdhsa_group_segment_fixed_size 0
		.amdhsa_private_segment_fixed_size 0
		.amdhsa_kernarg_size 120
		.amdhsa_user_sgpr_count 15
		.amdhsa_user_sgpr_dispatch_ptr 0
		.amdhsa_user_sgpr_queue_ptr 0
		.amdhsa_user_sgpr_kernarg_segment_ptr 1
		.amdhsa_user_sgpr_dispatch_id 0
		.amdhsa_user_sgpr_private_segment_size 0
		.amdhsa_wavefront_size32 1
		.amdhsa_uses_dynamic_stack 0
		.amdhsa_enable_private_segment 0
		.amdhsa_system_sgpr_workgroup_id_x 1
		.amdhsa_system_sgpr_workgroup_id_y 0
		.amdhsa_system_sgpr_workgroup_id_z 0
		.amdhsa_system_sgpr_workgroup_info 0
		.amdhsa_system_vgpr_workitem_id 0
		.amdhsa_next_free_vgpr 1
		.amdhsa_next_free_sgpr 1
		.amdhsa_reserve_vcc 0
		.amdhsa_float_round_mode_32 0
		.amdhsa_float_round_mode_16_64 0
		.amdhsa_float_denorm_mode_32 3
		.amdhsa_float_denorm_mode_16_64 3
		.amdhsa_dx10_clamp 1
		.amdhsa_ieee_mode 1
		.amdhsa_fp16_overflow 0
		.amdhsa_workgroup_processor_mode 1
		.amdhsa_memory_ordered 1
		.amdhsa_forward_progress 0
		.amdhsa_shared_vgpr_count 0
		.amdhsa_exception_fp_ieee_invalid_op 0
		.amdhsa_exception_fp_denorm_src 0
		.amdhsa_exception_fp_ieee_div_zero 0
		.amdhsa_exception_fp_ieee_overflow 0
		.amdhsa_exception_fp_ieee_underflow 0
		.amdhsa_exception_fp_ieee_inexact 0
		.amdhsa_exception_int_div_zero 0
	.end_amdhsa_kernel
	.section	.text._ZN7rocprim17ROCPRIM_400000_NS6detail17trampoline_kernelINS0_14default_configENS1_25partition_config_selectorILNS1_17partition_subalgoE9EijbEEZZNS1_14partition_implILS5_9ELb0ES3_jN6thrust23THRUST_200600_302600_NS6detail15normal_iteratorINS9_10device_ptrIiEEEENSB_INSC_IjEEEEPNS0_10empty_typeENS0_5tupleIJNS9_16discard_iteratorINS9_11use_defaultEEESH_EEENSJ_IJSG_SI_EEENS0_18inequality_wrapperINS9_8equal_toIiEEEEPmJSH_EEE10hipError_tPvRmT3_T4_T5_T6_T7_T9_mT8_P12ihipStream_tbDpT10_ENKUlT_T0_E_clISt17integral_constantIbLb0EES1D_EEDaS18_S19_EUlS18_E_NS1_11comp_targetILNS1_3genE10ELNS1_11target_archE1200ELNS1_3gpuE4ELNS1_3repE0EEENS1_30default_config_static_selectorELNS0_4arch9wavefront6targetE0EEEvT1_,"axG",@progbits,_ZN7rocprim17ROCPRIM_400000_NS6detail17trampoline_kernelINS0_14default_configENS1_25partition_config_selectorILNS1_17partition_subalgoE9EijbEEZZNS1_14partition_implILS5_9ELb0ES3_jN6thrust23THRUST_200600_302600_NS6detail15normal_iteratorINS9_10device_ptrIiEEEENSB_INSC_IjEEEEPNS0_10empty_typeENS0_5tupleIJNS9_16discard_iteratorINS9_11use_defaultEEESH_EEENSJ_IJSG_SI_EEENS0_18inequality_wrapperINS9_8equal_toIiEEEEPmJSH_EEE10hipError_tPvRmT3_T4_T5_T6_T7_T9_mT8_P12ihipStream_tbDpT10_ENKUlT_T0_E_clISt17integral_constantIbLb0EES1D_EEDaS18_S19_EUlS18_E_NS1_11comp_targetILNS1_3genE10ELNS1_11target_archE1200ELNS1_3gpuE4ELNS1_3repE0EEENS1_30default_config_static_selectorELNS0_4arch9wavefront6targetE0EEEvT1_,comdat
.Lfunc_end1146:
	.size	_ZN7rocprim17ROCPRIM_400000_NS6detail17trampoline_kernelINS0_14default_configENS1_25partition_config_selectorILNS1_17partition_subalgoE9EijbEEZZNS1_14partition_implILS5_9ELb0ES3_jN6thrust23THRUST_200600_302600_NS6detail15normal_iteratorINS9_10device_ptrIiEEEENSB_INSC_IjEEEEPNS0_10empty_typeENS0_5tupleIJNS9_16discard_iteratorINS9_11use_defaultEEESH_EEENSJ_IJSG_SI_EEENS0_18inequality_wrapperINS9_8equal_toIiEEEEPmJSH_EEE10hipError_tPvRmT3_T4_T5_T6_T7_T9_mT8_P12ihipStream_tbDpT10_ENKUlT_T0_E_clISt17integral_constantIbLb0EES1D_EEDaS18_S19_EUlS18_E_NS1_11comp_targetILNS1_3genE10ELNS1_11target_archE1200ELNS1_3gpuE4ELNS1_3repE0EEENS1_30default_config_static_selectorELNS0_4arch9wavefront6targetE0EEEvT1_, .Lfunc_end1146-_ZN7rocprim17ROCPRIM_400000_NS6detail17trampoline_kernelINS0_14default_configENS1_25partition_config_selectorILNS1_17partition_subalgoE9EijbEEZZNS1_14partition_implILS5_9ELb0ES3_jN6thrust23THRUST_200600_302600_NS6detail15normal_iteratorINS9_10device_ptrIiEEEENSB_INSC_IjEEEEPNS0_10empty_typeENS0_5tupleIJNS9_16discard_iteratorINS9_11use_defaultEEESH_EEENSJ_IJSG_SI_EEENS0_18inequality_wrapperINS9_8equal_toIiEEEEPmJSH_EEE10hipError_tPvRmT3_T4_T5_T6_T7_T9_mT8_P12ihipStream_tbDpT10_ENKUlT_T0_E_clISt17integral_constantIbLb0EES1D_EEDaS18_S19_EUlS18_E_NS1_11comp_targetILNS1_3genE10ELNS1_11target_archE1200ELNS1_3gpuE4ELNS1_3repE0EEENS1_30default_config_static_selectorELNS0_4arch9wavefront6targetE0EEEvT1_
                                        ; -- End function
	.section	.AMDGPU.csdata,"",@progbits
; Kernel info:
; codeLenInByte = 0
; NumSgprs: 0
; NumVgprs: 0
; ScratchSize: 0
; MemoryBound: 0
; FloatMode: 240
; IeeeMode: 1
; LDSByteSize: 0 bytes/workgroup (compile time only)
; SGPRBlocks: 0
; VGPRBlocks: 0
; NumSGPRsForWavesPerEU: 1
; NumVGPRsForWavesPerEU: 1
; Occupancy: 15
; WaveLimiterHint : 0
; COMPUTE_PGM_RSRC2:SCRATCH_EN: 0
; COMPUTE_PGM_RSRC2:USER_SGPR: 15
; COMPUTE_PGM_RSRC2:TRAP_HANDLER: 0
; COMPUTE_PGM_RSRC2:TGID_X_EN: 1
; COMPUTE_PGM_RSRC2:TGID_Y_EN: 0
; COMPUTE_PGM_RSRC2:TGID_Z_EN: 0
; COMPUTE_PGM_RSRC2:TIDIG_COMP_CNT: 0
	.section	.text._ZN7rocprim17ROCPRIM_400000_NS6detail17trampoline_kernelINS0_14default_configENS1_25partition_config_selectorILNS1_17partition_subalgoE9EijbEEZZNS1_14partition_implILS5_9ELb0ES3_jN6thrust23THRUST_200600_302600_NS6detail15normal_iteratorINS9_10device_ptrIiEEEENSB_INSC_IjEEEEPNS0_10empty_typeENS0_5tupleIJNS9_16discard_iteratorINS9_11use_defaultEEESH_EEENSJ_IJSG_SI_EEENS0_18inequality_wrapperINS9_8equal_toIiEEEEPmJSH_EEE10hipError_tPvRmT3_T4_T5_T6_T7_T9_mT8_P12ihipStream_tbDpT10_ENKUlT_T0_E_clISt17integral_constantIbLb0EES1D_EEDaS18_S19_EUlS18_E_NS1_11comp_targetILNS1_3genE9ELNS1_11target_archE1100ELNS1_3gpuE3ELNS1_3repE0EEENS1_30default_config_static_selectorELNS0_4arch9wavefront6targetE0EEEvT1_,"axG",@progbits,_ZN7rocprim17ROCPRIM_400000_NS6detail17trampoline_kernelINS0_14default_configENS1_25partition_config_selectorILNS1_17partition_subalgoE9EijbEEZZNS1_14partition_implILS5_9ELb0ES3_jN6thrust23THRUST_200600_302600_NS6detail15normal_iteratorINS9_10device_ptrIiEEEENSB_INSC_IjEEEEPNS0_10empty_typeENS0_5tupleIJNS9_16discard_iteratorINS9_11use_defaultEEESH_EEENSJ_IJSG_SI_EEENS0_18inequality_wrapperINS9_8equal_toIiEEEEPmJSH_EEE10hipError_tPvRmT3_T4_T5_T6_T7_T9_mT8_P12ihipStream_tbDpT10_ENKUlT_T0_E_clISt17integral_constantIbLb0EES1D_EEDaS18_S19_EUlS18_E_NS1_11comp_targetILNS1_3genE9ELNS1_11target_archE1100ELNS1_3gpuE3ELNS1_3repE0EEENS1_30default_config_static_selectorELNS0_4arch9wavefront6targetE0EEEvT1_,comdat
	.protected	_ZN7rocprim17ROCPRIM_400000_NS6detail17trampoline_kernelINS0_14default_configENS1_25partition_config_selectorILNS1_17partition_subalgoE9EijbEEZZNS1_14partition_implILS5_9ELb0ES3_jN6thrust23THRUST_200600_302600_NS6detail15normal_iteratorINS9_10device_ptrIiEEEENSB_INSC_IjEEEEPNS0_10empty_typeENS0_5tupleIJNS9_16discard_iteratorINS9_11use_defaultEEESH_EEENSJ_IJSG_SI_EEENS0_18inequality_wrapperINS9_8equal_toIiEEEEPmJSH_EEE10hipError_tPvRmT3_T4_T5_T6_T7_T9_mT8_P12ihipStream_tbDpT10_ENKUlT_T0_E_clISt17integral_constantIbLb0EES1D_EEDaS18_S19_EUlS18_E_NS1_11comp_targetILNS1_3genE9ELNS1_11target_archE1100ELNS1_3gpuE3ELNS1_3repE0EEENS1_30default_config_static_selectorELNS0_4arch9wavefront6targetE0EEEvT1_ ; -- Begin function _ZN7rocprim17ROCPRIM_400000_NS6detail17trampoline_kernelINS0_14default_configENS1_25partition_config_selectorILNS1_17partition_subalgoE9EijbEEZZNS1_14partition_implILS5_9ELb0ES3_jN6thrust23THRUST_200600_302600_NS6detail15normal_iteratorINS9_10device_ptrIiEEEENSB_INSC_IjEEEEPNS0_10empty_typeENS0_5tupleIJNS9_16discard_iteratorINS9_11use_defaultEEESH_EEENSJ_IJSG_SI_EEENS0_18inequality_wrapperINS9_8equal_toIiEEEEPmJSH_EEE10hipError_tPvRmT3_T4_T5_T6_T7_T9_mT8_P12ihipStream_tbDpT10_ENKUlT_T0_E_clISt17integral_constantIbLb0EES1D_EEDaS18_S19_EUlS18_E_NS1_11comp_targetILNS1_3genE9ELNS1_11target_archE1100ELNS1_3gpuE3ELNS1_3repE0EEENS1_30default_config_static_selectorELNS0_4arch9wavefront6targetE0EEEvT1_
	.globl	_ZN7rocprim17ROCPRIM_400000_NS6detail17trampoline_kernelINS0_14default_configENS1_25partition_config_selectorILNS1_17partition_subalgoE9EijbEEZZNS1_14partition_implILS5_9ELb0ES3_jN6thrust23THRUST_200600_302600_NS6detail15normal_iteratorINS9_10device_ptrIiEEEENSB_INSC_IjEEEEPNS0_10empty_typeENS0_5tupleIJNS9_16discard_iteratorINS9_11use_defaultEEESH_EEENSJ_IJSG_SI_EEENS0_18inequality_wrapperINS9_8equal_toIiEEEEPmJSH_EEE10hipError_tPvRmT3_T4_T5_T6_T7_T9_mT8_P12ihipStream_tbDpT10_ENKUlT_T0_E_clISt17integral_constantIbLb0EES1D_EEDaS18_S19_EUlS18_E_NS1_11comp_targetILNS1_3genE9ELNS1_11target_archE1100ELNS1_3gpuE3ELNS1_3repE0EEENS1_30default_config_static_selectorELNS0_4arch9wavefront6targetE0EEEvT1_
	.p2align	8
	.type	_ZN7rocprim17ROCPRIM_400000_NS6detail17trampoline_kernelINS0_14default_configENS1_25partition_config_selectorILNS1_17partition_subalgoE9EijbEEZZNS1_14partition_implILS5_9ELb0ES3_jN6thrust23THRUST_200600_302600_NS6detail15normal_iteratorINS9_10device_ptrIiEEEENSB_INSC_IjEEEEPNS0_10empty_typeENS0_5tupleIJNS9_16discard_iteratorINS9_11use_defaultEEESH_EEENSJ_IJSG_SI_EEENS0_18inequality_wrapperINS9_8equal_toIiEEEEPmJSH_EEE10hipError_tPvRmT3_T4_T5_T6_T7_T9_mT8_P12ihipStream_tbDpT10_ENKUlT_T0_E_clISt17integral_constantIbLb0EES1D_EEDaS18_S19_EUlS18_E_NS1_11comp_targetILNS1_3genE9ELNS1_11target_archE1100ELNS1_3gpuE3ELNS1_3repE0EEENS1_30default_config_static_selectorELNS0_4arch9wavefront6targetE0EEEvT1_,@function
_ZN7rocprim17ROCPRIM_400000_NS6detail17trampoline_kernelINS0_14default_configENS1_25partition_config_selectorILNS1_17partition_subalgoE9EijbEEZZNS1_14partition_implILS5_9ELb0ES3_jN6thrust23THRUST_200600_302600_NS6detail15normal_iteratorINS9_10device_ptrIiEEEENSB_INSC_IjEEEEPNS0_10empty_typeENS0_5tupleIJNS9_16discard_iteratorINS9_11use_defaultEEESH_EEENSJ_IJSG_SI_EEENS0_18inequality_wrapperINS9_8equal_toIiEEEEPmJSH_EEE10hipError_tPvRmT3_T4_T5_T6_T7_T9_mT8_P12ihipStream_tbDpT10_ENKUlT_T0_E_clISt17integral_constantIbLb0EES1D_EEDaS18_S19_EUlS18_E_NS1_11comp_targetILNS1_3genE9ELNS1_11target_archE1100ELNS1_3gpuE3ELNS1_3repE0EEENS1_30default_config_static_selectorELNS0_4arch9wavefront6targetE0EEEvT1_: ; @_ZN7rocprim17ROCPRIM_400000_NS6detail17trampoline_kernelINS0_14default_configENS1_25partition_config_selectorILNS1_17partition_subalgoE9EijbEEZZNS1_14partition_implILS5_9ELb0ES3_jN6thrust23THRUST_200600_302600_NS6detail15normal_iteratorINS9_10device_ptrIiEEEENSB_INSC_IjEEEEPNS0_10empty_typeENS0_5tupleIJNS9_16discard_iteratorINS9_11use_defaultEEESH_EEENSJ_IJSG_SI_EEENS0_18inequality_wrapperINS9_8equal_toIiEEEEPmJSH_EEE10hipError_tPvRmT3_T4_T5_T6_T7_T9_mT8_P12ihipStream_tbDpT10_ENKUlT_T0_E_clISt17integral_constantIbLb0EES1D_EEDaS18_S19_EUlS18_E_NS1_11comp_targetILNS1_3genE9ELNS1_11target_archE1100ELNS1_3gpuE3ELNS1_3repE0EEENS1_30default_config_static_selectorELNS0_4arch9wavefront6targetE0EEEvT1_
; %bb.0:
	s_clause 0x4
	s_load_b128 s[4:7], s[0:1], 0x8
	s_load_b32 s14, s[0:1], 0x70
	s_load_b128 s[16:19], s[0:1], 0x48
	s_load_b64 s[2:3], s[0:1], 0x58
	s_load_b64 s[8:9], s[0:1], 0x18
	s_mov_b32 s23, 0
	s_mul_i32 s22, s15, 0xc00
	v_lshrrev_b32_e32 v12, 3, v0
	v_add_nc_u32_e32 v21, 0x180, v0
	v_add_nc_u32_e32 v20, 0x300, v0
	;; [unrolled: 1-line block ×3, first 2 shown]
	v_or_b32_e32 v22, 0x600, v0
	v_add_nc_u32_e32 v17, 0x780, v0
	v_add_nc_u32_e32 v11, 0x900, v0
	;; [unrolled: 1-line block ×3, first 2 shown]
	s_waitcnt lgkmcnt(0)
	s_lshl_b64 s[12:13], s[6:7], 2
	s_mul_i32 s20, s14, 0xc00
	s_add_u32 s21, s4, s12
	s_addc_u32 s24, s5, s13
	s_add_i32 s4, s20, s6
	s_load_b64 s[10:11], s[18:19], 0x0
	s_sub_i32 s19, s2, s4
	s_add_i32 s14, s14, -1
	s_addk_i32 s19, 0xc00
	s_add_u32 s4, s6, s20
	s_addc_u32 s5, s7, 0
	s_cmp_eq_u32 s15, s14
	v_cmp_ge_u64_e64 s2, s[4:5], s[2:3]
	s_cselect_b32 s14, -1, 0
	s_lshl_b64 s[4:5], s[22:23], 2
	s_mov_b32 s22, -1
	s_delay_alu instid0(VALU_DEP_1) | instskip(NEXT) | instid1(SALU_CYCLE_1)
	s_and_b32 s20, s14, s2
	s_xor_b32 s18, s20, -1
	s_add_u32 s21, s21, s4
	s_addc_u32 s3, s24, s5
	s_and_b32 vcc_lo, exec_lo, s18
	s_cbranch_vccz .LBB1147_2
; %bb.1:
	v_lshlrev_b32_e32 v7, 2, v0
	v_lshrrev_b32_e32 v13, 3, v21
	v_lshrrev_b32_e32 v14, 3, v20
	;; [unrolled: 1-line block ×4, first 2 shown]
	v_add_co_u32 v1, s2, s21, v7
	s_delay_alu instid0(VALU_DEP_1) | instskip(SKIP_1) | instid1(VALU_DEP_3)
	v_add_co_ci_u32_e64 v2, null, s3, 0, s2
	v_lshrrev_b32_e32 v19, 3, v17
	v_add_co_u32 v3, vcc_lo, 0x1000, v1
	s_delay_alu instid0(VALU_DEP_3)
	v_add_co_ci_u32_e32 v4, vcc_lo, 0, v2, vcc_lo
	v_add_co_u32 v5, vcc_lo, 0x2000, v1
	v_add_co_ci_u32_e32 v6, vcc_lo, 0, v2, vcc_lo
	s_clause 0x7
	flat_load_b32 v8, v[1:2]
	flat_load_b32 v9, v[1:2] offset:1536
	flat_load_b32 v1, v[1:2] offset:3072
	;; [unrolled: 1-line block ×7, first 2 shown]
	v_and_b32_e32 v6, 60, v12
	v_lshrrev_b32_e32 v24, 3, v11
	v_lshrrev_b32_e32 v25, 3, v18
	v_and_b32_e32 v13, 0x7c, v13
	v_and_b32_e32 v14, 0xfc, v14
	;; [unrolled: 1-line block ×4, first 2 shown]
	v_add_nc_u32_e32 v6, v6, v7
	v_and_b32_e32 v19, 0x1fc, v19
	v_and_b32_e32 v24, 0x17c, v24
	;; [unrolled: 1-line block ×3, first 2 shown]
	v_add_nc_u32_e32 v13, v13, v7
	v_add_nc_u32_e32 v14, v14, v7
	;; [unrolled: 1-line block ×4, first 2 shown]
	s_mov_b32 s22, 0
	v_add_nc_u32_e32 v19, v19, v7
	v_add_nc_u32_e32 v24, v24, v7
	;; [unrolled: 1-line block ×3, first 2 shown]
	s_waitcnt vmcnt(7) lgkmcnt(0)
	ds_store_b32 v6, v8
	s_waitcnt vmcnt(6)
	ds_store_b32 v13, v9 offset:1536
	s_waitcnt vmcnt(5)
	ds_store_b32 v14, v1 offset:3072
	;; [unrolled: 2-line block ×7, first 2 shown]
	s_waitcnt lgkmcnt(0)
	s_barrier
.LBB1147_2:
	v_cmp_gt_u32_e64 s2, s19, v0
	s_and_not1_b32 vcc_lo, exec_lo, s22
	s_cbranch_vccnz .LBB1147_20
; %bb.3:
                                        ; implicit-def: $vgpr1_vgpr2_vgpr3_vgpr4_vgpr5_vgpr6_vgpr7_vgpr8
	s_delay_alu instid0(VALU_DEP_1)
	s_and_saveexec_b32 s22, s2
	s_cbranch_execz .LBB1147_11
; %bb.4:
	v_lshlrev_b32_e32 v1, 2, v0
	s_delay_alu instid0(VALU_DEP_1) | instskip(NEXT) | instid1(VALU_DEP_1)
	v_add_co_u32 v1, s2, s21, v1
	v_add_co_ci_u32_e64 v2, null, s3, 0, s2
	flat_load_b32 v1, v[1:2]
	s_or_b32 exec_lo, exec_lo, s22
	s_delay_alu instid0(SALU_CYCLE_1)
	s_mov_b32 s2, exec_lo
	v_cmpx_gt_u32_e64 s19, v21
	s_cbranch_execnz .LBB1147_12
.LBB1147_5:
	s_or_b32 exec_lo, exec_lo, s2
	s_delay_alu instid0(SALU_CYCLE_1)
	s_mov_b32 s2, exec_lo
	v_cmpx_gt_u32_e64 s19, v20
	s_cbranch_execz .LBB1147_13
.LBB1147_6:
	v_lshlrev_b32_e32 v3, 2, v0
	s_delay_alu instid0(VALU_DEP_1) | instskip(NEXT) | instid1(VALU_DEP_1)
	v_add_co_u32 v9, s22, s21, v3
	v_add_co_ci_u32_e64 v10, null, s3, 0, s22
	flat_load_b32 v3, v[9:10] offset:3072
	s_or_b32 exec_lo, exec_lo, s2
	s_delay_alu instid0(SALU_CYCLE_1)
	s_mov_b32 s2, exec_lo
	v_cmpx_gt_u32_e64 s19, v23
	s_cbranch_execnz .LBB1147_14
.LBB1147_7:
	s_or_b32 exec_lo, exec_lo, s2
	s_delay_alu instid0(SALU_CYCLE_1)
	s_mov_b32 s2, exec_lo
	v_cmpx_gt_u32_e64 s19, v22
	s_cbranch_execz .LBB1147_15
.LBB1147_8:
	v_lshlrev_b32_e32 v5, 2, v22
	s_delay_alu instid0(VALU_DEP_1) | instskip(NEXT) | instid1(VALU_DEP_1)
	v_add_co_u32 v9, s22, s21, v5
	v_add_co_ci_u32_e64 v10, null, s3, 0, s22
	flat_load_b32 v5, v[9:10]
	s_or_b32 exec_lo, exec_lo, s2
	s_delay_alu instid0(SALU_CYCLE_1)
	s_mov_b32 s2, exec_lo
	v_cmpx_gt_u32_e64 s19, v17
	s_cbranch_execnz .LBB1147_16
.LBB1147_9:
	s_or_b32 exec_lo, exec_lo, s2
	s_delay_alu instid0(SALU_CYCLE_1)
	s_mov_b32 s2, exec_lo
	v_cmpx_gt_u32_e64 s19, v11
	s_cbranch_execz .LBB1147_17
.LBB1147_10:
	v_lshlrev_b32_e32 v7, 2, v11
	s_delay_alu instid0(VALU_DEP_1) | instskip(NEXT) | instid1(VALU_DEP_1)
	v_add_co_u32 v9, s22, s21, v7
	v_add_co_ci_u32_e64 v10, null, s3, 0, s22
	flat_load_b32 v7, v[9:10]
	s_or_b32 exec_lo, exec_lo, s2
	s_delay_alu instid0(SALU_CYCLE_1)
	s_mov_b32 s2, exec_lo
	v_cmpx_gt_u32_e64 s19, v18
	s_cbranch_execnz .LBB1147_18
	s_branch .LBB1147_19
.LBB1147_11:
	s_or_b32 exec_lo, exec_lo, s22
	s_delay_alu instid0(SALU_CYCLE_1)
	s_mov_b32 s2, exec_lo
	v_cmpx_gt_u32_e64 s19, v21
	s_cbranch_execz .LBB1147_5
.LBB1147_12:
	v_lshlrev_b32_e32 v2, 2, v0
	s_delay_alu instid0(VALU_DEP_1) | instskip(NEXT) | instid1(VALU_DEP_1)
	v_add_co_u32 v9, s22, s21, v2
	v_add_co_ci_u32_e64 v10, null, s3, 0, s22
	flat_load_b32 v2, v[9:10] offset:1536
	s_or_b32 exec_lo, exec_lo, s2
	s_delay_alu instid0(SALU_CYCLE_1)
	s_mov_b32 s2, exec_lo
	v_cmpx_gt_u32_e64 s19, v20
	s_cbranch_execnz .LBB1147_6
.LBB1147_13:
	s_or_b32 exec_lo, exec_lo, s2
	s_delay_alu instid0(SALU_CYCLE_1)
	s_mov_b32 s2, exec_lo
	v_cmpx_gt_u32_e64 s19, v23
	s_cbranch_execz .LBB1147_7
.LBB1147_14:
	v_lshlrev_b32_e32 v4, 2, v23
	s_delay_alu instid0(VALU_DEP_1) | instskip(NEXT) | instid1(VALU_DEP_1)
	v_add_co_u32 v9, s22, s21, v4
	v_add_co_ci_u32_e64 v10, null, s3, 0, s22
	flat_load_b32 v4, v[9:10]
	s_or_b32 exec_lo, exec_lo, s2
	s_delay_alu instid0(SALU_CYCLE_1)
	s_mov_b32 s2, exec_lo
	v_cmpx_gt_u32_e64 s19, v22
	s_cbranch_execnz .LBB1147_8
.LBB1147_15:
	s_or_b32 exec_lo, exec_lo, s2
	s_delay_alu instid0(SALU_CYCLE_1)
	s_mov_b32 s2, exec_lo
	v_cmpx_gt_u32_e64 s19, v17
	s_cbranch_execz .LBB1147_9
.LBB1147_16:
	v_lshlrev_b32_e32 v6, 2, v17
	s_delay_alu instid0(VALU_DEP_1) | instskip(NEXT) | instid1(VALU_DEP_1)
	v_add_co_u32 v9, s22, s21, v6
	v_add_co_ci_u32_e64 v10, null, s3, 0, s22
	flat_load_b32 v6, v[9:10]
	s_or_b32 exec_lo, exec_lo, s2
	s_delay_alu instid0(SALU_CYCLE_1)
	s_mov_b32 s2, exec_lo
	v_cmpx_gt_u32_e64 s19, v11
	s_cbranch_execnz .LBB1147_10
.LBB1147_17:
	s_or_b32 exec_lo, exec_lo, s2
	s_delay_alu instid0(SALU_CYCLE_1)
	s_mov_b32 s2, exec_lo
	v_cmpx_gt_u32_e64 s19, v18
	s_cbranch_execz .LBB1147_19
.LBB1147_18:
	v_lshlrev_b32_e32 v8, 2, v18
	s_delay_alu instid0(VALU_DEP_1) | instskip(NEXT) | instid1(VALU_DEP_1)
	v_add_co_u32 v8, s22, s21, v8
	v_add_co_ci_u32_e64 v9, null, s3, 0, s22
	flat_load_b32 v8, v[8:9]
.LBB1147_19:
	s_or_b32 exec_lo, exec_lo, s2
	v_lshrrev_b32_e32 v9, 3, v21
	v_lshrrev_b32_e32 v10, 3, v20
	;; [unrolled: 1-line block ×4, first 2 shown]
	v_and_b32_e32 v13, 60, v12
	v_lshlrev_b32_e32 v14, 2, v0
	v_lshrrev_b32_e32 v19, 3, v17
	v_lshrrev_b32_e32 v24, 3, v11
	;; [unrolled: 1-line block ×3, first 2 shown]
	v_and_b32_e32 v9, 0x7c, v9
	v_and_b32_e32 v10, 0xfc, v10
	;; [unrolled: 1-line block ×4, first 2 shown]
	v_add_nc_u32_e32 v13, v13, v14
	v_and_b32_e32 v19, 0x1fc, v19
	v_and_b32_e32 v24, 0x1fc, v24
	;; [unrolled: 1-line block ×3, first 2 shown]
	v_add_nc_u32_e32 v9, v9, v14
	v_add_nc_u32_e32 v10, v10, v14
	;; [unrolled: 1-line block ×7, first 2 shown]
	s_waitcnt vmcnt(0) lgkmcnt(0)
	ds_store_b32 v13, v1
	ds_store_b32 v9, v2 offset:1536
	ds_store_b32 v10, v3 offset:3072
	;; [unrolled: 1-line block ×7, first 2 shown]
	s_waitcnt lgkmcnt(0)
	s_barrier
.LBB1147_20:
	v_lshlrev_b32_e32 v19, 3, v0
	v_lshrrev_b32_e32 v1, 2, v0
	s_waitcnt lgkmcnt(0)
	buffer_gl0_inv
	s_add_u32 s2, s8, s12
	s_addc_u32 s8, s9, s13
	s_add_u32 s2, s2, s4
	v_add_lshl_u32 v1, v1, v19, 2
	s_addc_u32 s4, s8, s5
	s_and_b32 vcc_lo, exec_lo, s18
	s_mov_b32 s5, -1
	ds_load_2addr_b32 v[15:16], v1 offset1:1
	ds_load_2addr_b32 v[13:14], v1 offset0:2 offset1:3
	ds_load_2addr_b32 v[9:10], v1 offset0:4 offset1:5
	;; [unrolled: 1-line block ×3, first 2 shown]
	s_waitcnt lgkmcnt(0)
	s_barrier
	buffer_gl0_inv
	s_cbranch_vccz .LBB1147_22
; %bb.21:
	v_lshlrev_b32_e32 v4, 2, v0
	v_lshrrev_b32_e32 v29, 3, v21
	v_lshrrev_b32_e32 v30, 3, v20
	;; [unrolled: 1-line block ×4, first 2 shown]
	v_add_co_u32 v2, s5, s2, v4
	s_delay_alu instid0(VALU_DEP_1) | instskip(SKIP_1) | instid1(VALU_DEP_3)
	v_add_co_ci_u32_e64 v3, null, s4, 0, s5
	v_lshrrev_b32_e32 v33, 3, v17
	v_add_co_u32 v7, vcc_lo, 0x1000, v2
	s_delay_alu instid0(VALU_DEP_3)
	v_add_co_ci_u32_e32 v8, vcc_lo, 0, v3, vcc_lo
	v_add_co_u32 v24, vcc_lo, 0x2000, v2
	v_add_co_ci_u32_e32 v25, vcc_lo, 0, v3, vcc_lo
	s_clause 0x7
	flat_load_b32 v26, v[2:3]
	flat_load_b32 v27, v[2:3] offset:1536
	flat_load_b32 v2, v[2:3] offset:3072
	;; [unrolled: 1-line block ×7, first 2 shown]
	v_and_b32_e32 v25, 60, v12
	v_lshrrev_b32_e32 v34, 3, v11
	v_lshrrev_b32_e32 v35, 3, v18
	v_and_b32_e32 v29, 0x7c, v29
	v_and_b32_e32 v30, 0xfc, v30
	;; [unrolled: 1-line block ×4, first 2 shown]
	v_add_nc_u32_e32 v25, v25, v4
	v_and_b32_e32 v33, 0x1fc, v33
	v_and_b32_e32 v34, 0x17c, v34
	;; [unrolled: 1-line block ×3, first 2 shown]
	v_add_nc_u32_e32 v29, v29, v4
	v_add_nc_u32_e32 v30, v30, v4
	;; [unrolled: 1-line block ×4, first 2 shown]
	s_mov_b32 s5, 0
	v_add_nc_u32_e32 v33, v33, v4
	v_add_nc_u32_e32 v34, v34, v4
	;; [unrolled: 1-line block ×3, first 2 shown]
	s_waitcnt vmcnt(7) lgkmcnt(7)
	ds_store_b32 v25, v26
	s_waitcnt vmcnt(6) lgkmcnt(7)
	ds_store_b32 v29, v27 offset:1536
	s_waitcnt vmcnt(5) lgkmcnt(7)
	ds_store_b32 v30, v2 offset:3072
	;; [unrolled: 2-line block ×7, first 2 shown]
	s_waitcnt lgkmcnt(0)
	s_barrier
.LBB1147_22:
	s_and_not1_b32 vcc_lo, exec_lo, s5
	s_cbranch_vccnz .LBB1147_40
; %bb.23:
	s_mov_b32 s5, exec_lo
                                        ; implicit-def: $vgpr2
	v_cmpx_gt_u32_e64 s19, v0
	s_cbranch_execz .LBB1147_25
; %bb.24:
	v_lshlrev_b32_e32 v2, 2, v0
	s_delay_alu instid0(VALU_DEP_1) | instskip(NEXT) | instid1(VALU_DEP_1)
	v_add_co_u32 v2, s8, s2, v2
	v_add_co_ci_u32_e64 v3, null, s4, 0, s8
	flat_load_b32 v2, v[2:3]
.LBB1147_25:
	s_or_b32 exec_lo, exec_lo, s5
	s_delay_alu instid0(SALU_CYCLE_1)
	s_mov_b32 s5, exec_lo
                                        ; implicit-def: $vgpr3
	v_cmpx_gt_u32_e64 s19, v21
	s_cbranch_execz .LBB1147_27
; %bb.26:
	v_lshlrev_b32_e32 v3, 2, v0
	s_delay_alu instid0(VALU_DEP_1) | instskip(NEXT) | instid1(VALU_DEP_1)
	v_add_co_u32 v3, s8, s2, v3
	v_add_co_ci_u32_e64 v4, null, s4, 0, s8
	flat_load_b32 v3, v[3:4] offset:1536
.LBB1147_27:
	s_or_b32 exec_lo, exec_lo, s5
	s_delay_alu instid0(SALU_CYCLE_1)
	s_mov_b32 s5, exec_lo
                                        ; implicit-def: $vgpr4
	v_cmpx_gt_u32_e64 s19, v20
	s_cbranch_execz .LBB1147_29
; %bb.28:
	v_lshlrev_b32_e32 v4, 2, v0
	s_delay_alu instid0(VALU_DEP_1) | instskip(NEXT) | instid1(VALU_DEP_1)
	v_add_co_u32 v7, s8, s2, v4
	v_add_co_ci_u32_e64 v8, null, s4, 0, s8
	flat_load_b32 v4, v[7:8] offset:3072
.LBB1147_29:
	s_or_b32 exec_lo, exec_lo, s5
	s_delay_alu instid0(SALU_CYCLE_1)
	s_mov_b32 s5, exec_lo
                                        ; implicit-def: $vgpr7
	v_cmpx_gt_u32_e64 s19, v23
	s_cbranch_execz .LBB1147_31
; %bb.30:
	v_lshlrev_b32_e32 v7, 2, v23
	s_delay_alu instid0(VALU_DEP_1) | instskip(NEXT) | instid1(VALU_DEP_1)
	v_add_co_u32 v7, s8, s2, v7
	v_add_co_ci_u32_e64 v8, null, s4, 0, s8
	flat_load_b32 v7, v[7:8]
.LBB1147_31:
	s_or_b32 exec_lo, exec_lo, s5
	s_delay_alu instid0(SALU_CYCLE_1)
	s_mov_b32 s5, exec_lo
                                        ; implicit-def: $vgpr8
	v_cmpx_gt_u32_e64 s19, v22
	s_cbranch_execz .LBB1147_33
; %bb.32:
	v_lshlrev_b32_e32 v8, 2, v22
	s_delay_alu instid0(VALU_DEP_1) | instskip(NEXT) | instid1(VALU_DEP_1)
	v_add_co_u32 v24, s8, s2, v8
	v_add_co_ci_u32_e64 v25, null, s4, 0, s8
	flat_load_b32 v8, v[24:25]
.LBB1147_33:
	s_or_b32 exec_lo, exec_lo, s5
	s_delay_alu instid0(SALU_CYCLE_1)
	s_mov_b32 s5, exec_lo
                                        ; implicit-def: $vgpr24
	v_cmpx_gt_u32_e64 s19, v17
	s_cbranch_execz .LBB1147_35
; %bb.34:
	v_lshlrev_b32_e32 v24, 2, v17
	s_delay_alu instid0(VALU_DEP_1) | instskip(NEXT) | instid1(VALU_DEP_1)
	v_add_co_u32 v24, s8, s2, v24
	v_add_co_ci_u32_e64 v25, null, s4, 0, s8
	flat_load_b32 v24, v[24:25]
.LBB1147_35:
	s_or_b32 exec_lo, exec_lo, s5
	s_delay_alu instid0(SALU_CYCLE_1)
	s_mov_b32 s5, exec_lo
                                        ; implicit-def: $vgpr25
	v_cmpx_gt_u32_e64 s19, v11
	s_cbranch_execz .LBB1147_37
; %bb.36:
	v_lshlrev_b32_e32 v25, 2, v11
	s_delay_alu instid0(VALU_DEP_1) | instskip(NEXT) | instid1(VALU_DEP_1)
	v_add_co_u32 v25, s8, s2, v25
	v_add_co_ci_u32_e64 v26, null, s4, 0, s8
	flat_load_b32 v25, v[25:26]
.LBB1147_37:
	s_or_b32 exec_lo, exec_lo, s5
	s_delay_alu instid0(SALU_CYCLE_1)
	s_mov_b32 s5, exec_lo
                                        ; implicit-def: $vgpr26
	v_cmpx_gt_u32_e64 s19, v18
	s_cbranch_execz .LBB1147_39
; %bb.38:
	v_lshlrev_b32_e32 v26, 2, v18
	s_delay_alu instid0(VALU_DEP_1) | instskip(NEXT) | instid1(VALU_DEP_1)
	v_add_co_u32 v26, s2, s2, v26
	v_add_co_ci_u32_e64 v27, null, s4, 0, s2
	flat_load_b32 v26, v[26:27]
.LBB1147_39:
	s_or_b32 exec_lo, exec_lo, s5
	v_lshrrev_b32_e32 v21, 3, v21
	v_lshrrev_b32_e32 v20, 3, v20
	;; [unrolled: 1-line block ×4, first 2 shown]
	v_and_b32_e32 v12, 60, v12
	v_lshlrev_b32_e32 v27, 2, v0
	v_lshrrev_b32_e32 v17, 3, v17
	v_lshrrev_b32_e32 v11, 3, v11
	;; [unrolled: 1-line block ×3, first 2 shown]
	v_and_b32_e32 v21, 0x7c, v21
	v_and_b32_e32 v20, 0xfc, v20
	;; [unrolled: 1-line block ×4, first 2 shown]
	v_add_nc_u32_e32 v12, v12, v27
	v_and_b32_e32 v17, 0x1fc, v17
	v_and_b32_e32 v11, 0x1fc, v11
	;; [unrolled: 1-line block ×3, first 2 shown]
	v_add_nc_u32_e32 v21, v21, v27
	v_add_nc_u32_e32 v20, v20, v27
	;; [unrolled: 1-line block ×7, first 2 shown]
	s_waitcnt vmcnt(0) lgkmcnt(0)
	ds_store_b32 v12, v2
	ds_store_b32 v21, v3 offset:1536
	ds_store_b32 v20, v4 offset:3072
	;; [unrolled: 1-line block ×7, first 2 shown]
	s_waitcnt lgkmcnt(0)
	s_barrier
.LBB1147_40:
	buffer_gl0_inv
	ds_load_2addr_b32 v[11:12], v1 offset1:1
	ds_load_2addr_b32 v[7:8], v1 offset0:2 offset1:3
	ds_load_2addr_b32 v[3:4], v1 offset0:4 offset1:5
	;; [unrolled: 1-line block ×3, first 2 shown]
	s_cmp_lg_u32 s15, 0
	s_mov_b32 s12, 0
	s_cselect_b32 s9, -1, 0
	s_cmp_lg_u64 s[6:7], 0
	s_waitcnt lgkmcnt(0)
	s_cselect_b32 s2, -1, 0
	s_barrier
	s_or_b32 s2, s9, s2
	buffer_gl0_inv
	s_and_b32 vcc_lo, exec_lo, s2
	s_cbranch_vccz .LBB1147_45
; %bb.41:
	v_add_co_u32 v17, s2, -4, s21
	s_delay_alu instid0(VALU_DEP_1)
	v_add_co_ci_u32_e64 v18, null, -1, s3, s2
	v_lshlrev_b32_e32 v21, 2, v0
	s_mov_b32 s3, -1
	s_and_b32 vcc_lo, exec_lo, s18
	flat_load_b32 v20, v[17:18]
	ds_store_b32 v21, v6
	s_cbranch_vccz .LBB1147_46
; %bb.42:
	s_waitcnt vmcnt(0) lgkmcnt(1)
	v_mov_b32_e32 v17, v20
	s_mov_b32 s3, 0
	s_mov_b32 s2, exec_lo
	s_waitcnt lgkmcnt(0)
	s_barrier
	buffer_gl0_inv
	v_cmpx_ne_u32_e32 0, v0
	s_cbranch_execz .LBB1147_44
; %bb.43:
	v_add_nc_u32_e32 v17, -4, v21
	ds_load_b32 v17, v17
.LBB1147_44:
	s_or_b32 exec_lo, exec_lo, s2
	v_cmp_ne_u32_e32 vcc_lo, v5, v6
	s_waitcnt lgkmcnt(0)
	v_cmp_ne_u32_e64 s2, v17, v15
	v_cndmask_b32_e64 v18, 0, 1, vcc_lo
	v_cmp_ne_u32_e32 vcc_lo, v10, v5
	s_delay_alu instid0(VALU_DEP_2) | instskip(SKIP_2) | instid1(VALU_DEP_2)
	v_lshlrev_b16 v18, 8, v18
	v_cndmask_b32_e64 v22, 0, 1, vcc_lo
	v_cmp_ne_u32_e32 vcc_lo, v9, v10
	v_or_b32_e32 v18, v22, v18
	v_cndmask_b32_e64 v23, 0, 1, vcc_lo
	v_cmp_ne_u32_e32 vcc_lo, v13, v14
	s_delay_alu instid0(VALU_DEP_3) | instskip(NEXT) | instid1(VALU_DEP_3)
	v_lshlrev_b32_e32 v18, 16, v18
	v_lshlrev_b16 v23, 8, v23
	v_cndmask_b32_e64 v24, 0, 1, vcc_lo
	v_cmp_ne_u32_e32 vcc_lo, v14, v9
	s_delay_alu instid0(VALU_DEP_2) | instskip(SKIP_2) | instid1(VALU_DEP_2)
	v_lshlrev_b16 v24, 8, v24
	v_cndmask_b32_e64 v25, 0, 1, vcc_lo
	v_cmp_ne_u32_e32 vcc_lo, v16, v13
	v_or_b32_e32 v23, v25, v23
	v_cndmask_b32_e64 v26, 0, 1, vcc_lo
	v_cmp_ne_u32_e32 vcc_lo, v15, v16
	s_delay_alu instid0(VALU_DEP_3) | instskip(NEXT) | instid1(VALU_DEP_3)
	v_and_b32_e32 v23, 0xffff, v23
	v_or_b32_e32 v24, v26, v24
	v_cndmask_b32_e64 v27, 0, 1, vcc_lo
	s_delay_alu instid0(VALU_DEP_3) | instskip(NEXT) | instid1(VALU_DEP_3)
	v_or_b32_e32 v18, v23, v18
	v_lshlrev_b32_e32 v22, 16, v24
	s_delay_alu instid0(VALU_DEP_3) | instskip(NEXT) | instid1(VALU_DEP_1)
	v_lshlrev_b16 v26, 8, v27
	v_and_b32_e32 v24, 0xffff, v26
	s_delay_alu instid0(VALU_DEP_1)
	v_or_b32_e32 v17, v24, v22
	s_and_b32 vcc_lo, exec_lo, s3
	s_cbranch_vccnz .LBB1147_47
	s_branch .LBB1147_50
.LBB1147_45:
                                        ; implicit-def: $sgpr2
                                        ; implicit-def: $vgpr18
	s_branch .LBB1147_51
.LBB1147_46:
                                        ; implicit-def: $sgpr2
                                        ; implicit-def: $vgpr18
	s_and_b32 vcc_lo, exec_lo, s3
	s_cbranch_vccz .LBB1147_50
.LBB1147_47:
	s_mov_b32 s2, exec_lo
	s_waitcnt vmcnt(0) lgkmcnt(0)
	s_barrier
	buffer_gl0_inv
	v_cmpx_ne_u32_e32 0, v0
	s_cbranch_execz .LBB1147_49
; %bb.48:
	v_add_nc_u32_e32 v17, -4, v21
	ds_load_b32 v20, v17
.LBB1147_49:
	s_or_b32 exec_lo, exec_lo, s2
	v_or_b32_e32 v17, 7, v19
	v_or_b32_e32 v18, 6, v19
	;; [unrolled: 1-line block ×3, first 2 shown]
	v_cmp_ne_u32_e32 vcc_lo, v5, v6
	v_cmp_ne_u32_e64 s3, v10, v5
	v_cmp_gt_u32_e64 s2, s19, v17
	v_cmp_gt_u32_e64 s5, s19, v18
	v_cmp_ne_u32_e64 s4, v9, v10
	v_cmp_gt_u32_e64 s6, s19, v21
	v_or_b32_e32 v18, 3, v19
	s_and_b32 s2, s2, vcc_lo
	v_or_b32_e32 v22, 4, v19
	v_cndmask_b32_e64 v17, 0, 1, s2
	s_and_b32 s2, s5, s3
	v_cmp_gt_u32_e32 vcc_lo, s19, v18
	v_cndmask_b32_e64 v21, 0, 1, s2
	s_and_b32 s2, s6, s4
	v_or_b32_e32 v18, 2, v19
	v_cndmask_b32_e64 v23, 0, 1, s2
	v_cmp_ne_u32_e64 s2, v13, v14
	v_cmp_gt_u32_e64 s3, s19, v22
	v_or_b32_e32 v22, 1, v19
	v_cmp_ne_u32_e64 s4, v14, v9
	v_cmp_ne_u32_e64 s6, v15, v16
	s_and_b32 s2, vcc_lo, s2
	v_cmp_gt_u32_e32 vcc_lo, s19, v18
	v_cndmask_b32_e64 v24, 0, 1, s2
	v_cmp_ne_u32_e64 s2, v16, v13
	v_cmp_gt_u32_e64 s5, s19, v22
	s_and_b32 s3, s3, s4
	v_lshlrev_b16 v23, 8, v23
	v_cndmask_b32_e64 v18, 0, 1, s3
	s_and_b32 s2, vcc_lo, s2
	v_lshlrev_b16 v24, 8, v24
	v_cndmask_b32_e64 v22, 0, 1, s2
	s_and_b32 s2, s5, s6
	v_lshlrev_b16 v17, 8, v17
	v_cndmask_b32_e64 v25, 0, 1, s2
	v_or_b32_e32 v18, v18, v23
	v_or_b32_e32 v22, v22, v24
	v_cmp_gt_u32_e32 vcc_lo, s19, v19
	v_or_b32_e32 v17, v21, v17
	v_lshlrev_b16 v24, 8, v25
	v_and_b32_e32 v18, 0xffff, v18
	v_lshlrev_b32_e32 v21, 16, v22
	s_waitcnt lgkmcnt(0)
	v_cmp_ne_u32_e64 s2, v20, v15
	v_lshlrev_b32_e32 v23, 16, v17
	v_and_b32_e32 v22, 0xffff, v24
	s_delay_alu instid0(VALU_DEP_3) | instskip(NEXT) | instid1(VALU_DEP_2)
	s_and_b32 s2, vcc_lo, s2
	v_or_b32_e32 v18, v18, v23
	s_delay_alu instid0(VALU_DEP_2)
	v_or_b32_e32 v17, v22, v21
.LBB1147_50:
	s_mov_b32 s12, -1
	s_cbranch_execnz .LBB1147_59
.LBB1147_51:
	s_waitcnt vmcnt(0) lgkmcnt(1)
	v_lshlrev_b32_e32 v20, 2, v0
	v_cmp_ne_u32_e64 s3, v5, v6
	v_cmp_ne_u32_e64 s4, v10, v5
	v_cmp_ne_u32_e64 s5, v9, v10
	v_cmp_ne_u32_e64 s6, v14, v9
	v_cmp_ne_u32_e64 s7, v13, v14
	v_cmp_ne_u32_e64 s2, v16, v13
	v_cmp_ne_u32_e64 s8, v15, v16
	s_and_b32 vcc_lo, exec_lo, s18
	ds_store_b32 v20, v6
	s_cbranch_vccz .LBB1147_55
; %bb.52:
	v_cndmask_b32_e64 v17, 0, 1, s3
	v_cndmask_b32_e64 v21, 0, 1, s5
	;; [unrolled: 1-line block ×7, first 2 shown]
	v_lshlrev_b16 v21, 8, v21
	v_lshlrev_b16 v17, 8, v17
	;; [unrolled: 1-line block ×4, first 2 shown]
	s_mov_b32 s3, 0
	v_or_b32_e32 v21, v22, v21
	v_or_b32_e32 v17, v18, v17
	;; [unrolled: 1-line block ×4, first 2 shown]
	s_mov_b32 s4, exec_lo
	v_and_b32_e32 v21, 0xffff, v21
	v_lshlrev_b32_e32 v17, 16, v17
	v_lshlrev_b32_e32 v23, 16, v18
	v_and_b32_e32 v22, 0xffff, v22
	s_waitcnt lgkmcnt(0)
	s_barrier
	v_or_b32_e32 v18, v21, v17
	buffer_gl0_inv
	v_or_b32_e32 v17, v22, v23
                                        ; implicit-def: $sgpr2
	v_cmpx_ne_u32_e32 0, v0
	s_xor_b32 s4, exec_lo, s4
	s_cbranch_execz .LBB1147_54
; %bb.53:
	v_add_nc_u32_e32 v21, -4, v20
	s_or_b32 s12, s12, exec_lo
	ds_load_b32 v21, v21
	s_waitcnt lgkmcnt(0)
	v_cmp_ne_u32_e32 vcc_lo, v21, v15
	s_and_b32 s2, vcc_lo, exec_lo
.LBB1147_54:
	s_or_b32 exec_lo, exec_lo, s4
	s_delay_alu instid0(SALU_CYCLE_1)
	s_and_b32 vcc_lo, exec_lo, s3
	s_cbranch_vccnz .LBB1147_56
	s_branch .LBB1147_59
.LBB1147_55:
                                        ; implicit-def: $sgpr2
                                        ; implicit-def: $vgpr18
	s_cbranch_execz .LBB1147_59
.LBB1147_56:
	v_or_b32_e32 v17, 7, v19
	v_or_b32_e32 v18, 6, v19
	v_cmp_ne_u32_e32 vcc_lo, v5, v6
	v_cmp_ne_u32_e64 s3, v10, v5
	v_or_b32_e32 v21, 5, v19
	v_cmp_gt_u32_e64 s2, s19, v17
	v_cmp_gt_u32_e64 s4, s19, v18
	v_or_b32_e32 v17, 4, v19
	v_or_b32_e32 v22, 3, v19
	v_cmp_gt_u32_e64 s5, s19, v21
	s_and_b32 s2, s2, vcc_lo
	v_cmp_ne_u32_e32 vcc_lo, v9, v10
	v_cndmask_b32_e64 v18, 0, 1, s2
	s_and_b32 s2, s4, s3
	v_cmp_ne_u32_e64 s3, v14, v9
	v_cndmask_b32_e64 v21, 0, 1, s2
	v_cmp_gt_u32_e64 s2, s19, v17
	v_or_b32_e32 v23, 1, v19
	s_and_b32 s4, s5, vcc_lo
	v_cmp_gt_u32_e32 vcc_lo, s19, v22
	v_cndmask_b32_e64 v17, 0, 1, s4
	s_and_b32 s2, s2, s3
	v_or_b32_e32 v25, 2, v19
	v_cndmask_b32_e64 v24, 0, 1, s2
	v_cmp_ne_u32_e64 s2, v13, v14
	v_cmp_gt_u32_e64 s3, s19, v23
	v_cmp_ne_u32_e64 s4, v15, v16
	v_cmp_gt_u32_e64 s5, s19, v25
	v_cmp_ne_u32_e64 s6, v16, v13
	s_and_b32 s2, vcc_lo, s2
	v_lshlrev_b16 v17, 8, v17
	v_cndmask_b32_e64 v22, 0, 1, s2
	s_and_b32 s2, s3, s4
	v_lshlrev_b16 v18, 8, v18
	v_cndmask_b32_e64 v23, 0, 1, s2
	s_and_b32 s2, s5, s6
	v_lshlrev_b16 v22, 8, v22
	v_cndmask_b32_e64 v25, 0, 1, s2
	v_or_b32_e32 v17, v24, v17
	v_lshlrev_b16 v23, 8, v23
	v_or_b32_e32 v18, v21, v18
	s_mov_b32 s3, exec_lo
	v_or_b32_e32 v21, v25, v22
	v_and_b32_e32 v17, 0xffff, v17
	v_or_b32_e32 v22, 1, v23
	v_lshlrev_b32_e32 v18, 16, v18
	s_waitcnt lgkmcnt(0)
	v_lshlrev_b32_e32 v21, 16, v21
	s_barrier
	v_and_b32_e32 v22, 0xffff, v22
	v_or_b32_e32 v18, v17, v18
	buffer_gl0_inv
                                        ; implicit-def: $sgpr2
	v_or_b32_e32 v17, v22, v21
	v_cmpx_ne_u32_e32 0, v0
	s_cbranch_execz .LBB1147_58
; %bb.57:
	v_add_nc_u32_e32 v20, -4, v20
	v_cmp_gt_u32_e32 vcc_lo, s19, v19
	s_or_b32 s12, s12, exec_lo
	ds_load_b32 v20, v20
	s_waitcnt lgkmcnt(0)
	v_cmp_ne_u32_e64 s2, v20, v15
	s_delay_alu instid0(VALU_DEP_1) | instskip(NEXT) | instid1(SALU_CYCLE_1)
	s_and_b32 s2, vcc_lo, s2
	s_and_b32 s2, s2, exec_lo
.LBB1147_58:
	s_or_b32 exec_lo, exec_lo, s3
.LBB1147_59:
	s_and_saveexec_b32 s3, s12
	s_cbranch_execz .LBB1147_61
; %bb.60:
	s_waitcnt vmcnt(0) lgkmcnt(1)
	v_and_b32_e32 v20, 0xffffff00, v17
	v_cndmask_b32_e64 v21, 0, 1, s2
	s_delay_alu instid0(VALU_DEP_1) | instskip(NEXT) | instid1(VALU_DEP_1)
	v_or_b32_e32 v20, v21, v20
	v_and_b32_e32 v20, 0xffff, v20
	s_delay_alu instid0(VALU_DEP_1)
	v_and_or_b32 v17, 0xffff0000, v17, v20
.LBB1147_61:
	s_or_b32 exec_lo, exec_lo, s3
	s_load_b64 s[12:13], s[0:1], 0x68
	s_and_not1_b32 vcc_lo, exec_lo, s20
	s_cbranch_vccnz .LBB1147_63
; %bb.62:
	v_cmp_gt_u32_e32 vcc_lo, s19, v19
	v_or_b32_e32 v21, 1, v19
	v_and_b32_e32 v22, 0xffffff00, v18
	v_or_b32_e32 v23, 2, v19
	s_waitcnt vmcnt(0) lgkmcnt(0)
	v_cndmask_b32_e32 v20, 0, v17, vcc_lo
	v_cmp_gt_u32_e32 vcc_lo, s19, v21
	v_or_b32_e32 v21, 4, v19
	v_cmp_gt_u32_e64 s2, s19, v23
	v_or_b32_e32 v23, 3, v19
	v_and_b32_e32 v20, 0xff, v20
	s_delay_alu instid0(VALU_DEP_2) | instskip(NEXT) | instid1(VALU_DEP_2)
	v_cmp_gt_u32_e64 s3, s19, v23
	v_cndmask_b32_e32 v20, v20, v17, vcc_lo
	v_cmp_gt_u32_e32 vcc_lo, s19, v21
	s_delay_alu instid0(VALU_DEP_2) | instskip(SKIP_1) | instid1(VALU_DEP_2)
	v_dual_cndmask_b32 v21, v22, v18 :: v_dual_and_b32 v20, 0xffff, v20
	v_or_b32_e32 v22, 5, v19
	v_cndmask_b32_e64 v20, v20, v17, s2
	s_delay_alu instid0(VALU_DEP_3) | instskip(NEXT) | instid1(VALU_DEP_3)
	v_and_b32_e32 v21, 0xffff00ff, v21
	v_cmp_gt_u32_e64 s2, s19, v22
	v_or_b32_e32 v22, 6, v19
	v_or_b32_e32 v19, 7, v19
	v_and_b32_e32 v20, 0xffffff, v20
	s_delay_alu instid0(VALU_DEP_4) | instskip(NEXT) | instid1(VALU_DEP_2)
	v_cndmask_b32_e64 v21, v21, v18, s2
	v_cndmask_b32_e64 v20, v20, v17, s3
	s_delay_alu instid0(VALU_DEP_2) | instskip(NEXT) | instid1(VALU_DEP_2)
	v_and_b32_e32 v21, 0xff00ffff, v21
	v_cndmask_b32_e32 v20, v20, v17, vcc_lo
	v_cmp_gt_u32_e32 vcc_lo, s19, v22
	s_delay_alu instid0(VALU_DEP_2) | instskip(NEXT) | instid1(VALU_DEP_1)
	v_cndmask_b32_e64 v20, v20, v17, s2
	v_dual_cndmask_b32 v21, v21, v18 :: v_dual_cndmask_b32 v20, v20, v17
	s_delay_alu instid0(VALU_DEP_1) | instskip(SKIP_1) | instid1(VALU_DEP_2)
	v_and_b32_e32 v21, 0xffffff, v21
	v_cmp_gt_u32_e32 vcc_lo, s19, v19
	v_dual_cndmask_b32 v18, v21, v18 :: v_dual_cndmask_b32 v17, v20, v17
.LBB1147_63:
	s_delay_alu instid0(VALU_DEP_1) | instskip(NEXT) | instid1(VALU_DEP_2)
	v_and_b32_e32 v28, 0xff, v17
	v_alignbit_b32 v19, v18, v17, 24
	v_bfe_u32 v30, v17, 8, 8
	v_bfe_u32 v32, v17, 16, 8
	v_and_b32_e32 v36, 0xff, v18
	v_bfe_u32 v38, v18, 8, 8
	v_and_b32_e32 v34, 0xff, v19
	v_add_nc_u32_e32 v19, v30, v28
	s_waitcnt vmcnt(0) lgkmcnt(0)
	v_and_b32_e32 v20, 0x1e0, v0
	v_mbcnt_lo_u32_b32 v41, -1, 0
	v_bfe_u32 v40, v18, 16, 8
	v_lshrrev_b32_e32 v39, 24, v18
	v_add3_u32 v19, v19, v32, v34
	v_min_u32_e32 v20, 0x160, v20
	v_and_b32_e32 v21, 15, v41
	v_lshrrev_b32_e32 v42, 5, v0
	s_and_b32 vcc_lo, exec_lo, s9
	v_add3_u32 v19, v19, v36, v38
	v_or_b32_e32 v20, 31, v20
	v_cmp_eq_u32_e64 s4, 0, v21
	v_cmp_lt_u32_e64 s5, 1, v21
	v_cmp_lt_u32_e64 s3, 3, v21
	v_add3_u32 v43, v19, v40, v39
	v_and_b32_e32 v19, 16, v41
	v_cmp_lt_u32_e64 s2, 7, v21
	v_cmp_eq_u32_e64 s6, v20, v0
	s_mov_b32 s19, -1
	s_delay_alu instid0(VALU_DEP_3)
	v_cmp_eq_u32_e64 s7, 0, v19
	s_barrier
	buffer_gl0_inv
	s_cbranch_vccz .LBB1147_89
; %bb.64:
	v_mov_b32_dpp v19, v43 row_shr:1 row_mask:0xf bank_mask:0xf
	s_delay_alu instid0(VALU_DEP_1) | instskip(NEXT) | instid1(VALU_DEP_1)
	v_cndmask_b32_e64 v19, v19, 0, s4
	v_add_nc_u32_e32 v19, v19, v43
	s_delay_alu instid0(VALU_DEP_1) | instskip(NEXT) | instid1(VALU_DEP_1)
	v_mov_b32_dpp v20, v19 row_shr:2 row_mask:0xf bank_mask:0xf
	v_cndmask_b32_e64 v20, 0, v20, s5
	s_delay_alu instid0(VALU_DEP_1) | instskip(NEXT) | instid1(VALU_DEP_1)
	v_add_nc_u32_e32 v19, v19, v20
	v_mov_b32_dpp v20, v19 row_shr:4 row_mask:0xf bank_mask:0xf
	s_delay_alu instid0(VALU_DEP_1) | instskip(NEXT) | instid1(VALU_DEP_1)
	v_cndmask_b32_e64 v20, 0, v20, s3
	v_add_nc_u32_e32 v19, v19, v20
	s_delay_alu instid0(VALU_DEP_1) | instskip(NEXT) | instid1(VALU_DEP_1)
	v_mov_b32_dpp v20, v19 row_shr:8 row_mask:0xf bank_mask:0xf
	v_cndmask_b32_e64 v20, 0, v20, s2
	s_delay_alu instid0(VALU_DEP_1) | instskip(SKIP_3) | instid1(VALU_DEP_1)
	v_add_nc_u32_e32 v19, v19, v20
	ds_swizzle_b32 v20, v19 offset:swizzle(BROADCAST,32,15)
	s_waitcnt lgkmcnt(0)
	v_cndmask_b32_e64 v20, v20, 0, s7
	v_add_nc_u32_e32 v19, v19, v20
	s_and_saveexec_b32 s8, s6
	s_cbranch_execz .LBB1147_66
; %bb.65:
	v_lshlrev_b32_e32 v20, 2, v42
	ds_store_b32 v20, v19
.LBB1147_66:
	s_or_b32 exec_lo, exec_lo, s8
	s_delay_alu instid0(SALU_CYCLE_1)
	s_mov_b32 s8, exec_lo
	s_waitcnt lgkmcnt(0)
	s_barrier
	buffer_gl0_inv
	v_cmpx_gt_u32_e32 12, v0
	s_cbranch_execz .LBB1147_68
; %bb.67:
	v_lshlrev_b32_e32 v20, 2, v0
	ds_load_b32 v21, v20
	s_waitcnt lgkmcnt(0)
	v_mov_b32_dpp v22, v21 row_shr:1 row_mask:0xf bank_mask:0xf
	s_delay_alu instid0(VALU_DEP_1) | instskip(NEXT) | instid1(VALU_DEP_1)
	v_cndmask_b32_e64 v22, v22, 0, s4
	v_add_nc_u32_e32 v21, v22, v21
	s_delay_alu instid0(VALU_DEP_1) | instskip(NEXT) | instid1(VALU_DEP_1)
	v_mov_b32_dpp v22, v21 row_shr:2 row_mask:0xf bank_mask:0xf
	v_cndmask_b32_e64 v22, 0, v22, s5
	s_delay_alu instid0(VALU_DEP_1) | instskip(NEXT) | instid1(VALU_DEP_1)
	v_add_nc_u32_e32 v21, v21, v22
	v_mov_b32_dpp v22, v21 row_shr:4 row_mask:0xf bank_mask:0xf
	s_delay_alu instid0(VALU_DEP_1) | instskip(NEXT) | instid1(VALU_DEP_1)
	v_cndmask_b32_e64 v22, 0, v22, s3
	v_add_nc_u32_e32 v21, v21, v22
	s_delay_alu instid0(VALU_DEP_1) | instskip(NEXT) | instid1(VALU_DEP_1)
	v_mov_b32_dpp v22, v21 row_shr:8 row_mask:0xf bank_mask:0xf
	v_cndmask_b32_e64 v22, 0, v22, s2
	s_delay_alu instid0(VALU_DEP_1)
	v_add_nc_u32_e32 v21, v21, v22
	ds_store_b32 v20, v21
.LBB1147_68:
	s_or_b32 exec_lo, exec_lo, s8
	v_cmp_gt_u32_e32 vcc_lo, 32, v0
	s_mov_b32 s9, exec_lo
	s_waitcnt lgkmcnt(0)
	s_barrier
	buffer_gl0_inv
                                        ; implicit-def: $vgpr27
	v_cmpx_lt_u32_e32 31, v0
	s_cbranch_execz .LBB1147_70
; %bb.69:
	v_lshl_add_u32 v20, v42, 2, -4
	ds_load_b32 v27, v20
	s_waitcnt lgkmcnt(0)
	v_add_nc_u32_e32 v19, v27, v19
.LBB1147_70:
	s_or_b32 exec_lo, exec_lo, s9
	v_add_nc_u32_e32 v20, -1, v41
	s_delay_alu instid0(VALU_DEP_1) | instskip(NEXT) | instid1(VALU_DEP_1)
	v_cmp_gt_i32_e64 s8, 0, v20
	v_cndmask_b32_e64 v20, v20, v41, s8
	v_cmp_eq_u32_e64 s8, 0, v41
	s_delay_alu instid0(VALU_DEP_2)
	v_lshlrev_b32_e32 v20, 2, v20
	ds_bpermute_b32 v29, v20, v19
	s_and_saveexec_b32 s9, vcc_lo
	s_cbranch_execz .LBB1147_88
; %bb.71:
	v_mov_b32_e32 v23, 0
	ds_load_b32 v19, v23 offset:44
	s_and_saveexec_b32 s19, s8
	s_cbranch_execz .LBB1147_73
; %bb.72:
	s_add_i32 s20, s15, 32
	s_mov_b32 s21, 0
	v_mov_b32_e32 v20, 1
	s_lshl_b64 s[20:21], s[20:21], 3
	s_delay_alu instid0(SALU_CYCLE_1)
	s_add_u32 s20, s12, s20
	s_addc_u32 s21, s13, s21
	s_waitcnt lgkmcnt(0)
	global_store_b64 v23, v[19:20], s[20:21]
.LBB1147_73:
	s_or_b32 exec_lo, exec_lo, s19
	v_xad_u32 v21, v41, -1, s15
	s_mov_b32 s20, 0
	s_mov_b32 s19, exec_lo
	s_delay_alu instid0(VALU_DEP_1) | instskip(NEXT) | instid1(VALU_DEP_1)
	v_add_nc_u32_e32 v22, 32, v21
	v_lshlrev_b64 v[22:23], 3, v[22:23]
	s_delay_alu instid0(VALU_DEP_1) | instskip(NEXT) | instid1(VALU_DEP_2)
	v_add_co_u32 v25, vcc_lo, s12, v22
	v_add_co_ci_u32_e32 v26, vcc_lo, s13, v23, vcc_lo
	global_load_b64 v[23:24], v[25:26], off glc
	s_waitcnt vmcnt(0)
	v_and_b32_e32 v20, 0xff, v24
	s_delay_alu instid0(VALU_DEP_1)
	v_cmpx_eq_u16_e32 0, v20
	s_cbranch_execz .LBB1147_76
.LBB1147_74:                            ; =>This Inner Loop Header: Depth=1
	global_load_b64 v[23:24], v[25:26], off glc
	s_waitcnt vmcnt(0)
	v_and_b32_e32 v20, 0xff, v24
	s_delay_alu instid0(VALU_DEP_1) | instskip(SKIP_1) | instid1(SALU_CYCLE_1)
	v_cmp_ne_u16_e32 vcc_lo, 0, v20
	s_or_b32 s20, vcc_lo, s20
	s_and_not1_b32 exec_lo, exec_lo, s20
	s_cbranch_execnz .LBB1147_74
; %bb.75:
	s_or_b32 exec_lo, exec_lo, s20
.LBB1147_76:
	s_delay_alu instid0(SALU_CYCLE_1)
	s_or_b32 exec_lo, exec_lo, s19
	v_cmp_ne_u32_e32 vcc_lo, 31, v41
	v_lshlrev_b32_e64 v33, v41, -1
	v_add_nc_u32_e32 v37, 2, v41
	v_add_nc_u32_e32 v45, 4, v41
	v_add_nc_u32_e32 v47, 8, v41
	v_add_co_ci_u32_e32 v20, vcc_lo, 0, v41, vcc_lo
	v_add_nc_u32_e32 v49, 16, v41
	s_delay_alu instid0(VALU_DEP_2)
	v_lshlrev_b32_e32 v31, 2, v20
	v_and_b32_e32 v20, 0xff, v24
	ds_bpermute_b32 v22, v31, v23
	v_cmp_eq_u16_e32 vcc_lo, 2, v20
	v_and_or_b32 v20, vcc_lo, v33, 0x80000000
	v_cmp_gt_u32_e32 vcc_lo, 30, v41
	s_delay_alu instid0(VALU_DEP_2) | instskip(SKIP_1) | instid1(VALU_DEP_2)
	v_ctz_i32_b32_e32 v20, v20
	v_cndmask_b32_e64 v25, 0, 1, vcc_lo
	v_cmp_lt_u32_e32 vcc_lo, v41, v20
	s_waitcnt lgkmcnt(0)
	s_delay_alu instid0(VALU_DEP_2) | instskip(NEXT) | instid1(VALU_DEP_1)
	v_dual_cndmask_b32 v22, 0, v22 :: v_dual_lshlrev_b32 v25, 1, v25
	v_add_lshl_u32 v35, v25, v41, 2
	v_cmp_gt_u32_e32 vcc_lo, 28, v41
	s_delay_alu instid0(VALU_DEP_3) | instskip(SKIP_4) | instid1(VALU_DEP_1)
	v_add_nc_u32_e32 v22, v22, v23
	v_cndmask_b32_e64 v25, 0, 1, vcc_lo
	v_cmp_le_u32_e32 vcc_lo, v37, v20
	ds_bpermute_b32 v23, v35, v22
	v_lshlrev_b32_e32 v25, 2, v25
	v_add_lshl_u32 v44, v25, v41, 2
	s_waitcnt lgkmcnt(0)
	v_cndmask_b32_e32 v23, 0, v23, vcc_lo
	v_cmp_gt_u32_e32 vcc_lo, 24, v41
	s_delay_alu instid0(VALU_DEP_2) | instskip(SKIP_4) | instid1(VALU_DEP_1)
	v_add_nc_u32_e32 v22, v22, v23
	v_cndmask_b32_e64 v25, 0, 1, vcc_lo
	v_cmp_le_u32_e32 vcc_lo, v45, v20
	ds_bpermute_b32 v23, v44, v22
	v_lshlrev_b32_e32 v25, 3, v25
	v_add_lshl_u32 v46, v25, v41, 2
	s_waitcnt lgkmcnt(0)
	v_cndmask_b32_e32 v23, 0, v23, vcc_lo
	v_cmp_gt_u32_e32 vcc_lo, 16, v41
	s_delay_alu instid0(VALU_DEP_2) | instskip(SKIP_4) | instid1(VALU_DEP_1)
	v_add_nc_u32_e32 v22, v22, v23
	v_cndmask_b32_e64 v25, 0, 1, vcc_lo
	v_cmp_le_u32_e32 vcc_lo, v47, v20
	ds_bpermute_b32 v23, v46, v22
	v_lshlrev_b32_e32 v25, 4, v25
	v_add_lshl_u32 v48, v25, v41, 2
	s_waitcnt lgkmcnt(0)
	v_cndmask_b32_e32 v23, 0, v23, vcc_lo
	v_cmp_le_u32_e32 vcc_lo, v49, v20
	s_delay_alu instid0(VALU_DEP_2) | instskip(SKIP_3) | instid1(VALU_DEP_1)
	v_add_nc_u32_e32 v22, v22, v23
	ds_bpermute_b32 v23, v48, v22
	s_waitcnt lgkmcnt(0)
	v_cndmask_b32_e32 v20, 0, v23, vcc_lo
	v_dual_mov_b32 v22, 0 :: v_dual_add_nc_u32 v23, v22, v20
	s_branch .LBB1147_78
.LBB1147_77:                            ;   in Loop: Header=BB1147_78 Depth=1
	s_or_b32 exec_lo, exec_lo, s19
	ds_bpermute_b32 v26, v31, v23
	v_and_b32_e32 v25, 0xff, v24
	v_subrev_nc_u32_e32 v21, 32, v21
	s_delay_alu instid0(VALU_DEP_2) | instskip(SKIP_1) | instid1(VALU_DEP_1)
	v_cmp_eq_u16_e32 vcc_lo, 2, v25
	v_and_or_b32 v25, vcc_lo, v33, 0x80000000
	v_ctz_i32_b32_e32 v25, v25
	s_delay_alu instid0(VALU_DEP_1) | instskip(SKIP_3) | instid1(VALU_DEP_2)
	v_cmp_lt_u32_e32 vcc_lo, v41, v25
	s_waitcnt lgkmcnt(0)
	v_cndmask_b32_e32 v26, 0, v26, vcc_lo
	v_cmp_le_u32_e32 vcc_lo, v37, v25
	v_add_nc_u32_e32 v23, v26, v23
	ds_bpermute_b32 v26, v35, v23
	s_waitcnt lgkmcnt(0)
	v_cndmask_b32_e32 v26, 0, v26, vcc_lo
	v_cmp_le_u32_e32 vcc_lo, v45, v25
	s_delay_alu instid0(VALU_DEP_2) | instskip(SKIP_4) | instid1(VALU_DEP_2)
	v_add_nc_u32_e32 v23, v23, v26
	ds_bpermute_b32 v26, v44, v23
	s_waitcnt lgkmcnt(0)
	v_cndmask_b32_e32 v26, 0, v26, vcc_lo
	v_cmp_le_u32_e32 vcc_lo, v47, v25
	v_add_nc_u32_e32 v23, v23, v26
	ds_bpermute_b32 v26, v46, v23
	s_waitcnt lgkmcnt(0)
	v_cndmask_b32_e32 v26, 0, v26, vcc_lo
	v_cmp_le_u32_e32 vcc_lo, v49, v25
	s_delay_alu instid0(VALU_DEP_2) | instskip(SKIP_3) | instid1(VALU_DEP_1)
	v_add_nc_u32_e32 v23, v23, v26
	ds_bpermute_b32 v26, v48, v23
	s_waitcnt lgkmcnt(0)
	v_cndmask_b32_e32 v25, 0, v26, vcc_lo
	v_add3_u32 v23, v25, v20, v23
.LBB1147_78:                            ; =>This Loop Header: Depth=1
                                        ;     Child Loop BB1147_81 Depth 2
	v_and_b32_e32 v20, 0xff, v24
	s_delay_alu instid0(VALU_DEP_1) | instskip(SKIP_2) | instid1(VALU_DEP_1)
	v_cmp_ne_u16_e32 vcc_lo, 2, v20
	v_cndmask_b32_e64 v20, 0, 1, vcc_lo
	;;#ASMSTART
	;;#ASMEND
	v_cmp_ne_u32_e32 vcc_lo, 0, v20
	v_mov_b32_e32 v20, v23
	s_cmp_lg_u32 vcc_lo, exec_lo
	s_cbranch_scc1 .LBB1147_83
; %bb.79:                               ;   in Loop: Header=BB1147_78 Depth=1
	v_lshlrev_b64 v[23:24], 3, v[21:22]
	s_mov_b32 s19, exec_lo
	s_delay_alu instid0(VALU_DEP_1) | instskip(NEXT) | instid1(VALU_DEP_2)
	v_add_co_u32 v25, vcc_lo, s12, v23
	v_add_co_ci_u32_e32 v26, vcc_lo, s13, v24, vcc_lo
	global_load_b64 v[23:24], v[25:26], off glc
	s_waitcnt vmcnt(0)
	v_and_b32_e32 v50, 0xff, v24
	s_delay_alu instid0(VALU_DEP_1)
	v_cmpx_eq_u16_e32 0, v50
	s_cbranch_execz .LBB1147_77
; %bb.80:                               ;   in Loop: Header=BB1147_78 Depth=1
	s_mov_b32 s20, 0
.LBB1147_81:                            ;   Parent Loop BB1147_78 Depth=1
                                        ; =>  This Inner Loop Header: Depth=2
	global_load_b64 v[23:24], v[25:26], off glc
	s_waitcnt vmcnt(0)
	v_and_b32_e32 v50, 0xff, v24
	s_delay_alu instid0(VALU_DEP_1) | instskip(SKIP_1) | instid1(SALU_CYCLE_1)
	v_cmp_ne_u16_e32 vcc_lo, 0, v50
	s_or_b32 s20, vcc_lo, s20
	s_and_not1_b32 exec_lo, exec_lo, s20
	s_cbranch_execnz .LBB1147_81
; %bb.82:                               ;   in Loop: Header=BB1147_78 Depth=1
	s_or_b32 exec_lo, exec_lo, s20
	s_branch .LBB1147_77
.LBB1147_83:                            ;   in Loop: Header=BB1147_78 Depth=1
                                        ; implicit-def: $vgpr23
                                        ; implicit-def: $vgpr24
	s_cbranch_execz .LBB1147_78
; %bb.84:
	s_and_saveexec_b32 s19, s8
	s_cbranch_execz .LBB1147_86
; %bb.85:
	s_add_i32 s20, s15, 32
	s_mov_b32 s21, 0
	v_dual_mov_b32 v22, 2 :: v_dual_add_nc_u32 v21, v20, v19
	s_lshl_b64 s[20:21], s[20:21], 3
	v_mov_b32_e32 v23, 0
	s_add_u32 s20, s12, s20
	s_addc_u32 s21, s13, s21
	global_store_b64 v23, v[21:22], s[20:21]
	ds_store_b64 v23, v[19:20] offset:12672
.LBB1147_86:
	s_or_b32 exec_lo, exec_lo, s19
	v_cmp_eq_u32_e32 vcc_lo, 0, v0
	s_and_b32 exec_lo, exec_lo, vcc_lo
	s_cbranch_execz .LBB1147_88
; %bb.87:
	v_mov_b32_e32 v19, 0
	ds_store_b32 v19, v20 offset:44
.LBB1147_88:
	s_or_b32 exec_lo, exec_lo, s9
	v_mov_b32_e32 v19, 0
	s_waitcnt lgkmcnt(0)
	s_waitcnt_vscnt null, 0x0
	s_barrier
	buffer_gl0_inv
	v_cndmask_b32_e64 v21, v29, v27, s8
	ds_load_b32 v20, v19 offset:44
	v_cmp_ne_u32_e32 vcc_lo, 0, v0
	s_waitcnt lgkmcnt(0)
	s_barrier
	buffer_gl0_inv
	v_cndmask_b32_e32 v21, 0, v21, vcc_lo
	s_delay_alu instid0(VALU_DEP_1) | instskip(SKIP_2) | instid1(VALU_DEP_1)
	v_add_nc_u32_e32 v37, v20, v21
	ds_load_b64 v[19:20], v19 offset:12672
	v_add_nc_u32_e32 v35, v37, v28
	v_add_nc_u32_e32 v33, v35, v30
	s_delay_alu instid0(VALU_DEP_1) | instskip(NEXT) | instid1(VALU_DEP_1)
	v_add_nc_u32_e32 v31, v33, v32
	v_add_nc_u32_e32 v29, v31, v34
	s_delay_alu instid0(VALU_DEP_1) | instskip(NEXT) | instid1(VALU_DEP_1)
	v_add_nc_u32_e32 v27, v29, v36
	v_add_nc_u32_e32 v25, v27, v38
	s_delay_alu instid0(VALU_DEP_1)
	v_add_nc_u32_e32 v23, v25, v40
	s_load_b64 s[8:9], s[0:1], 0x38
	v_lshrrev_b64 v[21:22], 24, v[17:18]
	s_branch .LBB1147_99
.LBB1147_89:
                                        ; implicit-def: $vgpr23
                                        ; implicit-def: $vgpr25
                                        ; implicit-def: $vgpr27
                                        ; implicit-def: $vgpr29
                                        ; implicit-def: $vgpr31
                                        ; implicit-def: $vgpr33
                                        ; implicit-def: $vgpr35
                                        ; implicit-def: $vgpr37
                                        ; implicit-def: $vgpr20
	s_load_b64 s[8:9], s[0:1], 0x38
	v_lshrrev_b64 v[21:22], 24, v[17:18]
	s_and_b32 vcc_lo, exec_lo, s19
	s_cbranch_vccz .LBB1147_99
; %bb.90:
	s_waitcnt lgkmcnt(0)
	v_mov_b32_dpp v19, v43 row_shr:1 row_mask:0xf bank_mask:0xf
	s_delay_alu instid0(VALU_DEP_1) | instskip(NEXT) | instid1(VALU_DEP_1)
	v_cndmask_b32_e64 v19, v19, 0, s4
	v_add_nc_u32_e32 v19, v19, v43
	s_delay_alu instid0(VALU_DEP_1) | instskip(NEXT) | instid1(VALU_DEP_1)
	v_mov_b32_dpp v20, v19 row_shr:2 row_mask:0xf bank_mask:0xf
	v_cndmask_b32_e64 v20, 0, v20, s5
	s_delay_alu instid0(VALU_DEP_1) | instskip(NEXT) | instid1(VALU_DEP_1)
	v_add_nc_u32_e32 v19, v19, v20
	v_mov_b32_dpp v20, v19 row_shr:4 row_mask:0xf bank_mask:0xf
	s_delay_alu instid0(VALU_DEP_1) | instskip(NEXT) | instid1(VALU_DEP_1)
	v_cndmask_b32_e64 v20, 0, v20, s3
	v_add_nc_u32_e32 v19, v19, v20
	s_delay_alu instid0(VALU_DEP_1) | instskip(NEXT) | instid1(VALU_DEP_1)
	v_mov_b32_dpp v20, v19 row_shr:8 row_mask:0xf bank_mask:0xf
	v_cndmask_b32_e64 v20, 0, v20, s2
	s_delay_alu instid0(VALU_DEP_1) | instskip(SKIP_3) | instid1(VALU_DEP_1)
	v_add_nc_u32_e32 v19, v19, v20
	ds_swizzle_b32 v20, v19 offset:swizzle(BROADCAST,32,15)
	s_waitcnt lgkmcnt(0)
	v_cndmask_b32_e64 v20, v20, 0, s7
	v_add_nc_u32_e32 v19, v19, v20
	s_and_saveexec_b32 s0, s6
	s_cbranch_execz .LBB1147_92
; %bb.91:
	v_lshlrev_b32_e32 v20, 2, v42
	ds_store_b32 v20, v19
.LBB1147_92:
	s_or_b32 exec_lo, exec_lo, s0
	s_delay_alu instid0(SALU_CYCLE_1)
	s_mov_b32 s0, exec_lo
	s_waitcnt lgkmcnt(0)
	s_barrier
	buffer_gl0_inv
	v_cmpx_gt_u32_e32 12, v0
	s_cbranch_execz .LBB1147_94
; %bb.93:
	v_lshlrev_b32_e32 v20, 2, v0
	ds_load_b32 v22, v20
	s_waitcnt lgkmcnt(0)
	v_mov_b32_dpp v23, v22 row_shr:1 row_mask:0xf bank_mask:0xf
	s_delay_alu instid0(VALU_DEP_1) | instskip(NEXT) | instid1(VALU_DEP_1)
	v_cndmask_b32_e64 v23, v23, 0, s4
	v_add_nc_u32_e32 v22, v23, v22
	s_delay_alu instid0(VALU_DEP_1) | instskip(NEXT) | instid1(VALU_DEP_1)
	v_mov_b32_dpp v23, v22 row_shr:2 row_mask:0xf bank_mask:0xf
	v_cndmask_b32_e64 v23, 0, v23, s5
	s_delay_alu instid0(VALU_DEP_1) | instskip(NEXT) | instid1(VALU_DEP_1)
	v_add_nc_u32_e32 v22, v22, v23
	v_mov_b32_dpp v23, v22 row_shr:4 row_mask:0xf bank_mask:0xf
	s_delay_alu instid0(VALU_DEP_1) | instskip(NEXT) | instid1(VALU_DEP_1)
	v_cndmask_b32_e64 v23, 0, v23, s3
	v_add_nc_u32_e32 v22, v22, v23
	s_delay_alu instid0(VALU_DEP_1) | instskip(NEXT) | instid1(VALU_DEP_1)
	v_mov_b32_dpp v23, v22 row_shr:8 row_mask:0xf bank_mask:0xf
	v_cndmask_b32_e64 v23, 0, v23, s2
	s_delay_alu instid0(VALU_DEP_1)
	v_add_nc_u32_e32 v22, v22, v23
	ds_store_b32 v20, v22
.LBB1147_94:
	s_or_b32 exec_lo, exec_lo, s0
	v_mov_b32_e32 v20, 0
	v_mov_b32_e32 v22, 0
	s_mov_b32 s0, exec_lo
	s_waitcnt lgkmcnt(0)
	s_barrier
	buffer_gl0_inv
	v_cmpx_lt_u32_e32 31, v0
	s_cbranch_execz .LBB1147_96
; %bb.95:
	v_lshl_add_u32 v22, v42, 2, -4
	ds_load_b32 v22, v22
.LBB1147_96:
	s_or_b32 exec_lo, exec_lo, s0
	v_add_nc_u32_e32 v23, -1, v41
	s_waitcnt lgkmcnt(0)
	v_add_nc_u32_e32 v19, v22, v19
	s_delay_alu instid0(VALU_DEP_2) | instskip(SKIP_2) | instid1(VALU_DEP_2)
	v_cmp_gt_i32_e32 vcc_lo, 0, v23
	v_cndmask_b32_e32 v23, v23, v41, vcc_lo
	v_cmp_eq_u32_e32 vcc_lo, 0, v0
	v_lshlrev_b32_e32 v23, 2, v23
	ds_bpermute_b32 v23, v23, v19
	ds_load_b32 v19, v20 offset:44
	s_and_saveexec_b32 s0, vcc_lo
	s_cbranch_execz .LBB1147_98
; %bb.97:
	v_mov_b32_e32 v24, 0
	v_mov_b32_e32 v20, 2
	s_waitcnt lgkmcnt(0)
	global_store_b64 v24, v[19:20], s[12:13] offset:256
.LBB1147_98:
	s_or_b32 exec_lo, exec_lo, s0
	v_cmp_eq_u32_e64 s0, 0, v41
	s_waitcnt lgkmcnt(0)
	s_waitcnt_vscnt null, 0x0
	s_barrier
	buffer_gl0_inv
	v_cndmask_b32_e64 v20, v23, v22, s0
	s_delay_alu instid0(VALU_DEP_1) | instskip(NEXT) | instid1(VALU_DEP_1)
	v_cndmask_b32_e64 v37, v20, 0, vcc_lo
	v_dual_mov_b32 v20, 0 :: v_dual_add_nc_u32 v35, v37, v28
	s_delay_alu instid0(VALU_DEP_1) | instskip(NEXT) | instid1(VALU_DEP_1)
	v_add_nc_u32_e32 v33, v35, v30
	v_add_nc_u32_e32 v31, v33, v32
	s_delay_alu instid0(VALU_DEP_1) | instskip(NEXT) | instid1(VALU_DEP_1)
	v_add_nc_u32_e32 v29, v31, v34
	v_add_nc_u32_e32 v27, v29, v36
	s_delay_alu instid0(VALU_DEP_1) | instskip(NEXT) | instid1(VALU_DEP_1)
	v_add_nc_u32_e32 v25, v27, v38
	v_add_nc_u32_e32 v23, v25, v40
.LBB1147_99:
	v_lshrrev_b32_e32 v42, 8, v17
	v_lshrrev_b32_e32 v41, 16, v17
	v_and_b32_e32 v17, 1, v17
	s_waitcnt lgkmcnt(0)
	v_cmp_gt_u32_e64 s0, 0x181, v19
	v_lshrrev_b32_e32 v40, 8, v18
	v_lshrrev_b32_e32 v22, 16, v18
	v_cmp_eq_u32_e64 s1, 1, v17
	s_delay_alu instid0(VALU_DEP_4)
	s_and_b32 vcc_lo, exec_lo, s0
	s_cbranch_vccnz .LBB1147_117
; %bb.100:
	s_delay_alu instid0(VALU_DEP_1)
	s_and_saveexec_b32 s2, s1
	s_cbranch_execz .LBB1147_102
; %bb.101:
	v_sub_nc_u32_e32 v24, v37, v20
	s_delay_alu instid0(VALU_DEP_1)
	v_lshlrev_b32_e32 v24, 2, v24
	ds_store_b32 v24, v15
.LBB1147_102:
	s_or_b32 exec_lo, exec_lo, s2
	v_and_b32_e32 v15, 1, v42
	s_mov_b32 s1, exec_lo
	s_delay_alu instid0(VALU_DEP_1)
	v_cmpx_eq_u32_e32 1, v15
	s_cbranch_execz .LBB1147_104
; %bb.103:
	v_sub_nc_u32_e32 v15, v35, v20
	s_delay_alu instid0(VALU_DEP_1)
	v_lshlrev_b32_e32 v15, 2, v15
	ds_store_b32 v15, v16
.LBB1147_104:
	s_or_b32 exec_lo, exec_lo, s1
	v_and_b32_e32 v15, 1, v41
	s_mov_b32 s1, exec_lo
	s_delay_alu instid0(VALU_DEP_1)
	v_cmpx_eq_u32_e32 1, v15
	;; [unrolled: 12-line block ×7, first 2 shown]
	s_cbranch_execz .LBB1147_116
; %bb.115:
	v_sub_nc_u32_e32 v5, v23, v20
	s_delay_alu instid0(VALU_DEP_1)
	v_lshlrev_b32_e32 v5, 2, v5
	ds_store_b32 v5, v6
.LBB1147_116:
	s_or_b32 exec_lo, exec_lo, s1
	s_waitcnt lgkmcnt(0)
	s_barrier
	buffer_gl0_inv
.LBB1147_117:
	s_and_b32 vcc_lo, exec_lo, s0
	s_mov_b32 s0, -1
	s_barrier
	buffer_gl0_inv
	s_cbranch_vccz .LBB1147_145
; %bb.118:
	v_add_nc_u32_e32 v5, v20, v19
	s_lshl_b64 s[0:1], s[10:11], 2
	s_delay_alu instid0(SALU_CYCLE_1) | instskip(SKIP_1) | instid1(VALU_DEP_1)
	s_add_u32 s0, s8, s0
	s_addc_u32 s1, s9, s1
	v_cmp_lt_u32_e32 vcc_lo, v37, v5
	s_or_b32 s3, s18, vcc_lo
	s_delay_alu instid0(SALU_CYCLE_1)
	s_and_saveexec_b32 s2, s3
	s_cbranch_execz .LBB1147_121
; %bb.119:
	v_cmp_eq_u32_e32 vcc_lo, 1, v17
	s_and_b32 exec_lo, exec_lo, vcc_lo
	s_cbranch_execz .LBB1147_121
; %bb.120:
	v_mov_b32_e32 v38, 0
	s_delay_alu instid0(VALU_DEP_1) | instskip(NEXT) | instid1(VALU_DEP_1)
	v_lshlrev_b64 v[9:10], 2, v[37:38]
	v_add_co_u32 v9, vcc_lo, s0, v9
	s_delay_alu instid0(VALU_DEP_2)
	v_add_co_ci_u32_e32 v10, vcc_lo, s1, v10, vcc_lo
	global_store_b32 v[9:10], v11, off
.LBB1147_121:
	s_or_b32 exec_lo, exec_lo, s2
	v_cmp_lt_u32_e32 vcc_lo, v35, v5
	s_or_b32 s3, s18, vcc_lo
	s_delay_alu instid0(SALU_CYCLE_1)
	s_and_saveexec_b32 s2, s3
	s_cbranch_execz .LBB1147_124
; %bb.122:
	v_and_b32_e32 v6, 1, v42
	s_delay_alu instid0(VALU_DEP_1)
	v_cmp_eq_u32_e32 vcc_lo, 1, v6
	s_and_b32 exec_lo, exec_lo, vcc_lo
	s_cbranch_execz .LBB1147_124
; %bb.123:
	v_mov_b32_e32 v36, 0
	s_delay_alu instid0(VALU_DEP_1) | instskip(NEXT) | instid1(VALU_DEP_1)
	v_lshlrev_b64 v[9:10], 2, v[35:36]
	v_add_co_u32 v9, vcc_lo, s0, v9
	s_delay_alu instid0(VALU_DEP_2)
	v_add_co_ci_u32_e32 v10, vcc_lo, s1, v10, vcc_lo
	global_store_b32 v[9:10], v12, off
.LBB1147_124:
	s_or_b32 exec_lo, exec_lo, s2
	v_cmp_lt_u32_e32 vcc_lo, v33, v5
	s_or_b32 s3, s18, vcc_lo
	s_delay_alu instid0(SALU_CYCLE_1)
	s_and_saveexec_b32 s2, s3
	s_cbranch_execz .LBB1147_127
; %bb.125:
	v_and_b32_e32 v6, 1, v41
	s_delay_alu instid0(VALU_DEP_1)
	v_cmp_eq_u32_e32 vcc_lo, 1, v6
	s_and_b32 exec_lo, exec_lo, vcc_lo
	s_cbranch_execz .LBB1147_127
; %bb.126:
	v_mov_b32_e32 v34, 0
	s_delay_alu instid0(VALU_DEP_1) | instskip(NEXT) | instid1(VALU_DEP_1)
	v_lshlrev_b64 v[9:10], 2, v[33:34]
	v_add_co_u32 v9, vcc_lo, s0, v9
	s_delay_alu instid0(VALU_DEP_2)
	v_add_co_ci_u32_e32 v10, vcc_lo, s1, v10, vcc_lo
	global_store_b32 v[9:10], v7, off
.LBB1147_127:
	;; [unrolled: 21-line block ×7, first 2 shown]
	s_or_b32 exec_lo, exec_lo, s2
.LBB1147_143:
	v_cmp_eq_u32_e32 vcc_lo, 0, v0
	s_and_b32 s0, vcc_lo, s14
	s_delay_alu instid0(SALU_CYCLE_1)
	s_and_saveexec_b32 s1, s0
	s_cbranch_execz .LBB1147_166
.LBB1147_144:
	v_add_co_u32 v0, s0, s10, v19
	s_delay_alu instid0(VALU_DEP_1) | instskip(SKIP_1) | instid1(VALU_DEP_3)
	v_add_co_ci_u32_e64 v1, null, s11, 0, s0
	v_mov_b32_e32 v2, 0
	v_add_co_u32 v0, vcc_lo, v0, v20
	s_delay_alu instid0(VALU_DEP_3)
	v_add_co_ci_u32_e32 v1, vcc_lo, 0, v1, vcc_lo
	global_store_b64 v2, v[0:1], s[16:17]
	s_nop 0
	s_sendmsg sendmsg(MSG_DEALLOC_VGPRS)
	s_endpgm
.LBB1147_145:
	s_and_b32 vcc_lo, exec_lo, s0
	s_cbranch_vccz .LBB1147_143
; %bb.146:
	s_mov_b32 s0, exec_lo
	v_cmpx_eq_u32_e32 1, v17
	s_cbranch_execz .LBB1147_148
; %bb.147:
	v_sub_nc_u32_e32 v5, v37, v20
	s_delay_alu instid0(VALU_DEP_1)
	v_lshlrev_b32_e32 v5, 2, v5
	ds_store_b32 v5, v11
.LBB1147_148:
	s_or_b32 exec_lo, exec_lo, s0
	v_and_b32_e32 v5, 1, v42
	s_mov_b32 s0, exec_lo
	s_delay_alu instid0(VALU_DEP_1)
	v_cmpx_eq_u32_e32 1, v5
	s_cbranch_execz .LBB1147_150
; %bb.149:
	v_sub_nc_u32_e32 v5, v35, v20
	s_delay_alu instid0(VALU_DEP_1)
	v_lshlrev_b32_e32 v5, 2, v5
	ds_store_b32 v5, v12
.LBB1147_150:
	s_or_b32 exec_lo, exec_lo, s0
	v_and_b32_e32 v5, 1, v41
	s_mov_b32 s0, exec_lo
	s_delay_alu instid0(VALU_DEP_1)
	;; [unrolled: 12-line block ×7, first 2 shown]
	v_cmpx_eq_u32_e32 1, v1
	s_cbranch_execz .LBB1147_162
; %bb.161:
	v_sub_nc_u32_e32 v1, v23, v20
	s_delay_alu instid0(VALU_DEP_1)
	v_lshlrev_b32_e32 v1, 2, v1
	ds_store_b32 v1, v2
.LBB1147_162:
	s_or_b32 exec_lo, exec_lo, s0
	s_delay_alu instid0(SALU_CYCLE_1)
	s_mov_b32 s1, exec_lo
	s_waitcnt lgkmcnt(0)
	s_waitcnt_vscnt null, 0x0
	s_barrier
	buffer_gl0_inv
	v_cmpx_lt_u32_e64 v0, v19
	s_cbranch_execz .LBB1147_165
; %bb.163:
	v_dual_mov_b32 v2, 0 :: v_dual_mov_b32 v1, v20
	s_lshl_b64 s[2:3], s[10:11], 2
	v_lshlrev_b32_e32 v3, 2, v0
	s_add_u32 s0, s8, s2
	s_addc_u32 s2, s9, s3
	v_lshlrev_b64 v[4:5], 2, v[1:2]
	v_mov_b32_e32 v1, v0
	s_delay_alu instid0(VALU_DEP_2) | instskip(NEXT) | instid1(VALU_DEP_3)
	v_add_co_u32 v4, vcc_lo, s0, v4
	v_add_co_ci_u32_e32 v5, vcc_lo, s2, v5, vcc_lo
	s_mov_b32 s2, 0
	.p2align	6
.LBB1147_164:                           ; =>This Inner Loop Header: Depth=1
	ds_load_b32 v8, v3
	v_lshlrev_b64 v[6:7], 2, v[1:2]
	v_add_nc_u32_e32 v1, 0x180, v1
	v_add_nc_u32_e32 v3, 0x600, v3
	s_delay_alu instid0(VALU_DEP_2) | instskip(NEXT) | instid1(VALU_DEP_4)
	v_cmp_ge_u32_e32 vcc_lo, v1, v19
	v_add_co_u32 v6, s0, v4, v6
	s_delay_alu instid0(VALU_DEP_1)
	v_add_co_ci_u32_e64 v7, s0, v5, v7, s0
	s_or_b32 s2, vcc_lo, s2
	s_waitcnt lgkmcnt(0)
	global_store_b32 v[6:7], v8, off
	s_and_not1_b32 exec_lo, exec_lo, s2
	s_cbranch_execnz .LBB1147_164
.LBB1147_165:
	s_or_b32 exec_lo, exec_lo, s1
	v_cmp_eq_u32_e32 vcc_lo, 0, v0
	s_and_b32 s0, vcc_lo, s14
	s_delay_alu instid0(SALU_CYCLE_1)
	s_and_saveexec_b32 s1, s0
	s_cbranch_execnz .LBB1147_144
.LBB1147_166:
	s_nop 0
	s_sendmsg sendmsg(MSG_DEALLOC_VGPRS)
	s_endpgm
	.section	.rodata,"a",@progbits
	.p2align	6, 0x0
	.amdhsa_kernel _ZN7rocprim17ROCPRIM_400000_NS6detail17trampoline_kernelINS0_14default_configENS1_25partition_config_selectorILNS1_17partition_subalgoE9EijbEEZZNS1_14partition_implILS5_9ELb0ES3_jN6thrust23THRUST_200600_302600_NS6detail15normal_iteratorINS9_10device_ptrIiEEEENSB_INSC_IjEEEEPNS0_10empty_typeENS0_5tupleIJNS9_16discard_iteratorINS9_11use_defaultEEESH_EEENSJ_IJSG_SI_EEENS0_18inequality_wrapperINS9_8equal_toIiEEEEPmJSH_EEE10hipError_tPvRmT3_T4_T5_T6_T7_T9_mT8_P12ihipStream_tbDpT10_ENKUlT_T0_E_clISt17integral_constantIbLb0EES1D_EEDaS18_S19_EUlS18_E_NS1_11comp_targetILNS1_3genE9ELNS1_11target_archE1100ELNS1_3gpuE3ELNS1_3repE0EEENS1_30default_config_static_selectorELNS0_4arch9wavefront6targetE0EEEvT1_
		.amdhsa_group_segment_fixed_size 12680
		.amdhsa_private_segment_fixed_size 0
		.amdhsa_kernarg_size 120
		.amdhsa_user_sgpr_count 15
		.amdhsa_user_sgpr_dispatch_ptr 0
		.amdhsa_user_sgpr_queue_ptr 0
		.amdhsa_user_sgpr_kernarg_segment_ptr 1
		.amdhsa_user_sgpr_dispatch_id 0
		.amdhsa_user_sgpr_private_segment_size 0
		.amdhsa_wavefront_size32 1
		.amdhsa_uses_dynamic_stack 0
		.amdhsa_enable_private_segment 0
		.amdhsa_system_sgpr_workgroup_id_x 1
		.amdhsa_system_sgpr_workgroup_id_y 0
		.amdhsa_system_sgpr_workgroup_id_z 0
		.amdhsa_system_sgpr_workgroup_info 0
		.amdhsa_system_vgpr_workitem_id 0
		.amdhsa_next_free_vgpr 51
		.amdhsa_next_free_sgpr 25
		.amdhsa_reserve_vcc 1
		.amdhsa_float_round_mode_32 0
		.amdhsa_float_round_mode_16_64 0
		.amdhsa_float_denorm_mode_32 3
		.amdhsa_float_denorm_mode_16_64 3
		.amdhsa_dx10_clamp 1
		.amdhsa_ieee_mode 1
		.amdhsa_fp16_overflow 0
		.amdhsa_workgroup_processor_mode 1
		.amdhsa_memory_ordered 1
		.amdhsa_forward_progress 0
		.amdhsa_shared_vgpr_count 0
		.amdhsa_exception_fp_ieee_invalid_op 0
		.amdhsa_exception_fp_denorm_src 0
		.amdhsa_exception_fp_ieee_div_zero 0
		.amdhsa_exception_fp_ieee_overflow 0
		.amdhsa_exception_fp_ieee_underflow 0
		.amdhsa_exception_fp_ieee_inexact 0
		.amdhsa_exception_int_div_zero 0
	.end_amdhsa_kernel
	.section	.text._ZN7rocprim17ROCPRIM_400000_NS6detail17trampoline_kernelINS0_14default_configENS1_25partition_config_selectorILNS1_17partition_subalgoE9EijbEEZZNS1_14partition_implILS5_9ELb0ES3_jN6thrust23THRUST_200600_302600_NS6detail15normal_iteratorINS9_10device_ptrIiEEEENSB_INSC_IjEEEEPNS0_10empty_typeENS0_5tupleIJNS9_16discard_iteratorINS9_11use_defaultEEESH_EEENSJ_IJSG_SI_EEENS0_18inequality_wrapperINS9_8equal_toIiEEEEPmJSH_EEE10hipError_tPvRmT3_T4_T5_T6_T7_T9_mT8_P12ihipStream_tbDpT10_ENKUlT_T0_E_clISt17integral_constantIbLb0EES1D_EEDaS18_S19_EUlS18_E_NS1_11comp_targetILNS1_3genE9ELNS1_11target_archE1100ELNS1_3gpuE3ELNS1_3repE0EEENS1_30default_config_static_selectorELNS0_4arch9wavefront6targetE0EEEvT1_,"axG",@progbits,_ZN7rocprim17ROCPRIM_400000_NS6detail17trampoline_kernelINS0_14default_configENS1_25partition_config_selectorILNS1_17partition_subalgoE9EijbEEZZNS1_14partition_implILS5_9ELb0ES3_jN6thrust23THRUST_200600_302600_NS6detail15normal_iteratorINS9_10device_ptrIiEEEENSB_INSC_IjEEEEPNS0_10empty_typeENS0_5tupleIJNS9_16discard_iteratorINS9_11use_defaultEEESH_EEENSJ_IJSG_SI_EEENS0_18inequality_wrapperINS9_8equal_toIiEEEEPmJSH_EEE10hipError_tPvRmT3_T4_T5_T6_T7_T9_mT8_P12ihipStream_tbDpT10_ENKUlT_T0_E_clISt17integral_constantIbLb0EES1D_EEDaS18_S19_EUlS18_E_NS1_11comp_targetILNS1_3genE9ELNS1_11target_archE1100ELNS1_3gpuE3ELNS1_3repE0EEENS1_30default_config_static_selectorELNS0_4arch9wavefront6targetE0EEEvT1_,comdat
.Lfunc_end1147:
	.size	_ZN7rocprim17ROCPRIM_400000_NS6detail17trampoline_kernelINS0_14default_configENS1_25partition_config_selectorILNS1_17partition_subalgoE9EijbEEZZNS1_14partition_implILS5_9ELb0ES3_jN6thrust23THRUST_200600_302600_NS6detail15normal_iteratorINS9_10device_ptrIiEEEENSB_INSC_IjEEEEPNS0_10empty_typeENS0_5tupleIJNS9_16discard_iteratorINS9_11use_defaultEEESH_EEENSJ_IJSG_SI_EEENS0_18inequality_wrapperINS9_8equal_toIiEEEEPmJSH_EEE10hipError_tPvRmT3_T4_T5_T6_T7_T9_mT8_P12ihipStream_tbDpT10_ENKUlT_T0_E_clISt17integral_constantIbLb0EES1D_EEDaS18_S19_EUlS18_E_NS1_11comp_targetILNS1_3genE9ELNS1_11target_archE1100ELNS1_3gpuE3ELNS1_3repE0EEENS1_30default_config_static_selectorELNS0_4arch9wavefront6targetE0EEEvT1_, .Lfunc_end1147-_ZN7rocprim17ROCPRIM_400000_NS6detail17trampoline_kernelINS0_14default_configENS1_25partition_config_selectorILNS1_17partition_subalgoE9EijbEEZZNS1_14partition_implILS5_9ELb0ES3_jN6thrust23THRUST_200600_302600_NS6detail15normal_iteratorINS9_10device_ptrIiEEEENSB_INSC_IjEEEEPNS0_10empty_typeENS0_5tupleIJNS9_16discard_iteratorINS9_11use_defaultEEESH_EEENSJ_IJSG_SI_EEENS0_18inequality_wrapperINS9_8equal_toIiEEEEPmJSH_EEE10hipError_tPvRmT3_T4_T5_T6_T7_T9_mT8_P12ihipStream_tbDpT10_ENKUlT_T0_E_clISt17integral_constantIbLb0EES1D_EEDaS18_S19_EUlS18_E_NS1_11comp_targetILNS1_3genE9ELNS1_11target_archE1100ELNS1_3gpuE3ELNS1_3repE0EEENS1_30default_config_static_selectorELNS0_4arch9wavefront6targetE0EEEvT1_
                                        ; -- End function
	.section	.AMDGPU.csdata,"",@progbits
; Kernel info:
; codeLenInByte = 8352
; NumSgprs: 27
; NumVgprs: 51
; ScratchSize: 0
; MemoryBound: 0
; FloatMode: 240
; IeeeMode: 1
; LDSByteSize: 12680 bytes/workgroup (compile time only)
; SGPRBlocks: 3
; VGPRBlocks: 6
; NumSGPRsForWavesPerEU: 27
; NumVGPRsForWavesPerEU: 51
; Occupancy: 15
; WaveLimiterHint : 1
; COMPUTE_PGM_RSRC2:SCRATCH_EN: 0
; COMPUTE_PGM_RSRC2:USER_SGPR: 15
; COMPUTE_PGM_RSRC2:TRAP_HANDLER: 0
; COMPUTE_PGM_RSRC2:TGID_X_EN: 1
; COMPUTE_PGM_RSRC2:TGID_Y_EN: 0
; COMPUTE_PGM_RSRC2:TGID_Z_EN: 0
; COMPUTE_PGM_RSRC2:TIDIG_COMP_CNT: 0
	.section	.text._ZN7rocprim17ROCPRIM_400000_NS6detail17trampoline_kernelINS0_14default_configENS1_25partition_config_selectorILNS1_17partition_subalgoE9EijbEEZZNS1_14partition_implILS5_9ELb0ES3_jN6thrust23THRUST_200600_302600_NS6detail15normal_iteratorINS9_10device_ptrIiEEEENSB_INSC_IjEEEEPNS0_10empty_typeENS0_5tupleIJNS9_16discard_iteratorINS9_11use_defaultEEESH_EEENSJ_IJSG_SI_EEENS0_18inequality_wrapperINS9_8equal_toIiEEEEPmJSH_EEE10hipError_tPvRmT3_T4_T5_T6_T7_T9_mT8_P12ihipStream_tbDpT10_ENKUlT_T0_E_clISt17integral_constantIbLb0EES1D_EEDaS18_S19_EUlS18_E_NS1_11comp_targetILNS1_3genE8ELNS1_11target_archE1030ELNS1_3gpuE2ELNS1_3repE0EEENS1_30default_config_static_selectorELNS0_4arch9wavefront6targetE0EEEvT1_,"axG",@progbits,_ZN7rocprim17ROCPRIM_400000_NS6detail17trampoline_kernelINS0_14default_configENS1_25partition_config_selectorILNS1_17partition_subalgoE9EijbEEZZNS1_14partition_implILS5_9ELb0ES3_jN6thrust23THRUST_200600_302600_NS6detail15normal_iteratorINS9_10device_ptrIiEEEENSB_INSC_IjEEEEPNS0_10empty_typeENS0_5tupleIJNS9_16discard_iteratorINS9_11use_defaultEEESH_EEENSJ_IJSG_SI_EEENS0_18inequality_wrapperINS9_8equal_toIiEEEEPmJSH_EEE10hipError_tPvRmT3_T4_T5_T6_T7_T9_mT8_P12ihipStream_tbDpT10_ENKUlT_T0_E_clISt17integral_constantIbLb0EES1D_EEDaS18_S19_EUlS18_E_NS1_11comp_targetILNS1_3genE8ELNS1_11target_archE1030ELNS1_3gpuE2ELNS1_3repE0EEENS1_30default_config_static_selectorELNS0_4arch9wavefront6targetE0EEEvT1_,comdat
	.protected	_ZN7rocprim17ROCPRIM_400000_NS6detail17trampoline_kernelINS0_14default_configENS1_25partition_config_selectorILNS1_17partition_subalgoE9EijbEEZZNS1_14partition_implILS5_9ELb0ES3_jN6thrust23THRUST_200600_302600_NS6detail15normal_iteratorINS9_10device_ptrIiEEEENSB_INSC_IjEEEEPNS0_10empty_typeENS0_5tupleIJNS9_16discard_iteratorINS9_11use_defaultEEESH_EEENSJ_IJSG_SI_EEENS0_18inequality_wrapperINS9_8equal_toIiEEEEPmJSH_EEE10hipError_tPvRmT3_T4_T5_T6_T7_T9_mT8_P12ihipStream_tbDpT10_ENKUlT_T0_E_clISt17integral_constantIbLb0EES1D_EEDaS18_S19_EUlS18_E_NS1_11comp_targetILNS1_3genE8ELNS1_11target_archE1030ELNS1_3gpuE2ELNS1_3repE0EEENS1_30default_config_static_selectorELNS0_4arch9wavefront6targetE0EEEvT1_ ; -- Begin function _ZN7rocprim17ROCPRIM_400000_NS6detail17trampoline_kernelINS0_14default_configENS1_25partition_config_selectorILNS1_17partition_subalgoE9EijbEEZZNS1_14partition_implILS5_9ELb0ES3_jN6thrust23THRUST_200600_302600_NS6detail15normal_iteratorINS9_10device_ptrIiEEEENSB_INSC_IjEEEEPNS0_10empty_typeENS0_5tupleIJNS9_16discard_iteratorINS9_11use_defaultEEESH_EEENSJ_IJSG_SI_EEENS0_18inequality_wrapperINS9_8equal_toIiEEEEPmJSH_EEE10hipError_tPvRmT3_T4_T5_T6_T7_T9_mT8_P12ihipStream_tbDpT10_ENKUlT_T0_E_clISt17integral_constantIbLb0EES1D_EEDaS18_S19_EUlS18_E_NS1_11comp_targetILNS1_3genE8ELNS1_11target_archE1030ELNS1_3gpuE2ELNS1_3repE0EEENS1_30default_config_static_selectorELNS0_4arch9wavefront6targetE0EEEvT1_
	.globl	_ZN7rocprim17ROCPRIM_400000_NS6detail17trampoline_kernelINS0_14default_configENS1_25partition_config_selectorILNS1_17partition_subalgoE9EijbEEZZNS1_14partition_implILS5_9ELb0ES3_jN6thrust23THRUST_200600_302600_NS6detail15normal_iteratorINS9_10device_ptrIiEEEENSB_INSC_IjEEEEPNS0_10empty_typeENS0_5tupleIJNS9_16discard_iteratorINS9_11use_defaultEEESH_EEENSJ_IJSG_SI_EEENS0_18inequality_wrapperINS9_8equal_toIiEEEEPmJSH_EEE10hipError_tPvRmT3_T4_T5_T6_T7_T9_mT8_P12ihipStream_tbDpT10_ENKUlT_T0_E_clISt17integral_constantIbLb0EES1D_EEDaS18_S19_EUlS18_E_NS1_11comp_targetILNS1_3genE8ELNS1_11target_archE1030ELNS1_3gpuE2ELNS1_3repE0EEENS1_30default_config_static_selectorELNS0_4arch9wavefront6targetE0EEEvT1_
	.p2align	8
	.type	_ZN7rocprim17ROCPRIM_400000_NS6detail17trampoline_kernelINS0_14default_configENS1_25partition_config_selectorILNS1_17partition_subalgoE9EijbEEZZNS1_14partition_implILS5_9ELb0ES3_jN6thrust23THRUST_200600_302600_NS6detail15normal_iteratorINS9_10device_ptrIiEEEENSB_INSC_IjEEEEPNS0_10empty_typeENS0_5tupleIJNS9_16discard_iteratorINS9_11use_defaultEEESH_EEENSJ_IJSG_SI_EEENS0_18inequality_wrapperINS9_8equal_toIiEEEEPmJSH_EEE10hipError_tPvRmT3_T4_T5_T6_T7_T9_mT8_P12ihipStream_tbDpT10_ENKUlT_T0_E_clISt17integral_constantIbLb0EES1D_EEDaS18_S19_EUlS18_E_NS1_11comp_targetILNS1_3genE8ELNS1_11target_archE1030ELNS1_3gpuE2ELNS1_3repE0EEENS1_30default_config_static_selectorELNS0_4arch9wavefront6targetE0EEEvT1_,@function
_ZN7rocprim17ROCPRIM_400000_NS6detail17trampoline_kernelINS0_14default_configENS1_25partition_config_selectorILNS1_17partition_subalgoE9EijbEEZZNS1_14partition_implILS5_9ELb0ES3_jN6thrust23THRUST_200600_302600_NS6detail15normal_iteratorINS9_10device_ptrIiEEEENSB_INSC_IjEEEEPNS0_10empty_typeENS0_5tupleIJNS9_16discard_iteratorINS9_11use_defaultEEESH_EEENSJ_IJSG_SI_EEENS0_18inequality_wrapperINS9_8equal_toIiEEEEPmJSH_EEE10hipError_tPvRmT3_T4_T5_T6_T7_T9_mT8_P12ihipStream_tbDpT10_ENKUlT_T0_E_clISt17integral_constantIbLb0EES1D_EEDaS18_S19_EUlS18_E_NS1_11comp_targetILNS1_3genE8ELNS1_11target_archE1030ELNS1_3gpuE2ELNS1_3repE0EEENS1_30default_config_static_selectorELNS0_4arch9wavefront6targetE0EEEvT1_: ; @_ZN7rocprim17ROCPRIM_400000_NS6detail17trampoline_kernelINS0_14default_configENS1_25partition_config_selectorILNS1_17partition_subalgoE9EijbEEZZNS1_14partition_implILS5_9ELb0ES3_jN6thrust23THRUST_200600_302600_NS6detail15normal_iteratorINS9_10device_ptrIiEEEENSB_INSC_IjEEEEPNS0_10empty_typeENS0_5tupleIJNS9_16discard_iteratorINS9_11use_defaultEEESH_EEENSJ_IJSG_SI_EEENS0_18inequality_wrapperINS9_8equal_toIiEEEEPmJSH_EEE10hipError_tPvRmT3_T4_T5_T6_T7_T9_mT8_P12ihipStream_tbDpT10_ENKUlT_T0_E_clISt17integral_constantIbLb0EES1D_EEDaS18_S19_EUlS18_E_NS1_11comp_targetILNS1_3genE8ELNS1_11target_archE1030ELNS1_3gpuE2ELNS1_3repE0EEENS1_30default_config_static_selectorELNS0_4arch9wavefront6targetE0EEEvT1_
; %bb.0:
	.section	.rodata,"a",@progbits
	.p2align	6, 0x0
	.amdhsa_kernel _ZN7rocprim17ROCPRIM_400000_NS6detail17trampoline_kernelINS0_14default_configENS1_25partition_config_selectorILNS1_17partition_subalgoE9EijbEEZZNS1_14partition_implILS5_9ELb0ES3_jN6thrust23THRUST_200600_302600_NS6detail15normal_iteratorINS9_10device_ptrIiEEEENSB_INSC_IjEEEEPNS0_10empty_typeENS0_5tupleIJNS9_16discard_iteratorINS9_11use_defaultEEESH_EEENSJ_IJSG_SI_EEENS0_18inequality_wrapperINS9_8equal_toIiEEEEPmJSH_EEE10hipError_tPvRmT3_T4_T5_T6_T7_T9_mT8_P12ihipStream_tbDpT10_ENKUlT_T0_E_clISt17integral_constantIbLb0EES1D_EEDaS18_S19_EUlS18_E_NS1_11comp_targetILNS1_3genE8ELNS1_11target_archE1030ELNS1_3gpuE2ELNS1_3repE0EEENS1_30default_config_static_selectorELNS0_4arch9wavefront6targetE0EEEvT1_
		.amdhsa_group_segment_fixed_size 0
		.amdhsa_private_segment_fixed_size 0
		.amdhsa_kernarg_size 120
		.amdhsa_user_sgpr_count 15
		.amdhsa_user_sgpr_dispatch_ptr 0
		.amdhsa_user_sgpr_queue_ptr 0
		.amdhsa_user_sgpr_kernarg_segment_ptr 1
		.amdhsa_user_sgpr_dispatch_id 0
		.amdhsa_user_sgpr_private_segment_size 0
		.amdhsa_wavefront_size32 1
		.amdhsa_uses_dynamic_stack 0
		.amdhsa_enable_private_segment 0
		.amdhsa_system_sgpr_workgroup_id_x 1
		.amdhsa_system_sgpr_workgroup_id_y 0
		.amdhsa_system_sgpr_workgroup_id_z 0
		.amdhsa_system_sgpr_workgroup_info 0
		.amdhsa_system_vgpr_workitem_id 0
		.amdhsa_next_free_vgpr 1
		.amdhsa_next_free_sgpr 1
		.amdhsa_reserve_vcc 0
		.amdhsa_float_round_mode_32 0
		.amdhsa_float_round_mode_16_64 0
		.amdhsa_float_denorm_mode_32 3
		.amdhsa_float_denorm_mode_16_64 3
		.amdhsa_dx10_clamp 1
		.amdhsa_ieee_mode 1
		.amdhsa_fp16_overflow 0
		.amdhsa_workgroup_processor_mode 1
		.amdhsa_memory_ordered 1
		.amdhsa_forward_progress 0
		.amdhsa_shared_vgpr_count 0
		.amdhsa_exception_fp_ieee_invalid_op 0
		.amdhsa_exception_fp_denorm_src 0
		.amdhsa_exception_fp_ieee_div_zero 0
		.amdhsa_exception_fp_ieee_overflow 0
		.amdhsa_exception_fp_ieee_underflow 0
		.amdhsa_exception_fp_ieee_inexact 0
		.amdhsa_exception_int_div_zero 0
	.end_amdhsa_kernel
	.section	.text._ZN7rocprim17ROCPRIM_400000_NS6detail17trampoline_kernelINS0_14default_configENS1_25partition_config_selectorILNS1_17partition_subalgoE9EijbEEZZNS1_14partition_implILS5_9ELb0ES3_jN6thrust23THRUST_200600_302600_NS6detail15normal_iteratorINS9_10device_ptrIiEEEENSB_INSC_IjEEEEPNS0_10empty_typeENS0_5tupleIJNS9_16discard_iteratorINS9_11use_defaultEEESH_EEENSJ_IJSG_SI_EEENS0_18inequality_wrapperINS9_8equal_toIiEEEEPmJSH_EEE10hipError_tPvRmT3_T4_T5_T6_T7_T9_mT8_P12ihipStream_tbDpT10_ENKUlT_T0_E_clISt17integral_constantIbLb0EES1D_EEDaS18_S19_EUlS18_E_NS1_11comp_targetILNS1_3genE8ELNS1_11target_archE1030ELNS1_3gpuE2ELNS1_3repE0EEENS1_30default_config_static_selectorELNS0_4arch9wavefront6targetE0EEEvT1_,"axG",@progbits,_ZN7rocprim17ROCPRIM_400000_NS6detail17trampoline_kernelINS0_14default_configENS1_25partition_config_selectorILNS1_17partition_subalgoE9EijbEEZZNS1_14partition_implILS5_9ELb0ES3_jN6thrust23THRUST_200600_302600_NS6detail15normal_iteratorINS9_10device_ptrIiEEEENSB_INSC_IjEEEEPNS0_10empty_typeENS0_5tupleIJNS9_16discard_iteratorINS9_11use_defaultEEESH_EEENSJ_IJSG_SI_EEENS0_18inequality_wrapperINS9_8equal_toIiEEEEPmJSH_EEE10hipError_tPvRmT3_T4_T5_T6_T7_T9_mT8_P12ihipStream_tbDpT10_ENKUlT_T0_E_clISt17integral_constantIbLb0EES1D_EEDaS18_S19_EUlS18_E_NS1_11comp_targetILNS1_3genE8ELNS1_11target_archE1030ELNS1_3gpuE2ELNS1_3repE0EEENS1_30default_config_static_selectorELNS0_4arch9wavefront6targetE0EEEvT1_,comdat
.Lfunc_end1148:
	.size	_ZN7rocprim17ROCPRIM_400000_NS6detail17trampoline_kernelINS0_14default_configENS1_25partition_config_selectorILNS1_17partition_subalgoE9EijbEEZZNS1_14partition_implILS5_9ELb0ES3_jN6thrust23THRUST_200600_302600_NS6detail15normal_iteratorINS9_10device_ptrIiEEEENSB_INSC_IjEEEEPNS0_10empty_typeENS0_5tupleIJNS9_16discard_iteratorINS9_11use_defaultEEESH_EEENSJ_IJSG_SI_EEENS0_18inequality_wrapperINS9_8equal_toIiEEEEPmJSH_EEE10hipError_tPvRmT3_T4_T5_T6_T7_T9_mT8_P12ihipStream_tbDpT10_ENKUlT_T0_E_clISt17integral_constantIbLb0EES1D_EEDaS18_S19_EUlS18_E_NS1_11comp_targetILNS1_3genE8ELNS1_11target_archE1030ELNS1_3gpuE2ELNS1_3repE0EEENS1_30default_config_static_selectorELNS0_4arch9wavefront6targetE0EEEvT1_, .Lfunc_end1148-_ZN7rocprim17ROCPRIM_400000_NS6detail17trampoline_kernelINS0_14default_configENS1_25partition_config_selectorILNS1_17partition_subalgoE9EijbEEZZNS1_14partition_implILS5_9ELb0ES3_jN6thrust23THRUST_200600_302600_NS6detail15normal_iteratorINS9_10device_ptrIiEEEENSB_INSC_IjEEEEPNS0_10empty_typeENS0_5tupleIJNS9_16discard_iteratorINS9_11use_defaultEEESH_EEENSJ_IJSG_SI_EEENS0_18inequality_wrapperINS9_8equal_toIiEEEEPmJSH_EEE10hipError_tPvRmT3_T4_T5_T6_T7_T9_mT8_P12ihipStream_tbDpT10_ENKUlT_T0_E_clISt17integral_constantIbLb0EES1D_EEDaS18_S19_EUlS18_E_NS1_11comp_targetILNS1_3genE8ELNS1_11target_archE1030ELNS1_3gpuE2ELNS1_3repE0EEENS1_30default_config_static_selectorELNS0_4arch9wavefront6targetE0EEEvT1_
                                        ; -- End function
	.section	.AMDGPU.csdata,"",@progbits
; Kernel info:
; codeLenInByte = 0
; NumSgprs: 0
; NumVgprs: 0
; ScratchSize: 0
; MemoryBound: 0
; FloatMode: 240
; IeeeMode: 1
; LDSByteSize: 0 bytes/workgroup (compile time only)
; SGPRBlocks: 0
; VGPRBlocks: 0
; NumSGPRsForWavesPerEU: 1
; NumVGPRsForWavesPerEU: 1
; Occupancy: 16
; WaveLimiterHint : 0
; COMPUTE_PGM_RSRC2:SCRATCH_EN: 0
; COMPUTE_PGM_RSRC2:USER_SGPR: 15
; COMPUTE_PGM_RSRC2:TRAP_HANDLER: 0
; COMPUTE_PGM_RSRC2:TGID_X_EN: 1
; COMPUTE_PGM_RSRC2:TGID_Y_EN: 0
; COMPUTE_PGM_RSRC2:TGID_Z_EN: 0
; COMPUTE_PGM_RSRC2:TIDIG_COMP_CNT: 0
	.section	.text._ZN7rocprim17ROCPRIM_400000_NS6detail17trampoline_kernelINS0_14default_configENS1_25partition_config_selectorILNS1_17partition_subalgoE9EijbEEZZNS1_14partition_implILS5_9ELb0ES3_jN6thrust23THRUST_200600_302600_NS6detail15normal_iteratorINS9_10device_ptrIiEEEENSB_INSC_IjEEEEPNS0_10empty_typeENS0_5tupleIJNS9_16discard_iteratorINS9_11use_defaultEEESH_EEENSJ_IJSG_SI_EEENS0_18inequality_wrapperINS9_8equal_toIiEEEEPmJSH_EEE10hipError_tPvRmT3_T4_T5_T6_T7_T9_mT8_P12ihipStream_tbDpT10_ENKUlT_T0_E_clISt17integral_constantIbLb1EES1D_EEDaS18_S19_EUlS18_E_NS1_11comp_targetILNS1_3genE0ELNS1_11target_archE4294967295ELNS1_3gpuE0ELNS1_3repE0EEENS1_30default_config_static_selectorELNS0_4arch9wavefront6targetE0EEEvT1_,"axG",@progbits,_ZN7rocprim17ROCPRIM_400000_NS6detail17trampoline_kernelINS0_14default_configENS1_25partition_config_selectorILNS1_17partition_subalgoE9EijbEEZZNS1_14partition_implILS5_9ELb0ES3_jN6thrust23THRUST_200600_302600_NS6detail15normal_iteratorINS9_10device_ptrIiEEEENSB_INSC_IjEEEEPNS0_10empty_typeENS0_5tupleIJNS9_16discard_iteratorINS9_11use_defaultEEESH_EEENSJ_IJSG_SI_EEENS0_18inequality_wrapperINS9_8equal_toIiEEEEPmJSH_EEE10hipError_tPvRmT3_T4_T5_T6_T7_T9_mT8_P12ihipStream_tbDpT10_ENKUlT_T0_E_clISt17integral_constantIbLb1EES1D_EEDaS18_S19_EUlS18_E_NS1_11comp_targetILNS1_3genE0ELNS1_11target_archE4294967295ELNS1_3gpuE0ELNS1_3repE0EEENS1_30default_config_static_selectorELNS0_4arch9wavefront6targetE0EEEvT1_,comdat
	.protected	_ZN7rocprim17ROCPRIM_400000_NS6detail17trampoline_kernelINS0_14default_configENS1_25partition_config_selectorILNS1_17partition_subalgoE9EijbEEZZNS1_14partition_implILS5_9ELb0ES3_jN6thrust23THRUST_200600_302600_NS6detail15normal_iteratorINS9_10device_ptrIiEEEENSB_INSC_IjEEEEPNS0_10empty_typeENS0_5tupleIJNS9_16discard_iteratorINS9_11use_defaultEEESH_EEENSJ_IJSG_SI_EEENS0_18inequality_wrapperINS9_8equal_toIiEEEEPmJSH_EEE10hipError_tPvRmT3_T4_T5_T6_T7_T9_mT8_P12ihipStream_tbDpT10_ENKUlT_T0_E_clISt17integral_constantIbLb1EES1D_EEDaS18_S19_EUlS18_E_NS1_11comp_targetILNS1_3genE0ELNS1_11target_archE4294967295ELNS1_3gpuE0ELNS1_3repE0EEENS1_30default_config_static_selectorELNS0_4arch9wavefront6targetE0EEEvT1_ ; -- Begin function _ZN7rocprim17ROCPRIM_400000_NS6detail17trampoline_kernelINS0_14default_configENS1_25partition_config_selectorILNS1_17partition_subalgoE9EijbEEZZNS1_14partition_implILS5_9ELb0ES3_jN6thrust23THRUST_200600_302600_NS6detail15normal_iteratorINS9_10device_ptrIiEEEENSB_INSC_IjEEEEPNS0_10empty_typeENS0_5tupleIJNS9_16discard_iteratorINS9_11use_defaultEEESH_EEENSJ_IJSG_SI_EEENS0_18inequality_wrapperINS9_8equal_toIiEEEEPmJSH_EEE10hipError_tPvRmT3_T4_T5_T6_T7_T9_mT8_P12ihipStream_tbDpT10_ENKUlT_T0_E_clISt17integral_constantIbLb1EES1D_EEDaS18_S19_EUlS18_E_NS1_11comp_targetILNS1_3genE0ELNS1_11target_archE4294967295ELNS1_3gpuE0ELNS1_3repE0EEENS1_30default_config_static_selectorELNS0_4arch9wavefront6targetE0EEEvT1_
	.globl	_ZN7rocprim17ROCPRIM_400000_NS6detail17trampoline_kernelINS0_14default_configENS1_25partition_config_selectorILNS1_17partition_subalgoE9EijbEEZZNS1_14partition_implILS5_9ELb0ES3_jN6thrust23THRUST_200600_302600_NS6detail15normal_iteratorINS9_10device_ptrIiEEEENSB_INSC_IjEEEEPNS0_10empty_typeENS0_5tupleIJNS9_16discard_iteratorINS9_11use_defaultEEESH_EEENSJ_IJSG_SI_EEENS0_18inequality_wrapperINS9_8equal_toIiEEEEPmJSH_EEE10hipError_tPvRmT3_T4_T5_T6_T7_T9_mT8_P12ihipStream_tbDpT10_ENKUlT_T0_E_clISt17integral_constantIbLb1EES1D_EEDaS18_S19_EUlS18_E_NS1_11comp_targetILNS1_3genE0ELNS1_11target_archE4294967295ELNS1_3gpuE0ELNS1_3repE0EEENS1_30default_config_static_selectorELNS0_4arch9wavefront6targetE0EEEvT1_
	.p2align	8
	.type	_ZN7rocprim17ROCPRIM_400000_NS6detail17trampoline_kernelINS0_14default_configENS1_25partition_config_selectorILNS1_17partition_subalgoE9EijbEEZZNS1_14partition_implILS5_9ELb0ES3_jN6thrust23THRUST_200600_302600_NS6detail15normal_iteratorINS9_10device_ptrIiEEEENSB_INSC_IjEEEEPNS0_10empty_typeENS0_5tupleIJNS9_16discard_iteratorINS9_11use_defaultEEESH_EEENSJ_IJSG_SI_EEENS0_18inequality_wrapperINS9_8equal_toIiEEEEPmJSH_EEE10hipError_tPvRmT3_T4_T5_T6_T7_T9_mT8_P12ihipStream_tbDpT10_ENKUlT_T0_E_clISt17integral_constantIbLb1EES1D_EEDaS18_S19_EUlS18_E_NS1_11comp_targetILNS1_3genE0ELNS1_11target_archE4294967295ELNS1_3gpuE0ELNS1_3repE0EEENS1_30default_config_static_selectorELNS0_4arch9wavefront6targetE0EEEvT1_,@function
_ZN7rocprim17ROCPRIM_400000_NS6detail17trampoline_kernelINS0_14default_configENS1_25partition_config_selectorILNS1_17partition_subalgoE9EijbEEZZNS1_14partition_implILS5_9ELb0ES3_jN6thrust23THRUST_200600_302600_NS6detail15normal_iteratorINS9_10device_ptrIiEEEENSB_INSC_IjEEEEPNS0_10empty_typeENS0_5tupleIJNS9_16discard_iteratorINS9_11use_defaultEEESH_EEENSJ_IJSG_SI_EEENS0_18inequality_wrapperINS9_8equal_toIiEEEEPmJSH_EEE10hipError_tPvRmT3_T4_T5_T6_T7_T9_mT8_P12ihipStream_tbDpT10_ENKUlT_T0_E_clISt17integral_constantIbLb1EES1D_EEDaS18_S19_EUlS18_E_NS1_11comp_targetILNS1_3genE0ELNS1_11target_archE4294967295ELNS1_3gpuE0ELNS1_3repE0EEENS1_30default_config_static_selectorELNS0_4arch9wavefront6targetE0EEEvT1_: ; @_ZN7rocprim17ROCPRIM_400000_NS6detail17trampoline_kernelINS0_14default_configENS1_25partition_config_selectorILNS1_17partition_subalgoE9EijbEEZZNS1_14partition_implILS5_9ELb0ES3_jN6thrust23THRUST_200600_302600_NS6detail15normal_iteratorINS9_10device_ptrIiEEEENSB_INSC_IjEEEEPNS0_10empty_typeENS0_5tupleIJNS9_16discard_iteratorINS9_11use_defaultEEESH_EEENSJ_IJSG_SI_EEENS0_18inequality_wrapperINS9_8equal_toIiEEEEPmJSH_EEE10hipError_tPvRmT3_T4_T5_T6_T7_T9_mT8_P12ihipStream_tbDpT10_ENKUlT_T0_E_clISt17integral_constantIbLb1EES1D_EEDaS18_S19_EUlS18_E_NS1_11comp_targetILNS1_3genE0ELNS1_11target_archE4294967295ELNS1_3gpuE0ELNS1_3repE0EEENS1_30default_config_static_selectorELNS0_4arch9wavefront6targetE0EEEvT1_
; %bb.0:
	.section	.rodata,"a",@progbits
	.p2align	6, 0x0
	.amdhsa_kernel _ZN7rocprim17ROCPRIM_400000_NS6detail17trampoline_kernelINS0_14default_configENS1_25partition_config_selectorILNS1_17partition_subalgoE9EijbEEZZNS1_14partition_implILS5_9ELb0ES3_jN6thrust23THRUST_200600_302600_NS6detail15normal_iteratorINS9_10device_ptrIiEEEENSB_INSC_IjEEEEPNS0_10empty_typeENS0_5tupleIJNS9_16discard_iteratorINS9_11use_defaultEEESH_EEENSJ_IJSG_SI_EEENS0_18inequality_wrapperINS9_8equal_toIiEEEEPmJSH_EEE10hipError_tPvRmT3_T4_T5_T6_T7_T9_mT8_P12ihipStream_tbDpT10_ENKUlT_T0_E_clISt17integral_constantIbLb1EES1D_EEDaS18_S19_EUlS18_E_NS1_11comp_targetILNS1_3genE0ELNS1_11target_archE4294967295ELNS1_3gpuE0ELNS1_3repE0EEENS1_30default_config_static_selectorELNS0_4arch9wavefront6targetE0EEEvT1_
		.amdhsa_group_segment_fixed_size 0
		.amdhsa_private_segment_fixed_size 0
		.amdhsa_kernarg_size 136
		.amdhsa_user_sgpr_count 15
		.amdhsa_user_sgpr_dispatch_ptr 0
		.amdhsa_user_sgpr_queue_ptr 0
		.amdhsa_user_sgpr_kernarg_segment_ptr 1
		.amdhsa_user_sgpr_dispatch_id 0
		.amdhsa_user_sgpr_private_segment_size 0
		.amdhsa_wavefront_size32 1
		.amdhsa_uses_dynamic_stack 0
		.amdhsa_enable_private_segment 0
		.amdhsa_system_sgpr_workgroup_id_x 1
		.amdhsa_system_sgpr_workgroup_id_y 0
		.amdhsa_system_sgpr_workgroup_id_z 0
		.amdhsa_system_sgpr_workgroup_info 0
		.amdhsa_system_vgpr_workitem_id 0
		.amdhsa_next_free_vgpr 1
		.amdhsa_next_free_sgpr 1
		.amdhsa_reserve_vcc 0
		.amdhsa_float_round_mode_32 0
		.amdhsa_float_round_mode_16_64 0
		.amdhsa_float_denorm_mode_32 3
		.amdhsa_float_denorm_mode_16_64 3
		.amdhsa_dx10_clamp 1
		.amdhsa_ieee_mode 1
		.amdhsa_fp16_overflow 0
		.amdhsa_workgroup_processor_mode 1
		.amdhsa_memory_ordered 1
		.amdhsa_forward_progress 0
		.amdhsa_shared_vgpr_count 0
		.amdhsa_exception_fp_ieee_invalid_op 0
		.amdhsa_exception_fp_denorm_src 0
		.amdhsa_exception_fp_ieee_div_zero 0
		.amdhsa_exception_fp_ieee_overflow 0
		.amdhsa_exception_fp_ieee_underflow 0
		.amdhsa_exception_fp_ieee_inexact 0
		.amdhsa_exception_int_div_zero 0
	.end_amdhsa_kernel
	.section	.text._ZN7rocprim17ROCPRIM_400000_NS6detail17trampoline_kernelINS0_14default_configENS1_25partition_config_selectorILNS1_17partition_subalgoE9EijbEEZZNS1_14partition_implILS5_9ELb0ES3_jN6thrust23THRUST_200600_302600_NS6detail15normal_iteratorINS9_10device_ptrIiEEEENSB_INSC_IjEEEEPNS0_10empty_typeENS0_5tupleIJNS9_16discard_iteratorINS9_11use_defaultEEESH_EEENSJ_IJSG_SI_EEENS0_18inequality_wrapperINS9_8equal_toIiEEEEPmJSH_EEE10hipError_tPvRmT3_T4_T5_T6_T7_T9_mT8_P12ihipStream_tbDpT10_ENKUlT_T0_E_clISt17integral_constantIbLb1EES1D_EEDaS18_S19_EUlS18_E_NS1_11comp_targetILNS1_3genE0ELNS1_11target_archE4294967295ELNS1_3gpuE0ELNS1_3repE0EEENS1_30default_config_static_selectorELNS0_4arch9wavefront6targetE0EEEvT1_,"axG",@progbits,_ZN7rocprim17ROCPRIM_400000_NS6detail17trampoline_kernelINS0_14default_configENS1_25partition_config_selectorILNS1_17partition_subalgoE9EijbEEZZNS1_14partition_implILS5_9ELb0ES3_jN6thrust23THRUST_200600_302600_NS6detail15normal_iteratorINS9_10device_ptrIiEEEENSB_INSC_IjEEEEPNS0_10empty_typeENS0_5tupleIJNS9_16discard_iteratorINS9_11use_defaultEEESH_EEENSJ_IJSG_SI_EEENS0_18inequality_wrapperINS9_8equal_toIiEEEEPmJSH_EEE10hipError_tPvRmT3_T4_T5_T6_T7_T9_mT8_P12ihipStream_tbDpT10_ENKUlT_T0_E_clISt17integral_constantIbLb1EES1D_EEDaS18_S19_EUlS18_E_NS1_11comp_targetILNS1_3genE0ELNS1_11target_archE4294967295ELNS1_3gpuE0ELNS1_3repE0EEENS1_30default_config_static_selectorELNS0_4arch9wavefront6targetE0EEEvT1_,comdat
.Lfunc_end1149:
	.size	_ZN7rocprim17ROCPRIM_400000_NS6detail17trampoline_kernelINS0_14default_configENS1_25partition_config_selectorILNS1_17partition_subalgoE9EijbEEZZNS1_14partition_implILS5_9ELb0ES3_jN6thrust23THRUST_200600_302600_NS6detail15normal_iteratorINS9_10device_ptrIiEEEENSB_INSC_IjEEEEPNS0_10empty_typeENS0_5tupleIJNS9_16discard_iteratorINS9_11use_defaultEEESH_EEENSJ_IJSG_SI_EEENS0_18inequality_wrapperINS9_8equal_toIiEEEEPmJSH_EEE10hipError_tPvRmT3_T4_T5_T6_T7_T9_mT8_P12ihipStream_tbDpT10_ENKUlT_T0_E_clISt17integral_constantIbLb1EES1D_EEDaS18_S19_EUlS18_E_NS1_11comp_targetILNS1_3genE0ELNS1_11target_archE4294967295ELNS1_3gpuE0ELNS1_3repE0EEENS1_30default_config_static_selectorELNS0_4arch9wavefront6targetE0EEEvT1_, .Lfunc_end1149-_ZN7rocprim17ROCPRIM_400000_NS6detail17trampoline_kernelINS0_14default_configENS1_25partition_config_selectorILNS1_17partition_subalgoE9EijbEEZZNS1_14partition_implILS5_9ELb0ES3_jN6thrust23THRUST_200600_302600_NS6detail15normal_iteratorINS9_10device_ptrIiEEEENSB_INSC_IjEEEEPNS0_10empty_typeENS0_5tupleIJNS9_16discard_iteratorINS9_11use_defaultEEESH_EEENSJ_IJSG_SI_EEENS0_18inequality_wrapperINS9_8equal_toIiEEEEPmJSH_EEE10hipError_tPvRmT3_T4_T5_T6_T7_T9_mT8_P12ihipStream_tbDpT10_ENKUlT_T0_E_clISt17integral_constantIbLb1EES1D_EEDaS18_S19_EUlS18_E_NS1_11comp_targetILNS1_3genE0ELNS1_11target_archE4294967295ELNS1_3gpuE0ELNS1_3repE0EEENS1_30default_config_static_selectorELNS0_4arch9wavefront6targetE0EEEvT1_
                                        ; -- End function
	.section	.AMDGPU.csdata,"",@progbits
; Kernel info:
; codeLenInByte = 0
; NumSgprs: 0
; NumVgprs: 0
; ScratchSize: 0
; MemoryBound: 0
; FloatMode: 240
; IeeeMode: 1
; LDSByteSize: 0 bytes/workgroup (compile time only)
; SGPRBlocks: 0
; VGPRBlocks: 0
; NumSGPRsForWavesPerEU: 1
; NumVGPRsForWavesPerEU: 1
; Occupancy: 16
; WaveLimiterHint : 0
; COMPUTE_PGM_RSRC2:SCRATCH_EN: 0
; COMPUTE_PGM_RSRC2:USER_SGPR: 15
; COMPUTE_PGM_RSRC2:TRAP_HANDLER: 0
; COMPUTE_PGM_RSRC2:TGID_X_EN: 1
; COMPUTE_PGM_RSRC2:TGID_Y_EN: 0
; COMPUTE_PGM_RSRC2:TGID_Z_EN: 0
; COMPUTE_PGM_RSRC2:TIDIG_COMP_CNT: 0
	.section	.text._ZN7rocprim17ROCPRIM_400000_NS6detail17trampoline_kernelINS0_14default_configENS1_25partition_config_selectorILNS1_17partition_subalgoE9EijbEEZZNS1_14partition_implILS5_9ELb0ES3_jN6thrust23THRUST_200600_302600_NS6detail15normal_iteratorINS9_10device_ptrIiEEEENSB_INSC_IjEEEEPNS0_10empty_typeENS0_5tupleIJNS9_16discard_iteratorINS9_11use_defaultEEESH_EEENSJ_IJSG_SI_EEENS0_18inequality_wrapperINS9_8equal_toIiEEEEPmJSH_EEE10hipError_tPvRmT3_T4_T5_T6_T7_T9_mT8_P12ihipStream_tbDpT10_ENKUlT_T0_E_clISt17integral_constantIbLb1EES1D_EEDaS18_S19_EUlS18_E_NS1_11comp_targetILNS1_3genE5ELNS1_11target_archE942ELNS1_3gpuE9ELNS1_3repE0EEENS1_30default_config_static_selectorELNS0_4arch9wavefront6targetE0EEEvT1_,"axG",@progbits,_ZN7rocprim17ROCPRIM_400000_NS6detail17trampoline_kernelINS0_14default_configENS1_25partition_config_selectorILNS1_17partition_subalgoE9EijbEEZZNS1_14partition_implILS5_9ELb0ES3_jN6thrust23THRUST_200600_302600_NS6detail15normal_iteratorINS9_10device_ptrIiEEEENSB_INSC_IjEEEEPNS0_10empty_typeENS0_5tupleIJNS9_16discard_iteratorINS9_11use_defaultEEESH_EEENSJ_IJSG_SI_EEENS0_18inequality_wrapperINS9_8equal_toIiEEEEPmJSH_EEE10hipError_tPvRmT3_T4_T5_T6_T7_T9_mT8_P12ihipStream_tbDpT10_ENKUlT_T0_E_clISt17integral_constantIbLb1EES1D_EEDaS18_S19_EUlS18_E_NS1_11comp_targetILNS1_3genE5ELNS1_11target_archE942ELNS1_3gpuE9ELNS1_3repE0EEENS1_30default_config_static_selectorELNS0_4arch9wavefront6targetE0EEEvT1_,comdat
	.protected	_ZN7rocprim17ROCPRIM_400000_NS6detail17trampoline_kernelINS0_14default_configENS1_25partition_config_selectorILNS1_17partition_subalgoE9EijbEEZZNS1_14partition_implILS5_9ELb0ES3_jN6thrust23THRUST_200600_302600_NS6detail15normal_iteratorINS9_10device_ptrIiEEEENSB_INSC_IjEEEEPNS0_10empty_typeENS0_5tupleIJNS9_16discard_iteratorINS9_11use_defaultEEESH_EEENSJ_IJSG_SI_EEENS0_18inequality_wrapperINS9_8equal_toIiEEEEPmJSH_EEE10hipError_tPvRmT3_T4_T5_T6_T7_T9_mT8_P12ihipStream_tbDpT10_ENKUlT_T0_E_clISt17integral_constantIbLb1EES1D_EEDaS18_S19_EUlS18_E_NS1_11comp_targetILNS1_3genE5ELNS1_11target_archE942ELNS1_3gpuE9ELNS1_3repE0EEENS1_30default_config_static_selectorELNS0_4arch9wavefront6targetE0EEEvT1_ ; -- Begin function _ZN7rocprim17ROCPRIM_400000_NS6detail17trampoline_kernelINS0_14default_configENS1_25partition_config_selectorILNS1_17partition_subalgoE9EijbEEZZNS1_14partition_implILS5_9ELb0ES3_jN6thrust23THRUST_200600_302600_NS6detail15normal_iteratorINS9_10device_ptrIiEEEENSB_INSC_IjEEEEPNS0_10empty_typeENS0_5tupleIJNS9_16discard_iteratorINS9_11use_defaultEEESH_EEENSJ_IJSG_SI_EEENS0_18inequality_wrapperINS9_8equal_toIiEEEEPmJSH_EEE10hipError_tPvRmT3_T4_T5_T6_T7_T9_mT8_P12ihipStream_tbDpT10_ENKUlT_T0_E_clISt17integral_constantIbLb1EES1D_EEDaS18_S19_EUlS18_E_NS1_11comp_targetILNS1_3genE5ELNS1_11target_archE942ELNS1_3gpuE9ELNS1_3repE0EEENS1_30default_config_static_selectorELNS0_4arch9wavefront6targetE0EEEvT1_
	.globl	_ZN7rocprim17ROCPRIM_400000_NS6detail17trampoline_kernelINS0_14default_configENS1_25partition_config_selectorILNS1_17partition_subalgoE9EijbEEZZNS1_14partition_implILS5_9ELb0ES3_jN6thrust23THRUST_200600_302600_NS6detail15normal_iteratorINS9_10device_ptrIiEEEENSB_INSC_IjEEEEPNS0_10empty_typeENS0_5tupleIJNS9_16discard_iteratorINS9_11use_defaultEEESH_EEENSJ_IJSG_SI_EEENS0_18inequality_wrapperINS9_8equal_toIiEEEEPmJSH_EEE10hipError_tPvRmT3_T4_T5_T6_T7_T9_mT8_P12ihipStream_tbDpT10_ENKUlT_T0_E_clISt17integral_constantIbLb1EES1D_EEDaS18_S19_EUlS18_E_NS1_11comp_targetILNS1_3genE5ELNS1_11target_archE942ELNS1_3gpuE9ELNS1_3repE0EEENS1_30default_config_static_selectorELNS0_4arch9wavefront6targetE0EEEvT1_
	.p2align	8
	.type	_ZN7rocprim17ROCPRIM_400000_NS6detail17trampoline_kernelINS0_14default_configENS1_25partition_config_selectorILNS1_17partition_subalgoE9EijbEEZZNS1_14partition_implILS5_9ELb0ES3_jN6thrust23THRUST_200600_302600_NS6detail15normal_iteratorINS9_10device_ptrIiEEEENSB_INSC_IjEEEEPNS0_10empty_typeENS0_5tupleIJNS9_16discard_iteratorINS9_11use_defaultEEESH_EEENSJ_IJSG_SI_EEENS0_18inequality_wrapperINS9_8equal_toIiEEEEPmJSH_EEE10hipError_tPvRmT3_T4_T5_T6_T7_T9_mT8_P12ihipStream_tbDpT10_ENKUlT_T0_E_clISt17integral_constantIbLb1EES1D_EEDaS18_S19_EUlS18_E_NS1_11comp_targetILNS1_3genE5ELNS1_11target_archE942ELNS1_3gpuE9ELNS1_3repE0EEENS1_30default_config_static_selectorELNS0_4arch9wavefront6targetE0EEEvT1_,@function
_ZN7rocprim17ROCPRIM_400000_NS6detail17trampoline_kernelINS0_14default_configENS1_25partition_config_selectorILNS1_17partition_subalgoE9EijbEEZZNS1_14partition_implILS5_9ELb0ES3_jN6thrust23THRUST_200600_302600_NS6detail15normal_iteratorINS9_10device_ptrIiEEEENSB_INSC_IjEEEEPNS0_10empty_typeENS0_5tupleIJNS9_16discard_iteratorINS9_11use_defaultEEESH_EEENSJ_IJSG_SI_EEENS0_18inequality_wrapperINS9_8equal_toIiEEEEPmJSH_EEE10hipError_tPvRmT3_T4_T5_T6_T7_T9_mT8_P12ihipStream_tbDpT10_ENKUlT_T0_E_clISt17integral_constantIbLb1EES1D_EEDaS18_S19_EUlS18_E_NS1_11comp_targetILNS1_3genE5ELNS1_11target_archE942ELNS1_3gpuE9ELNS1_3repE0EEENS1_30default_config_static_selectorELNS0_4arch9wavefront6targetE0EEEvT1_: ; @_ZN7rocprim17ROCPRIM_400000_NS6detail17trampoline_kernelINS0_14default_configENS1_25partition_config_selectorILNS1_17partition_subalgoE9EijbEEZZNS1_14partition_implILS5_9ELb0ES3_jN6thrust23THRUST_200600_302600_NS6detail15normal_iteratorINS9_10device_ptrIiEEEENSB_INSC_IjEEEEPNS0_10empty_typeENS0_5tupleIJNS9_16discard_iteratorINS9_11use_defaultEEESH_EEENSJ_IJSG_SI_EEENS0_18inequality_wrapperINS9_8equal_toIiEEEEPmJSH_EEE10hipError_tPvRmT3_T4_T5_T6_T7_T9_mT8_P12ihipStream_tbDpT10_ENKUlT_T0_E_clISt17integral_constantIbLb1EES1D_EEDaS18_S19_EUlS18_E_NS1_11comp_targetILNS1_3genE5ELNS1_11target_archE942ELNS1_3gpuE9ELNS1_3repE0EEENS1_30default_config_static_selectorELNS0_4arch9wavefront6targetE0EEEvT1_
; %bb.0:
	.section	.rodata,"a",@progbits
	.p2align	6, 0x0
	.amdhsa_kernel _ZN7rocprim17ROCPRIM_400000_NS6detail17trampoline_kernelINS0_14default_configENS1_25partition_config_selectorILNS1_17partition_subalgoE9EijbEEZZNS1_14partition_implILS5_9ELb0ES3_jN6thrust23THRUST_200600_302600_NS6detail15normal_iteratorINS9_10device_ptrIiEEEENSB_INSC_IjEEEEPNS0_10empty_typeENS0_5tupleIJNS9_16discard_iteratorINS9_11use_defaultEEESH_EEENSJ_IJSG_SI_EEENS0_18inequality_wrapperINS9_8equal_toIiEEEEPmJSH_EEE10hipError_tPvRmT3_T4_T5_T6_T7_T9_mT8_P12ihipStream_tbDpT10_ENKUlT_T0_E_clISt17integral_constantIbLb1EES1D_EEDaS18_S19_EUlS18_E_NS1_11comp_targetILNS1_3genE5ELNS1_11target_archE942ELNS1_3gpuE9ELNS1_3repE0EEENS1_30default_config_static_selectorELNS0_4arch9wavefront6targetE0EEEvT1_
		.amdhsa_group_segment_fixed_size 0
		.amdhsa_private_segment_fixed_size 0
		.amdhsa_kernarg_size 136
		.amdhsa_user_sgpr_count 15
		.amdhsa_user_sgpr_dispatch_ptr 0
		.amdhsa_user_sgpr_queue_ptr 0
		.amdhsa_user_sgpr_kernarg_segment_ptr 1
		.amdhsa_user_sgpr_dispatch_id 0
		.amdhsa_user_sgpr_private_segment_size 0
		.amdhsa_wavefront_size32 1
		.amdhsa_uses_dynamic_stack 0
		.amdhsa_enable_private_segment 0
		.amdhsa_system_sgpr_workgroup_id_x 1
		.amdhsa_system_sgpr_workgroup_id_y 0
		.amdhsa_system_sgpr_workgroup_id_z 0
		.amdhsa_system_sgpr_workgroup_info 0
		.amdhsa_system_vgpr_workitem_id 0
		.amdhsa_next_free_vgpr 1
		.amdhsa_next_free_sgpr 1
		.amdhsa_reserve_vcc 0
		.amdhsa_float_round_mode_32 0
		.amdhsa_float_round_mode_16_64 0
		.amdhsa_float_denorm_mode_32 3
		.amdhsa_float_denorm_mode_16_64 3
		.amdhsa_dx10_clamp 1
		.amdhsa_ieee_mode 1
		.amdhsa_fp16_overflow 0
		.amdhsa_workgroup_processor_mode 1
		.amdhsa_memory_ordered 1
		.amdhsa_forward_progress 0
		.amdhsa_shared_vgpr_count 0
		.amdhsa_exception_fp_ieee_invalid_op 0
		.amdhsa_exception_fp_denorm_src 0
		.amdhsa_exception_fp_ieee_div_zero 0
		.amdhsa_exception_fp_ieee_overflow 0
		.amdhsa_exception_fp_ieee_underflow 0
		.amdhsa_exception_fp_ieee_inexact 0
		.amdhsa_exception_int_div_zero 0
	.end_amdhsa_kernel
	.section	.text._ZN7rocprim17ROCPRIM_400000_NS6detail17trampoline_kernelINS0_14default_configENS1_25partition_config_selectorILNS1_17partition_subalgoE9EijbEEZZNS1_14partition_implILS5_9ELb0ES3_jN6thrust23THRUST_200600_302600_NS6detail15normal_iteratorINS9_10device_ptrIiEEEENSB_INSC_IjEEEEPNS0_10empty_typeENS0_5tupleIJNS9_16discard_iteratorINS9_11use_defaultEEESH_EEENSJ_IJSG_SI_EEENS0_18inequality_wrapperINS9_8equal_toIiEEEEPmJSH_EEE10hipError_tPvRmT3_T4_T5_T6_T7_T9_mT8_P12ihipStream_tbDpT10_ENKUlT_T0_E_clISt17integral_constantIbLb1EES1D_EEDaS18_S19_EUlS18_E_NS1_11comp_targetILNS1_3genE5ELNS1_11target_archE942ELNS1_3gpuE9ELNS1_3repE0EEENS1_30default_config_static_selectorELNS0_4arch9wavefront6targetE0EEEvT1_,"axG",@progbits,_ZN7rocprim17ROCPRIM_400000_NS6detail17trampoline_kernelINS0_14default_configENS1_25partition_config_selectorILNS1_17partition_subalgoE9EijbEEZZNS1_14partition_implILS5_9ELb0ES3_jN6thrust23THRUST_200600_302600_NS6detail15normal_iteratorINS9_10device_ptrIiEEEENSB_INSC_IjEEEEPNS0_10empty_typeENS0_5tupleIJNS9_16discard_iteratorINS9_11use_defaultEEESH_EEENSJ_IJSG_SI_EEENS0_18inequality_wrapperINS9_8equal_toIiEEEEPmJSH_EEE10hipError_tPvRmT3_T4_T5_T6_T7_T9_mT8_P12ihipStream_tbDpT10_ENKUlT_T0_E_clISt17integral_constantIbLb1EES1D_EEDaS18_S19_EUlS18_E_NS1_11comp_targetILNS1_3genE5ELNS1_11target_archE942ELNS1_3gpuE9ELNS1_3repE0EEENS1_30default_config_static_selectorELNS0_4arch9wavefront6targetE0EEEvT1_,comdat
.Lfunc_end1150:
	.size	_ZN7rocprim17ROCPRIM_400000_NS6detail17trampoline_kernelINS0_14default_configENS1_25partition_config_selectorILNS1_17partition_subalgoE9EijbEEZZNS1_14partition_implILS5_9ELb0ES3_jN6thrust23THRUST_200600_302600_NS6detail15normal_iteratorINS9_10device_ptrIiEEEENSB_INSC_IjEEEEPNS0_10empty_typeENS0_5tupleIJNS9_16discard_iteratorINS9_11use_defaultEEESH_EEENSJ_IJSG_SI_EEENS0_18inequality_wrapperINS9_8equal_toIiEEEEPmJSH_EEE10hipError_tPvRmT3_T4_T5_T6_T7_T9_mT8_P12ihipStream_tbDpT10_ENKUlT_T0_E_clISt17integral_constantIbLb1EES1D_EEDaS18_S19_EUlS18_E_NS1_11comp_targetILNS1_3genE5ELNS1_11target_archE942ELNS1_3gpuE9ELNS1_3repE0EEENS1_30default_config_static_selectorELNS0_4arch9wavefront6targetE0EEEvT1_, .Lfunc_end1150-_ZN7rocprim17ROCPRIM_400000_NS6detail17trampoline_kernelINS0_14default_configENS1_25partition_config_selectorILNS1_17partition_subalgoE9EijbEEZZNS1_14partition_implILS5_9ELb0ES3_jN6thrust23THRUST_200600_302600_NS6detail15normal_iteratorINS9_10device_ptrIiEEEENSB_INSC_IjEEEEPNS0_10empty_typeENS0_5tupleIJNS9_16discard_iteratorINS9_11use_defaultEEESH_EEENSJ_IJSG_SI_EEENS0_18inequality_wrapperINS9_8equal_toIiEEEEPmJSH_EEE10hipError_tPvRmT3_T4_T5_T6_T7_T9_mT8_P12ihipStream_tbDpT10_ENKUlT_T0_E_clISt17integral_constantIbLb1EES1D_EEDaS18_S19_EUlS18_E_NS1_11comp_targetILNS1_3genE5ELNS1_11target_archE942ELNS1_3gpuE9ELNS1_3repE0EEENS1_30default_config_static_selectorELNS0_4arch9wavefront6targetE0EEEvT1_
                                        ; -- End function
	.section	.AMDGPU.csdata,"",@progbits
; Kernel info:
; codeLenInByte = 0
; NumSgprs: 0
; NumVgprs: 0
; ScratchSize: 0
; MemoryBound: 0
; FloatMode: 240
; IeeeMode: 1
; LDSByteSize: 0 bytes/workgroup (compile time only)
; SGPRBlocks: 0
; VGPRBlocks: 0
; NumSGPRsForWavesPerEU: 1
; NumVGPRsForWavesPerEU: 1
; Occupancy: 16
; WaveLimiterHint : 0
; COMPUTE_PGM_RSRC2:SCRATCH_EN: 0
; COMPUTE_PGM_RSRC2:USER_SGPR: 15
; COMPUTE_PGM_RSRC2:TRAP_HANDLER: 0
; COMPUTE_PGM_RSRC2:TGID_X_EN: 1
; COMPUTE_PGM_RSRC2:TGID_Y_EN: 0
; COMPUTE_PGM_RSRC2:TGID_Z_EN: 0
; COMPUTE_PGM_RSRC2:TIDIG_COMP_CNT: 0
	.section	.text._ZN7rocprim17ROCPRIM_400000_NS6detail17trampoline_kernelINS0_14default_configENS1_25partition_config_selectorILNS1_17partition_subalgoE9EijbEEZZNS1_14partition_implILS5_9ELb0ES3_jN6thrust23THRUST_200600_302600_NS6detail15normal_iteratorINS9_10device_ptrIiEEEENSB_INSC_IjEEEEPNS0_10empty_typeENS0_5tupleIJNS9_16discard_iteratorINS9_11use_defaultEEESH_EEENSJ_IJSG_SI_EEENS0_18inequality_wrapperINS9_8equal_toIiEEEEPmJSH_EEE10hipError_tPvRmT3_T4_T5_T6_T7_T9_mT8_P12ihipStream_tbDpT10_ENKUlT_T0_E_clISt17integral_constantIbLb1EES1D_EEDaS18_S19_EUlS18_E_NS1_11comp_targetILNS1_3genE4ELNS1_11target_archE910ELNS1_3gpuE8ELNS1_3repE0EEENS1_30default_config_static_selectorELNS0_4arch9wavefront6targetE0EEEvT1_,"axG",@progbits,_ZN7rocprim17ROCPRIM_400000_NS6detail17trampoline_kernelINS0_14default_configENS1_25partition_config_selectorILNS1_17partition_subalgoE9EijbEEZZNS1_14partition_implILS5_9ELb0ES3_jN6thrust23THRUST_200600_302600_NS6detail15normal_iteratorINS9_10device_ptrIiEEEENSB_INSC_IjEEEEPNS0_10empty_typeENS0_5tupleIJNS9_16discard_iteratorINS9_11use_defaultEEESH_EEENSJ_IJSG_SI_EEENS0_18inequality_wrapperINS9_8equal_toIiEEEEPmJSH_EEE10hipError_tPvRmT3_T4_T5_T6_T7_T9_mT8_P12ihipStream_tbDpT10_ENKUlT_T0_E_clISt17integral_constantIbLb1EES1D_EEDaS18_S19_EUlS18_E_NS1_11comp_targetILNS1_3genE4ELNS1_11target_archE910ELNS1_3gpuE8ELNS1_3repE0EEENS1_30default_config_static_selectorELNS0_4arch9wavefront6targetE0EEEvT1_,comdat
	.protected	_ZN7rocprim17ROCPRIM_400000_NS6detail17trampoline_kernelINS0_14default_configENS1_25partition_config_selectorILNS1_17partition_subalgoE9EijbEEZZNS1_14partition_implILS5_9ELb0ES3_jN6thrust23THRUST_200600_302600_NS6detail15normal_iteratorINS9_10device_ptrIiEEEENSB_INSC_IjEEEEPNS0_10empty_typeENS0_5tupleIJNS9_16discard_iteratorINS9_11use_defaultEEESH_EEENSJ_IJSG_SI_EEENS0_18inequality_wrapperINS9_8equal_toIiEEEEPmJSH_EEE10hipError_tPvRmT3_T4_T5_T6_T7_T9_mT8_P12ihipStream_tbDpT10_ENKUlT_T0_E_clISt17integral_constantIbLb1EES1D_EEDaS18_S19_EUlS18_E_NS1_11comp_targetILNS1_3genE4ELNS1_11target_archE910ELNS1_3gpuE8ELNS1_3repE0EEENS1_30default_config_static_selectorELNS0_4arch9wavefront6targetE0EEEvT1_ ; -- Begin function _ZN7rocprim17ROCPRIM_400000_NS6detail17trampoline_kernelINS0_14default_configENS1_25partition_config_selectorILNS1_17partition_subalgoE9EijbEEZZNS1_14partition_implILS5_9ELb0ES3_jN6thrust23THRUST_200600_302600_NS6detail15normal_iteratorINS9_10device_ptrIiEEEENSB_INSC_IjEEEEPNS0_10empty_typeENS0_5tupleIJNS9_16discard_iteratorINS9_11use_defaultEEESH_EEENSJ_IJSG_SI_EEENS0_18inequality_wrapperINS9_8equal_toIiEEEEPmJSH_EEE10hipError_tPvRmT3_T4_T5_T6_T7_T9_mT8_P12ihipStream_tbDpT10_ENKUlT_T0_E_clISt17integral_constantIbLb1EES1D_EEDaS18_S19_EUlS18_E_NS1_11comp_targetILNS1_3genE4ELNS1_11target_archE910ELNS1_3gpuE8ELNS1_3repE0EEENS1_30default_config_static_selectorELNS0_4arch9wavefront6targetE0EEEvT1_
	.globl	_ZN7rocprim17ROCPRIM_400000_NS6detail17trampoline_kernelINS0_14default_configENS1_25partition_config_selectorILNS1_17partition_subalgoE9EijbEEZZNS1_14partition_implILS5_9ELb0ES3_jN6thrust23THRUST_200600_302600_NS6detail15normal_iteratorINS9_10device_ptrIiEEEENSB_INSC_IjEEEEPNS0_10empty_typeENS0_5tupleIJNS9_16discard_iteratorINS9_11use_defaultEEESH_EEENSJ_IJSG_SI_EEENS0_18inequality_wrapperINS9_8equal_toIiEEEEPmJSH_EEE10hipError_tPvRmT3_T4_T5_T6_T7_T9_mT8_P12ihipStream_tbDpT10_ENKUlT_T0_E_clISt17integral_constantIbLb1EES1D_EEDaS18_S19_EUlS18_E_NS1_11comp_targetILNS1_3genE4ELNS1_11target_archE910ELNS1_3gpuE8ELNS1_3repE0EEENS1_30default_config_static_selectorELNS0_4arch9wavefront6targetE0EEEvT1_
	.p2align	8
	.type	_ZN7rocprim17ROCPRIM_400000_NS6detail17trampoline_kernelINS0_14default_configENS1_25partition_config_selectorILNS1_17partition_subalgoE9EijbEEZZNS1_14partition_implILS5_9ELb0ES3_jN6thrust23THRUST_200600_302600_NS6detail15normal_iteratorINS9_10device_ptrIiEEEENSB_INSC_IjEEEEPNS0_10empty_typeENS0_5tupleIJNS9_16discard_iteratorINS9_11use_defaultEEESH_EEENSJ_IJSG_SI_EEENS0_18inequality_wrapperINS9_8equal_toIiEEEEPmJSH_EEE10hipError_tPvRmT3_T4_T5_T6_T7_T9_mT8_P12ihipStream_tbDpT10_ENKUlT_T0_E_clISt17integral_constantIbLb1EES1D_EEDaS18_S19_EUlS18_E_NS1_11comp_targetILNS1_3genE4ELNS1_11target_archE910ELNS1_3gpuE8ELNS1_3repE0EEENS1_30default_config_static_selectorELNS0_4arch9wavefront6targetE0EEEvT1_,@function
_ZN7rocprim17ROCPRIM_400000_NS6detail17trampoline_kernelINS0_14default_configENS1_25partition_config_selectorILNS1_17partition_subalgoE9EijbEEZZNS1_14partition_implILS5_9ELb0ES3_jN6thrust23THRUST_200600_302600_NS6detail15normal_iteratorINS9_10device_ptrIiEEEENSB_INSC_IjEEEEPNS0_10empty_typeENS0_5tupleIJNS9_16discard_iteratorINS9_11use_defaultEEESH_EEENSJ_IJSG_SI_EEENS0_18inequality_wrapperINS9_8equal_toIiEEEEPmJSH_EEE10hipError_tPvRmT3_T4_T5_T6_T7_T9_mT8_P12ihipStream_tbDpT10_ENKUlT_T0_E_clISt17integral_constantIbLb1EES1D_EEDaS18_S19_EUlS18_E_NS1_11comp_targetILNS1_3genE4ELNS1_11target_archE910ELNS1_3gpuE8ELNS1_3repE0EEENS1_30default_config_static_selectorELNS0_4arch9wavefront6targetE0EEEvT1_: ; @_ZN7rocprim17ROCPRIM_400000_NS6detail17trampoline_kernelINS0_14default_configENS1_25partition_config_selectorILNS1_17partition_subalgoE9EijbEEZZNS1_14partition_implILS5_9ELb0ES3_jN6thrust23THRUST_200600_302600_NS6detail15normal_iteratorINS9_10device_ptrIiEEEENSB_INSC_IjEEEEPNS0_10empty_typeENS0_5tupleIJNS9_16discard_iteratorINS9_11use_defaultEEESH_EEENSJ_IJSG_SI_EEENS0_18inequality_wrapperINS9_8equal_toIiEEEEPmJSH_EEE10hipError_tPvRmT3_T4_T5_T6_T7_T9_mT8_P12ihipStream_tbDpT10_ENKUlT_T0_E_clISt17integral_constantIbLb1EES1D_EEDaS18_S19_EUlS18_E_NS1_11comp_targetILNS1_3genE4ELNS1_11target_archE910ELNS1_3gpuE8ELNS1_3repE0EEENS1_30default_config_static_selectorELNS0_4arch9wavefront6targetE0EEEvT1_
; %bb.0:
	.section	.rodata,"a",@progbits
	.p2align	6, 0x0
	.amdhsa_kernel _ZN7rocprim17ROCPRIM_400000_NS6detail17trampoline_kernelINS0_14default_configENS1_25partition_config_selectorILNS1_17partition_subalgoE9EijbEEZZNS1_14partition_implILS5_9ELb0ES3_jN6thrust23THRUST_200600_302600_NS6detail15normal_iteratorINS9_10device_ptrIiEEEENSB_INSC_IjEEEEPNS0_10empty_typeENS0_5tupleIJNS9_16discard_iteratorINS9_11use_defaultEEESH_EEENSJ_IJSG_SI_EEENS0_18inequality_wrapperINS9_8equal_toIiEEEEPmJSH_EEE10hipError_tPvRmT3_T4_T5_T6_T7_T9_mT8_P12ihipStream_tbDpT10_ENKUlT_T0_E_clISt17integral_constantIbLb1EES1D_EEDaS18_S19_EUlS18_E_NS1_11comp_targetILNS1_3genE4ELNS1_11target_archE910ELNS1_3gpuE8ELNS1_3repE0EEENS1_30default_config_static_selectorELNS0_4arch9wavefront6targetE0EEEvT1_
		.amdhsa_group_segment_fixed_size 0
		.amdhsa_private_segment_fixed_size 0
		.amdhsa_kernarg_size 136
		.amdhsa_user_sgpr_count 15
		.amdhsa_user_sgpr_dispatch_ptr 0
		.amdhsa_user_sgpr_queue_ptr 0
		.amdhsa_user_sgpr_kernarg_segment_ptr 1
		.amdhsa_user_sgpr_dispatch_id 0
		.amdhsa_user_sgpr_private_segment_size 0
		.amdhsa_wavefront_size32 1
		.amdhsa_uses_dynamic_stack 0
		.amdhsa_enable_private_segment 0
		.amdhsa_system_sgpr_workgroup_id_x 1
		.amdhsa_system_sgpr_workgroup_id_y 0
		.amdhsa_system_sgpr_workgroup_id_z 0
		.amdhsa_system_sgpr_workgroup_info 0
		.amdhsa_system_vgpr_workitem_id 0
		.amdhsa_next_free_vgpr 1
		.amdhsa_next_free_sgpr 1
		.amdhsa_reserve_vcc 0
		.amdhsa_float_round_mode_32 0
		.amdhsa_float_round_mode_16_64 0
		.amdhsa_float_denorm_mode_32 3
		.amdhsa_float_denorm_mode_16_64 3
		.amdhsa_dx10_clamp 1
		.amdhsa_ieee_mode 1
		.amdhsa_fp16_overflow 0
		.amdhsa_workgroup_processor_mode 1
		.amdhsa_memory_ordered 1
		.amdhsa_forward_progress 0
		.amdhsa_shared_vgpr_count 0
		.amdhsa_exception_fp_ieee_invalid_op 0
		.amdhsa_exception_fp_denorm_src 0
		.amdhsa_exception_fp_ieee_div_zero 0
		.amdhsa_exception_fp_ieee_overflow 0
		.amdhsa_exception_fp_ieee_underflow 0
		.amdhsa_exception_fp_ieee_inexact 0
		.amdhsa_exception_int_div_zero 0
	.end_amdhsa_kernel
	.section	.text._ZN7rocprim17ROCPRIM_400000_NS6detail17trampoline_kernelINS0_14default_configENS1_25partition_config_selectorILNS1_17partition_subalgoE9EijbEEZZNS1_14partition_implILS5_9ELb0ES3_jN6thrust23THRUST_200600_302600_NS6detail15normal_iteratorINS9_10device_ptrIiEEEENSB_INSC_IjEEEEPNS0_10empty_typeENS0_5tupleIJNS9_16discard_iteratorINS9_11use_defaultEEESH_EEENSJ_IJSG_SI_EEENS0_18inequality_wrapperINS9_8equal_toIiEEEEPmJSH_EEE10hipError_tPvRmT3_T4_T5_T6_T7_T9_mT8_P12ihipStream_tbDpT10_ENKUlT_T0_E_clISt17integral_constantIbLb1EES1D_EEDaS18_S19_EUlS18_E_NS1_11comp_targetILNS1_3genE4ELNS1_11target_archE910ELNS1_3gpuE8ELNS1_3repE0EEENS1_30default_config_static_selectorELNS0_4arch9wavefront6targetE0EEEvT1_,"axG",@progbits,_ZN7rocprim17ROCPRIM_400000_NS6detail17trampoline_kernelINS0_14default_configENS1_25partition_config_selectorILNS1_17partition_subalgoE9EijbEEZZNS1_14partition_implILS5_9ELb0ES3_jN6thrust23THRUST_200600_302600_NS6detail15normal_iteratorINS9_10device_ptrIiEEEENSB_INSC_IjEEEEPNS0_10empty_typeENS0_5tupleIJNS9_16discard_iteratorINS9_11use_defaultEEESH_EEENSJ_IJSG_SI_EEENS0_18inequality_wrapperINS9_8equal_toIiEEEEPmJSH_EEE10hipError_tPvRmT3_T4_T5_T6_T7_T9_mT8_P12ihipStream_tbDpT10_ENKUlT_T0_E_clISt17integral_constantIbLb1EES1D_EEDaS18_S19_EUlS18_E_NS1_11comp_targetILNS1_3genE4ELNS1_11target_archE910ELNS1_3gpuE8ELNS1_3repE0EEENS1_30default_config_static_selectorELNS0_4arch9wavefront6targetE0EEEvT1_,comdat
.Lfunc_end1151:
	.size	_ZN7rocprim17ROCPRIM_400000_NS6detail17trampoline_kernelINS0_14default_configENS1_25partition_config_selectorILNS1_17partition_subalgoE9EijbEEZZNS1_14partition_implILS5_9ELb0ES3_jN6thrust23THRUST_200600_302600_NS6detail15normal_iteratorINS9_10device_ptrIiEEEENSB_INSC_IjEEEEPNS0_10empty_typeENS0_5tupleIJNS9_16discard_iteratorINS9_11use_defaultEEESH_EEENSJ_IJSG_SI_EEENS0_18inequality_wrapperINS9_8equal_toIiEEEEPmJSH_EEE10hipError_tPvRmT3_T4_T5_T6_T7_T9_mT8_P12ihipStream_tbDpT10_ENKUlT_T0_E_clISt17integral_constantIbLb1EES1D_EEDaS18_S19_EUlS18_E_NS1_11comp_targetILNS1_3genE4ELNS1_11target_archE910ELNS1_3gpuE8ELNS1_3repE0EEENS1_30default_config_static_selectorELNS0_4arch9wavefront6targetE0EEEvT1_, .Lfunc_end1151-_ZN7rocprim17ROCPRIM_400000_NS6detail17trampoline_kernelINS0_14default_configENS1_25partition_config_selectorILNS1_17partition_subalgoE9EijbEEZZNS1_14partition_implILS5_9ELb0ES3_jN6thrust23THRUST_200600_302600_NS6detail15normal_iteratorINS9_10device_ptrIiEEEENSB_INSC_IjEEEEPNS0_10empty_typeENS0_5tupleIJNS9_16discard_iteratorINS9_11use_defaultEEESH_EEENSJ_IJSG_SI_EEENS0_18inequality_wrapperINS9_8equal_toIiEEEEPmJSH_EEE10hipError_tPvRmT3_T4_T5_T6_T7_T9_mT8_P12ihipStream_tbDpT10_ENKUlT_T0_E_clISt17integral_constantIbLb1EES1D_EEDaS18_S19_EUlS18_E_NS1_11comp_targetILNS1_3genE4ELNS1_11target_archE910ELNS1_3gpuE8ELNS1_3repE0EEENS1_30default_config_static_selectorELNS0_4arch9wavefront6targetE0EEEvT1_
                                        ; -- End function
	.section	.AMDGPU.csdata,"",@progbits
; Kernel info:
; codeLenInByte = 0
; NumSgprs: 0
; NumVgprs: 0
; ScratchSize: 0
; MemoryBound: 0
; FloatMode: 240
; IeeeMode: 1
; LDSByteSize: 0 bytes/workgroup (compile time only)
; SGPRBlocks: 0
; VGPRBlocks: 0
; NumSGPRsForWavesPerEU: 1
; NumVGPRsForWavesPerEU: 1
; Occupancy: 15
; WaveLimiterHint : 0
; COMPUTE_PGM_RSRC2:SCRATCH_EN: 0
; COMPUTE_PGM_RSRC2:USER_SGPR: 15
; COMPUTE_PGM_RSRC2:TRAP_HANDLER: 0
; COMPUTE_PGM_RSRC2:TGID_X_EN: 1
; COMPUTE_PGM_RSRC2:TGID_Y_EN: 0
; COMPUTE_PGM_RSRC2:TGID_Z_EN: 0
; COMPUTE_PGM_RSRC2:TIDIG_COMP_CNT: 0
	.section	.text._ZN7rocprim17ROCPRIM_400000_NS6detail17trampoline_kernelINS0_14default_configENS1_25partition_config_selectorILNS1_17partition_subalgoE9EijbEEZZNS1_14partition_implILS5_9ELb0ES3_jN6thrust23THRUST_200600_302600_NS6detail15normal_iteratorINS9_10device_ptrIiEEEENSB_INSC_IjEEEEPNS0_10empty_typeENS0_5tupleIJNS9_16discard_iteratorINS9_11use_defaultEEESH_EEENSJ_IJSG_SI_EEENS0_18inequality_wrapperINS9_8equal_toIiEEEEPmJSH_EEE10hipError_tPvRmT3_T4_T5_T6_T7_T9_mT8_P12ihipStream_tbDpT10_ENKUlT_T0_E_clISt17integral_constantIbLb1EES1D_EEDaS18_S19_EUlS18_E_NS1_11comp_targetILNS1_3genE3ELNS1_11target_archE908ELNS1_3gpuE7ELNS1_3repE0EEENS1_30default_config_static_selectorELNS0_4arch9wavefront6targetE0EEEvT1_,"axG",@progbits,_ZN7rocprim17ROCPRIM_400000_NS6detail17trampoline_kernelINS0_14default_configENS1_25partition_config_selectorILNS1_17partition_subalgoE9EijbEEZZNS1_14partition_implILS5_9ELb0ES3_jN6thrust23THRUST_200600_302600_NS6detail15normal_iteratorINS9_10device_ptrIiEEEENSB_INSC_IjEEEEPNS0_10empty_typeENS0_5tupleIJNS9_16discard_iteratorINS9_11use_defaultEEESH_EEENSJ_IJSG_SI_EEENS0_18inequality_wrapperINS9_8equal_toIiEEEEPmJSH_EEE10hipError_tPvRmT3_T4_T5_T6_T7_T9_mT8_P12ihipStream_tbDpT10_ENKUlT_T0_E_clISt17integral_constantIbLb1EES1D_EEDaS18_S19_EUlS18_E_NS1_11comp_targetILNS1_3genE3ELNS1_11target_archE908ELNS1_3gpuE7ELNS1_3repE0EEENS1_30default_config_static_selectorELNS0_4arch9wavefront6targetE0EEEvT1_,comdat
	.protected	_ZN7rocprim17ROCPRIM_400000_NS6detail17trampoline_kernelINS0_14default_configENS1_25partition_config_selectorILNS1_17partition_subalgoE9EijbEEZZNS1_14partition_implILS5_9ELb0ES3_jN6thrust23THRUST_200600_302600_NS6detail15normal_iteratorINS9_10device_ptrIiEEEENSB_INSC_IjEEEEPNS0_10empty_typeENS0_5tupleIJNS9_16discard_iteratorINS9_11use_defaultEEESH_EEENSJ_IJSG_SI_EEENS0_18inequality_wrapperINS9_8equal_toIiEEEEPmJSH_EEE10hipError_tPvRmT3_T4_T5_T6_T7_T9_mT8_P12ihipStream_tbDpT10_ENKUlT_T0_E_clISt17integral_constantIbLb1EES1D_EEDaS18_S19_EUlS18_E_NS1_11comp_targetILNS1_3genE3ELNS1_11target_archE908ELNS1_3gpuE7ELNS1_3repE0EEENS1_30default_config_static_selectorELNS0_4arch9wavefront6targetE0EEEvT1_ ; -- Begin function _ZN7rocprim17ROCPRIM_400000_NS6detail17trampoline_kernelINS0_14default_configENS1_25partition_config_selectorILNS1_17partition_subalgoE9EijbEEZZNS1_14partition_implILS5_9ELb0ES3_jN6thrust23THRUST_200600_302600_NS6detail15normal_iteratorINS9_10device_ptrIiEEEENSB_INSC_IjEEEEPNS0_10empty_typeENS0_5tupleIJNS9_16discard_iteratorINS9_11use_defaultEEESH_EEENSJ_IJSG_SI_EEENS0_18inequality_wrapperINS9_8equal_toIiEEEEPmJSH_EEE10hipError_tPvRmT3_T4_T5_T6_T7_T9_mT8_P12ihipStream_tbDpT10_ENKUlT_T0_E_clISt17integral_constantIbLb1EES1D_EEDaS18_S19_EUlS18_E_NS1_11comp_targetILNS1_3genE3ELNS1_11target_archE908ELNS1_3gpuE7ELNS1_3repE0EEENS1_30default_config_static_selectorELNS0_4arch9wavefront6targetE0EEEvT1_
	.globl	_ZN7rocprim17ROCPRIM_400000_NS6detail17trampoline_kernelINS0_14default_configENS1_25partition_config_selectorILNS1_17partition_subalgoE9EijbEEZZNS1_14partition_implILS5_9ELb0ES3_jN6thrust23THRUST_200600_302600_NS6detail15normal_iteratorINS9_10device_ptrIiEEEENSB_INSC_IjEEEEPNS0_10empty_typeENS0_5tupleIJNS9_16discard_iteratorINS9_11use_defaultEEESH_EEENSJ_IJSG_SI_EEENS0_18inequality_wrapperINS9_8equal_toIiEEEEPmJSH_EEE10hipError_tPvRmT3_T4_T5_T6_T7_T9_mT8_P12ihipStream_tbDpT10_ENKUlT_T0_E_clISt17integral_constantIbLb1EES1D_EEDaS18_S19_EUlS18_E_NS1_11comp_targetILNS1_3genE3ELNS1_11target_archE908ELNS1_3gpuE7ELNS1_3repE0EEENS1_30default_config_static_selectorELNS0_4arch9wavefront6targetE0EEEvT1_
	.p2align	8
	.type	_ZN7rocprim17ROCPRIM_400000_NS6detail17trampoline_kernelINS0_14default_configENS1_25partition_config_selectorILNS1_17partition_subalgoE9EijbEEZZNS1_14partition_implILS5_9ELb0ES3_jN6thrust23THRUST_200600_302600_NS6detail15normal_iteratorINS9_10device_ptrIiEEEENSB_INSC_IjEEEEPNS0_10empty_typeENS0_5tupleIJNS9_16discard_iteratorINS9_11use_defaultEEESH_EEENSJ_IJSG_SI_EEENS0_18inequality_wrapperINS9_8equal_toIiEEEEPmJSH_EEE10hipError_tPvRmT3_T4_T5_T6_T7_T9_mT8_P12ihipStream_tbDpT10_ENKUlT_T0_E_clISt17integral_constantIbLb1EES1D_EEDaS18_S19_EUlS18_E_NS1_11comp_targetILNS1_3genE3ELNS1_11target_archE908ELNS1_3gpuE7ELNS1_3repE0EEENS1_30default_config_static_selectorELNS0_4arch9wavefront6targetE0EEEvT1_,@function
_ZN7rocprim17ROCPRIM_400000_NS6detail17trampoline_kernelINS0_14default_configENS1_25partition_config_selectorILNS1_17partition_subalgoE9EijbEEZZNS1_14partition_implILS5_9ELb0ES3_jN6thrust23THRUST_200600_302600_NS6detail15normal_iteratorINS9_10device_ptrIiEEEENSB_INSC_IjEEEEPNS0_10empty_typeENS0_5tupleIJNS9_16discard_iteratorINS9_11use_defaultEEESH_EEENSJ_IJSG_SI_EEENS0_18inequality_wrapperINS9_8equal_toIiEEEEPmJSH_EEE10hipError_tPvRmT3_T4_T5_T6_T7_T9_mT8_P12ihipStream_tbDpT10_ENKUlT_T0_E_clISt17integral_constantIbLb1EES1D_EEDaS18_S19_EUlS18_E_NS1_11comp_targetILNS1_3genE3ELNS1_11target_archE908ELNS1_3gpuE7ELNS1_3repE0EEENS1_30default_config_static_selectorELNS0_4arch9wavefront6targetE0EEEvT1_: ; @_ZN7rocprim17ROCPRIM_400000_NS6detail17trampoline_kernelINS0_14default_configENS1_25partition_config_selectorILNS1_17partition_subalgoE9EijbEEZZNS1_14partition_implILS5_9ELb0ES3_jN6thrust23THRUST_200600_302600_NS6detail15normal_iteratorINS9_10device_ptrIiEEEENSB_INSC_IjEEEEPNS0_10empty_typeENS0_5tupleIJNS9_16discard_iteratorINS9_11use_defaultEEESH_EEENSJ_IJSG_SI_EEENS0_18inequality_wrapperINS9_8equal_toIiEEEEPmJSH_EEE10hipError_tPvRmT3_T4_T5_T6_T7_T9_mT8_P12ihipStream_tbDpT10_ENKUlT_T0_E_clISt17integral_constantIbLb1EES1D_EEDaS18_S19_EUlS18_E_NS1_11comp_targetILNS1_3genE3ELNS1_11target_archE908ELNS1_3gpuE7ELNS1_3repE0EEENS1_30default_config_static_selectorELNS0_4arch9wavefront6targetE0EEEvT1_
; %bb.0:
	.section	.rodata,"a",@progbits
	.p2align	6, 0x0
	.amdhsa_kernel _ZN7rocprim17ROCPRIM_400000_NS6detail17trampoline_kernelINS0_14default_configENS1_25partition_config_selectorILNS1_17partition_subalgoE9EijbEEZZNS1_14partition_implILS5_9ELb0ES3_jN6thrust23THRUST_200600_302600_NS6detail15normal_iteratorINS9_10device_ptrIiEEEENSB_INSC_IjEEEEPNS0_10empty_typeENS0_5tupleIJNS9_16discard_iteratorINS9_11use_defaultEEESH_EEENSJ_IJSG_SI_EEENS0_18inequality_wrapperINS9_8equal_toIiEEEEPmJSH_EEE10hipError_tPvRmT3_T4_T5_T6_T7_T9_mT8_P12ihipStream_tbDpT10_ENKUlT_T0_E_clISt17integral_constantIbLb1EES1D_EEDaS18_S19_EUlS18_E_NS1_11comp_targetILNS1_3genE3ELNS1_11target_archE908ELNS1_3gpuE7ELNS1_3repE0EEENS1_30default_config_static_selectorELNS0_4arch9wavefront6targetE0EEEvT1_
		.amdhsa_group_segment_fixed_size 0
		.amdhsa_private_segment_fixed_size 0
		.amdhsa_kernarg_size 136
		.amdhsa_user_sgpr_count 15
		.amdhsa_user_sgpr_dispatch_ptr 0
		.amdhsa_user_sgpr_queue_ptr 0
		.amdhsa_user_sgpr_kernarg_segment_ptr 1
		.amdhsa_user_sgpr_dispatch_id 0
		.amdhsa_user_sgpr_private_segment_size 0
		.amdhsa_wavefront_size32 1
		.amdhsa_uses_dynamic_stack 0
		.amdhsa_enable_private_segment 0
		.amdhsa_system_sgpr_workgroup_id_x 1
		.amdhsa_system_sgpr_workgroup_id_y 0
		.amdhsa_system_sgpr_workgroup_id_z 0
		.amdhsa_system_sgpr_workgroup_info 0
		.amdhsa_system_vgpr_workitem_id 0
		.amdhsa_next_free_vgpr 1
		.amdhsa_next_free_sgpr 1
		.amdhsa_reserve_vcc 0
		.amdhsa_float_round_mode_32 0
		.amdhsa_float_round_mode_16_64 0
		.amdhsa_float_denorm_mode_32 3
		.amdhsa_float_denorm_mode_16_64 3
		.amdhsa_dx10_clamp 1
		.amdhsa_ieee_mode 1
		.amdhsa_fp16_overflow 0
		.amdhsa_workgroup_processor_mode 1
		.amdhsa_memory_ordered 1
		.amdhsa_forward_progress 0
		.amdhsa_shared_vgpr_count 0
		.amdhsa_exception_fp_ieee_invalid_op 0
		.amdhsa_exception_fp_denorm_src 0
		.amdhsa_exception_fp_ieee_div_zero 0
		.amdhsa_exception_fp_ieee_overflow 0
		.amdhsa_exception_fp_ieee_underflow 0
		.amdhsa_exception_fp_ieee_inexact 0
		.amdhsa_exception_int_div_zero 0
	.end_amdhsa_kernel
	.section	.text._ZN7rocprim17ROCPRIM_400000_NS6detail17trampoline_kernelINS0_14default_configENS1_25partition_config_selectorILNS1_17partition_subalgoE9EijbEEZZNS1_14partition_implILS5_9ELb0ES3_jN6thrust23THRUST_200600_302600_NS6detail15normal_iteratorINS9_10device_ptrIiEEEENSB_INSC_IjEEEEPNS0_10empty_typeENS0_5tupleIJNS9_16discard_iteratorINS9_11use_defaultEEESH_EEENSJ_IJSG_SI_EEENS0_18inequality_wrapperINS9_8equal_toIiEEEEPmJSH_EEE10hipError_tPvRmT3_T4_T5_T6_T7_T9_mT8_P12ihipStream_tbDpT10_ENKUlT_T0_E_clISt17integral_constantIbLb1EES1D_EEDaS18_S19_EUlS18_E_NS1_11comp_targetILNS1_3genE3ELNS1_11target_archE908ELNS1_3gpuE7ELNS1_3repE0EEENS1_30default_config_static_selectorELNS0_4arch9wavefront6targetE0EEEvT1_,"axG",@progbits,_ZN7rocprim17ROCPRIM_400000_NS6detail17trampoline_kernelINS0_14default_configENS1_25partition_config_selectorILNS1_17partition_subalgoE9EijbEEZZNS1_14partition_implILS5_9ELb0ES3_jN6thrust23THRUST_200600_302600_NS6detail15normal_iteratorINS9_10device_ptrIiEEEENSB_INSC_IjEEEEPNS0_10empty_typeENS0_5tupleIJNS9_16discard_iteratorINS9_11use_defaultEEESH_EEENSJ_IJSG_SI_EEENS0_18inequality_wrapperINS9_8equal_toIiEEEEPmJSH_EEE10hipError_tPvRmT3_T4_T5_T6_T7_T9_mT8_P12ihipStream_tbDpT10_ENKUlT_T0_E_clISt17integral_constantIbLb1EES1D_EEDaS18_S19_EUlS18_E_NS1_11comp_targetILNS1_3genE3ELNS1_11target_archE908ELNS1_3gpuE7ELNS1_3repE0EEENS1_30default_config_static_selectorELNS0_4arch9wavefront6targetE0EEEvT1_,comdat
.Lfunc_end1152:
	.size	_ZN7rocprim17ROCPRIM_400000_NS6detail17trampoline_kernelINS0_14default_configENS1_25partition_config_selectorILNS1_17partition_subalgoE9EijbEEZZNS1_14partition_implILS5_9ELb0ES3_jN6thrust23THRUST_200600_302600_NS6detail15normal_iteratorINS9_10device_ptrIiEEEENSB_INSC_IjEEEEPNS0_10empty_typeENS0_5tupleIJNS9_16discard_iteratorINS9_11use_defaultEEESH_EEENSJ_IJSG_SI_EEENS0_18inequality_wrapperINS9_8equal_toIiEEEEPmJSH_EEE10hipError_tPvRmT3_T4_T5_T6_T7_T9_mT8_P12ihipStream_tbDpT10_ENKUlT_T0_E_clISt17integral_constantIbLb1EES1D_EEDaS18_S19_EUlS18_E_NS1_11comp_targetILNS1_3genE3ELNS1_11target_archE908ELNS1_3gpuE7ELNS1_3repE0EEENS1_30default_config_static_selectorELNS0_4arch9wavefront6targetE0EEEvT1_, .Lfunc_end1152-_ZN7rocprim17ROCPRIM_400000_NS6detail17trampoline_kernelINS0_14default_configENS1_25partition_config_selectorILNS1_17partition_subalgoE9EijbEEZZNS1_14partition_implILS5_9ELb0ES3_jN6thrust23THRUST_200600_302600_NS6detail15normal_iteratorINS9_10device_ptrIiEEEENSB_INSC_IjEEEEPNS0_10empty_typeENS0_5tupleIJNS9_16discard_iteratorINS9_11use_defaultEEESH_EEENSJ_IJSG_SI_EEENS0_18inequality_wrapperINS9_8equal_toIiEEEEPmJSH_EEE10hipError_tPvRmT3_T4_T5_T6_T7_T9_mT8_P12ihipStream_tbDpT10_ENKUlT_T0_E_clISt17integral_constantIbLb1EES1D_EEDaS18_S19_EUlS18_E_NS1_11comp_targetILNS1_3genE3ELNS1_11target_archE908ELNS1_3gpuE7ELNS1_3repE0EEENS1_30default_config_static_selectorELNS0_4arch9wavefront6targetE0EEEvT1_
                                        ; -- End function
	.section	.AMDGPU.csdata,"",@progbits
; Kernel info:
; codeLenInByte = 0
; NumSgprs: 0
; NumVgprs: 0
; ScratchSize: 0
; MemoryBound: 0
; FloatMode: 240
; IeeeMode: 1
; LDSByteSize: 0 bytes/workgroup (compile time only)
; SGPRBlocks: 0
; VGPRBlocks: 0
; NumSGPRsForWavesPerEU: 1
; NumVGPRsForWavesPerEU: 1
; Occupancy: 16
; WaveLimiterHint : 0
; COMPUTE_PGM_RSRC2:SCRATCH_EN: 0
; COMPUTE_PGM_RSRC2:USER_SGPR: 15
; COMPUTE_PGM_RSRC2:TRAP_HANDLER: 0
; COMPUTE_PGM_RSRC2:TGID_X_EN: 1
; COMPUTE_PGM_RSRC2:TGID_Y_EN: 0
; COMPUTE_PGM_RSRC2:TGID_Z_EN: 0
; COMPUTE_PGM_RSRC2:TIDIG_COMP_CNT: 0
	.section	.text._ZN7rocprim17ROCPRIM_400000_NS6detail17trampoline_kernelINS0_14default_configENS1_25partition_config_selectorILNS1_17partition_subalgoE9EijbEEZZNS1_14partition_implILS5_9ELb0ES3_jN6thrust23THRUST_200600_302600_NS6detail15normal_iteratorINS9_10device_ptrIiEEEENSB_INSC_IjEEEEPNS0_10empty_typeENS0_5tupleIJNS9_16discard_iteratorINS9_11use_defaultEEESH_EEENSJ_IJSG_SI_EEENS0_18inequality_wrapperINS9_8equal_toIiEEEEPmJSH_EEE10hipError_tPvRmT3_T4_T5_T6_T7_T9_mT8_P12ihipStream_tbDpT10_ENKUlT_T0_E_clISt17integral_constantIbLb1EES1D_EEDaS18_S19_EUlS18_E_NS1_11comp_targetILNS1_3genE2ELNS1_11target_archE906ELNS1_3gpuE6ELNS1_3repE0EEENS1_30default_config_static_selectorELNS0_4arch9wavefront6targetE0EEEvT1_,"axG",@progbits,_ZN7rocprim17ROCPRIM_400000_NS6detail17trampoline_kernelINS0_14default_configENS1_25partition_config_selectorILNS1_17partition_subalgoE9EijbEEZZNS1_14partition_implILS5_9ELb0ES3_jN6thrust23THRUST_200600_302600_NS6detail15normal_iteratorINS9_10device_ptrIiEEEENSB_INSC_IjEEEEPNS0_10empty_typeENS0_5tupleIJNS9_16discard_iteratorINS9_11use_defaultEEESH_EEENSJ_IJSG_SI_EEENS0_18inequality_wrapperINS9_8equal_toIiEEEEPmJSH_EEE10hipError_tPvRmT3_T4_T5_T6_T7_T9_mT8_P12ihipStream_tbDpT10_ENKUlT_T0_E_clISt17integral_constantIbLb1EES1D_EEDaS18_S19_EUlS18_E_NS1_11comp_targetILNS1_3genE2ELNS1_11target_archE906ELNS1_3gpuE6ELNS1_3repE0EEENS1_30default_config_static_selectorELNS0_4arch9wavefront6targetE0EEEvT1_,comdat
	.protected	_ZN7rocprim17ROCPRIM_400000_NS6detail17trampoline_kernelINS0_14default_configENS1_25partition_config_selectorILNS1_17partition_subalgoE9EijbEEZZNS1_14partition_implILS5_9ELb0ES3_jN6thrust23THRUST_200600_302600_NS6detail15normal_iteratorINS9_10device_ptrIiEEEENSB_INSC_IjEEEEPNS0_10empty_typeENS0_5tupleIJNS9_16discard_iteratorINS9_11use_defaultEEESH_EEENSJ_IJSG_SI_EEENS0_18inequality_wrapperINS9_8equal_toIiEEEEPmJSH_EEE10hipError_tPvRmT3_T4_T5_T6_T7_T9_mT8_P12ihipStream_tbDpT10_ENKUlT_T0_E_clISt17integral_constantIbLb1EES1D_EEDaS18_S19_EUlS18_E_NS1_11comp_targetILNS1_3genE2ELNS1_11target_archE906ELNS1_3gpuE6ELNS1_3repE0EEENS1_30default_config_static_selectorELNS0_4arch9wavefront6targetE0EEEvT1_ ; -- Begin function _ZN7rocprim17ROCPRIM_400000_NS6detail17trampoline_kernelINS0_14default_configENS1_25partition_config_selectorILNS1_17partition_subalgoE9EijbEEZZNS1_14partition_implILS5_9ELb0ES3_jN6thrust23THRUST_200600_302600_NS6detail15normal_iteratorINS9_10device_ptrIiEEEENSB_INSC_IjEEEEPNS0_10empty_typeENS0_5tupleIJNS9_16discard_iteratorINS9_11use_defaultEEESH_EEENSJ_IJSG_SI_EEENS0_18inequality_wrapperINS9_8equal_toIiEEEEPmJSH_EEE10hipError_tPvRmT3_T4_T5_T6_T7_T9_mT8_P12ihipStream_tbDpT10_ENKUlT_T0_E_clISt17integral_constantIbLb1EES1D_EEDaS18_S19_EUlS18_E_NS1_11comp_targetILNS1_3genE2ELNS1_11target_archE906ELNS1_3gpuE6ELNS1_3repE0EEENS1_30default_config_static_selectorELNS0_4arch9wavefront6targetE0EEEvT1_
	.globl	_ZN7rocprim17ROCPRIM_400000_NS6detail17trampoline_kernelINS0_14default_configENS1_25partition_config_selectorILNS1_17partition_subalgoE9EijbEEZZNS1_14partition_implILS5_9ELb0ES3_jN6thrust23THRUST_200600_302600_NS6detail15normal_iteratorINS9_10device_ptrIiEEEENSB_INSC_IjEEEEPNS0_10empty_typeENS0_5tupleIJNS9_16discard_iteratorINS9_11use_defaultEEESH_EEENSJ_IJSG_SI_EEENS0_18inequality_wrapperINS9_8equal_toIiEEEEPmJSH_EEE10hipError_tPvRmT3_T4_T5_T6_T7_T9_mT8_P12ihipStream_tbDpT10_ENKUlT_T0_E_clISt17integral_constantIbLb1EES1D_EEDaS18_S19_EUlS18_E_NS1_11comp_targetILNS1_3genE2ELNS1_11target_archE906ELNS1_3gpuE6ELNS1_3repE0EEENS1_30default_config_static_selectorELNS0_4arch9wavefront6targetE0EEEvT1_
	.p2align	8
	.type	_ZN7rocprim17ROCPRIM_400000_NS6detail17trampoline_kernelINS0_14default_configENS1_25partition_config_selectorILNS1_17partition_subalgoE9EijbEEZZNS1_14partition_implILS5_9ELb0ES3_jN6thrust23THRUST_200600_302600_NS6detail15normal_iteratorINS9_10device_ptrIiEEEENSB_INSC_IjEEEEPNS0_10empty_typeENS0_5tupleIJNS9_16discard_iteratorINS9_11use_defaultEEESH_EEENSJ_IJSG_SI_EEENS0_18inequality_wrapperINS9_8equal_toIiEEEEPmJSH_EEE10hipError_tPvRmT3_T4_T5_T6_T7_T9_mT8_P12ihipStream_tbDpT10_ENKUlT_T0_E_clISt17integral_constantIbLb1EES1D_EEDaS18_S19_EUlS18_E_NS1_11comp_targetILNS1_3genE2ELNS1_11target_archE906ELNS1_3gpuE6ELNS1_3repE0EEENS1_30default_config_static_selectorELNS0_4arch9wavefront6targetE0EEEvT1_,@function
_ZN7rocprim17ROCPRIM_400000_NS6detail17trampoline_kernelINS0_14default_configENS1_25partition_config_selectorILNS1_17partition_subalgoE9EijbEEZZNS1_14partition_implILS5_9ELb0ES3_jN6thrust23THRUST_200600_302600_NS6detail15normal_iteratorINS9_10device_ptrIiEEEENSB_INSC_IjEEEEPNS0_10empty_typeENS0_5tupleIJNS9_16discard_iteratorINS9_11use_defaultEEESH_EEENSJ_IJSG_SI_EEENS0_18inequality_wrapperINS9_8equal_toIiEEEEPmJSH_EEE10hipError_tPvRmT3_T4_T5_T6_T7_T9_mT8_P12ihipStream_tbDpT10_ENKUlT_T0_E_clISt17integral_constantIbLb1EES1D_EEDaS18_S19_EUlS18_E_NS1_11comp_targetILNS1_3genE2ELNS1_11target_archE906ELNS1_3gpuE6ELNS1_3repE0EEENS1_30default_config_static_selectorELNS0_4arch9wavefront6targetE0EEEvT1_: ; @_ZN7rocprim17ROCPRIM_400000_NS6detail17trampoline_kernelINS0_14default_configENS1_25partition_config_selectorILNS1_17partition_subalgoE9EijbEEZZNS1_14partition_implILS5_9ELb0ES3_jN6thrust23THRUST_200600_302600_NS6detail15normal_iteratorINS9_10device_ptrIiEEEENSB_INSC_IjEEEEPNS0_10empty_typeENS0_5tupleIJNS9_16discard_iteratorINS9_11use_defaultEEESH_EEENSJ_IJSG_SI_EEENS0_18inequality_wrapperINS9_8equal_toIiEEEEPmJSH_EEE10hipError_tPvRmT3_T4_T5_T6_T7_T9_mT8_P12ihipStream_tbDpT10_ENKUlT_T0_E_clISt17integral_constantIbLb1EES1D_EEDaS18_S19_EUlS18_E_NS1_11comp_targetILNS1_3genE2ELNS1_11target_archE906ELNS1_3gpuE6ELNS1_3repE0EEENS1_30default_config_static_selectorELNS0_4arch9wavefront6targetE0EEEvT1_
; %bb.0:
	.section	.rodata,"a",@progbits
	.p2align	6, 0x0
	.amdhsa_kernel _ZN7rocprim17ROCPRIM_400000_NS6detail17trampoline_kernelINS0_14default_configENS1_25partition_config_selectorILNS1_17partition_subalgoE9EijbEEZZNS1_14partition_implILS5_9ELb0ES3_jN6thrust23THRUST_200600_302600_NS6detail15normal_iteratorINS9_10device_ptrIiEEEENSB_INSC_IjEEEEPNS0_10empty_typeENS0_5tupleIJNS9_16discard_iteratorINS9_11use_defaultEEESH_EEENSJ_IJSG_SI_EEENS0_18inequality_wrapperINS9_8equal_toIiEEEEPmJSH_EEE10hipError_tPvRmT3_T4_T5_T6_T7_T9_mT8_P12ihipStream_tbDpT10_ENKUlT_T0_E_clISt17integral_constantIbLb1EES1D_EEDaS18_S19_EUlS18_E_NS1_11comp_targetILNS1_3genE2ELNS1_11target_archE906ELNS1_3gpuE6ELNS1_3repE0EEENS1_30default_config_static_selectorELNS0_4arch9wavefront6targetE0EEEvT1_
		.amdhsa_group_segment_fixed_size 0
		.amdhsa_private_segment_fixed_size 0
		.amdhsa_kernarg_size 136
		.amdhsa_user_sgpr_count 15
		.amdhsa_user_sgpr_dispatch_ptr 0
		.amdhsa_user_sgpr_queue_ptr 0
		.amdhsa_user_sgpr_kernarg_segment_ptr 1
		.amdhsa_user_sgpr_dispatch_id 0
		.amdhsa_user_sgpr_private_segment_size 0
		.amdhsa_wavefront_size32 1
		.amdhsa_uses_dynamic_stack 0
		.amdhsa_enable_private_segment 0
		.amdhsa_system_sgpr_workgroup_id_x 1
		.amdhsa_system_sgpr_workgroup_id_y 0
		.amdhsa_system_sgpr_workgroup_id_z 0
		.amdhsa_system_sgpr_workgroup_info 0
		.amdhsa_system_vgpr_workitem_id 0
		.amdhsa_next_free_vgpr 1
		.amdhsa_next_free_sgpr 1
		.amdhsa_reserve_vcc 0
		.amdhsa_float_round_mode_32 0
		.amdhsa_float_round_mode_16_64 0
		.amdhsa_float_denorm_mode_32 3
		.amdhsa_float_denorm_mode_16_64 3
		.amdhsa_dx10_clamp 1
		.amdhsa_ieee_mode 1
		.amdhsa_fp16_overflow 0
		.amdhsa_workgroup_processor_mode 1
		.amdhsa_memory_ordered 1
		.amdhsa_forward_progress 0
		.amdhsa_shared_vgpr_count 0
		.amdhsa_exception_fp_ieee_invalid_op 0
		.amdhsa_exception_fp_denorm_src 0
		.amdhsa_exception_fp_ieee_div_zero 0
		.amdhsa_exception_fp_ieee_overflow 0
		.amdhsa_exception_fp_ieee_underflow 0
		.amdhsa_exception_fp_ieee_inexact 0
		.amdhsa_exception_int_div_zero 0
	.end_amdhsa_kernel
	.section	.text._ZN7rocprim17ROCPRIM_400000_NS6detail17trampoline_kernelINS0_14default_configENS1_25partition_config_selectorILNS1_17partition_subalgoE9EijbEEZZNS1_14partition_implILS5_9ELb0ES3_jN6thrust23THRUST_200600_302600_NS6detail15normal_iteratorINS9_10device_ptrIiEEEENSB_INSC_IjEEEEPNS0_10empty_typeENS0_5tupleIJNS9_16discard_iteratorINS9_11use_defaultEEESH_EEENSJ_IJSG_SI_EEENS0_18inequality_wrapperINS9_8equal_toIiEEEEPmJSH_EEE10hipError_tPvRmT3_T4_T5_T6_T7_T9_mT8_P12ihipStream_tbDpT10_ENKUlT_T0_E_clISt17integral_constantIbLb1EES1D_EEDaS18_S19_EUlS18_E_NS1_11comp_targetILNS1_3genE2ELNS1_11target_archE906ELNS1_3gpuE6ELNS1_3repE0EEENS1_30default_config_static_selectorELNS0_4arch9wavefront6targetE0EEEvT1_,"axG",@progbits,_ZN7rocprim17ROCPRIM_400000_NS6detail17trampoline_kernelINS0_14default_configENS1_25partition_config_selectorILNS1_17partition_subalgoE9EijbEEZZNS1_14partition_implILS5_9ELb0ES3_jN6thrust23THRUST_200600_302600_NS6detail15normal_iteratorINS9_10device_ptrIiEEEENSB_INSC_IjEEEEPNS0_10empty_typeENS0_5tupleIJNS9_16discard_iteratorINS9_11use_defaultEEESH_EEENSJ_IJSG_SI_EEENS0_18inequality_wrapperINS9_8equal_toIiEEEEPmJSH_EEE10hipError_tPvRmT3_T4_T5_T6_T7_T9_mT8_P12ihipStream_tbDpT10_ENKUlT_T0_E_clISt17integral_constantIbLb1EES1D_EEDaS18_S19_EUlS18_E_NS1_11comp_targetILNS1_3genE2ELNS1_11target_archE906ELNS1_3gpuE6ELNS1_3repE0EEENS1_30default_config_static_selectorELNS0_4arch9wavefront6targetE0EEEvT1_,comdat
.Lfunc_end1153:
	.size	_ZN7rocprim17ROCPRIM_400000_NS6detail17trampoline_kernelINS0_14default_configENS1_25partition_config_selectorILNS1_17partition_subalgoE9EijbEEZZNS1_14partition_implILS5_9ELb0ES3_jN6thrust23THRUST_200600_302600_NS6detail15normal_iteratorINS9_10device_ptrIiEEEENSB_INSC_IjEEEEPNS0_10empty_typeENS0_5tupleIJNS9_16discard_iteratorINS9_11use_defaultEEESH_EEENSJ_IJSG_SI_EEENS0_18inequality_wrapperINS9_8equal_toIiEEEEPmJSH_EEE10hipError_tPvRmT3_T4_T5_T6_T7_T9_mT8_P12ihipStream_tbDpT10_ENKUlT_T0_E_clISt17integral_constantIbLb1EES1D_EEDaS18_S19_EUlS18_E_NS1_11comp_targetILNS1_3genE2ELNS1_11target_archE906ELNS1_3gpuE6ELNS1_3repE0EEENS1_30default_config_static_selectorELNS0_4arch9wavefront6targetE0EEEvT1_, .Lfunc_end1153-_ZN7rocprim17ROCPRIM_400000_NS6detail17trampoline_kernelINS0_14default_configENS1_25partition_config_selectorILNS1_17partition_subalgoE9EijbEEZZNS1_14partition_implILS5_9ELb0ES3_jN6thrust23THRUST_200600_302600_NS6detail15normal_iteratorINS9_10device_ptrIiEEEENSB_INSC_IjEEEEPNS0_10empty_typeENS0_5tupleIJNS9_16discard_iteratorINS9_11use_defaultEEESH_EEENSJ_IJSG_SI_EEENS0_18inequality_wrapperINS9_8equal_toIiEEEEPmJSH_EEE10hipError_tPvRmT3_T4_T5_T6_T7_T9_mT8_P12ihipStream_tbDpT10_ENKUlT_T0_E_clISt17integral_constantIbLb1EES1D_EEDaS18_S19_EUlS18_E_NS1_11comp_targetILNS1_3genE2ELNS1_11target_archE906ELNS1_3gpuE6ELNS1_3repE0EEENS1_30default_config_static_selectorELNS0_4arch9wavefront6targetE0EEEvT1_
                                        ; -- End function
	.section	.AMDGPU.csdata,"",@progbits
; Kernel info:
; codeLenInByte = 0
; NumSgprs: 0
; NumVgprs: 0
; ScratchSize: 0
; MemoryBound: 0
; FloatMode: 240
; IeeeMode: 1
; LDSByteSize: 0 bytes/workgroup (compile time only)
; SGPRBlocks: 0
; VGPRBlocks: 0
; NumSGPRsForWavesPerEU: 1
; NumVGPRsForWavesPerEU: 1
; Occupancy: 16
; WaveLimiterHint : 0
; COMPUTE_PGM_RSRC2:SCRATCH_EN: 0
; COMPUTE_PGM_RSRC2:USER_SGPR: 15
; COMPUTE_PGM_RSRC2:TRAP_HANDLER: 0
; COMPUTE_PGM_RSRC2:TGID_X_EN: 1
; COMPUTE_PGM_RSRC2:TGID_Y_EN: 0
; COMPUTE_PGM_RSRC2:TGID_Z_EN: 0
; COMPUTE_PGM_RSRC2:TIDIG_COMP_CNT: 0
	.section	.text._ZN7rocprim17ROCPRIM_400000_NS6detail17trampoline_kernelINS0_14default_configENS1_25partition_config_selectorILNS1_17partition_subalgoE9EijbEEZZNS1_14partition_implILS5_9ELb0ES3_jN6thrust23THRUST_200600_302600_NS6detail15normal_iteratorINS9_10device_ptrIiEEEENSB_INSC_IjEEEEPNS0_10empty_typeENS0_5tupleIJNS9_16discard_iteratorINS9_11use_defaultEEESH_EEENSJ_IJSG_SI_EEENS0_18inequality_wrapperINS9_8equal_toIiEEEEPmJSH_EEE10hipError_tPvRmT3_T4_T5_T6_T7_T9_mT8_P12ihipStream_tbDpT10_ENKUlT_T0_E_clISt17integral_constantIbLb1EES1D_EEDaS18_S19_EUlS18_E_NS1_11comp_targetILNS1_3genE10ELNS1_11target_archE1200ELNS1_3gpuE4ELNS1_3repE0EEENS1_30default_config_static_selectorELNS0_4arch9wavefront6targetE0EEEvT1_,"axG",@progbits,_ZN7rocprim17ROCPRIM_400000_NS6detail17trampoline_kernelINS0_14default_configENS1_25partition_config_selectorILNS1_17partition_subalgoE9EijbEEZZNS1_14partition_implILS5_9ELb0ES3_jN6thrust23THRUST_200600_302600_NS6detail15normal_iteratorINS9_10device_ptrIiEEEENSB_INSC_IjEEEEPNS0_10empty_typeENS0_5tupleIJNS9_16discard_iteratorINS9_11use_defaultEEESH_EEENSJ_IJSG_SI_EEENS0_18inequality_wrapperINS9_8equal_toIiEEEEPmJSH_EEE10hipError_tPvRmT3_T4_T5_T6_T7_T9_mT8_P12ihipStream_tbDpT10_ENKUlT_T0_E_clISt17integral_constantIbLb1EES1D_EEDaS18_S19_EUlS18_E_NS1_11comp_targetILNS1_3genE10ELNS1_11target_archE1200ELNS1_3gpuE4ELNS1_3repE0EEENS1_30default_config_static_selectorELNS0_4arch9wavefront6targetE0EEEvT1_,comdat
	.protected	_ZN7rocprim17ROCPRIM_400000_NS6detail17trampoline_kernelINS0_14default_configENS1_25partition_config_selectorILNS1_17partition_subalgoE9EijbEEZZNS1_14partition_implILS5_9ELb0ES3_jN6thrust23THRUST_200600_302600_NS6detail15normal_iteratorINS9_10device_ptrIiEEEENSB_INSC_IjEEEEPNS0_10empty_typeENS0_5tupleIJNS9_16discard_iteratorINS9_11use_defaultEEESH_EEENSJ_IJSG_SI_EEENS0_18inequality_wrapperINS9_8equal_toIiEEEEPmJSH_EEE10hipError_tPvRmT3_T4_T5_T6_T7_T9_mT8_P12ihipStream_tbDpT10_ENKUlT_T0_E_clISt17integral_constantIbLb1EES1D_EEDaS18_S19_EUlS18_E_NS1_11comp_targetILNS1_3genE10ELNS1_11target_archE1200ELNS1_3gpuE4ELNS1_3repE0EEENS1_30default_config_static_selectorELNS0_4arch9wavefront6targetE0EEEvT1_ ; -- Begin function _ZN7rocprim17ROCPRIM_400000_NS6detail17trampoline_kernelINS0_14default_configENS1_25partition_config_selectorILNS1_17partition_subalgoE9EijbEEZZNS1_14partition_implILS5_9ELb0ES3_jN6thrust23THRUST_200600_302600_NS6detail15normal_iteratorINS9_10device_ptrIiEEEENSB_INSC_IjEEEEPNS0_10empty_typeENS0_5tupleIJNS9_16discard_iteratorINS9_11use_defaultEEESH_EEENSJ_IJSG_SI_EEENS0_18inequality_wrapperINS9_8equal_toIiEEEEPmJSH_EEE10hipError_tPvRmT3_T4_T5_T6_T7_T9_mT8_P12ihipStream_tbDpT10_ENKUlT_T0_E_clISt17integral_constantIbLb1EES1D_EEDaS18_S19_EUlS18_E_NS1_11comp_targetILNS1_3genE10ELNS1_11target_archE1200ELNS1_3gpuE4ELNS1_3repE0EEENS1_30default_config_static_selectorELNS0_4arch9wavefront6targetE0EEEvT1_
	.globl	_ZN7rocprim17ROCPRIM_400000_NS6detail17trampoline_kernelINS0_14default_configENS1_25partition_config_selectorILNS1_17partition_subalgoE9EijbEEZZNS1_14partition_implILS5_9ELb0ES3_jN6thrust23THRUST_200600_302600_NS6detail15normal_iteratorINS9_10device_ptrIiEEEENSB_INSC_IjEEEEPNS0_10empty_typeENS0_5tupleIJNS9_16discard_iteratorINS9_11use_defaultEEESH_EEENSJ_IJSG_SI_EEENS0_18inequality_wrapperINS9_8equal_toIiEEEEPmJSH_EEE10hipError_tPvRmT3_T4_T5_T6_T7_T9_mT8_P12ihipStream_tbDpT10_ENKUlT_T0_E_clISt17integral_constantIbLb1EES1D_EEDaS18_S19_EUlS18_E_NS1_11comp_targetILNS1_3genE10ELNS1_11target_archE1200ELNS1_3gpuE4ELNS1_3repE0EEENS1_30default_config_static_selectorELNS0_4arch9wavefront6targetE0EEEvT1_
	.p2align	8
	.type	_ZN7rocprim17ROCPRIM_400000_NS6detail17trampoline_kernelINS0_14default_configENS1_25partition_config_selectorILNS1_17partition_subalgoE9EijbEEZZNS1_14partition_implILS5_9ELb0ES3_jN6thrust23THRUST_200600_302600_NS6detail15normal_iteratorINS9_10device_ptrIiEEEENSB_INSC_IjEEEEPNS0_10empty_typeENS0_5tupleIJNS9_16discard_iteratorINS9_11use_defaultEEESH_EEENSJ_IJSG_SI_EEENS0_18inequality_wrapperINS9_8equal_toIiEEEEPmJSH_EEE10hipError_tPvRmT3_T4_T5_T6_T7_T9_mT8_P12ihipStream_tbDpT10_ENKUlT_T0_E_clISt17integral_constantIbLb1EES1D_EEDaS18_S19_EUlS18_E_NS1_11comp_targetILNS1_3genE10ELNS1_11target_archE1200ELNS1_3gpuE4ELNS1_3repE0EEENS1_30default_config_static_selectorELNS0_4arch9wavefront6targetE0EEEvT1_,@function
_ZN7rocprim17ROCPRIM_400000_NS6detail17trampoline_kernelINS0_14default_configENS1_25partition_config_selectorILNS1_17partition_subalgoE9EijbEEZZNS1_14partition_implILS5_9ELb0ES3_jN6thrust23THRUST_200600_302600_NS6detail15normal_iteratorINS9_10device_ptrIiEEEENSB_INSC_IjEEEEPNS0_10empty_typeENS0_5tupleIJNS9_16discard_iteratorINS9_11use_defaultEEESH_EEENSJ_IJSG_SI_EEENS0_18inequality_wrapperINS9_8equal_toIiEEEEPmJSH_EEE10hipError_tPvRmT3_T4_T5_T6_T7_T9_mT8_P12ihipStream_tbDpT10_ENKUlT_T0_E_clISt17integral_constantIbLb1EES1D_EEDaS18_S19_EUlS18_E_NS1_11comp_targetILNS1_3genE10ELNS1_11target_archE1200ELNS1_3gpuE4ELNS1_3repE0EEENS1_30default_config_static_selectorELNS0_4arch9wavefront6targetE0EEEvT1_: ; @_ZN7rocprim17ROCPRIM_400000_NS6detail17trampoline_kernelINS0_14default_configENS1_25partition_config_selectorILNS1_17partition_subalgoE9EijbEEZZNS1_14partition_implILS5_9ELb0ES3_jN6thrust23THRUST_200600_302600_NS6detail15normal_iteratorINS9_10device_ptrIiEEEENSB_INSC_IjEEEEPNS0_10empty_typeENS0_5tupleIJNS9_16discard_iteratorINS9_11use_defaultEEESH_EEENSJ_IJSG_SI_EEENS0_18inequality_wrapperINS9_8equal_toIiEEEEPmJSH_EEE10hipError_tPvRmT3_T4_T5_T6_T7_T9_mT8_P12ihipStream_tbDpT10_ENKUlT_T0_E_clISt17integral_constantIbLb1EES1D_EEDaS18_S19_EUlS18_E_NS1_11comp_targetILNS1_3genE10ELNS1_11target_archE1200ELNS1_3gpuE4ELNS1_3repE0EEENS1_30default_config_static_selectorELNS0_4arch9wavefront6targetE0EEEvT1_
; %bb.0:
	.section	.rodata,"a",@progbits
	.p2align	6, 0x0
	.amdhsa_kernel _ZN7rocprim17ROCPRIM_400000_NS6detail17trampoline_kernelINS0_14default_configENS1_25partition_config_selectorILNS1_17partition_subalgoE9EijbEEZZNS1_14partition_implILS5_9ELb0ES3_jN6thrust23THRUST_200600_302600_NS6detail15normal_iteratorINS9_10device_ptrIiEEEENSB_INSC_IjEEEEPNS0_10empty_typeENS0_5tupleIJNS9_16discard_iteratorINS9_11use_defaultEEESH_EEENSJ_IJSG_SI_EEENS0_18inequality_wrapperINS9_8equal_toIiEEEEPmJSH_EEE10hipError_tPvRmT3_T4_T5_T6_T7_T9_mT8_P12ihipStream_tbDpT10_ENKUlT_T0_E_clISt17integral_constantIbLb1EES1D_EEDaS18_S19_EUlS18_E_NS1_11comp_targetILNS1_3genE10ELNS1_11target_archE1200ELNS1_3gpuE4ELNS1_3repE0EEENS1_30default_config_static_selectorELNS0_4arch9wavefront6targetE0EEEvT1_
		.amdhsa_group_segment_fixed_size 0
		.amdhsa_private_segment_fixed_size 0
		.amdhsa_kernarg_size 136
		.amdhsa_user_sgpr_count 15
		.amdhsa_user_sgpr_dispatch_ptr 0
		.amdhsa_user_sgpr_queue_ptr 0
		.amdhsa_user_sgpr_kernarg_segment_ptr 1
		.amdhsa_user_sgpr_dispatch_id 0
		.amdhsa_user_sgpr_private_segment_size 0
		.amdhsa_wavefront_size32 1
		.amdhsa_uses_dynamic_stack 0
		.amdhsa_enable_private_segment 0
		.amdhsa_system_sgpr_workgroup_id_x 1
		.amdhsa_system_sgpr_workgroup_id_y 0
		.amdhsa_system_sgpr_workgroup_id_z 0
		.amdhsa_system_sgpr_workgroup_info 0
		.amdhsa_system_vgpr_workitem_id 0
		.amdhsa_next_free_vgpr 1
		.amdhsa_next_free_sgpr 1
		.amdhsa_reserve_vcc 0
		.amdhsa_float_round_mode_32 0
		.amdhsa_float_round_mode_16_64 0
		.amdhsa_float_denorm_mode_32 3
		.amdhsa_float_denorm_mode_16_64 3
		.amdhsa_dx10_clamp 1
		.amdhsa_ieee_mode 1
		.amdhsa_fp16_overflow 0
		.amdhsa_workgroup_processor_mode 1
		.amdhsa_memory_ordered 1
		.amdhsa_forward_progress 0
		.amdhsa_shared_vgpr_count 0
		.amdhsa_exception_fp_ieee_invalid_op 0
		.amdhsa_exception_fp_denorm_src 0
		.amdhsa_exception_fp_ieee_div_zero 0
		.amdhsa_exception_fp_ieee_overflow 0
		.amdhsa_exception_fp_ieee_underflow 0
		.amdhsa_exception_fp_ieee_inexact 0
		.amdhsa_exception_int_div_zero 0
	.end_amdhsa_kernel
	.section	.text._ZN7rocprim17ROCPRIM_400000_NS6detail17trampoline_kernelINS0_14default_configENS1_25partition_config_selectorILNS1_17partition_subalgoE9EijbEEZZNS1_14partition_implILS5_9ELb0ES3_jN6thrust23THRUST_200600_302600_NS6detail15normal_iteratorINS9_10device_ptrIiEEEENSB_INSC_IjEEEEPNS0_10empty_typeENS0_5tupleIJNS9_16discard_iteratorINS9_11use_defaultEEESH_EEENSJ_IJSG_SI_EEENS0_18inequality_wrapperINS9_8equal_toIiEEEEPmJSH_EEE10hipError_tPvRmT3_T4_T5_T6_T7_T9_mT8_P12ihipStream_tbDpT10_ENKUlT_T0_E_clISt17integral_constantIbLb1EES1D_EEDaS18_S19_EUlS18_E_NS1_11comp_targetILNS1_3genE10ELNS1_11target_archE1200ELNS1_3gpuE4ELNS1_3repE0EEENS1_30default_config_static_selectorELNS0_4arch9wavefront6targetE0EEEvT1_,"axG",@progbits,_ZN7rocprim17ROCPRIM_400000_NS6detail17trampoline_kernelINS0_14default_configENS1_25partition_config_selectorILNS1_17partition_subalgoE9EijbEEZZNS1_14partition_implILS5_9ELb0ES3_jN6thrust23THRUST_200600_302600_NS6detail15normal_iteratorINS9_10device_ptrIiEEEENSB_INSC_IjEEEEPNS0_10empty_typeENS0_5tupleIJNS9_16discard_iteratorINS9_11use_defaultEEESH_EEENSJ_IJSG_SI_EEENS0_18inequality_wrapperINS9_8equal_toIiEEEEPmJSH_EEE10hipError_tPvRmT3_T4_T5_T6_T7_T9_mT8_P12ihipStream_tbDpT10_ENKUlT_T0_E_clISt17integral_constantIbLb1EES1D_EEDaS18_S19_EUlS18_E_NS1_11comp_targetILNS1_3genE10ELNS1_11target_archE1200ELNS1_3gpuE4ELNS1_3repE0EEENS1_30default_config_static_selectorELNS0_4arch9wavefront6targetE0EEEvT1_,comdat
.Lfunc_end1154:
	.size	_ZN7rocprim17ROCPRIM_400000_NS6detail17trampoline_kernelINS0_14default_configENS1_25partition_config_selectorILNS1_17partition_subalgoE9EijbEEZZNS1_14partition_implILS5_9ELb0ES3_jN6thrust23THRUST_200600_302600_NS6detail15normal_iteratorINS9_10device_ptrIiEEEENSB_INSC_IjEEEEPNS0_10empty_typeENS0_5tupleIJNS9_16discard_iteratorINS9_11use_defaultEEESH_EEENSJ_IJSG_SI_EEENS0_18inequality_wrapperINS9_8equal_toIiEEEEPmJSH_EEE10hipError_tPvRmT3_T4_T5_T6_T7_T9_mT8_P12ihipStream_tbDpT10_ENKUlT_T0_E_clISt17integral_constantIbLb1EES1D_EEDaS18_S19_EUlS18_E_NS1_11comp_targetILNS1_3genE10ELNS1_11target_archE1200ELNS1_3gpuE4ELNS1_3repE0EEENS1_30default_config_static_selectorELNS0_4arch9wavefront6targetE0EEEvT1_, .Lfunc_end1154-_ZN7rocprim17ROCPRIM_400000_NS6detail17trampoline_kernelINS0_14default_configENS1_25partition_config_selectorILNS1_17partition_subalgoE9EijbEEZZNS1_14partition_implILS5_9ELb0ES3_jN6thrust23THRUST_200600_302600_NS6detail15normal_iteratorINS9_10device_ptrIiEEEENSB_INSC_IjEEEEPNS0_10empty_typeENS0_5tupleIJNS9_16discard_iteratorINS9_11use_defaultEEESH_EEENSJ_IJSG_SI_EEENS0_18inequality_wrapperINS9_8equal_toIiEEEEPmJSH_EEE10hipError_tPvRmT3_T4_T5_T6_T7_T9_mT8_P12ihipStream_tbDpT10_ENKUlT_T0_E_clISt17integral_constantIbLb1EES1D_EEDaS18_S19_EUlS18_E_NS1_11comp_targetILNS1_3genE10ELNS1_11target_archE1200ELNS1_3gpuE4ELNS1_3repE0EEENS1_30default_config_static_selectorELNS0_4arch9wavefront6targetE0EEEvT1_
                                        ; -- End function
	.section	.AMDGPU.csdata,"",@progbits
; Kernel info:
; codeLenInByte = 0
; NumSgprs: 0
; NumVgprs: 0
; ScratchSize: 0
; MemoryBound: 0
; FloatMode: 240
; IeeeMode: 1
; LDSByteSize: 0 bytes/workgroup (compile time only)
; SGPRBlocks: 0
; VGPRBlocks: 0
; NumSGPRsForWavesPerEU: 1
; NumVGPRsForWavesPerEU: 1
; Occupancy: 15
; WaveLimiterHint : 0
; COMPUTE_PGM_RSRC2:SCRATCH_EN: 0
; COMPUTE_PGM_RSRC2:USER_SGPR: 15
; COMPUTE_PGM_RSRC2:TRAP_HANDLER: 0
; COMPUTE_PGM_RSRC2:TGID_X_EN: 1
; COMPUTE_PGM_RSRC2:TGID_Y_EN: 0
; COMPUTE_PGM_RSRC2:TGID_Z_EN: 0
; COMPUTE_PGM_RSRC2:TIDIG_COMP_CNT: 0
	.section	.text._ZN7rocprim17ROCPRIM_400000_NS6detail17trampoline_kernelINS0_14default_configENS1_25partition_config_selectorILNS1_17partition_subalgoE9EijbEEZZNS1_14partition_implILS5_9ELb0ES3_jN6thrust23THRUST_200600_302600_NS6detail15normal_iteratorINS9_10device_ptrIiEEEENSB_INSC_IjEEEEPNS0_10empty_typeENS0_5tupleIJNS9_16discard_iteratorINS9_11use_defaultEEESH_EEENSJ_IJSG_SI_EEENS0_18inequality_wrapperINS9_8equal_toIiEEEEPmJSH_EEE10hipError_tPvRmT3_T4_T5_T6_T7_T9_mT8_P12ihipStream_tbDpT10_ENKUlT_T0_E_clISt17integral_constantIbLb1EES1D_EEDaS18_S19_EUlS18_E_NS1_11comp_targetILNS1_3genE9ELNS1_11target_archE1100ELNS1_3gpuE3ELNS1_3repE0EEENS1_30default_config_static_selectorELNS0_4arch9wavefront6targetE0EEEvT1_,"axG",@progbits,_ZN7rocprim17ROCPRIM_400000_NS6detail17trampoline_kernelINS0_14default_configENS1_25partition_config_selectorILNS1_17partition_subalgoE9EijbEEZZNS1_14partition_implILS5_9ELb0ES3_jN6thrust23THRUST_200600_302600_NS6detail15normal_iteratorINS9_10device_ptrIiEEEENSB_INSC_IjEEEEPNS0_10empty_typeENS0_5tupleIJNS9_16discard_iteratorINS9_11use_defaultEEESH_EEENSJ_IJSG_SI_EEENS0_18inequality_wrapperINS9_8equal_toIiEEEEPmJSH_EEE10hipError_tPvRmT3_T4_T5_T6_T7_T9_mT8_P12ihipStream_tbDpT10_ENKUlT_T0_E_clISt17integral_constantIbLb1EES1D_EEDaS18_S19_EUlS18_E_NS1_11comp_targetILNS1_3genE9ELNS1_11target_archE1100ELNS1_3gpuE3ELNS1_3repE0EEENS1_30default_config_static_selectorELNS0_4arch9wavefront6targetE0EEEvT1_,comdat
	.protected	_ZN7rocprim17ROCPRIM_400000_NS6detail17trampoline_kernelINS0_14default_configENS1_25partition_config_selectorILNS1_17partition_subalgoE9EijbEEZZNS1_14partition_implILS5_9ELb0ES3_jN6thrust23THRUST_200600_302600_NS6detail15normal_iteratorINS9_10device_ptrIiEEEENSB_INSC_IjEEEEPNS0_10empty_typeENS0_5tupleIJNS9_16discard_iteratorINS9_11use_defaultEEESH_EEENSJ_IJSG_SI_EEENS0_18inequality_wrapperINS9_8equal_toIiEEEEPmJSH_EEE10hipError_tPvRmT3_T4_T5_T6_T7_T9_mT8_P12ihipStream_tbDpT10_ENKUlT_T0_E_clISt17integral_constantIbLb1EES1D_EEDaS18_S19_EUlS18_E_NS1_11comp_targetILNS1_3genE9ELNS1_11target_archE1100ELNS1_3gpuE3ELNS1_3repE0EEENS1_30default_config_static_selectorELNS0_4arch9wavefront6targetE0EEEvT1_ ; -- Begin function _ZN7rocprim17ROCPRIM_400000_NS6detail17trampoline_kernelINS0_14default_configENS1_25partition_config_selectorILNS1_17partition_subalgoE9EijbEEZZNS1_14partition_implILS5_9ELb0ES3_jN6thrust23THRUST_200600_302600_NS6detail15normal_iteratorINS9_10device_ptrIiEEEENSB_INSC_IjEEEEPNS0_10empty_typeENS0_5tupleIJNS9_16discard_iteratorINS9_11use_defaultEEESH_EEENSJ_IJSG_SI_EEENS0_18inequality_wrapperINS9_8equal_toIiEEEEPmJSH_EEE10hipError_tPvRmT3_T4_T5_T6_T7_T9_mT8_P12ihipStream_tbDpT10_ENKUlT_T0_E_clISt17integral_constantIbLb1EES1D_EEDaS18_S19_EUlS18_E_NS1_11comp_targetILNS1_3genE9ELNS1_11target_archE1100ELNS1_3gpuE3ELNS1_3repE0EEENS1_30default_config_static_selectorELNS0_4arch9wavefront6targetE0EEEvT1_
	.globl	_ZN7rocprim17ROCPRIM_400000_NS6detail17trampoline_kernelINS0_14default_configENS1_25partition_config_selectorILNS1_17partition_subalgoE9EijbEEZZNS1_14partition_implILS5_9ELb0ES3_jN6thrust23THRUST_200600_302600_NS6detail15normal_iteratorINS9_10device_ptrIiEEEENSB_INSC_IjEEEEPNS0_10empty_typeENS0_5tupleIJNS9_16discard_iteratorINS9_11use_defaultEEESH_EEENSJ_IJSG_SI_EEENS0_18inequality_wrapperINS9_8equal_toIiEEEEPmJSH_EEE10hipError_tPvRmT3_T4_T5_T6_T7_T9_mT8_P12ihipStream_tbDpT10_ENKUlT_T0_E_clISt17integral_constantIbLb1EES1D_EEDaS18_S19_EUlS18_E_NS1_11comp_targetILNS1_3genE9ELNS1_11target_archE1100ELNS1_3gpuE3ELNS1_3repE0EEENS1_30default_config_static_selectorELNS0_4arch9wavefront6targetE0EEEvT1_
	.p2align	8
	.type	_ZN7rocprim17ROCPRIM_400000_NS6detail17trampoline_kernelINS0_14default_configENS1_25partition_config_selectorILNS1_17partition_subalgoE9EijbEEZZNS1_14partition_implILS5_9ELb0ES3_jN6thrust23THRUST_200600_302600_NS6detail15normal_iteratorINS9_10device_ptrIiEEEENSB_INSC_IjEEEEPNS0_10empty_typeENS0_5tupleIJNS9_16discard_iteratorINS9_11use_defaultEEESH_EEENSJ_IJSG_SI_EEENS0_18inequality_wrapperINS9_8equal_toIiEEEEPmJSH_EEE10hipError_tPvRmT3_T4_T5_T6_T7_T9_mT8_P12ihipStream_tbDpT10_ENKUlT_T0_E_clISt17integral_constantIbLb1EES1D_EEDaS18_S19_EUlS18_E_NS1_11comp_targetILNS1_3genE9ELNS1_11target_archE1100ELNS1_3gpuE3ELNS1_3repE0EEENS1_30default_config_static_selectorELNS0_4arch9wavefront6targetE0EEEvT1_,@function
_ZN7rocprim17ROCPRIM_400000_NS6detail17trampoline_kernelINS0_14default_configENS1_25partition_config_selectorILNS1_17partition_subalgoE9EijbEEZZNS1_14partition_implILS5_9ELb0ES3_jN6thrust23THRUST_200600_302600_NS6detail15normal_iteratorINS9_10device_ptrIiEEEENSB_INSC_IjEEEEPNS0_10empty_typeENS0_5tupleIJNS9_16discard_iteratorINS9_11use_defaultEEESH_EEENSJ_IJSG_SI_EEENS0_18inequality_wrapperINS9_8equal_toIiEEEEPmJSH_EEE10hipError_tPvRmT3_T4_T5_T6_T7_T9_mT8_P12ihipStream_tbDpT10_ENKUlT_T0_E_clISt17integral_constantIbLb1EES1D_EEDaS18_S19_EUlS18_E_NS1_11comp_targetILNS1_3genE9ELNS1_11target_archE1100ELNS1_3gpuE3ELNS1_3repE0EEENS1_30default_config_static_selectorELNS0_4arch9wavefront6targetE0EEEvT1_: ; @_ZN7rocprim17ROCPRIM_400000_NS6detail17trampoline_kernelINS0_14default_configENS1_25partition_config_selectorILNS1_17partition_subalgoE9EijbEEZZNS1_14partition_implILS5_9ELb0ES3_jN6thrust23THRUST_200600_302600_NS6detail15normal_iteratorINS9_10device_ptrIiEEEENSB_INSC_IjEEEEPNS0_10empty_typeENS0_5tupleIJNS9_16discard_iteratorINS9_11use_defaultEEESH_EEENSJ_IJSG_SI_EEENS0_18inequality_wrapperINS9_8equal_toIiEEEEPmJSH_EEE10hipError_tPvRmT3_T4_T5_T6_T7_T9_mT8_P12ihipStream_tbDpT10_ENKUlT_T0_E_clISt17integral_constantIbLb1EES1D_EEDaS18_S19_EUlS18_E_NS1_11comp_targetILNS1_3genE9ELNS1_11target_archE1100ELNS1_3gpuE3ELNS1_3repE0EEENS1_30default_config_static_selectorELNS0_4arch9wavefront6targetE0EEEvT1_
; %bb.0:
	s_clause 0x5
	s_load_b128 s[4:7], s[0:1], 0x8
	s_load_b64 s[8:9], s[0:1], 0x18
	s_load_b64 s[10:11], s[0:1], 0x38
	s_load_b128 s[12:15], s[0:1], 0x48
	s_load_b64 s[18:19], s[0:1], 0x58
	s_load_b64 s[16:17], s[0:1], 0x68
	v_cmp_ne_u32_e64 s3, 0, v0
	v_cmp_eq_u32_e64 s2, 0, v0
	s_delay_alu instid0(VALU_DEP_1)
	s_and_saveexec_b32 s20, s2
	s_cbranch_execz .LBB1155_4
; %bb.1:
	s_mov_b32 s22, exec_lo
	s_mov_b32 s21, exec_lo
	v_mbcnt_lo_u32_b32 v1, s22, 0
                                        ; implicit-def: $vgpr2
	s_delay_alu instid0(VALU_DEP_1)
	v_cmpx_eq_u32_e32 0, v1
	s_cbranch_execz .LBB1155_3
; %bb.2:
	s_load_b64 s[24:25], s[0:1], 0x78
	s_bcnt1_i32_b32 s22, s22
	s_delay_alu instid0(SALU_CYCLE_1)
	v_dual_mov_b32 v2, 0 :: v_dual_mov_b32 v3, s22
	s_waitcnt lgkmcnt(0)
	global_atomic_add_u32 v2, v2, v3, s[24:25] glc
.LBB1155_3:
	s_or_b32 exec_lo, exec_lo, s21
	s_waitcnt vmcnt(0)
	v_readfirstlane_b32 s21, v2
	s_delay_alu instid0(VALU_DEP_1)
	v_dual_mov_b32 v2, 0 :: v_dual_add_nc_u32 v1, s21, v1
	ds_store_b32 v2, v1
.LBB1155_4:
	s_or_b32 exec_lo, exec_lo, s20
	v_dual_mov_b32 v1, 0 :: v_dual_add_nc_u32 v24, 0x300, v0
	s_waitcnt lgkmcnt(0)
	s_barrier
	buffer_gl0_inv
	ds_load_b32 v2, v1
	s_waitcnt lgkmcnt(0)
	s_barrier
	buffer_gl0_inv
	global_load_b64 v[9:10], v1, s[14:15]
	s_load_b32 s0, s[0:1], 0x70
	s_lshl_b64 s[14:15], s[6:7], 2
	v_lshrrev_b32_e32 v23, 3, v0
	s_add_u32 s23, s4, s14
	s_addc_u32 s24, s5, s15
	v_add_nc_u32_e32 v25, 0x180, v0
	v_add_nc_u32_e32 v22, 0x480, v0
	v_or_b32_e32 v20, 0x600, v0
	v_add_nc_u32_e32 v19, 0x780, v0
	v_add_nc_u32_e32 v14, 0x900, v0
	;; [unrolled: 1-line block ×3, first 2 shown]
	v_readfirstlane_b32 s20, v2
	s_waitcnt lgkmcnt(0)
	s_mul_i32 s1, s0, 0xc00
	s_delay_alu instid0(SALU_CYCLE_1) | instskip(NEXT) | instid1(SALU_CYCLE_1)
	s_add_i32 s4, s1, s6
	s_sub_i32 s21, s18, s4
	s_add_i32 s4, s0, -1
	s_addk_i32 s21, 0xc00
	s_add_u32 s0, s6, s1
	s_addc_u32 s1, s7, 0
	s_cmp_eq_u32 s20, s4
	v_cmp_ge_u64_e64 s5, s[0:1], s[18:19]
	s_cselect_b32 s18, -1, 0
	s_mul_i32 s0, s20, 0xc00
	s_mov_b32 s1, 0
	s_delay_alu instid0(VALU_DEP_1)
	s_and_b32 s22, s5, s18
	s_lshl_b64 s[4:5], s[0:1], 2
	s_xor_b32 s19, s22, -1
	s_add_u32 s23, s23, s4
	s_addc_u32 s1, s24, s5
	s_and_b32 vcc_lo, exec_lo, s19
	s_mov_b32 s24, -1
	s_cbranch_vccz .LBB1155_6
; %bb.5:
	v_lshlrev_b32_e32 v7, 2, v0
	v_lshrrev_b32_e32 v15, 3, v25
	v_lshrrev_b32_e32 v16, 3, v24
	;; [unrolled: 1-line block ×4, first 2 shown]
	v_add_co_u32 v1, s0, s23, v7
	s_delay_alu instid0(VALU_DEP_1) | instskip(SKIP_1) | instid1(VALU_DEP_3)
	v_add_co_ci_u32_e64 v2, null, s1, 0, s0
	v_lshrrev_b32_e32 v21, 3, v19
	v_add_co_u32 v3, vcc_lo, 0x1000, v1
	s_delay_alu instid0(VALU_DEP_3)
	v_add_co_ci_u32_e32 v4, vcc_lo, 0, v2, vcc_lo
	v_add_co_u32 v5, vcc_lo, 0x2000, v1
	v_add_co_ci_u32_e32 v6, vcc_lo, 0, v2, vcc_lo
	s_clause 0x7
	flat_load_b32 v8, v[1:2]
	flat_load_b32 v11, v[1:2] offset:1536
	flat_load_b32 v1, v[1:2] offset:3072
	;; [unrolled: 1-line block ×7, first 2 shown]
	v_and_b32_e32 v6, 60, v23
	v_lshrrev_b32_e32 v26, 3, v14
	v_lshrrev_b32_e32 v27, 3, v13
	v_and_b32_e32 v15, 0x7c, v15
	v_and_b32_e32 v16, 0xfc, v16
	;; [unrolled: 1-line block ×4, first 2 shown]
	v_add_nc_u32_e32 v6, v6, v7
	v_and_b32_e32 v21, 0x1fc, v21
	v_and_b32_e32 v26, 0x17c, v26
	;; [unrolled: 1-line block ×3, first 2 shown]
	v_add_nc_u32_e32 v15, v15, v7
	v_add_nc_u32_e32 v16, v16, v7
	;; [unrolled: 1-line block ×4, first 2 shown]
	s_mov_b32 s24, 0
	v_add_nc_u32_e32 v21, v21, v7
	v_add_nc_u32_e32 v26, v26, v7
	;; [unrolled: 1-line block ×3, first 2 shown]
	s_waitcnt vmcnt(7) lgkmcnt(7)
	ds_store_b32 v6, v8
	s_waitcnt vmcnt(6) lgkmcnt(7)
	ds_store_b32 v15, v11 offset:1536
	s_waitcnt vmcnt(5) lgkmcnt(7)
	ds_store_b32 v16, v1 offset:3072
	;; [unrolled: 2-line block ×7, first 2 shown]
	s_waitcnt lgkmcnt(0)
	s_barrier
.LBB1155_6:
	v_cmp_gt_u32_e64 s0, s21, v0
	s_and_not1_b32 vcc_lo, exec_lo, s24
	s_cbranch_vccnz .LBB1155_24
; %bb.7:
                                        ; implicit-def: $vgpr1_vgpr2_vgpr3_vgpr4_vgpr5_vgpr6_vgpr7_vgpr8
	s_delay_alu instid0(VALU_DEP_1)
	s_and_saveexec_b32 s24, s0
	s_cbranch_execz .LBB1155_15
; %bb.8:
	v_lshlrev_b32_e32 v1, 2, v0
	s_delay_alu instid0(VALU_DEP_1) | instskip(NEXT) | instid1(VALU_DEP_1)
	v_add_co_u32 v1, s0, s23, v1
	v_add_co_ci_u32_e64 v2, null, s1, 0, s0
	flat_load_b32 v1, v[1:2]
	s_or_b32 exec_lo, exec_lo, s24
	s_delay_alu instid0(SALU_CYCLE_1)
	s_mov_b32 s0, exec_lo
	v_cmpx_gt_u32_e64 s21, v25
	s_cbranch_execnz .LBB1155_16
.LBB1155_9:
	s_or_b32 exec_lo, exec_lo, s0
	s_delay_alu instid0(SALU_CYCLE_1)
	s_mov_b32 s0, exec_lo
	v_cmpx_gt_u32_e64 s21, v24
	s_cbranch_execz .LBB1155_17
.LBB1155_10:
	v_lshlrev_b32_e32 v3, 2, v0
	s_delay_alu instid0(VALU_DEP_1) | instskip(NEXT) | instid1(VALU_DEP_1)
	v_add_co_u32 v11, s24, s23, v3
	v_add_co_ci_u32_e64 v12, null, s1, 0, s24
	flat_load_b32 v3, v[11:12] offset:3072
	s_or_b32 exec_lo, exec_lo, s0
	s_delay_alu instid0(SALU_CYCLE_1)
	s_mov_b32 s0, exec_lo
	v_cmpx_gt_u32_e64 s21, v22
	s_cbranch_execnz .LBB1155_18
.LBB1155_11:
	s_or_b32 exec_lo, exec_lo, s0
	s_delay_alu instid0(SALU_CYCLE_1)
	s_mov_b32 s0, exec_lo
	v_cmpx_gt_u32_e64 s21, v20
	s_cbranch_execz .LBB1155_19
.LBB1155_12:
	v_lshlrev_b32_e32 v5, 2, v20
	s_delay_alu instid0(VALU_DEP_1) | instskip(NEXT) | instid1(VALU_DEP_1)
	v_add_co_u32 v11, s24, s23, v5
	v_add_co_ci_u32_e64 v12, null, s1, 0, s24
	flat_load_b32 v5, v[11:12]
	s_or_b32 exec_lo, exec_lo, s0
	s_delay_alu instid0(SALU_CYCLE_1)
	s_mov_b32 s0, exec_lo
	v_cmpx_gt_u32_e64 s21, v19
	s_cbranch_execnz .LBB1155_20
.LBB1155_13:
	s_or_b32 exec_lo, exec_lo, s0
	s_delay_alu instid0(SALU_CYCLE_1)
	s_mov_b32 s0, exec_lo
	v_cmpx_gt_u32_e64 s21, v14
	s_cbranch_execz .LBB1155_21
.LBB1155_14:
	v_lshlrev_b32_e32 v7, 2, v14
	s_delay_alu instid0(VALU_DEP_1) | instskip(NEXT) | instid1(VALU_DEP_1)
	v_add_co_u32 v11, s24, s23, v7
	v_add_co_ci_u32_e64 v12, null, s1, 0, s24
	flat_load_b32 v7, v[11:12]
	s_or_b32 exec_lo, exec_lo, s0
	s_delay_alu instid0(SALU_CYCLE_1)
	s_mov_b32 s0, exec_lo
	v_cmpx_gt_u32_e64 s21, v13
	s_cbranch_execnz .LBB1155_22
	s_branch .LBB1155_23
.LBB1155_15:
	s_or_b32 exec_lo, exec_lo, s24
	s_delay_alu instid0(SALU_CYCLE_1)
	s_mov_b32 s0, exec_lo
	v_cmpx_gt_u32_e64 s21, v25
	s_cbranch_execz .LBB1155_9
.LBB1155_16:
	v_lshlrev_b32_e32 v2, 2, v0
	s_delay_alu instid0(VALU_DEP_1) | instskip(NEXT) | instid1(VALU_DEP_1)
	v_add_co_u32 v11, s24, s23, v2
	v_add_co_ci_u32_e64 v12, null, s1, 0, s24
	flat_load_b32 v2, v[11:12] offset:1536
	s_or_b32 exec_lo, exec_lo, s0
	s_delay_alu instid0(SALU_CYCLE_1)
	s_mov_b32 s0, exec_lo
	v_cmpx_gt_u32_e64 s21, v24
	s_cbranch_execnz .LBB1155_10
.LBB1155_17:
	s_or_b32 exec_lo, exec_lo, s0
	s_delay_alu instid0(SALU_CYCLE_1)
	s_mov_b32 s0, exec_lo
	v_cmpx_gt_u32_e64 s21, v22
	s_cbranch_execz .LBB1155_11
.LBB1155_18:
	v_lshlrev_b32_e32 v4, 2, v22
	s_delay_alu instid0(VALU_DEP_1) | instskip(NEXT) | instid1(VALU_DEP_1)
	v_add_co_u32 v11, s24, s23, v4
	v_add_co_ci_u32_e64 v12, null, s1, 0, s24
	flat_load_b32 v4, v[11:12]
	s_or_b32 exec_lo, exec_lo, s0
	s_delay_alu instid0(SALU_CYCLE_1)
	s_mov_b32 s0, exec_lo
	v_cmpx_gt_u32_e64 s21, v20
	s_cbranch_execnz .LBB1155_12
.LBB1155_19:
	s_or_b32 exec_lo, exec_lo, s0
	s_delay_alu instid0(SALU_CYCLE_1)
	s_mov_b32 s0, exec_lo
	v_cmpx_gt_u32_e64 s21, v19
	s_cbranch_execz .LBB1155_13
.LBB1155_20:
	v_lshlrev_b32_e32 v6, 2, v19
	s_delay_alu instid0(VALU_DEP_1) | instskip(NEXT) | instid1(VALU_DEP_1)
	v_add_co_u32 v11, s24, s23, v6
	v_add_co_ci_u32_e64 v12, null, s1, 0, s24
	flat_load_b32 v6, v[11:12]
	s_or_b32 exec_lo, exec_lo, s0
	s_delay_alu instid0(SALU_CYCLE_1)
	s_mov_b32 s0, exec_lo
	v_cmpx_gt_u32_e64 s21, v14
	s_cbranch_execnz .LBB1155_14
.LBB1155_21:
	s_or_b32 exec_lo, exec_lo, s0
	s_delay_alu instid0(SALU_CYCLE_1)
	s_mov_b32 s0, exec_lo
	v_cmpx_gt_u32_e64 s21, v13
	s_cbranch_execz .LBB1155_23
.LBB1155_22:
	v_lshlrev_b32_e32 v8, 2, v13
	s_delay_alu instid0(VALU_DEP_1) | instskip(NEXT) | instid1(VALU_DEP_1)
	v_add_co_u32 v11, s24, s23, v8
	v_add_co_ci_u32_e64 v12, null, s1, 0, s24
	flat_load_b32 v8, v[11:12]
.LBB1155_23:
	s_or_b32 exec_lo, exec_lo, s0
	v_lshrrev_b32_e32 v11, 3, v25
	v_lshrrev_b32_e32 v12, 3, v24
	;; [unrolled: 1-line block ×4, first 2 shown]
	v_and_b32_e32 v15, 60, v23
	v_lshlrev_b32_e32 v16, 2, v0
	v_lshrrev_b32_e32 v21, 3, v19
	v_lshrrev_b32_e32 v26, 3, v14
	;; [unrolled: 1-line block ×3, first 2 shown]
	v_and_b32_e32 v11, 0x7c, v11
	v_and_b32_e32 v12, 0xfc, v12
	;; [unrolled: 1-line block ×4, first 2 shown]
	v_add_nc_u32_e32 v15, v15, v16
	v_and_b32_e32 v21, 0x1fc, v21
	v_and_b32_e32 v26, 0x1fc, v26
	;; [unrolled: 1-line block ×3, first 2 shown]
	v_add_nc_u32_e32 v11, v11, v16
	v_add_nc_u32_e32 v12, v12, v16
	v_add_nc_u32_e32 v17, v17, v16
	v_add_nc_u32_e32 v18, v18, v16
	v_add_nc_u32_e32 v21, v21, v16
	v_add_nc_u32_e32 v26, v26, v16
	v_add_nc_u32_e32 v16, v27, v16
	s_waitcnt vmcnt(0) lgkmcnt(0)
	ds_store_b32 v15, v1
	ds_store_b32 v11, v2 offset:1536
	ds_store_b32 v12, v3 offset:3072
	;; [unrolled: 1-line block ×7, first 2 shown]
	s_waitcnt lgkmcnt(0)
	s_barrier
.LBB1155_24:
	v_lshlrev_b32_e32 v21, 3, v0
	v_lshrrev_b32_e32 v1, 2, v0
	s_waitcnt vmcnt(0)
	buffer_gl0_inv
	s_add_u32 s0, s8, s14
	s_addc_u32 s8, s9, s15
	s_add_u32 s0, s0, s4
	v_add_lshl_u32 v1, v1, v21, 2
	s_addc_u32 s4, s8, s5
	s_and_b32 vcc_lo, exec_lo, s19
	s_mov_b32 s5, -1
	ds_load_2addr_b32 v[17:18], v1 offset1:1
	ds_load_2addr_b32 v[15:16], v1 offset0:2 offset1:3
	ds_load_2addr_b32 v[11:12], v1 offset0:4 offset1:5
	;; [unrolled: 1-line block ×3, first 2 shown]
	s_waitcnt lgkmcnt(0)
	s_barrier
	buffer_gl0_inv
	s_cbranch_vccz .LBB1155_26
; %bb.25:
	v_lshlrev_b32_e32 v4, 2, v0
	v_lshrrev_b32_e32 v31, 3, v25
	v_lshrrev_b32_e32 v32, 3, v24
	v_lshrrev_b32_e32 v33, 3, v22
	v_lshrrev_b32_e32 v34, 3, v20
	v_add_co_u32 v2, s5, s0, v4
	s_delay_alu instid0(VALU_DEP_1) | instskip(SKIP_1) | instid1(VALU_DEP_3)
	v_add_co_ci_u32_e64 v3, null, s4, 0, s5
	v_lshrrev_b32_e32 v35, 3, v19
	v_add_co_u32 v7, vcc_lo, 0x1000, v2
	s_delay_alu instid0(VALU_DEP_3)
	v_add_co_ci_u32_e32 v8, vcc_lo, 0, v3, vcc_lo
	v_add_co_u32 v26, vcc_lo, 0x2000, v2
	v_add_co_ci_u32_e32 v27, vcc_lo, 0, v3, vcc_lo
	s_clause 0x7
	flat_load_b32 v28, v[2:3]
	flat_load_b32 v29, v[2:3] offset:1536
	flat_load_b32 v2, v[2:3] offset:3072
	;; [unrolled: 1-line block ×7, first 2 shown]
	v_and_b32_e32 v27, 60, v23
	v_lshrrev_b32_e32 v36, 3, v14
	v_lshrrev_b32_e32 v37, 3, v13
	v_and_b32_e32 v31, 0x7c, v31
	v_and_b32_e32 v32, 0xfc, v32
	;; [unrolled: 1-line block ×4, first 2 shown]
	v_add_nc_u32_e32 v27, v27, v4
	v_and_b32_e32 v35, 0x1fc, v35
	v_and_b32_e32 v36, 0x17c, v36
	;; [unrolled: 1-line block ×3, first 2 shown]
	v_add_nc_u32_e32 v31, v31, v4
	v_add_nc_u32_e32 v32, v32, v4
	v_add_nc_u32_e32 v33, v33, v4
	v_add_nc_u32_e32 v34, v34, v4
	s_mov_b32 s5, 0
	v_add_nc_u32_e32 v35, v35, v4
	v_add_nc_u32_e32 v36, v36, v4
	;; [unrolled: 1-line block ×3, first 2 shown]
	s_waitcnt vmcnt(7) lgkmcnt(7)
	ds_store_b32 v27, v28
	s_waitcnt vmcnt(6) lgkmcnt(7)
	ds_store_b32 v31, v29 offset:1536
	s_waitcnt vmcnt(5) lgkmcnt(7)
	ds_store_b32 v32, v2 offset:3072
	;; [unrolled: 2-line block ×7, first 2 shown]
	s_waitcnt lgkmcnt(0)
	s_barrier
.LBB1155_26:
	s_and_not1_b32 vcc_lo, exec_lo, s5
	s_cbranch_vccnz .LBB1155_44
; %bb.27:
	s_mov_b32 s5, exec_lo
                                        ; implicit-def: $vgpr2
	v_cmpx_gt_u32_e64 s21, v0
	s_cbranch_execz .LBB1155_29
; %bb.28:
	v_lshlrev_b32_e32 v2, 2, v0
	s_delay_alu instid0(VALU_DEP_1) | instskip(NEXT) | instid1(VALU_DEP_1)
	v_add_co_u32 v2, s8, s0, v2
	v_add_co_ci_u32_e64 v3, null, s4, 0, s8
	flat_load_b32 v2, v[2:3]
.LBB1155_29:
	s_or_b32 exec_lo, exec_lo, s5
	s_delay_alu instid0(SALU_CYCLE_1)
	s_mov_b32 s5, exec_lo
                                        ; implicit-def: $vgpr3
	v_cmpx_gt_u32_e64 s21, v25
	s_cbranch_execz .LBB1155_31
; %bb.30:
	v_lshlrev_b32_e32 v3, 2, v0
	s_delay_alu instid0(VALU_DEP_1) | instskip(NEXT) | instid1(VALU_DEP_1)
	v_add_co_u32 v3, s8, s0, v3
	v_add_co_ci_u32_e64 v4, null, s4, 0, s8
	flat_load_b32 v3, v[3:4] offset:1536
.LBB1155_31:
	s_or_b32 exec_lo, exec_lo, s5
	s_delay_alu instid0(SALU_CYCLE_1)
	s_mov_b32 s5, exec_lo
                                        ; implicit-def: $vgpr4
	v_cmpx_gt_u32_e64 s21, v24
	s_cbranch_execz .LBB1155_33
; %bb.32:
	v_lshlrev_b32_e32 v4, 2, v0
	s_delay_alu instid0(VALU_DEP_1) | instskip(NEXT) | instid1(VALU_DEP_1)
	v_add_co_u32 v7, s8, s0, v4
	v_add_co_ci_u32_e64 v8, null, s4, 0, s8
	flat_load_b32 v4, v[7:8] offset:3072
.LBB1155_33:
	s_or_b32 exec_lo, exec_lo, s5
	s_delay_alu instid0(SALU_CYCLE_1)
	s_mov_b32 s5, exec_lo
                                        ; implicit-def: $vgpr7
	v_cmpx_gt_u32_e64 s21, v22
	s_cbranch_execz .LBB1155_35
; %bb.34:
	v_lshlrev_b32_e32 v7, 2, v22
	s_delay_alu instid0(VALU_DEP_1) | instskip(NEXT) | instid1(VALU_DEP_1)
	v_add_co_u32 v7, s8, s0, v7
	v_add_co_ci_u32_e64 v8, null, s4, 0, s8
	flat_load_b32 v7, v[7:8]
.LBB1155_35:
	s_or_b32 exec_lo, exec_lo, s5
	s_delay_alu instid0(SALU_CYCLE_1)
	s_mov_b32 s5, exec_lo
                                        ; implicit-def: $vgpr8
	v_cmpx_gt_u32_e64 s21, v20
	s_cbranch_execz .LBB1155_37
; %bb.36:
	v_lshlrev_b32_e32 v8, 2, v20
	s_delay_alu instid0(VALU_DEP_1) | instskip(NEXT) | instid1(VALU_DEP_1)
	v_add_co_u32 v26, s8, s0, v8
	v_add_co_ci_u32_e64 v27, null, s4, 0, s8
	flat_load_b32 v8, v[26:27]
.LBB1155_37:
	s_or_b32 exec_lo, exec_lo, s5
	s_delay_alu instid0(SALU_CYCLE_1)
	s_mov_b32 s5, exec_lo
                                        ; implicit-def: $vgpr26
	v_cmpx_gt_u32_e64 s21, v19
	s_cbranch_execz .LBB1155_39
; %bb.38:
	v_lshlrev_b32_e32 v26, 2, v19
	s_delay_alu instid0(VALU_DEP_1) | instskip(NEXT) | instid1(VALU_DEP_1)
	v_add_co_u32 v26, s8, s0, v26
	v_add_co_ci_u32_e64 v27, null, s4, 0, s8
	flat_load_b32 v26, v[26:27]
.LBB1155_39:
	s_or_b32 exec_lo, exec_lo, s5
	s_delay_alu instid0(SALU_CYCLE_1)
	s_mov_b32 s5, exec_lo
                                        ; implicit-def: $vgpr27
	v_cmpx_gt_u32_e64 s21, v14
	s_cbranch_execz .LBB1155_41
; %bb.40:
	v_lshlrev_b32_e32 v27, 2, v14
	s_delay_alu instid0(VALU_DEP_1) | instskip(NEXT) | instid1(VALU_DEP_1)
	v_add_co_u32 v27, s8, s0, v27
	v_add_co_ci_u32_e64 v28, null, s4, 0, s8
	flat_load_b32 v27, v[27:28]
.LBB1155_41:
	s_or_b32 exec_lo, exec_lo, s5
	s_delay_alu instid0(SALU_CYCLE_1)
	s_mov_b32 s5, exec_lo
                                        ; implicit-def: $vgpr28
	v_cmpx_gt_u32_e64 s21, v13
	s_cbranch_execz .LBB1155_43
; %bb.42:
	v_lshlrev_b32_e32 v28, 2, v13
	s_delay_alu instid0(VALU_DEP_1) | instskip(NEXT) | instid1(VALU_DEP_1)
	v_add_co_u32 v28, s0, s0, v28
	v_add_co_ci_u32_e64 v29, null, s4, 0, s0
	flat_load_b32 v28, v[28:29]
.LBB1155_43:
	s_or_b32 exec_lo, exec_lo, s5
	v_lshrrev_b32_e32 v25, 3, v25
	v_lshrrev_b32_e32 v24, 3, v24
	;; [unrolled: 1-line block ×4, first 2 shown]
	v_and_b32_e32 v23, 60, v23
	v_lshlrev_b32_e32 v29, 2, v0
	v_lshrrev_b32_e32 v19, 3, v19
	v_lshrrev_b32_e32 v14, 3, v14
	;; [unrolled: 1-line block ×3, first 2 shown]
	v_and_b32_e32 v25, 0x7c, v25
	v_and_b32_e32 v24, 0xfc, v24
	v_and_b32_e32 v22, 0xfc, v22
	v_and_b32_e32 v20, 0xfc, v20
	v_add_nc_u32_e32 v23, v23, v29
	v_and_b32_e32 v19, 0x1fc, v19
	v_and_b32_e32 v14, 0x1fc, v14
	;; [unrolled: 1-line block ×3, first 2 shown]
	v_add_nc_u32_e32 v25, v25, v29
	v_add_nc_u32_e32 v24, v24, v29
	;; [unrolled: 1-line block ×7, first 2 shown]
	s_waitcnt vmcnt(0) lgkmcnt(0)
	ds_store_b32 v23, v2
	ds_store_b32 v25, v3 offset:1536
	ds_store_b32 v24, v4 offset:3072
	;; [unrolled: 1-line block ×7, first 2 shown]
	s_waitcnt lgkmcnt(0)
	s_barrier
.LBB1155_44:
	buffer_gl0_inv
	ds_load_2addr_b32 v[13:14], v1 offset1:1
	ds_load_2addr_b32 v[7:8], v1 offset0:2 offset1:3
	ds_load_2addr_b32 v[3:4], v1 offset0:4 offset1:5
	;; [unrolled: 1-line block ×3, first 2 shown]
	s_cmp_lg_u32 s20, 0
	s_mov_b32 s14, 0
	s_cselect_b32 s9, -1, 0
	s_cmp_lg_u64 s[6:7], 0
	s_waitcnt lgkmcnt(0)
	s_cselect_b32 s0, -1, 0
	s_barrier
	s_or_b32 s0, s0, s9
	buffer_gl0_inv
	s_and_b32 vcc_lo, exec_lo, s0
	s_cbranch_vccz .LBB1155_49
; %bb.45:
	v_add_co_u32 v19, s0, -4, s23
	s_delay_alu instid0(VALU_DEP_1)
	v_add_co_ci_u32_e64 v20, null, -1, s1, s0
	v_lshlrev_b32_e32 v23, 2, v0
	s_mov_b32 s1, -1
	s_and_b32 vcc_lo, exec_lo, s19
	flat_load_b32 v22, v[19:20]
	ds_store_b32 v23, v6
	s_cbranch_vccz .LBB1155_50
; %bb.46:
	s_waitcnt vmcnt(0) lgkmcnt(1)
	v_mov_b32_e32 v19, v22
	s_waitcnt lgkmcnt(0)
	s_barrier
	buffer_gl0_inv
	s_and_saveexec_b32 s0, s3
	s_cbranch_execz .LBB1155_48
; %bb.47:
	v_add_nc_u32_e32 v19, -4, v23
	ds_load_b32 v19, v19
.LBB1155_48:
	s_or_b32 exec_lo, exec_lo, s0
	v_cmp_ne_u32_e32 vcc_lo, v5, v6
	s_waitcnt lgkmcnt(0)
	v_cmp_ne_u32_e64 s0, v19, v17
	v_cndmask_b32_e64 v20, 0, 1, vcc_lo
	v_cmp_ne_u32_e32 vcc_lo, v12, v5
	s_delay_alu instid0(VALU_DEP_2) | instskip(SKIP_2) | instid1(VALU_DEP_2)
	v_lshlrev_b16 v20, 8, v20
	v_cndmask_b32_e64 v24, 0, 1, vcc_lo
	v_cmp_ne_u32_e32 vcc_lo, v11, v12
	v_or_b32_e32 v20, v24, v20
	v_cndmask_b32_e64 v25, 0, 1, vcc_lo
	v_cmp_ne_u32_e32 vcc_lo, v15, v16
	s_delay_alu instid0(VALU_DEP_3) | instskip(NEXT) | instid1(VALU_DEP_3)
	v_lshlrev_b32_e32 v20, 16, v20
	v_lshlrev_b16 v25, 8, v25
	v_cndmask_b32_e64 v26, 0, 1, vcc_lo
	v_cmp_ne_u32_e32 vcc_lo, v16, v11
	s_delay_alu instid0(VALU_DEP_2) | instskip(SKIP_2) | instid1(VALU_DEP_2)
	v_lshlrev_b16 v26, 8, v26
	v_cndmask_b32_e64 v27, 0, 1, vcc_lo
	v_cmp_ne_u32_e32 vcc_lo, v18, v15
	v_or_b32_e32 v25, v27, v25
	v_cndmask_b32_e64 v28, 0, 1, vcc_lo
	v_cmp_ne_u32_e32 vcc_lo, v17, v18
	s_delay_alu instid0(VALU_DEP_3) | instskip(NEXT) | instid1(VALU_DEP_3)
	v_and_b32_e32 v25, 0xffff, v25
	v_or_b32_e32 v26, v28, v26
	v_cndmask_b32_e64 v29, 0, 1, vcc_lo
	s_delay_alu instid0(VALU_DEP_3) | instskip(NEXT) | instid1(VALU_DEP_3)
	v_or_b32_e32 v20, v25, v20
	v_lshlrev_b32_e32 v24, 16, v26
	s_delay_alu instid0(VALU_DEP_3) | instskip(NEXT) | instid1(VALU_DEP_1)
	v_lshlrev_b16 v28, 8, v29
	v_and_b32_e32 v26, 0xffff, v28
	s_delay_alu instid0(VALU_DEP_1)
	v_or_b32_e32 v19, v26, v24
	s_branch .LBB1155_54
.LBB1155_49:
                                        ; implicit-def: $sgpr0
                                        ; implicit-def: $vgpr20
	s_branch .LBB1155_55
.LBB1155_50:
                                        ; implicit-def: $sgpr0
                                        ; implicit-def: $vgpr20
	s_and_b32 vcc_lo, exec_lo, s1
	s_cbranch_vccz .LBB1155_54
; %bb.51:
	s_waitcnt vmcnt(0) lgkmcnt(0)
	s_barrier
	buffer_gl0_inv
	s_and_saveexec_b32 s0, s3
	s_cbranch_execz .LBB1155_53
; %bb.52:
	v_add_nc_u32_e32 v19, -4, v23
	ds_load_b32 v22, v19
.LBB1155_53:
	s_or_b32 exec_lo, exec_lo, s0
	v_or_b32_e32 v19, 7, v21
	v_or_b32_e32 v20, 6, v21
	;; [unrolled: 1-line block ×3, first 2 shown]
	v_cmp_ne_u32_e32 vcc_lo, v5, v6
	v_cmp_ne_u32_e64 s1, v12, v5
	v_cmp_gt_u32_e64 s0, s21, v19
	v_cmp_gt_u32_e64 s5, s21, v20
	v_cmp_ne_u32_e64 s4, v11, v12
	v_cmp_gt_u32_e64 s6, s21, v23
	v_or_b32_e32 v20, 3, v21
	s_and_b32 s0, s0, vcc_lo
	v_or_b32_e32 v24, 4, v21
	v_cndmask_b32_e64 v19, 0, 1, s0
	s_and_b32 s0, s5, s1
	v_cmp_gt_u32_e32 vcc_lo, s21, v20
	v_cndmask_b32_e64 v23, 0, 1, s0
	s_and_b32 s0, s6, s4
	v_or_b32_e32 v20, 2, v21
	v_cndmask_b32_e64 v25, 0, 1, s0
	v_cmp_ne_u32_e64 s0, v15, v16
	v_cmp_gt_u32_e64 s1, s21, v24
	v_or_b32_e32 v24, 1, v21
	v_cmp_ne_u32_e64 s4, v16, v11
	v_cmp_ne_u32_e64 s6, v17, v18
	s_and_b32 s0, vcc_lo, s0
	v_cmp_gt_u32_e32 vcc_lo, s21, v20
	v_cndmask_b32_e64 v26, 0, 1, s0
	v_cmp_ne_u32_e64 s0, v18, v15
	v_cmp_gt_u32_e64 s5, s21, v24
	s_and_b32 s1, s1, s4
	v_lshlrev_b16 v25, 8, v25
	v_cndmask_b32_e64 v20, 0, 1, s1
	s_and_b32 s0, vcc_lo, s0
	v_lshlrev_b16 v26, 8, v26
	v_cndmask_b32_e64 v24, 0, 1, s0
	s_and_b32 s0, s5, s6
	v_lshlrev_b16 v19, 8, v19
	v_cndmask_b32_e64 v27, 0, 1, s0
	v_or_b32_e32 v20, v20, v25
	v_or_b32_e32 v24, v24, v26
	v_cmp_gt_u32_e32 vcc_lo, s21, v21
	v_or_b32_e32 v19, v23, v19
	v_lshlrev_b16 v26, 8, v27
	v_and_b32_e32 v20, 0xffff, v20
	v_lshlrev_b32_e32 v23, 16, v24
	s_waitcnt lgkmcnt(0)
	v_cmp_ne_u32_e64 s0, v22, v17
	v_lshlrev_b32_e32 v25, 16, v19
	v_and_b32_e32 v24, 0xffff, v26
	s_delay_alu instid0(VALU_DEP_3) | instskip(NEXT) | instid1(VALU_DEP_2)
	s_and_b32 s0, vcc_lo, s0
	v_or_b32_e32 v20, v20, v25
	s_delay_alu instid0(VALU_DEP_2)
	v_or_b32_e32 v19, v24, v23
.LBB1155_54:
	s_mov_b32 s14, -1
	s_cbranch_execnz .LBB1155_63
.LBB1155_55:
	s_waitcnt vmcnt(0) lgkmcnt(1)
	v_lshlrev_b32_e32 v22, 2, v0
	v_cmp_ne_u32_e64 s1, v5, v6
	v_cmp_ne_u32_e64 s4, v12, v5
	;; [unrolled: 1-line block ×7, first 2 shown]
	s_and_b32 vcc_lo, exec_lo, s19
	ds_store_b32 v22, v6
	s_cbranch_vccz .LBB1155_59
; %bb.56:
	v_cndmask_b32_e64 v19, 0, 1, s1
	v_cndmask_b32_e64 v23, 0, 1, s5
	;; [unrolled: 1-line block ×7, first 2 shown]
	v_lshlrev_b16 v23, 8, v23
	v_lshlrev_b16 v19, 8, v19
	;; [unrolled: 1-line block ×4, first 2 shown]
	s_waitcnt lgkmcnt(0)
	v_or_b32_e32 v23, v24, v23
	v_or_b32_e32 v19, v20, v19
	;; [unrolled: 1-line block ×4, first 2 shown]
	s_barrier
	v_and_b32_e32 v23, 0xffff, v23
	v_lshlrev_b32_e32 v19, 16, v19
	v_lshlrev_b32_e32 v25, 16, v20
	v_and_b32_e32 v24, 0xffff, v24
	buffer_gl0_inv
                                        ; implicit-def: $sgpr0
	v_or_b32_e32 v20, v23, v19
	v_or_b32_e32 v19, v24, v25
	s_and_saveexec_b32 s1, s3
	s_delay_alu instid0(SALU_CYCLE_1)
	s_xor_b32 s1, exec_lo, s1
	s_cbranch_execz .LBB1155_58
; %bb.57:
	v_add_nc_u32_e32 v23, -4, v22
	s_or_b32 s14, s14, exec_lo
	ds_load_b32 v23, v23
	s_waitcnt lgkmcnt(0)
	v_cmp_ne_u32_e32 vcc_lo, v23, v17
	s_and_b32 s0, vcc_lo, exec_lo
.LBB1155_58:
	s_or_b32 exec_lo, exec_lo, s1
	s_branch .LBB1155_63
.LBB1155_59:
                                        ; implicit-def: $sgpr0
                                        ; implicit-def: $vgpr20
	s_cbranch_execz .LBB1155_63
; %bb.60:
	v_or_b32_e32 v19, 7, v21
	v_or_b32_e32 v20, 6, v21
	v_cmp_ne_u32_e32 vcc_lo, v5, v6
	v_cmp_ne_u32_e64 s1, v12, v5
	v_or_b32_e32 v23, 5, v21
	v_cmp_gt_u32_e64 s0, s21, v19
	v_cmp_gt_u32_e64 s4, s21, v20
	v_or_b32_e32 v19, 4, v21
	v_or_b32_e32 v24, 3, v21
	v_cmp_gt_u32_e64 s5, s21, v23
	s_and_b32 s0, s0, vcc_lo
	v_cmp_ne_u32_e32 vcc_lo, v11, v12
	v_cndmask_b32_e64 v20, 0, 1, s0
	s_and_b32 s0, s4, s1
	v_cmp_ne_u32_e64 s1, v16, v11
	v_cndmask_b32_e64 v23, 0, 1, s0
	v_cmp_gt_u32_e64 s0, s21, v19
	v_or_b32_e32 v25, 1, v21
	s_and_b32 s4, s5, vcc_lo
	v_cmp_gt_u32_e32 vcc_lo, s21, v24
	v_cndmask_b32_e64 v19, 0, 1, s4
	s_and_b32 s0, s0, s1
	v_or_b32_e32 v27, 2, v21
	v_cndmask_b32_e64 v26, 0, 1, s0
	v_cmp_ne_u32_e64 s0, v15, v16
	v_cmp_gt_u32_e64 s1, s21, v25
	v_cmp_ne_u32_e64 s4, v17, v18
	v_cmp_gt_u32_e64 s5, s21, v27
	v_cmp_ne_u32_e64 s6, v18, v15
	s_and_b32 s0, vcc_lo, s0
	v_lshlrev_b16 v19, 8, v19
	v_cndmask_b32_e64 v24, 0, 1, s0
	s_and_b32 s0, s1, s4
	v_lshlrev_b16 v20, 8, v20
	v_cndmask_b32_e64 v25, 0, 1, s0
	s_and_b32 s0, s5, s6
	v_lshlrev_b16 v24, 8, v24
	v_cndmask_b32_e64 v27, 0, 1, s0
	v_or_b32_e32 v19, v26, v19
	v_lshlrev_b16 v25, 8, v25
	v_or_b32_e32 v20, v23, v20
	s_waitcnt lgkmcnt(0)
	v_or_b32_e32 v23, v27, v24
	v_and_b32_e32 v19, 0xffff, v19
	v_or_b32_e32 v24, 1, v25
	v_lshlrev_b32_e32 v20, 16, v20
	s_barrier
	v_lshlrev_b32_e32 v23, 16, v23
	buffer_gl0_inv
	v_and_b32_e32 v24, 0xffff, v24
	v_or_b32_e32 v20, v19, v20
                                        ; implicit-def: $sgpr0
	s_delay_alu instid0(VALU_DEP_2)
	v_or_b32_e32 v19, v24, v23
	s_and_saveexec_b32 s1, s3
	s_cbranch_execz .LBB1155_62
; %bb.61:
	v_add_nc_u32_e32 v22, -4, v22
	v_cmp_gt_u32_e32 vcc_lo, s21, v21
	s_or_b32 s14, s14, exec_lo
	ds_load_b32 v22, v22
	s_waitcnt lgkmcnt(0)
	v_cmp_ne_u32_e64 s0, v22, v17
	s_delay_alu instid0(VALU_DEP_1) | instskip(NEXT) | instid1(SALU_CYCLE_1)
	s_and_b32 s0, vcc_lo, s0
	s_and_b32 s0, s0, exec_lo
.LBB1155_62:
	s_or_b32 exec_lo, exec_lo, s1
.LBB1155_63:
	s_and_saveexec_b32 s1, s14
	s_cbranch_execz .LBB1155_65
; %bb.64:
	s_waitcnt vmcnt(0) lgkmcnt(1)
	v_and_b32_e32 v22, 0xffffff00, v19
	v_cndmask_b32_e64 v23, 0, 1, s0
	s_delay_alu instid0(VALU_DEP_1) | instskip(NEXT) | instid1(VALU_DEP_1)
	v_or_b32_e32 v22, v23, v22
	v_and_b32_e32 v22, 0xffff, v22
	s_delay_alu instid0(VALU_DEP_1)
	v_and_or_b32 v19, 0xffff0000, v19, v22
.LBB1155_65:
	s_or_b32 exec_lo, exec_lo, s1
	s_delay_alu instid0(SALU_CYCLE_1)
	s_and_not1_b32 vcc_lo, exec_lo, s22
	s_cbranch_vccnz .LBB1155_67
; %bb.66:
	v_cmp_gt_u32_e32 vcc_lo, s21, v21
	v_or_b32_e32 v23, 1, v21
	v_and_b32_e32 v24, 0xffffff00, v20
	v_or_b32_e32 v25, 2, v21
	s_waitcnt vmcnt(0) lgkmcnt(1)
	v_cndmask_b32_e32 v22, 0, v19, vcc_lo
	v_cmp_gt_u32_e32 vcc_lo, s21, v23
	v_or_b32_e32 v23, 4, v21
	v_cmp_gt_u32_e64 s0, s21, v25
	v_or_b32_e32 v25, 3, v21
	v_and_b32_e32 v22, 0xff, v22
	s_delay_alu instid0(VALU_DEP_2) | instskip(NEXT) | instid1(VALU_DEP_2)
	v_cmp_gt_u32_e64 s1, s21, v25
	v_cndmask_b32_e32 v22, v22, v19, vcc_lo
	v_cmp_gt_u32_e32 vcc_lo, s21, v23
	s_delay_alu instid0(VALU_DEP_2) | instskip(SKIP_1) | instid1(VALU_DEP_2)
	v_dual_cndmask_b32 v23, v24, v20 :: v_dual_and_b32 v22, 0xffff, v22
	v_or_b32_e32 v24, 5, v21
	v_cndmask_b32_e64 v22, v22, v19, s0
	s_delay_alu instid0(VALU_DEP_3) | instskip(NEXT) | instid1(VALU_DEP_3)
	v_and_b32_e32 v23, 0xffff00ff, v23
	v_cmp_gt_u32_e64 s0, s21, v24
	v_or_b32_e32 v24, 6, v21
	v_or_b32_e32 v21, 7, v21
	v_and_b32_e32 v22, 0xffffff, v22
	s_delay_alu instid0(VALU_DEP_4) | instskip(NEXT) | instid1(VALU_DEP_2)
	v_cndmask_b32_e64 v23, v23, v20, s0
	v_cndmask_b32_e64 v22, v22, v19, s1
	s_delay_alu instid0(VALU_DEP_2) | instskip(NEXT) | instid1(VALU_DEP_2)
	v_and_b32_e32 v23, 0xff00ffff, v23
	v_cndmask_b32_e32 v22, v22, v19, vcc_lo
	v_cmp_gt_u32_e32 vcc_lo, s21, v24
	s_delay_alu instid0(VALU_DEP_2) | instskip(NEXT) | instid1(VALU_DEP_1)
	v_cndmask_b32_e64 v22, v22, v19, s0
	v_dual_cndmask_b32 v23, v23, v20 :: v_dual_cndmask_b32 v22, v22, v19
	s_delay_alu instid0(VALU_DEP_1) | instskip(SKIP_1) | instid1(VALU_DEP_2)
	v_and_b32_e32 v23, 0xffffff, v23
	v_cmp_gt_u32_e32 vcc_lo, s21, v21
	v_dual_cndmask_b32 v20, v23, v20 :: v_dual_cndmask_b32 v19, v22, v19
.LBB1155_67:
	s_delay_alu instid0(VALU_DEP_1) | instskip(NEXT) | instid1(VALU_DEP_2)
	v_and_b32_e32 v30, 0xff, v19
	v_alignbit_b32 v21, v20, v19, 24
	v_bfe_u32 v32, v19, 8, 8
	v_bfe_u32 v34, v19, 16, 8
	v_and_b32_e32 v38, 0xff, v20
	v_bfe_u32 v40, v20, 8, 8
	v_and_b32_e32 v36, 0xff, v21
	v_add_nc_u32_e32 v21, v32, v30
	s_waitcnt vmcnt(0) lgkmcnt(1)
	v_and_b32_e32 v22, 0x1e0, v0
	v_mbcnt_lo_u32_b32 v43, -1, 0
	v_bfe_u32 v42, v20, 16, 8
	v_lshrrev_b32_e32 v41, 24, v20
	v_add3_u32 v21, v21, v34, v36
	v_min_u32_e32 v22, 0x160, v22
	v_and_b32_e32 v23, 15, v43
	v_lshrrev_b32_e32 v44, 5, v0
	s_and_b32 vcc_lo, exec_lo, s9
	v_add3_u32 v21, v21, v38, v40
	v_or_b32_e32 v22, 31, v22
	v_cmp_eq_u32_e64 s3, 0, v23
	v_cmp_lt_u32_e64 s4, 1, v23
	v_cmp_lt_u32_e64 s1, 3, v23
	v_add3_u32 v45, v21, v42, v41
	v_and_b32_e32 v21, 16, v43
	v_cmp_lt_u32_e64 s0, 7, v23
	v_cmp_eq_u32_e64 s5, v22, v0
	s_mov_b32 s7, -1
	s_waitcnt lgkmcnt(0)
	v_cmp_eq_u32_e64 s6, 0, v21
	s_barrier
	buffer_gl0_inv
	s_cbranch_vccz .LBB1155_98
; %bb.68:
	v_mov_b32_dpp v21, v45 row_shr:1 row_mask:0xf bank_mask:0xf
	s_delay_alu instid0(VALU_DEP_1) | instskip(NEXT) | instid1(VALU_DEP_1)
	v_cndmask_b32_e64 v21, v21, 0, s3
	v_add_nc_u32_e32 v21, v21, v45
	s_delay_alu instid0(VALU_DEP_1) | instskip(NEXT) | instid1(VALU_DEP_1)
	v_mov_b32_dpp v22, v21 row_shr:2 row_mask:0xf bank_mask:0xf
	v_cndmask_b32_e64 v22, 0, v22, s4
	s_delay_alu instid0(VALU_DEP_1) | instskip(NEXT) | instid1(VALU_DEP_1)
	v_add_nc_u32_e32 v21, v21, v22
	v_mov_b32_dpp v22, v21 row_shr:4 row_mask:0xf bank_mask:0xf
	s_delay_alu instid0(VALU_DEP_1) | instskip(NEXT) | instid1(VALU_DEP_1)
	v_cndmask_b32_e64 v22, 0, v22, s1
	v_add_nc_u32_e32 v21, v21, v22
	s_delay_alu instid0(VALU_DEP_1) | instskip(NEXT) | instid1(VALU_DEP_1)
	v_mov_b32_dpp v22, v21 row_shr:8 row_mask:0xf bank_mask:0xf
	v_cndmask_b32_e64 v22, 0, v22, s0
	s_delay_alu instid0(VALU_DEP_1) | instskip(SKIP_3) | instid1(VALU_DEP_1)
	v_add_nc_u32_e32 v21, v21, v22
	ds_swizzle_b32 v22, v21 offset:swizzle(BROADCAST,32,15)
	s_waitcnt lgkmcnt(0)
	v_cndmask_b32_e64 v22, v22, 0, s6
	v_add_nc_u32_e32 v21, v21, v22
	s_and_saveexec_b32 s7, s5
	s_cbranch_execz .LBB1155_70
; %bb.69:
	v_lshlrev_b32_e32 v22, 2, v44
	ds_store_b32 v22, v21
.LBB1155_70:
	s_or_b32 exec_lo, exec_lo, s7
	s_delay_alu instid0(SALU_CYCLE_1)
	s_mov_b32 s7, exec_lo
	s_waitcnt lgkmcnt(0)
	s_barrier
	buffer_gl0_inv
	v_cmpx_gt_u32_e32 12, v0
	s_cbranch_execz .LBB1155_72
; %bb.71:
	v_lshlrev_b32_e32 v22, 2, v0
	ds_load_b32 v23, v22
	s_waitcnt lgkmcnt(0)
	v_mov_b32_dpp v24, v23 row_shr:1 row_mask:0xf bank_mask:0xf
	s_delay_alu instid0(VALU_DEP_1) | instskip(NEXT) | instid1(VALU_DEP_1)
	v_cndmask_b32_e64 v24, v24, 0, s3
	v_add_nc_u32_e32 v23, v24, v23
	s_delay_alu instid0(VALU_DEP_1) | instskip(NEXT) | instid1(VALU_DEP_1)
	v_mov_b32_dpp v24, v23 row_shr:2 row_mask:0xf bank_mask:0xf
	v_cndmask_b32_e64 v24, 0, v24, s4
	s_delay_alu instid0(VALU_DEP_1) | instskip(NEXT) | instid1(VALU_DEP_1)
	v_add_nc_u32_e32 v23, v23, v24
	v_mov_b32_dpp v24, v23 row_shr:4 row_mask:0xf bank_mask:0xf
	s_delay_alu instid0(VALU_DEP_1) | instskip(NEXT) | instid1(VALU_DEP_1)
	v_cndmask_b32_e64 v24, 0, v24, s1
	v_add_nc_u32_e32 v23, v23, v24
	s_delay_alu instid0(VALU_DEP_1) | instskip(NEXT) | instid1(VALU_DEP_1)
	v_mov_b32_dpp v24, v23 row_shr:8 row_mask:0xf bank_mask:0xf
	v_cndmask_b32_e64 v24, 0, v24, s0
	s_delay_alu instid0(VALU_DEP_1)
	v_add_nc_u32_e32 v23, v23, v24
	ds_store_b32 v22, v23
.LBB1155_72:
	s_or_b32 exec_lo, exec_lo, s7
	v_cmp_gt_u32_e32 vcc_lo, 32, v0
	s_mov_b32 s8, exec_lo
	s_waitcnt lgkmcnt(0)
	s_barrier
	buffer_gl0_inv
                                        ; implicit-def: $vgpr29
	v_cmpx_lt_u32_e32 31, v0
	s_cbranch_execz .LBB1155_74
; %bb.73:
	v_lshl_add_u32 v22, v44, 2, -4
	ds_load_b32 v29, v22
	s_waitcnt lgkmcnt(0)
	v_add_nc_u32_e32 v21, v29, v21
.LBB1155_74:
	s_or_b32 exec_lo, exec_lo, s8
	v_add_nc_u32_e32 v22, -1, v43
	s_delay_alu instid0(VALU_DEP_1) | instskip(NEXT) | instid1(VALU_DEP_1)
	v_cmp_gt_i32_e64 s7, 0, v22
	v_cndmask_b32_e64 v22, v22, v43, s7
	v_cmp_eq_u32_e64 s7, 0, v43
	s_delay_alu instid0(VALU_DEP_2)
	v_lshlrev_b32_e32 v22, 2, v22
	ds_bpermute_b32 v31, v22, v21
	s_and_saveexec_b32 s8, vcc_lo
	s_cbranch_execz .LBB1155_97
; %bb.75:
	v_mov_b32_e32 v25, 0
	ds_load_b32 v21, v25 offset:44
	s_and_saveexec_b32 s9, s7
	s_cbranch_execz .LBB1155_77
; %bb.76:
	s_add_i32 s14, s20, 32
	s_mov_b32 s15, 0
	v_mov_b32_e32 v22, 1
	s_lshl_b64 s[14:15], s[14:15], 3
	s_delay_alu instid0(SALU_CYCLE_1)
	s_add_u32 s14, s16, s14
	s_addc_u32 s15, s17, s15
	s_waitcnt lgkmcnt(0)
	global_store_b64 v25, v[21:22], s[14:15]
.LBB1155_77:
	s_or_b32 exec_lo, exec_lo, s9
	v_xad_u32 v23, v43, -1, s20
	s_mov_b32 s14, 0
	s_mov_b32 s9, exec_lo
	s_delay_alu instid0(VALU_DEP_1) | instskip(NEXT) | instid1(VALU_DEP_1)
	v_add_nc_u32_e32 v24, 32, v23
	v_lshlrev_b64 v[24:25], 3, v[24:25]
	s_delay_alu instid0(VALU_DEP_1) | instskip(NEXT) | instid1(VALU_DEP_2)
	v_add_co_u32 v27, vcc_lo, s16, v24
	v_add_co_ci_u32_e32 v28, vcc_lo, s17, v25, vcc_lo
	global_load_b64 v[25:26], v[27:28], off glc
	s_waitcnt vmcnt(0)
	v_and_b32_e32 v22, 0xff, v26
	s_delay_alu instid0(VALU_DEP_1)
	v_cmpx_eq_u16_e32 0, v22
	s_cbranch_execz .LBB1155_83
; %bb.78:
	s_mov_b32 s15, 1
	.p2align	6
.LBB1155_79:                            ; =>This Loop Header: Depth=1
                                        ;     Child Loop BB1155_80 Depth 2
	s_delay_alu instid0(SALU_CYCLE_1)
	s_max_u32 s21, s15, 1
.LBB1155_80:                            ;   Parent Loop BB1155_79 Depth=1
                                        ; =>  This Inner Loop Header: Depth=2
	s_delay_alu instid0(SALU_CYCLE_1)
	s_add_i32 s21, s21, -1
	s_sleep 1
	s_cmp_eq_u32 s21, 0
	s_cbranch_scc0 .LBB1155_80
; %bb.81:                               ;   in Loop: Header=BB1155_79 Depth=1
	global_load_b64 v[25:26], v[27:28], off glc
	s_cmp_lt_u32 s15, 32
	s_cselect_b32 s21, -1, 0
	s_delay_alu instid0(SALU_CYCLE_1) | instskip(SKIP_3) | instid1(VALU_DEP_1)
	s_cmp_lg_u32 s21, 0
	s_addc_u32 s15, s15, 0
	s_waitcnt vmcnt(0)
	v_and_b32_e32 v22, 0xff, v26
	v_cmp_ne_u16_e32 vcc_lo, 0, v22
	s_or_b32 s14, vcc_lo, s14
	s_delay_alu instid0(SALU_CYCLE_1)
	s_and_not1_b32 exec_lo, exec_lo, s14
	s_cbranch_execnz .LBB1155_79
; %bb.82:
	s_or_b32 exec_lo, exec_lo, s14
.LBB1155_83:
	s_delay_alu instid0(SALU_CYCLE_1)
	s_or_b32 exec_lo, exec_lo, s9
	v_cmp_ne_u32_e32 vcc_lo, 31, v43
	v_lshlrev_b32_e64 v35, v43, -1
	v_add_nc_u32_e32 v39, 2, v43
	v_add_nc_u32_e32 v47, 4, v43
	;; [unrolled: 1-line block ×3, first 2 shown]
	v_add_co_ci_u32_e32 v22, vcc_lo, 0, v43, vcc_lo
	v_add_nc_u32_e32 v51, 16, v43
	s_delay_alu instid0(VALU_DEP_2)
	v_lshlrev_b32_e32 v33, 2, v22
	v_and_b32_e32 v22, 0xff, v26
	ds_bpermute_b32 v24, v33, v25
	v_cmp_eq_u16_e32 vcc_lo, 2, v22
	v_and_or_b32 v22, vcc_lo, v35, 0x80000000
	v_cmp_gt_u32_e32 vcc_lo, 30, v43
	s_delay_alu instid0(VALU_DEP_2) | instskip(SKIP_1) | instid1(VALU_DEP_2)
	v_ctz_i32_b32_e32 v22, v22
	v_cndmask_b32_e64 v27, 0, 1, vcc_lo
	v_cmp_lt_u32_e32 vcc_lo, v43, v22
	s_waitcnt lgkmcnt(0)
	s_delay_alu instid0(VALU_DEP_2) | instskip(NEXT) | instid1(VALU_DEP_1)
	v_dual_cndmask_b32 v24, 0, v24 :: v_dual_lshlrev_b32 v27, 1, v27
	v_add_lshl_u32 v37, v27, v43, 2
	v_cmp_gt_u32_e32 vcc_lo, 28, v43
	s_delay_alu instid0(VALU_DEP_3) | instskip(SKIP_4) | instid1(VALU_DEP_1)
	v_add_nc_u32_e32 v24, v24, v25
	v_cndmask_b32_e64 v27, 0, 1, vcc_lo
	v_cmp_le_u32_e32 vcc_lo, v39, v22
	ds_bpermute_b32 v25, v37, v24
	v_lshlrev_b32_e32 v27, 2, v27
	v_add_lshl_u32 v46, v27, v43, 2
	s_waitcnt lgkmcnt(0)
	v_cndmask_b32_e32 v25, 0, v25, vcc_lo
	v_cmp_gt_u32_e32 vcc_lo, 24, v43
	s_delay_alu instid0(VALU_DEP_2) | instskip(SKIP_4) | instid1(VALU_DEP_1)
	v_add_nc_u32_e32 v24, v24, v25
	v_cndmask_b32_e64 v27, 0, 1, vcc_lo
	v_cmp_le_u32_e32 vcc_lo, v47, v22
	ds_bpermute_b32 v25, v46, v24
	v_lshlrev_b32_e32 v27, 3, v27
	v_add_lshl_u32 v48, v27, v43, 2
	s_waitcnt lgkmcnt(0)
	v_cndmask_b32_e32 v25, 0, v25, vcc_lo
	v_cmp_gt_u32_e32 vcc_lo, 16, v43
	s_delay_alu instid0(VALU_DEP_2) | instskip(SKIP_4) | instid1(VALU_DEP_1)
	v_add_nc_u32_e32 v24, v24, v25
	v_cndmask_b32_e64 v27, 0, 1, vcc_lo
	v_cmp_le_u32_e32 vcc_lo, v49, v22
	ds_bpermute_b32 v25, v48, v24
	v_lshlrev_b32_e32 v27, 4, v27
	v_add_lshl_u32 v50, v27, v43, 2
	s_waitcnt lgkmcnt(0)
	v_cndmask_b32_e32 v25, 0, v25, vcc_lo
	v_cmp_le_u32_e32 vcc_lo, v51, v22
	s_delay_alu instid0(VALU_DEP_2) | instskip(SKIP_3) | instid1(VALU_DEP_1)
	v_add_nc_u32_e32 v24, v24, v25
	ds_bpermute_b32 v25, v50, v24
	s_waitcnt lgkmcnt(0)
	v_cndmask_b32_e32 v22, 0, v25, vcc_lo
	v_dual_mov_b32 v24, 0 :: v_dual_add_nc_u32 v25, v24, v22
	s_branch .LBB1155_85
.LBB1155_84:                            ;   in Loop: Header=BB1155_85 Depth=1
	s_or_b32 exec_lo, exec_lo, s9
	ds_bpermute_b32 v28, v33, v25
	v_and_b32_e32 v27, 0xff, v26
	v_subrev_nc_u32_e32 v23, 32, v23
	s_delay_alu instid0(VALU_DEP_2) | instskip(SKIP_1) | instid1(VALU_DEP_1)
	v_cmp_eq_u16_e32 vcc_lo, 2, v27
	v_and_or_b32 v27, vcc_lo, v35, 0x80000000
	v_ctz_i32_b32_e32 v27, v27
	s_delay_alu instid0(VALU_DEP_1) | instskip(SKIP_3) | instid1(VALU_DEP_2)
	v_cmp_lt_u32_e32 vcc_lo, v43, v27
	s_waitcnt lgkmcnt(0)
	v_cndmask_b32_e32 v28, 0, v28, vcc_lo
	v_cmp_le_u32_e32 vcc_lo, v39, v27
	v_add_nc_u32_e32 v25, v28, v25
	ds_bpermute_b32 v28, v37, v25
	s_waitcnt lgkmcnt(0)
	v_cndmask_b32_e32 v28, 0, v28, vcc_lo
	v_cmp_le_u32_e32 vcc_lo, v47, v27
	s_delay_alu instid0(VALU_DEP_2) | instskip(SKIP_4) | instid1(VALU_DEP_2)
	v_add_nc_u32_e32 v25, v25, v28
	ds_bpermute_b32 v28, v46, v25
	s_waitcnt lgkmcnt(0)
	v_cndmask_b32_e32 v28, 0, v28, vcc_lo
	v_cmp_le_u32_e32 vcc_lo, v49, v27
	v_add_nc_u32_e32 v25, v25, v28
	ds_bpermute_b32 v28, v48, v25
	s_waitcnt lgkmcnt(0)
	v_cndmask_b32_e32 v28, 0, v28, vcc_lo
	v_cmp_le_u32_e32 vcc_lo, v51, v27
	s_delay_alu instid0(VALU_DEP_2) | instskip(SKIP_3) | instid1(VALU_DEP_1)
	v_add_nc_u32_e32 v25, v25, v28
	ds_bpermute_b32 v28, v50, v25
	s_waitcnt lgkmcnt(0)
	v_cndmask_b32_e32 v27, 0, v28, vcc_lo
	v_add3_u32 v25, v27, v22, v25
.LBB1155_85:                            ; =>This Loop Header: Depth=1
                                        ;     Child Loop BB1155_88 Depth 2
                                        ;       Child Loop BB1155_89 Depth 3
	v_and_b32_e32 v22, 0xff, v26
	s_delay_alu instid0(VALU_DEP_1) | instskip(SKIP_2) | instid1(VALU_DEP_1)
	v_cmp_ne_u16_e32 vcc_lo, 2, v22
	v_cndmask_b32_e64 v22, 0, 1, vcc_lo
	;;#ASMSTART
	;;#ASMEND
	v_cmp_ne_u32_e32 vcc_lo, 0, v22
	v_mov_b32_e32 v22, v25
	s_cmp_lg_u32 vcc_lo, exec_lo
	s_cbranch_scc1 .LBB1155_92
; %bb.86:                               ;   in Loop: Header=BB1155_85 Depth=1
	v_lshlrev_b64 v[25:26], 3, v[23:24]
	s_mov_b32 s9, exec_lo
	s_delay_alu instid0(VALU_DEP_1) | instskip(NEXT) | instid1(VALU_DEP_2)
	v_add_co_u32 v27, vcc_lo, s16, v25
	v_add_co_ci_u32_e32 v28, vcc_lo, s17, v26, vcc_lo
	global_load_b64 v[25:26], v[27:28], off glc
	s_waitcnt vmcnt(0)
	v_and_b32_e32 v52, 0xff, v26
	s_delay_alu instid0(VALU_DEP_1)
	v_cmpx_eq_u16_e32 0, v52
	s_cbranch_execz .LBB1155_84
; %bb.87:                               ;   in Loop: Header=BB1155_85 Depth=1
	s_mov_b32 s15, 1
	s_mov_b32 s14, 0
	.p2align	6
.LBB1155_88:                            ;   Parent Loop BB1155_85 Depth=1
                                        ; =>  This Loop Header: Depth=2
                                        ;       Child Loop BB1155_89 Depth 3
	s_max_u32 s21, s15, 1
.LBB1155_89:                            ;   Parent Loop BB1155_85 Depth=1
                                        ;     Parent Loop BB1155_88 Depth=2
                                        ; =>    This Inner Loop Header: Depth=3
	s_delay_alu instid0(SALU_CYCLE_1)
	s_add_i32 s21, s21, -1
	s_sleep 1
	s_cmp_eq_u32 s21, 0
	s_cbranch_scc0 .LBB1155_89
; %bb.90:                               ;   in Loop: Header=BB1155_88 Depth=2
	global_load_b64 v[25:26], v[27:28], off glc
	s_cmp_lt_u32 s15, 32
	s_cselect_b32 s21, -1, 0
	s_delay_alu instid0(SALU_CYCLE_1) | instskip(SKIP_3) | instid1(VALU_DEP_1)
	s_cmp_lg_u32 s21, 0
	s_addc_u32 s15, s15, 0
	s_waitcnt vmcnt(0)
	v_and_b32_e32 v52, 0xff, v26
	v_cmp_ne_u16_e32 vcc_lo, 0, v52
	s_or_b32 s14, vcc_lo, s14
	s_delay_alu instid0(SALU_CYCLE_1)
	s_and_not1_b32 exec_lo, exec_lo, s14
	s_cbranch_execnz .LBB1155_88
; %bb.91:                               ;   in Loop: Header=BB1155_85 Depth=1
	s_or_b32 exec_lo, exec_lo, s14
	s_branch .LBB1155_84
.LBB1155_92:                            ;   in Loop: Header=BB1155_85 Depth=1
                                        ; implicit-def: $vgpr25
                                        ; implicit-def: $vgpr26
	s_cbranch_execz .LBB1155_85
; %bb.93:
	s_and_saveexec_b32 s9, s7
	s_cbranch_execz .LBB1155_95
; %bb.94:
	s_add_i32 s14, s20, 32
	s_mov_b32 s15, 0
	v_dual_mov_b32 v24, 2 :: v_dual_add_nc_u32 v23, v22, v21
	s_lshl_b64 s[14:15], s[14:15], 3
	v_mov_b32_e32 v25, 0
	s_add_u32 s14, s16, s14
	s_addc_u32 s15, s17, s15
	global_store_b64 v25, v[23:24], s[14:15]
	ds_store_b64 v25, v[21:22] offset:12672
.LBB1155_95:
	s_or_b32 exec_lo, exec_lo, s9
	s_delay_alu instid0(SALU_CYCLE_1)
	s_and_b32 exec_lo, exec_lo, s2
	s_cbranch_execz .LBB1155_97
; %bb.96:
	v_mov_b32_e32 v21, 0
	ds_store_b32 v21, v22 offset:44
.LBB1155_97:
	s_or_b32 exec_lo, exec_lo, s8
	v_mov_b32_e32 v21, 0
	s_waitcnt lgkmcnt(0)
	s_waitcnt_vscnt null, 0x0
	s_barrier
	buffer_gl0_inv
	v_cndmask_b32_e64 v23, v31, v29, s7
	ds_load_b32 v22, v21 offset:44
	s_waitcnt lgkmcnt(0)
	s_barrier
	buffer_gl0_inv
	v_cndmask_b32_e64 v23, v23, 0, s2
	s_delay_alu instid0(VALU_DEP_1) | instskip(SKIP_2) | instid1(VALU_DEP_1)
	v_add_nc_u32_e32 v39, v22, v23
	ds_load_b64 v[21:22], v21 offset:12672
	v_add_nc_u32_e32 v37, v39, v30
	v_add_nc_u32_e32 v35, v37, v32
	s_delay_alu instid0(VALU_DEP_1) | instskip(NEXT) | instid1(VALU_DEP_1)
	v_add_nc_u32_e32 v33, v35, v34
	v_add_nc_u32_e32 v31, v33, v36
	s_delay_alu instid0(VALU_DEP_1) | instskip(NEXT) | instid1(VALU_DEP_1)
	v_add_nc_u32_e32 v29, v31, v38
	v_add_nc_u32_e32 v27, v29, v40
	s_delay_alu instid0(VALU_DEP_1)
	v_add_nc_u32_e32 v25, v27, v42
	v_lshrrev_b64 v[23:24], 24, v[19:20]
	s_branch .LBB1155_108
.LBB1155_98:
                                        ; implicit-def: $vgpr25
                                        ; implicit-def: $vgpr27
                                        ; implicit-def: $vgpr29
                                        ; implicit-def: $vgpr31
                                        ; implicit-def: $vgpr33
                                        ; implicit-def: $vgpr35
                                        ; implicit-def: $vgpr37
                                        ; implicit-def: $vgpr39
                                        ; implicit-def: $vgpr22
	v_lshrrev_b64 v[23:24], 24, v[19:20]
	s_and_b32 vcc_lo, exec_lo, s7
	s_cbranch_vccz .LBB1155_108
; %bb.99:
	s_waitcnt lgkmcnt(0)
	v_mov_b32_dpp v21, v45 row_shr:1 row_mask:0xf bank_mask:0xf
	s_delay_alu instid0(VALU_DEP_1) | instskip(NEXT) | instid1(VALU_DEP_1)
	v_cndmask_b32_e64 v21, v21, 0, s3
	v_add_nc_u32_e32 v21, v21, v45
	s_delay_alu instid0(VALU_DEP_1) | instskip(NEXT) | instid1(VALU_DEP_1)
	v_mov_b32_dpp v22, v21 row_shr:2 row_mask:0xf bank_mask:0xf
	v_cndmask_b32_e64 v22, 0, v22, s4
	s_delay_alu instid0(VALU_DEP_1) | instskip(NEXT) | instid1(VALU_DEP_1)
	v_add_nc_u32_e32 v21, v21, v22
	v_mov_b32_dpp v22, v21 row_shr:4 row_mask:0xf bank_mask:0xf
	s_delay_alu instid0(VALU_DEP_1) | instskip(NEXT) | instid1(VALU_DEP_1)
	v_cndmask_b32_e64 v22, 0, v22, s1
	v_add_nc_u32_e32 v21, v21, v22
	s_delay_alu instid0(VALU_DEP_1) | instskip(NEXT) | instid1(VALU_DEP_1)
	v_mov_b32_dpp v22, v21 row_shr:8 row_mask:0xf bank_mask:0xf
	v_cndmask_b32_e64 v22, 0, v22, s0
	s_delay_alu instid0(VALU_DEP_1) | instskip(SKIP_3) | instid1(VALU_DEP_1)
	v_add_nc_u32_e32 v21, v21, v22
	ds_swizzle_b32 v22, v21 offset:swizzle(BROADCAST,32,15)
	s_waitcnt lgkmcnt(0)
	v_cndmask_b32_e64 v22, v22, 0, s6
	v_add_nc_u32_e32 v21, v21, v22
	s_and_saveexec_b32 s6, s5
	s_cbranch_execz .LBB1155_101
; %bb.100:
	v_lshlrev_b32_e32 v22, 2, v44
	ds_store_b32 v22, v21
.LBB1155_101:
	s_or_b32 exec_lo, exec_lo, s6
	s_delay_alu instid0(SALU_CYCLE_1)
	s_mov_b32 s5, exec_lo
	s_waitcnt lgkmcnt(0)
	s_barrier
	buffer_gl0_inv
	v_cmpx_gt_u32_e32 12, v0
	s_cbranch_execz .LBB1155_103
; %bb.102:
	v_lshlrev_b32_e32 v22, 2, v0
	ds_load_b32 v24, v22
	s_waitcnt lgkmcnt(0)
	v_mov_b32_dpp v25, v24 row_shr:1 row_mask:0xf bank_mask:0xf
	s_delay_alu instid0(VALU_DEP_1) | instskip(NEXT) | instid1(VALU_DEP_1)
	v_cndmask_b32_e64 v25, v25, 0, s3
	v_add_nc_u32_e32 v24, v25, v24
	s_delay_alu instid0(VALU_DEP_1) | instskip(NEXT) | instid1(VALU_DEP_1)
	v_mov_b32_dpp v25, v24 row_shr:2 row_mask:0xf bank_mask:0xf
	v_cndmask_b32_e64 v25, 0, v25, s4
	s_delay_alu instid0(VALU_DEP_1) | instskip(NEXT) | instid1(VALU_DEP_1)
	v_add_nc_u32_e32 v24, v24, v25
	v_mov_b32_dpp v25, v24 row_shr:4 row_mask:0xf bank_mask:0xf
	s_delay_alu instid0(VALU_DEP_1) | instskip(NEXT) | instid1(VALU_DEP_1)
	v_cndmask_b32_e64 v25, 0, v25, s1
	v_add_nc_u32_e32 v24, v24, v25
	s_delay_alu instid0(VALU_DEP_1) | instskip(NEXT) | instid1(VALU_DEP_1)
	v_mov_b32_dpp v25, v24 row_shr:8 row_mask:0xf bank_mask:0xf
	v_cndmask_b32_e64 v25, 0, v25, s0
	s_delay_alu instid0(VALU_DEP_1)
	v_add_nc_u32_e32 v24, v24, v25
	ds_store_b32 v22, v24
.LBB1155_103:
	s_or_b32 exec_lo, exec_lo, s5
	v_mov_b32_e32 v22, 0
	v_mov_b32_e32 v24, 0
	s_mov_b32 s0, exec_lo
	s_waitcnt lgkmcnt(0)
	s_barrier
	buffer_gl0_inv
	v_cmpx_lt_u32_e32 31, v0
	s_cbranch_execz .LBB1155_105
; %bb.104:
	v_lshl_add_u32 v24, v44, 2, -4
	ds_load_b32 v24, v24
.LBB1155_105:
	s_or_b32 exec_lo, exec_lo, s0
	v_add_nc_u32_e32 v25, -1, v43
	s_waitcnt lgkmcnt(0)
	v_add_nc_u32_e32 v21, v24, v21
	s_delay_alu instid0(VALU_DEP_2) | instskip(SKIP_1) | instid1(VALU_DEP_1)
	v_cmp_gt_i32_e32 vcc_lo, 0, v25
	v_cndmask_b32_e32 v25, v25, v43, vcc_lo
	v_lshlrev_b32_e32 v25, 2, v25
	ds_bpermute_b32 v25, v25, v21
	ds_load_b32 v21, v22 offset:44
	s_and_saveexec_b32 s0, s2
	s_cbranch_execz .LBB1155_107
; %bb.106:
	v_mov_b32_e32 v26, 0
	v_mov_b32_e32 v22, 2
	s_waitcnt lgkmcnt(0)
	global_store_b64 v26, v[21:22], s[16:17] offset:256
.LBB1155_107:
	s_or_b32 exec_lo, exec_lo, s0
	v_cmp_eq_u32_e32 vcc_lo, 0, v43
	s_waitcnt lgkmcnt(0)
	s_waitcnt_vscnt null, 0x0
	s_barrier
	buffer_gl0_inv
	v_cndmask_b32_e32 v22, v25, v24, vcc_lo
	s_delay_alu instid0(VALU_DEP_1) | instskip(NEXT) | instid1(VALU_DEP_1)
	v_cndmask_b32_e64 v39, v22, 0, s2
	v_dual_mov_b32 v22, 0 :: v_dual_add_nc_u32 v37, v39, v30
	s_delay_alu instid0(VALU_DEP_1) | instskip(NEXT) | instid1(VALU_DEP_1)
	v_add_nc_u32_e32 v35, v37, v32
	v_add_nc_u32_e32 v33, v35, v34
	s_delay_alu instid0(VALU_DEP_1) | instskip(NEXT) | instid1(VALU_DEP_1)
	v_add_nc_u32_e32 v31, v33, v36
	v_add_nc_u32_e32 v29, v31, v38
	;; [unrolled: 3-line block ×3, first 2 shown]
.LBB1155_108:
	v_lshrrev_b32_e32 v44, 8, v19
	v_lshrrev_b32_e32 v43, 16, v19
	v_and_b32_e32 v19, 1, v19
	s_waitcnt lgkmcnt(0)
	v_cmp_gt_u32_e64 s0, 0x181, v21
	v_lshrrev_b32_e32 v42, 8, v20
	v_lshrrev_b32_e32 v24, 16, v20
	v_cmp_eq_u32_e64 s1, 1, v19
	s_delay_alu instid0(VALU_DEP_4)
	s_and_b32 vcc_lo, exec_lo, s0
	s_cbranch_vccnz .LBB1155_126
; %bb.109:
	s_delay_alu instid0(VALU_DEP_1)
	s_and_saveexec_b32 s3, s1
	s_cbranch_execz .LBB1155_111
; %bb.110:
	v_sub_nc_u32_e32 v26, v39, v22
	s_delay_alu instid0(VALU_DEP_1)
	v_lshlrev_b32_e32 v26, 2, v26
	ds_store_b32 v26, v17
.LBB1155_111:
	s_or_b32 exec_lo, exec_lo, s3
	v_and_b32_e32 v17, 1, v44
	s_mov_b32 s1, exec_lo
	s_delay_alu instid0(VALU_DEP_1)
	v_cmpx_eq_u32_e32 1, v17
	s_cbranch_execz .LBB1155_113
; %bb.112:
	v_sub_nc_u32_e32 v17, v37, v22
	s_delay_alu instid0(VALU_DEP_1)
	v_lshlrev_b32_e32 v17, 2, v17
	ds_store_b32 v17, v18
.LBB1155_113:
	s_or_b32 exec_lo, exec_lo, s1
	v_and_b32_e32 v17, 1, v43
	s_mov_b32 s1, exec_lo
	s_delay_alu instid0(VALU_DEP_1)
	v_cmpx_eq_u32_e32 1, v17
	;; [unrolled: 12-line block ×7, first 2 shown]
	s_cbranch_execz .LBB1155_125
; %bb.124:
	v_sub_nc_u32_e32 v5, v25, v22
	s_delay_alu instid0(VALU_DEP_1)
	v_lshlrev_b32_e32 v5, 2, v5
	ds_store_b32 v5, v6
.LBB1155_125:
	s_or_b32 exec_lo, exec_lo, s1
	s_waitcnt lgkmcnt(0)
	s_barrier
	buffer_gl0_inv
.LBB1155_126:
	s_and_b32 vcc_lo, exec_lo, s0
	s_mov_b32 s0, -1
	s_barrier
	buffer_gl0_inv
	s_cbranch_vccz .LBB1155_154
; %bb.127:
	v_lshlrev_b64 v[5:6], 2, v[9:10]
	v_add_nc_u32_e32 v11, v22, v21
	s_delay_alu instid0(VALU_DEP_1) | instskip(NEXT) | instid1(VALU_DEP_3)
	v_cmp_lt_u32_e32 vcc_lo, v39, v11
	v_add_co_u32 v5, s0, s10, v5
	s_delay_alu instid0(VALU_DEP_1) | instskip(SKIP_1) | instid1(SALU_CYCLE_1)
	v_add_co_ci_u32_e64 v6, s0, s11, v6, s0
	s_or_b32 s1, s19, vcc_lo
	s_and_saveexec_b32 s0, s1
	s_cbranch_execz .LBB1155_130
; %bb.128:
	v_cmp_eq_u32_e32 vcc_lo, 1, v19
	s_and_b32 exec_lo, exec_lo, vcc_lo
	s_cbranch_execz .LBB1155_130
; %bb.129:
	v_mov_b32_e32 v40, 0
	s_delay_alu instid0(VALU_DEP_1) | instskip(NEXT) | instid1(VALU_DEP_1)
	v_lshlrev_b64 v[15:16], 2, v[39:40]
	v_add_co_u32 v15, vcc_lo, v5, v15
	s_delay_alu instid0(VALU_DEP_2)
	v_add_co_ci_u32_e32 v16, vcc_lo, v6, v16, vcc_lo
	global_store_b32 v[15:16], v13, off
.LBB1155_130:
	s_or_b32 exec_lo, exec_lo, s0
	v_cmp_lt_u32_e32 vcc_lo, v37, v11
	s_or_b32 s1, s19, vcc_lo
	s_delay_alu instid0(SALU_CYCLE_1)
	s_and_saveexec_b32 s0, s1
	s_cbranch_execz .LBB1155_133
; %bb.131:
	v_and_b32_e32 v12, 1, v44
	s_delay_alu instid0(VALU_DEP_1)
	v_cmp_eq_u32_e32 vcc_lo, 1, v12
	s_and_b32 exec_lo, exec_lo, vcc_lo
	s_cbranch_execz .LBB1155_133
; %bb.132:
	v_mov_b32_e32 v38, 0
	s_delay_alu instid0(VALU_DEP_1) | instskip(NEXT) | instid1(VALU_DEP_1)
	v_lshlrev_b64 v[15:16], 2, v[37:38]
	v_add_co_u32 v15, vcc_lo, v5, v15
	s_delay_alu instid0(VALU_DEP_2)
	v_add_co_ci_u32_e32 v16, vcc_lo, v6, v16, vcc_lo
	global_store_b32 v[15:16], v14, off
.LBB1155_133:
	s_or_b32 exec_lo, exec_lo, s0
	v_cmp_lt_u32_e32 vcc_lo, v35, v11
	s_or_b32 s1, s19, vcc_lo
	s_delay_alu instid0(SALU_CYCLE_1)
	s_and_saveexec_b32 s0, s1
	s_cbranch_execz .LBB1155_136
; %bb.134:
	v_and_b32_e32 v12, 1, v43
	s_delay_alu instid0(VALU_DEP_1)
	v_cmp_eq_u32_e32 vcc_lo, 1, v12
	s_and_b32 exec_lo, exec_lo, vcc_lo
	s_cbranch_execz .LBB1155_136
; %bb.135:
	v_mov_b32_e32 v36, 0
	s_delay_alu instid0(VALU_DEP_1) | instskip(NEXT) | instid1(VALU_DEP_1)
	v_lshlrev_b64 v[15:16], 2, v[35:36]
	v_add_co_u32 v15, vcc_lo, v5, v15
	s_delay_alu instid0(VALU_DEP_2)
	v_add_co_ci_u32_e32 v16, vcc_lo, v6, v16, vcc_lo
	global_store_b32 v[15:16], v7, off
.LBB1155_136:
	;; [unrolled: 21-line block ×7, first 2 shown]
	s_or_b32 exec_lo, exec_lo, s0
.LBB1155_152:
	s_and_b32 s0, s2, s18
	s_delay_alu instid0(SALU_CYCLE_1)
	s_and_saveexec_b32 s1, s0
	s_cbranch_execz .LBB1155_175
.LBB1155_153:
	v_add_co_u32 v0, vcc_lo, v9, v21
	v_add_co_ci_u32_e32 v1, vcc_lo, 0, v10, vcc_lo
	v_mov_b32_e32 v2, 0
	s_delay_alu instid0(VALU_DEP_3) | instskip(NEXT) | instid1(VALU_DEP_3)
	v_add_co_u32 v0, vcc_lo, v0, v22
	v_add_co_ci_u32_e32 v1, vcc_lo, 0, v1, vcc_lo
	global_store_b64 v2, v[0:1], s[12:13]
	s_nop 0
	s_sendmsg sendmsg(MSG_DEALLOC_VGPRS)
	s_endpgm
.LBB1155_154:
	s_and_b32 vcc_lo, exec_lo, s0
	s_cbranch_vccz .LBB1155_152
; %bb.155:
	s_mov_b32 s0, exec_lo
	v_cmpx_eq_u32_e32 1, v19
	s_cbranch_execz .LBB1155_157
; %bb.156:
	v_sub_nc_u32_e32 v5, v39, v22
	s_delay_alu instid0(VALU_DEP_1)
	v_lshlrev_b32_e32 v5, 2, v5
	ds_store_b32 v5, v13
.LBB1155_157:
	s_or_b32 exec_lo, exec_lo, s0
	v_and_b32_e32 v5, 1, v44
	s_mov_b32 s0, exec_lo
	s_delay_alu instid0(VALU_DEP_1)
	v_cmpx_eq_u32_e32 1, v5
	s_cbranch_execz .LBB1155_159
; %bb.158:
	v_sub_nc_u32_e32 v5, v37, v22
	s_delay_alu instid0(VALU_DEP_1)
	v_lshlrev_b32_e32 v5, 2, v5
	ds_store_b32 v5, v14
.LBB1155_159:
	s_or_b32 exec_lo, exec_lo, s0
	v_and_b32_e32 v5, 1, v43
	s_mov_b32 s0, exec_lo
	s_delay_alu instid0(VALU_DEP_1)
	v_cmpx_eq_u32_e32 1, v5
	s_cbranch_execz .LBB1155_161
; %bb.160:
	v_sub_nc_u32_e32 v5, v35, v22
	s_delay_alu instid0(VALU_DEP_1)
	v_lshlrev_b32_e32 v5, 2, v5
	ds_store_b32 v5, v7
.LBB1155_161:
	s_or_b32 exec_lo, exec_lo, s0
	v_and_b32_e32 v5, 1, v23
	s_mov_b32 s0, exec_lo
	s_delay_alu instid0(VALU_DEP_1)
	v_cmpx_eq_u32_e32 1, v5
	s_cbranch_execz .LBB1155_163
; %bb.162:
	v_sub_nc_u32_e32 v5, v33, v22
	s_delay_alu instid0(VALU_DEP_1)
	v_lshlrev_b32_e32 v5, 2, v5
	ds_store_b32 v5, v8
.LBB1155_163:
	s_or_b32 exec_lo, exec_lo, s0
	v_and_b32_e32 v5, 1, v20
	s_mov_b32 s0, exec_lo
	s_delay_alu instid0(VALU_DEP_1)
	v_cmpx_eq_u32_e32 1, v5
	s_cbranch_execz .LBB1155_165
; %bb.164:
	v_sub_nc_u32_e32 v5, v31, v22
	s_delay_alu instid0(VALU_DEP_1)
	v_lshlrev_b32_e32 v5, 2, v5
	ds_store_b32 v5, v3
.LBB1155_165:
	s_or_b32 exec_lo, exec_lo, s0
	v_and_b32_e32 v3, 1, v42
	s_mov_b32 s0, exec_lo
	s_delay_alu instid0(VALU_DEP_1)
	v_cmpx_eq_u32_e32 1, v3
	s_cbranch_execz .LBB1155_167
; %bb.166:
	v_sub_nc_u32_e32 v3, v29, v22
	s_delay_alu instid0(VALU_DEP_1)
	v_lshlrev_b32_e32 v3, 2, v3
	ds_store_b32 v3, v4
.LBB1155_167:
	s_or_b32 exec_lo, exec_lo, s0
	v_and_b32_e32 v3, 1, v24
	s_mov_b32 s0, exec_lo
	s_delay_alu instid0(VALU_DEP_1)
	v_cmpx_eq_u32_e32 1, v3
	s_cbranch_execz .LBB1155_169
; %bb.168:
	v_sub_nc_u32_e32 v3, v27, v22
	s_delay_alu instid0(VALU_DEP_1)
	v_lshlrev_b32_e32 v3, 2, v3
	ds_store_b32 v3, v1
.LBB1155_169:
	s_or_b32 exec_lo, exec_lo, s0
	v_and_b32_e32 v1, 1, v41
	s_mov_b32 s0, exec_lo
	s_delay_alu instid0(VALU_DEP_1)
	v_cmpx_eq_u32_e32 1, v1
	s_cbranch_execz .LBB1155_171
; %bb.170:
	v_sub_nc_u32_e32 v1, v25, v22
	s_delay_alu instid0(VALU_DEP_1)
	v_lshlrev_b32_e32 v1, 2, v1
	ds_store_b32 v1, v2
.LBB1155_171:
	s_or_b32 exec_lo, exec_lo, s0
	s_delay_alu instid0(SALU_CYCLE_1)
	s_mov_b32 s1, exec_lo
	s_waitcnt lgkmcnt(0)
	s_waitcnt_vscnt null, 0x0
	s_barrier
	buffer_gl0_inv
	v_cmpx_lt_u32_e64 v0, v21
	s_cbranch_execz .LBB1155_174
; %bb.172:
	v_dual_mov_b32 v1, 0 :: v_dual_mov_b32 v2, v22
	v_lshlrev_b64 v[4:5], 2, v[9:10]
	s_mov_b32 s3, 0
	s_delay_alu instid0(VALU_DEP_2) | instskip(NEXT) | instid1(VALU_DEP_2)
	v_mov_b32_e32 v3, v1
	v_add_co_u32 v4, vcc_lo, s10, v4
	s_delay_alu instid0(VALU_DEP_2) | instskip(NEXT) | instid1(VALU_DEP_4)
	v_lshlrev_b64 v[2:3], 2, v[2:3]
	v_add_co_ci_u32_e32 v5, vcc_lo, s11, v5, vcc_lo
	s_delay_alu instid0(VALU_DEP_2) | instskip(SKIP_1) | instid1(VALU_DEP_3)
	v_add_co_u32 v2, vcc_lo, v4, v2
	v_lshlrev_b32_e32 v4, 2, v0
	v_add_co_ci_u32_e32 v3, vcc_lo, v5, v3, vcc_lo
	.p2align	6
.LBB1155_173:                           ; =>This Inner Loop Header: Depth=1
	ds_load_b32 v7, v4
	v_lshlrev_b64 v[5:6], 2, v[0:1]
	v_add_nc_u32_e32 v0, 0x180, v0
	v_add_nc_u32_e32 v4, 0x600, v4
	s_delay_alu instid0(VALU_DEP_2) | instskip(NEXT) | instid1(VALU_DEP_4)
	v_cmp_ge_u32_e32 vcc_lo, v0, v21
	v_add_co_u32 v5, s0, v2, v5
	s_delay_alu instid0(VALU_DEP_1)
	v_add_co_ci_u32_e64 v6, s0, v3, v6, s0
	s_or_b32 s3, vcc_lo, s3
	s_waitcnt lgkmcnt(0)
	global_store_b32 v[5:6], v7, off
	s_and_not1_b32 exec_lo, exec_lo, s3
	s_cbranch_execnz .LBB1155_173
.LBB1155_174:
	s_or_b32 exec_lo, exec_lo, s1
	s_and_b32 s0, s2, s18
	s_delay_alu instid0(SALU_CYCLE_1)
	s_and_saveexec_b32 s1, s0
	s_cbranch_execnz .LBB1155_153
.LBB1155_175:
	s_nop 0
	s_sendmsg sendmsg(MSG_DEALLOC_VGPRS)
	s_endpgm
	.section	.rodata,"a",@progbits
	.p2align	6, 0x0
	.amdhsa_kernel _ZN7rocprim17ROCPRIM_400000_NS6detail17trampoline_kernelINS0_14default_configENS1_25partition_config_selectorILNS1_17partition_subalgoE9EijbEEZZNS1_14partition_implILS5_9ELb0ES3_jN6thrust23THRUST_200600_302600_NS6detail15normal_iteratorINS9_10device_ptrIiEEEENSB_INSC_IjEEEEPNS0_10empty_typeENS0_5tupleIJNS9_16discard_iteratorINS9_11use_defaultEEESH_EEENSJ_IJSG_SI_EEENS0_18inequality_wrapperINS9_8equal_toIiEEEEPmJSH_EEE10hipError_tPvRmT3_T4_T5_T6_T7_T9_mT8_P12ihipStream_tbDpT10_ENKUlT_T0_E_clISt17integral_constantIbLb1EES1D_EEDaS18_S19_EUlS18_E_NS1_11comp_targetILNS1_3genE9ELNS1_11target_archE1100ELNS1_3gpuE3ELNS1_3repE0EEENS1_30default_config_static_selectorELNS0_4arch9wavefront6targetE0EEEvT1_
		.amdhsa_group_segment_fixed_size 12680
		.amdhsa_private_segment_fixed_size 0
		.amdhsa_kernarg_size 136
		.amdhsa_user_sgpr_count 15
		.amdhsa_user_sgpr_dispatch_ptr 0
		.amdhsa_user_sgpr_queue_ptr 0
		.amdhsa_user_sgpr_kernarg_segment_ptr 1
		.amdhsa_user_sgpr_dispatch_id 0
		.amdhsa_user_sgpr_private_segment_size 0
		.amdhsa_wavefront_size32 1
		.amdhsa_uses_dynamic_stack 0
		.amdhsa_enable_private_segment 0
		.amdhsa_system_sgpr_workgroup_id_x 1
		.amdhsa_system_sgpr_workgroup_id_y 0
		.amdhsa_system_sgpr_workgroup_id_z 0
		.amdhsa_system_sgpr_workgroup_info 0
		.amdhsa_system_vgpr_workitem_id 0
		.amdhsa_next_free_vgpr 53
		.amdhsa_next_free_sgpr 26
		.amdhsa_reserve_vcc 1
		.amdhsa_float_round_mode_32 0
		.amdhsa_float_round_mode_16_64 0
		.amdhsa_float_denorm_mode_32 3
		.amdhsa_float_denorm_mode_16_64 3
		.amdhsa_dx10_clamp 1
		.amdhsa_ieee_mode 1
		.amdhsa_fp16_overflow 0
		.amdhsa_workgroup_processor_mode 1
		.amdhsa_memory_ordered 1
		.amdhsa_forward_progress 0
		.amdhsa_shared_vgpr_count 0
		.amdhsa_exception_fp_ieee_invalid_op 0
		.amdhsa_exception_fp_denorm_src 0
		.amdhsa_exception_fp_ieee_div_zero 0
		.amdhsa_exception_fp_ieee_overflow 0
		.amdhsa_exception_fp_ieee_underflow 0
		.amdhsa_exception_fp_ieee_inexact 0
		.amdhsa_exception_int_div_zero 0
	.end_amdhsa_kernel
	.section	.text._ZN7rocprim17ROCPRIM_400000_NS6detail17trampoline_kernelINS0_14default_configENS1_25partition_config_selectorILNS1_17partition_subalgoE9EijbEEZZNS1_14partition_implILS5_9ELb0ES3_jN6thrust23THRUST_200600_302600_NS6detail15normal_iteratorINS9_10device_ptrIiEEEENSB_INSC_IjEEEEPNS0_10empty_typeENS0_5tupleIJNS9_16discard_iteratorINS9_11use_defaultEEESH_EEENSJ_IJSG_SI_EEENS0_18inequality_wrapperINS9_8equal_toIiEEEEPmJSH_EEE10hipError_tPvRmT3_T4_T5_T6_T7_T9_mT8_P12ihipStream_tbDpT10_ENKUlT_T0_E_clISt17integral_constantIbLb1EES1D_EEDaS18_S19_EUlS18_E_NS1_11comp_targetILNS1_3genE9ELNS1_11target_archE1100ELNS1_3gpuE3ELNS1_3repE0EEENS1_30default_config_static_selectorELNS0_4arch9wavefront6targetE0EEEvT1_,"axG",@progbits,_ZN7rocprim17ROCPRIM_400000_NS6detail17trampoline_kernelINS0_14default_configENS1_25partition_config_selectorILNS1_17partition_subalgoE9EijbEEZZNS1_14partition_implILS5_9ELb0ES3_jN6thrust23THRUST_200600_302600_NS6detail15normal_iteratorINS9_10device_ptrIiEEEENSB_INSC_IjEEEEPNS0_10empty_typeENS0_5tupleIJNS9_16discard_iteratorINS9_11use_defaultEEESH_EEENSJ_IJSG_SI_EEENS0_18inequality_wrapperINS9_8equal_toIiEEEEPmJSH_EEE10hipError_tPvRmT3_T4_T5_T6_T7_T9_mT8_P12ihipStream_tbDpT10_ENKUlT_T0_E_clISt17integral_constantIbLb1EES1D_EEDaS18_S19_EUlS18_E_NS1_11comp_targetILNS1_3genE9ELNS1_11target_archE1100ELNS1_3gpuE3ELNS1_3repE0EEENS1_30default_config_static_selectorELNS0_4arch9wavefront6targetE0EEEvT1_,comdat
.Lfunc_end1155:
	.size	_ZN7rocprim17ROCPRIM_400000_NS6detail17trampoline_kernelINS0_14default_configENS1_25partition_config_selectorILNS1_17partition_subalgoE9EijbEEZZNS1_14partition_implILS5_9ELb0ES3_jN6thrust23THRUST_200600_302600_NS6detail15normal_iteratorINS9_10device_ptrIiEEEENSB_INSC_IjEEEEPNS0_10empty_typeENS0_5tupleIJNS9_16discard_iteratorINS9_11use_defaultEEESH_EEENSJ_IJSG_SI_EEENS0_18inequality_wrapperINS9_8equal_toIiEEEEPmJSH_EEE10hipError_tPvRmT3_T4_T5_T6_T7_T9_mT8_P12ihipStream_tbDpT10_ENKUlT_T0_E_clISt17integral_constantIbLb1EES1D_EEDaS18_S19_EUlS18_E_NS1_11comp_targetILNS1_3genE9ELNS1_11target_archE1100ELNS1_3gpuE3ELNS1_3repE0EEENS1_30default_config_static_selectorELNS0_4arch9wavefront6targetE0EEEvT1_, .Lfunc_end1155-_ZN7rocprim17ROCPRIM_400000_NS6detail17trampoline_kernelINS0_14default_configENS1_25partition_config_selectorILNS1_17partition_subalgoE9EijbEEZZNS1_14partition_implILS5_9ELb0ES3_jN6thrust23THRUST_200600_302600_NS6detail15normal_iteratorINS9_10device_ptrIiEEEENSB_INSC_IjEEEEPNS0_10empty_typeENS0_5tupleIJNS9_16discard_iteratorINS9_11use_defaultEEESH_EEENSJ_IJSG_SI_EEENS0_18inequality_wrapperINS9_8equal_toIiEEEEPmJSH_EEE10hipError_tPvRmT3_T4_T5_T6_T7_T9_mT8_P12ihipStream_tbDpT10_ENKUlT_T0_E_clISt17integral_constantIbLb1EES1D_EEDaS18_S19_EUlS18_E_NS1_11comp_targetILNS1_3genE9ELNS1_11target_archE1100ELNS1_3gpuE3ELNS1_3repE0EEENS1_30default_config_static_selectorELNS0_4arch9wavefront6targetE0EEEvT1_
                                        ; -- End function
	.section	.AMDGPU.csdata,"",@progbits
; Kernel info:
; codeLenInByte = 8592
; NumSgprs: 28
; NumVgprs: 53
; ScratchSize: 0
; MemoryBound: 0
; FloatMode: 240
; IeeeMode: 1
; LDSByteSize: 12680 bytes/workgroup (compile time only)
; SGPRBlocks: 3
; VGPRBlocks: 6
; NumSGPRsForWavesPerEU: 28
; NumVGPRsForWavesPerEU: 53
; Occupancy: 15
; WaveLimiterHint : 1
; COMPUTE_PGM_RSRC2:SCRATCH_EN: 0
; COMPUTE_PGM_RSRC2:USER_SGPR: 15
; COMPUTE_PGM_RSRC2:TRAP_HANDLER: 0
; COMPUTE_PGM_RSRC2:TGID_X_EN: 1
; COMPUTE_PGM_RSRC2:TGID_Y_EN: 0
; COMPUTE_PGM_RSRC2:TGID_Z_EN: 0
; COMPUTE_PGM_RSRC2:TIDIG_COMP_CNT: 0
	.section	.text._ZN7rocprim17ROCPRIM_400000_NS6detail17trampoline_kernelINS0_14default_configENS1_25partition_config_selectorILNS1_17partition_subalgoE9EijbEEZZNS1_14partition_implILS5_9ELb0ES3_jN6thrust23THRUST_200600_302600_NS6detail15normal_iteratorINS9_10device_ptrIiEEEENSB_INSC_IjEEEEPNS0_10empty_typeENS0_5tupleIJNS9_16discard_iteratorINS9_11use_defaultEEESH_EEENSJ_IJSG_SI_EEENS0_18inequality_wrapperINS9_8equal_toIiEEEEPmJSH_EEE10hipError_tPvRmT3_T4_T5_T6_T7_T9_mT8_P12ihipStream_tbDpT10_ENKUlT_T0_E_clISt17integral_constantIbLb1EES1D_EEDaS18_S19_EUlS18_E_NS1_11comp_targetILNS1_3genE8ELNS1_11target_archE1030ELNS1_3gpuE2ELNS1_3repE0EEENS1_30default_config_static_selectorELNS0_4arch9wavefront6targetE0EEEvT1_,"axG",@progbits,_ZN7rocprim17ROCPRIM_400000_NS6detail17trampoline_kernelINS0_14default_configENS1_25partition_config_selectorILNS1_17partition_subalgoE9EijbEEZZNS1_14partition_implILS5_9ELb0ES3_jN6thrust23THRUST_200600_302600_NS6detail15normal_iteratorINS9_10device_ptrIiEEEENSB_INSC_IjEEEEPNS0_10empty_typeENS0_5tupleIJNS9_16discard_iteratorINS9_11use_defaultEEESH_EEENSJ_IJSG_SI_EEENS0_18inequality_wrapperINS9_8equal_toIiEEEEPmJSH_EEE10hipError_tPvRmT3_T4_T5_T6_T7_T9_mT8_P12ihipStream_tbDpT10_ENKUlT_T0_E_clISt17integral_constantIbLb1EES1D_EEDaS18_S19_EUlS18_E_NS1_11comp_targetILNS1_3genE8ELNS1_11target_archE1030ELNS1_3gpuE2ELNS1_3repE0EEENS1_30default_config_static_selectorELNS0_4arch9wavefront6targetE0EEEvT1_,comdat
	.protected	_ZN7rocprim17ROCPRIM_400000_NS6detail17trampoline_kernelINS0_14default_configENS1_25partition_config_selectorILNS1_17partition_subalgoE9EijbEEZZNS1_14partition_implILS5_9ELb0ES3_jN6thrust23THRUST_200600_302600_NS6detail15normal_iteratorINS9_10device_ptrIiEEEENSB_INSC_IjEEEEPNS0_10empty_typeENS0_5tupleIJNS9_16discard_iteratorINS9_11use_defaultEEESH_EEENSJ_IJSG_SI_EEENS0_18inequality_wrapperINS9_8equal_toIiEEEEPmJSH_EEE10hipError_tPvRmT3_T4_T5_T6_T7_T9_mT8_P12ihipStream_tbDpT10_ENKUlT_T0_E_clISt17integral_constantIbLb1EES1D_EEDaS18_S19_EUlS18_E_NS1_11comp_targetILNS1_3genE8ELNS1_11target_archE1030ELNS1_3gpuE2ELNS1_3repE0EEENS1_30default_config_static_selectorELNS0_4arch9wavefront6targetE0EEEvT1_ ; -- Begin function _ZN7rocprim17ROCPRIM_400000_NS6detail17trampoline_kernelINS0_14default_configENS1_25partition_config_selectorILNS1_17partition_subalgoE9EijbEEZZNS1_14partition_implILS5_9ELb0ES3_jN6thrust23THRUST_200600_302600_NS6detail15normal_iteratorINS9_10device_ptrIiEEEENSB_INSC_IjEEEEPNS0_10empty_typeENS0_5tupleIJNS9_16discard_iteratorINS9_11use_defaultEEESH_EEENSJ_IJSG_SI_EEENS0_18inequality_wrapperINS9_8equal_toIiEEEEPmJSH_EEE10hipError_tPvRmT3_T4_T5_T6_T7_T9_mT8_P12ihipStream_tbDpT10_ENKUlT_T0_E_clISt17integral_constantIbLb1EES1D_EEDaS18_S19_EUlS18_E_NS1_11comp_targetILNS1_3genE8ELNS1_11target_archE1030ELNS1_3gpuE2ELNS1_3repE0EEENS1_30default_config_static_selectorELNS0_4arch9wavefront6targetE0EEEvT1_
	.globl	_ZN7rocprim17ROCPRIM_400000_NS6detail17trampoline_kernelINS0_14default_configENS1_25partition_config_selectorILNS1_17partition_subalgoE9EijbEEZZNS1_14partition_implILS5_9ELb0ES3_jN6thrust23THRUST_200600_302600_NS6detail15normal_iteratorINS9_10device_ptrIiEEEENSB_INSC_IjEEEEPNS0_10empty_typeENS0_5tupleIJNS9_16discard_iteratorINS9_11use_defaultEEESH_EEENSJ_IJSG_SI_EEENS0_18inequality_wrapperINS9_8equal_toIiEEEEPmJSH_EEE10hipError_tPvRmT3_T4_T5_T6_T7_T9_mT8_P12ihipStream_tbDpT10_ENKUlT_T0_E_clISt17integral_constantIbLb1EES1D_EEDaS18_S19_EUlS18_E_NS1_11comp_targetILNS1_3genE8ELNS1_11target_archE1030ELNS1_3gpuE2ELNS1_3repE0EEENS1_30default_config_static_selectorELNS0_4arch9wavefront6targetE0EEEvT1_
	.p2align	8
	.type	_ZN7rocprim17ROCPRIM_400000_NS6detail17trampoline_kernelINS0_14default_configENS1_25partition_config_selectorILNS1_17partition_subalgoE9EijbEEZZNS1_14partition_implILS5_9ELb0ES3_jN6thrust23THRUST_200600_302600_NS6detail15normal_iteratorINS9_10device_ptrIiEEEENSB_INSC_IjEEEEPNS0_10empty_typeENS0_5tupleIJNS9_16discard_iteratorINS9_11use_defaultEEESH_EEENSJ_IJSG_SI_EEENS0_18inequality_wrapperINS9_8equal_toIiEEEEPmJSH_EEE10hipError_tPvRmT3_T4_T5_T6_T7_T9_mT8_P12ihipStream_tbDpT10_ENKUlT_T0_E_clISt17integral_constantIbLb1EES1D_EEDaS18_S19_EUlS18_E_NS1_11comp_targetILNS1_3genE8ELNS1_11target_archE1030ELNS1_3gpuE2ELNS1_3repE0EEENS1_30default_config_static_selectorELNS0_4arch9wavefront6targetE0EEEvT1_,@function
_ZN7rocprim17ROCPRIM_400000_NS6detail17trampoline_kernelINS0_14default_configENS1_25partition_config_selectorILNS1_17partition_subalgoE9EijbEEZZNS1_14partition_implILS5_9ELb0ES3_jN6thrust23THRUST_200600_302600_NS6detail15normal_iteratorINS9_10device_ptrIiEEEENSB_INSC_IjEEEEPNS0_10empty_typeENS0_5tupleIJNS9_16discard_iteratorINS9_11use_defaultEEESH_EEENSJ_IJSG_SI_EEENS0_18inequality_wrapperINS9_8equal_toIiEEEEPmJSH_EEE10hipError_tPvRmT3_T4_T5_T6_T7_T9_mT8_P12ihipStream_tbDpT10_ENKUlT_T0_E_clISt17integral_constantIbLb1EES1D_EEDaS18_S19_EUlS18_E_NS1_11comp_targetILNS1_3genE8ELNS1_11target_archE1030ELNS1_3gpuE2ELNS1_3repE0EEENS1_30default_config_static_selectorELNS0_4arch9wavefront6targetE0EEEvT1_: ; @_ZN7rocprim17ROCPRIM_400000_NS6detail17trampoline_kernelINS0_14default_configENS1_25partition_config_selectorILNS1_17partition_subalgoE9EijbEEZZNS1_14partition_implILS5_9ELb0ES3_jN6thrust23THRUST_200600_302600_NS6detail15normal_iteratorINS9_10device_ptrIiEEEENSB_INSC_IjEEEEPNS0_10empty_typeENS0_5tupleIJNS9_16discard_iteratorINS9_11use_defaultEEESH_EEENSJ_IJSG_SI_EEENS0_18inequality_wrapperINS9_8equal_toIiEEEEPmJSH_EEE10hipError_tPvRmT3_T4_T5_T6_T7_T9_mT8_P12ihipStream_tbDpT10_ENKUlT_T0_E_clISt17integral_constantIbLb1EES1D_EEDaS18_S19_EUlS18_E_NS1_11comp_targetILNS1_3genE8ELNS1_11target_archE1030ELNS1_3gpuE2ELNS1_3repE0EEENS1_30default_config_static_selectorELNS0_4arch9wavefront6targetE0EEEvT1_
; %bb.0:
	.section	.rodata,"a",@progbits
	.p2align	6, 0x0
	.amdhsa_kernel _ZN7rocprim17ROCPRIM_400000_NS6detail17trampoline_kernelINS0_14default_configENS1_25partition_config_selectorILNS1_17partition_subalgoE9EijbEEZZNS1_14partition_implILS5_9ELb0ES3_jN6thrust23THRUST_200600_302600_NS6detail15normal_iteratorINS9_10device_ptrIiEEEENSB_INSC_IjEEEEPNS0_10empty_typeENS0_5tupleIJNS9_16discard_iteratorINS9_11use_defaultEEESH_EEENSJ_IJSG_SI_EEENS0_18inequality_wrapperINS9_8equal_toIiEEEEPmJSH_EEE10hipError_tPvRmT3_T4_T5_T6_T7_T9_mT8_P12ihipStream_tbDpT10_ENKUlT_T0_E_clISt17integral_constantIbLb1EES1D_EEDaS18_S19_EUlS18_E_NS1_11comp_targetILNS1_3genE8ELNS1_11target_archE1030ELNS1_3gpuE2ELNS1_3repE0EEENS1_30default_config_static_selectorELNS0_4arch9wavefront6targetE0EEEvT1_
		.amdhsa_group_segment_fixed_size 0
		.amdhsa_private_segment_fixed_size 0
		.amdhsa_kernarg_size 136
		.amdhsa_user_sgpr_count 15
		.amdhsa_user_sgpr_dispatch_ptr 0
		.amdhsa_user_sgpr_queue_ptr 0
		.amdhsa_user_sgpr_kernarg_segment_ptr 1
		.amdhsa_user_sgpr_dispatch_id 0
		.amdhsa_user_sgpr_private_segment_size 0
		.amdhsa_wavefront_size32 1
		.amdhsa_uses_dynamic_stack 0
		.amdhsa_enable_private_segment 0
		.amdhsa_system_sgpr_workgroup_id_x 1
		.amdhsa_system_sgpr_workgroup_id_y 0
		.amdhsa_system_sgpr_workgroup_id_z 0
		.amdhsa_system_sgpr_workgroup_info 0
		.amdhsa_system_vgpr_workitem_id 0
		.amdhsa_next_free_vgpr 1
		.amdhsa_next_free_sgpr 1
		.amdhsa_reserve_vcc 0
		.amdhsa_float_round_mode_32 0
		.amdhsa_float_round_mode_16_64 0
		.amdhsa_float_denorm_mode_32 3
		.amdhsa_float_denorm_mode_16_64 3
		.amdhsa_dx10_clamp 1
		.amdhsa_ieee_mode 1
		.amdhsa_fp16_overflow 0
		.amdhsa_workgroup_processor_mode 1
		.amdhsa_memory_ordered 1
		.amdhsa_forward_progress 0
		.amdhsa_shared_vgpr_count 0
		.amdhsa_exception_fp_ieee_invalid_op 0
		.amdhsa_exception_fp_denorm_src 0
		.amdhsa_exception_fp_ieee_div_zero 0
		.amdhsa_exception_fp_ieee_overflow 0
		.amdhsa_exception_fp_ieee_underflow 0
		.amdhsa_exception_fp_ieee_inexact 0
		.amdhsa_exception_int_div_zero 0
	.end_amdhsa_kernel
	.section	.text._ZN7rocprim17ROCPRIM_400000_NS6detail17trampoline_kernelINS0_14default_configENS1_25partition_config_selectorILNS1_17partition_subalgoE9EijbEEZZNS1_14partition_implILS5_9ELb0ES3_jN6thrust23THRUST_200600_302600_NS6detail15normal_iteratorINS9_10device_ptrIiEEEENSB_INSC_IjEEEEPNS0_10empty_typeENS0_5tupleIJNS9_16discard_iteratorINS9_11use_defaultEEESH_EEENSJ_IJSG_SI_EEENS0_18inequality_wrapperINS9_8equal_toIiEEEEPmJSH_EEE10hipError_tPvRmT3_T4_T5_T6_T7_T9_mT8_P12ihipStream_tbDpT10_ENKUlT_T0_E_clISt17integral_constantIbLb1EES1D_EEDaS18_S19_EUlS18_E_NS1_11comp_targetILNS1_3genE8ELNS1_11target_archE1030ELNS1_3gpuE2ELNS1_3repE0EEENS1_30default_config_static_selectorELNS0_4arch9wavefront6targetE0EEEvT1_,"axG",@progbits,_ZN7rocprim17ROCPRIM_400000_NS6detail17trampoline_kernelINS0_14default_configENS1_25partition_config_selectorILNS1_17partition_subalgoE9EijbEEZZNS1_14partition_implILS5_9ELb0ES3_jN6thrust23THRUST_200600_302600_NS6detail15normal_iteratorINS9_10device_ptrIiEEEENSB_INSC_IjEEEEPNS0_10empty_typeENS0_5tupleIJNS9_16discard_iteratorINS9_11use_defaultEEESH_EEENSJ_IJSG_SI_EEENS0_18inequality_wrapperINS9_8equal_toIiEEEEPmJSH_EEE10hipError_tPvRmT3_T4_T5_T6_T7_T9_mT8_P12ihipStream_tbDpT10_ENKUlT_T0_E_clISt17integral_constantIbLb1EES1D_EEDaS18_S19_EUlS18_E_NS1_11comp_targetILNS1_3genE8ELNS1_11target_archE1030ELNS1_3gpuE2ELNS1_3repE0EEENS1_30default_config_static_selectorELNS0_4arch9wavefront6targetE0EEEvT1_,comdat
.Lfunc_end1156:
	.size	_ZN7rocprim17ROCPRIM_400000_NS6detail17trampoline_kernelINS0_14default_configENS1_25partition_config_selectorILNS1_17partition_subalgoE9EijbEEZZNS1_14partition_implILS5_9ELb0ES3_jN6thrust23THRUST_200600_302600_NS6detail15normal_iteratorINS9_10device_ptrIiEEEENSB_INSC_IjEEEEPNS0_10empty_typeENS0_5tupleIJNS9_16discard_iteratorINS9_11use_defaultEEESH_EEENSJ_IJSG_SI_EEENS0_18inequality_wrapperINS9_8equal_toIiEEEEPmJSH_EEE10hipError_tPvRmT3_T4_T5_T6_T7_T9_mT8_P12ihipStream_tbDpT10_ENKUlT_T0_E_clISt17integral_constantIbLb1EES1D_EEDaS18_S19_EUlS18_E_NS1_11comp_targetILNS1_3genE8ELNS1_11target_archE1030ELNS1_3gpuE2ELNS1_3repE0EEENS1_30default_config_static_selectorELNS0_4arch9wavefront6targetE0EEEvT1_, .Lfunc_end1156-_ZN7rocprim17ROCPRIM_400000_NS6detail17trampoline_kernelINS0_14default_configENS1_25partition_config_selectorILNS1_17partition_subalgoE9EijbEEZZNS1_14partition_implILS5_9ELb0ES3_jN6thrust23THRUST_200600_302600_NS6detail15normal_iteratorINS9_10device_ptrIiEEEENSB_INSC_IjEEEEPNS0_10empty_typeENS0_5tupleIJNS9_16discard_iteratorINS9_11use_defaultEEESH_EEENSJ_IJSG_SI_EEENS0_18inequality_wrapperINS9_8equal_toIiEEEEPmJSH_EEE10hipError_tPvRmT3_T4_T5_T6_T7_T9_mT8_P12ihipStream_tbDpT10_ENKUlT_T0_E_clISt17integral_constantIbLb1EES1D_EEDaS18_S19_EUlS18_E_NS1_11comp_targetILNS1_3genE8ELNS1_11target_archE1030ELNS1_3gpuE2ELNS1_3repE0EEENS1_30default_config_static_selectorELNS0_4arch9wavefront6targetE0EEEvT1_
                                        ; -- End function
	.section	.AMDGPU.csdata,"",@progbits
; Kernel info:
; codeLenInByte = 0
; NumSgprs: 0
; NumVgprs: 0
; ScratchSize: 0
; MemoryBound: 0
; FloatMode: 240
; IeeeMode: 1
; LDSByteSize: 0 bytes/workgroup (compile time only)
; SGPRBlocks: 0
; VGPRBlocks: 0
; NumSGPRsForWavesPerEU: 1
; NumVGPRsForWavesPerEU: 1
; Occupancy: 16
; WaveLimiterHint : 0
; COMPUTE_PGM_RSRC2:SCRATCH_EN: 0
; COMPUTE_PGM_RSRC2:USER_SGPR: 15
; COMPUTE_PGM_RSRC2:TRAP_HANDLER: 0
; COMPUTE_PGM_RSRC2:TGID_X_EN: 1
; COMPUTE_PGM_RSRC2:TGID_Y_EN: 0
; COMPUTE_PGM_RSRC2:TGID_Z_EN: 0
; COMPUTE_PGM_RSRC2:TIDIG_COMP_CNT: 0
	.section	.text._ZN7rocprim17ROCPRIM_400000_NS6detail17trampoline_kernelINS0_14default_configENS1_25partition_config_selectorILNS1_17partition_subalgoE9EijbEEZZNS1_14partition_implILS5_9ELb0ES3_jN6thrust23THRUST_200600_302600_NS6detail15normal_iteratorINS9_10device_ptrIiEEEENSB_INSC_IjEEEEPNS0_10empty_typeENS0_5tupleIJNS9_16discard_iteratorINS9_11use_defaultEEESH_EEENSJ_IJSG_SI_EEENS0_18inequality_wrapperINS9_8equal_toIiEEEEPmJSH_EEE10hipError_tPvRmT3_T4_T5_T6_T7_T9_mT8_P12ihipStream_tbDpT10_ENKUlT_T0_E_clISt17integral_constantIbLb1EES1C_IbLb0EEEEDaS18_S19_EUlS18_E_NS1_11comp_targetILNS1_3genE0ELNS1_11target_archE4294967295ELNS1_3gpuE0ELNS1_3repE0EEENS1_30default_config_static_selectorELNS0_4arch9wavefront6targetE0EEEvT1_,"axG",@progbits,_ZN7rocprim17ROCPRIM_400000_NS6detail17trampoline_kernelINS0_14default_configENS1_25partition_config_selectorILNS1_17partition_subalgoE9EijbEEZZNS1_14partition_implILS5_9ELb0ES3_jN6thrust23THRUST_200600_302600_NS6detail15normal_iteratorINS9_10device_ptrIiEEEENSB_INSC_IjEEEEPNS0_10empty_typeENS0_5tupleIJNS9_16discard_iteratorINS9_11use_defaultEEESH_EEENSJ_IJSG_SI_EEENS0_18inequality_wrapperINS9_8equal_toIiEEEEPmJSH_EEE10hipError_tPvRmT3_T4_T5_T6_T7_T9_mT8_P12ihipStream_tbDpT10_ENKUlT_T0_E_clISt17integral_constantIbLb1EES1C_IbLb0EEEEDaS18_S19_EUlS18_E_NS1_11comp_targetILNS1_3genE0ELNS1_11target_archE4294967295ELNS1_3gpuE0ELNS1_3repE0EEENS1_30default_config_static_selectorELNS0_4arch9wavefront6targetE0EEEvT1_,comdat
	.protected	_ZN7rocprim17ROCPRIM_400000_NS6detail17trampoline_kernelINS0_14default_configENS1_25partition_config_selectorILNS1_17partition_subalgoE9EijbEEZZNS1_14partition_implILS5_9ELb0ES3_jN6thrust23THRUST_200600_302600_NS6detail15normal_iteratorINS9_10device_ptrIiEEEENSB_INSC_IjEEEEPNS0_10empty_typeENS0_5tupleIJNS9_16discard_iteratorINS9_11use_defaultEEESH_EEENSJ_IJSG_SI_EEENS0_18inequality_wrapperINS9_8equal_toIiEEEEPmJSH_EEE10hipError_tPvRmT3_T4_T5_T6_T7_T9_mT8_P12ihipStream_tbDpT10_ENKUlT_T0_E_clISt17integral_constantIbLb1EES1C_IbLb0EEEEDaS18_S19_EUlS18_E_NS1_11comp_targetILNS1_3genE0ELNS1_11target_archE4294967295ELNS1_3gpuE0ELNS1_3repE0EEENS1_30default_config_static_selectorELNS0_4arch9wavefront6targetE0EEEvT1_ ; -- Begin function _ZN7rocprim17ROCPRIM_400000_NS6detail17trampoline_kernelINS0_14default_configENS1_25partition_config_selectorILNS1_17partition_subalgoE9EijbEEZZNS1_14partition_implILS5_9ELb0ES3_jN6thrust23THRUST_200600_302600_NS6detail15normal_iteratorINS9_10device_ptrIiEEEENSB_INSC_IjEEEEPNS0_10empty_typeENS0_5tupleIJNS9_16discard_iteratorINS9_11use_defaultEEESH_EEENSJ_IJSG_SI_EEENS0_18inequality_wrapperINS9_8equal_toIiEEEEPmJSH_EEE10hipError_tPvRmT3_T4_T5_T6_T7_T9_mT8_P12ihipStream_tbDpT10_ENKUlT_T0_E_clISt17integral_constantIbLb1EES1C_IbLb0EEEEDaS18_S19_EUlS18_E_NS1_11comp_targetILNS1_3genE0ELNS1_11target_archE4294967295ELNS1_3gpuE0ELNS1_3repE0EEENS1_30default_config_static_selectorELNS0_4arch9wavefront6targetE0EEEvT1_
	.globl	_ZN7rocprim17ROCPRIM_400000_NS6detail17trampoline_kernelINS0_14default_configENS1_25partition_config_selectorILNS1_17partition_subalgoE9EijbEEZZNS1_14partition_implILS5_9ELb0ES3_jN6thrust23THRUST_200600_302600_NS6detail15normal_iteratorINS9_10device_ptrIiEEEENSB_INSC_IjEEEEPNS0_10empty_typeENS0_5tupleIJNS9_16discard_iteratorINS9_11use_defaultEEESH_EEENSJ_IJSG_SI_EEENS0_18inequality_wrapperINS9_8equal_toIiEEEEPmJSH_EEE10hipError_tPvRmT3_T4_T5_T6_T7_T9_mT8_P12ihipStream_tbDpT10_ENKUlT_T0_E_clISt17integral_constantIbLb1EES1C_IbLb0EEEEDaS18_S19_EUlS18_E_NS1_11comp_targetILNS1_3genE0ELNS1_11target_archE4294967295ELNS1_3gpuE0ELNS1_3repE0EEENS1_30default_config_static_selectorELNS0_4arch9wavefront6targetE0EEEvT1_
	.p2align	8
	.type	_ZN7rocprim17ROCPRIM_400000_NS6detail17trampoline_kernelINS0_14default_configENS1_25partition_config_selectorILNS1_17partition_subalgoE9EijbEEZZNS1_14partition_implILS5_9ELb0ES3_jN6thrust23THRUST_200600_302600_NS6detail15normal_iteratorINS9_10device_ptrIiEEEENSB_INSC_IjEEEEPNS0_10empty_typeENS0_5tupleIJNS9_16discard_iteratorINS9_11use_defaultEEESH_EEENSJ_IJSG_SI_EEENS0_18inequality_wrapperINS9_8equal_toIiEEEEPmJSH_EEE10hipError_tPvRmT3_T4_T5_T6_T7_T9_mT8_P12ihipStream_tbDpT10_ENKUlT_T0_E_clISt17integral_constantIbLb1EES1C_IbLb0EEEEDaS18_S19_EUlS18_E_NS1_11comp_targetILNS1_3genE0ELNS1_11target_archE4294967295ELNS1_3gpuE0ELNS1_3repE0EEENS1_30default_config_static_selectorELNS0_4arch9wavefront6targetE0EEEvT1_,@function
_ZN7rocprim17ROCPRIM_400000_NS6detail17trampoline_kernelINS0_14default_configENS1_25partition_config_selectorILNS1_17partition_subalgoE9EijbEEZZNS1_14partition_implILS5_9ELb0ES3_jN6thrust23THRUST_200600_302600_NS6detail15normal_iteratorINS9_10device_ptrIiEEEENSB_INSC_IjEEEEPNS0_10empty_typeENS0_5tupleIJNS9_16discard_iteratorINS9_11use_defaultEEESH_EEENSJ_IJSG_SI_EEENS0_18inequality_wrapperINS9_8equal_toIiEEEEPmJSH_EEE10hipError_tPvRmT3_T4_T5_T6_T7_T9_mT8_P12ihipStream_tbDpT10_ENKUlT_T0_E_clISt17integral_constantIbLb1EES1C_IbLb0EEEEDaS18_S19_EUlS18_E_NS1_11comp_targetILNS1_3genE0ELNS1_11target_archE4294967295ELNS1_3gpuE0ELNS1_3repE0EEENS1_30default_config_static_selectorELNS0_4arch9wavefront6targetE0EEEvT1_: ; @_ZN7rocprim17ROCPRIM_400000_NS6detail17trampoline_kernelINS0_14default_configENS1_25partition_config_selectorILNS1_17partition_subalgoE9EijbEEZZNS1_14partition_implILS5_9ELb0ES3_jN6thrust23THRUST_200600_302600_NS6detail15normal_iteratorINS9_10device_ptrIiEEEENSB_INSC_IjEEEEPNS0_10empty_typeENS0_5tupleIJNS9_16discard_iteratorINS9_11use_defaultEEESH_EEENSJ_IJSG_SI_EEENS0_18inequality_wrapperINS9_8equal_toIiEEEEPmJSH_EEE10hipError_tPvRmT3_T4_T5_T6_T7_T9_mT8_P12ihipStream_tbDpT10_ENKUlT_T0_E_clISt17integral_constantIbLb1EES1C_IbLb0EEEEDaS18_S19_EUlS18_E_NS1_11comp_targetILNS1_3genE0ELNS1_11target_archE4294967295ELNS1_3gpuE0ELNS1_3repE0EEENS1_30default_config_static_selectorELNS0_4arch9wavefront6targetE0EEEvT1_
; %bb.0:
	.section	.rodata,"a",@progbits
	.p2align	6, 0x0
	.amdhsa_kernel _ZN7rocprim17ROCPRIM_400000_NS6detail17trampoline_kernelINS0_14default_configENS1_25partition_config_selectorILNS1_17partition_subalgoE9EijbEEZZNS1_14partition_implILS5_9ELb0ES3_jN6thrust23THRUST_200600_302600_NS6detail15normal_iteratorINS9_10device_ptrIiEEEENSB_INSC_IjEEEEPNS0_10empty_typeENS0_5tupleIJNS9_16discard_iteratorINS9_11use_defaultEEESH_EEENSJ_IJSG_SI_EEENS0_18inequality_wrapperINS9_8equal_toIiEEEEPmJSH_EEE10hipError_tPvRmT3_T4_T5_T6_T7_T9_mT8_P12ihipStream_tbDpT10_ENKUlT_T0_E_clISt17integral_constantIbLb1EES1C_IbLb0EEEEDaS18_S19_EUlS18_E_NS1_11comp_targetILNS1_3genE0ELNS1_11target_archE4294967295ELNS1_3gpuE0ELNS1_3repE0EEENS1_30default_config_static_selectorELNS0_4arch9wavefront6targetE0EEEvT1_
		.amdhsa_group_segment_fixed_size 0
		.amdhsa_private_segment_fixed_size 0
		.amdhsa_kernarg_size 120
		.amdhsa_user_sgpr_count 15
		.amdhsa_user_sgpr_dispatch_ptr 0
		.amdhsa_user_sgpr_queue_ptr 0
		.amdhsa_user_sgpr_kernarg_segment_ptr 1
		.amdhsa_user_sgpr_dispatch_id 0
		.amdhsa_user_sgpr_private_segment_size 0
		.amdhsa_wavefront_size32 1
		.amdhsa_uses_dynamic_stack 0
		.amdhsa_enable_private_segment 0
		.amdhsa_system_sgpr_workgroup_id_x 1
		.amdhsa_system_sgpr_workgroup_id_y 0
		.amdhsa_system_sgpr_workgroup_id_z 0
		.amdhsa_system_sgpr_workgroup_info 0
		.amdhsa_system_vgpr_workitem_id 0
		.amdhsa_next_free_vgpr 1
		.amdhsa_next_free_sgpr 1
		.amdhsa_reserve_vcc 0
		.amdhsa_float_round_mode_32 0
		.amdhsa_float_round_mode_16_64 0
		.amdhsa_float_denorm_mode_32 3
		.amdhsa_float_denorm_mode_16_64 3
		.amdhsa_dx10_clamp 1
		.amdhsa_ieee_mode 1
		.amdhsa_fp16_overflow 0
		.amdhsa_workgroup_processor_mode 1
		.amdhsa_memory_ordered 1
		.amdhsa_forward_progress 0
		.amdhsa_shared_vgpr_count 0
		.amdhsa_exception_fp_ieee_invalid_op 0
		.amdhsa_exception_fp_denorm_src 0
		.amdhsa_exception_fp_ieee_div_zero 0
		.amdhsa_exception_fp_ieee_overflow 0
		.amdhsa_exception_fp_ieee_underflow 0
		.amdhsa_exception_fp_ieee_inexact 0
		.amdhsa_exception_int_div_zero 0
	.end_amdhsa_kernel
	.section	.text._ZN7rocprim17ROCPRIM_400000_NS6detail17trampoline_kernelINS0_14default_configENS1_25partition_config_selectorILNS1_17partition_subalgoE9EijbEEZZNS1_14partition_implILS5_9ELb0ES3_jN6thrust23THRUST_200600_302600_NS6detail15normal_iteratorINS9_10device_ptrIiEEEENSB_INSC_IjEEEEPNS0_10empty_typeENS0_5tupleIJNS9_16discard_iteratorINS9_11use_defaultEEESH_EEENSJ_IJSG_SI_EEENS0_18inequality_wrapperINS9_8equal_toIiEEEEPmJSH_EEE10hipError_tPvRmT3_T4_T5_T6_T7_T9_mT8_P12ihipStream_tbDpT10_ENKUlT_T0_E_clISt17integral_constantIbLb1EES1C_IbLb0EEEEDaS18_S19_EUlS18_E_NS1_11comp_targetILNS1_3genE0ELNS1_11target_archE4294967295ELNS1_3gpuE0ELNS1_3repE0EEENS1_30default_config_static_selectorELNS0_4arch9wavefront6targetE0EEEvT1_,"axG",@progbits,_ZN7rocprim17ROCPRIM_400000_NS6detail17trampoline_kernelINS0_14default_configENS1_25partition_config_selectorILNS1_17partition_subalgoE9EijbEEZZNS1_14partition_implILS5_9ELb0ES3_jN6thrust23THRUST_200600_302600_NS6detail15normal_iteratorINS9_10device_ptrIiEEEENSB_INSC_IjEEEEPNS0_10empty_typeENS0_5tupleIJNS9_16discard_iteratorINS9_11use_defaultEEESH_EEENSJ_IJSG_SI_EEENS0_18inequality_wrapperINS9_8equal_toIiEEEEPmJSH_EEE10hipError_tPvRmT3_T4_T5_T6_T7_T9_mT8_P12ihipStream_tbDpT10_ENKUlT_T0_E_clISt17integral_constantIbLb1EES1C_IbLb0EEEEDaS18_S19_EUlS18_E_NS1_11comp_targetILNS1_3genE0ELNS1_11target_archE4294967295ELNS1_3gpuE0ELNS1_3repE0EEENS1_30default_config_static_selectorELNS0_4arch9wavefront6targetE0EEEvT1_,comdat
.Lfunc_end1157:
	.size	_ZN7rocprim17ROCPRIM_400000_NS6detail17trampoline_kernelINS0_14default_configENS1_25partition_config_selectorILNS1_17partition_subalgoE9EijbEEZZNS1_14partition_implILS5_9ELb0ES3_jN6thrust23THRUST_200600_302600_NS6detail15normal_iteratorINS9_10device_ptrIiEEEENSB_INSC_IjEEEEPNS0_10empty_typeENS0_5tupleIJNS9_16discard_iteratorINS9_11use_defaultEEESH_EEENSJ_IJSG_SI_EEENS0_18inequality_wrapperINS9_8equal_toIiEEEEPmJSH_EEE10hipError_tPvRmT3_T4_T5_T6_T7_T9_mT8_P12ihipStream_tbDpT10_ENKUlT_T0_E_clISt17integral_constantIbLb1EES1C_IbLb0EEEEDaS18_S19_EUlS18_E_NS1_11comp_targetILNS1_3genE0ELNS1_11target_archE4294967295ELNS1_3gpuE0ELNS1_3repE0EEENS1_30default_config_static_selectorELNS0_4arch9wavefront6targetE0EEEvT1_, .Lfunc_end1157-_ZN7rocprim17ROCPRIM_400000_NS6detail17trampoline_kernelINS0_14default_configENS1_25partition_config_selectorILNS1_17partition_subalgoE9EijbEEZZNS1_14partition_implILS5_9ELb0ES3_jN6thrust23THRUST_200600_302600_NS6detail15normal_iteratorINS9_10device_ptrIiEEEENSB_INSC_IjEEEEPNS0_10empty_typeENS0_5tupleIJNS9_16discard_iteratorINS9_11use_defaultEEESH_EEENSJ_IJSG_SI_EEENS0_18inequality_wrapperINS9_8equal_toIiEEEEPmJSH_EEE10hipError_tPvRmT3_T4_T5_T6_T7_T9_mT8_P12ihipStream_tbDpT10_ENKUlT_T0_E_clISt17integral_constantIbLb1EES1C_IbLb0EEEEDaS18_S19_EUlS18_E_NS1_11comp_targetILNS1_3genE0ELNS1_11target_archE4294967295ELNS1_3gpuE0ELNS1_3repE0EEENS1_30default_config_static_selectorELNS0_4arch9wavefront6targetE0EEEvT1_
                                        ; -- End function
	.section	.AMDGPU.csdata,"",@progbits
; Kernel info:
; codeLenInByte = 0
; NumSgprs: 0
; NumVgprs: 0
; ScratchSize: 0
; MemoryBound: 0
; FloatMode: 240
; IeeeMode: 1
; LDSByteSize: 0 bytes/workgroup (compile time only)
; SGPRBlocks: 0
; VGPRBlocks: 0
; NumSGPRsForWavesPerEU: 1
; NumVGPRsForWavesPerEU: 1
; Occupancy: 16
; WaveLimiterHint : 0
; COMPUTE_PGM_RSRC2:SCRATCH_EN: 0
; COMPUTE_PGM_RSRC2:USER_SGPR: 15
; COMPUTE_PGM_RSRC2:TRAP_HANDLER: 0
; COMPUTE_PGM_RSRC2:TGID_X_EN: 1
; COMPUTE_PGM_RSRC2:TGID_Y_EN: 0
; COMPUTE_PGM_RSRC2:TGID_Z_EN: 0
; COMPUTE_PGM_RSRC2:TIDIG_COMP_CNT: 0
	.section	.text._ZN7rocprim17ROCPRIM_400000_NS6detail17trampoline_kernelINS0_14default_configENS1_25partition_config_selectorILNS1_17partition_subalgoE9EijbEEZZNS1_14partition_implILS5_9ELb0ES3_jN6thrust23THRUST_200600_302600_NS6detail15normal_iteratorINS9_10device_ptrIiEEEENSB_INSC_IjEEEEPNS0_10empty_typeENS0_5tupleIJNS9_16discard_iteratorINS9_11use_defaultEEESH_EEENSJ_IJSG_SI_EEENS0_18inequality_wrapperINS9_8equal_toIiEEEEPmJSH_EEE10hipError_tPvRmT3_T4_T5_T6_T7_T9_mT8_P12ihipStream_tbDpT10_ENKUlT_T0_E_clISt17integral_constantIbLb1EES1C_IbLb0EEEEDaS18_S19_EUlS18_E_NS1_11comp_targetILNS1_3genE5ELNS1_11target_archE942ELNS1_3gpuE9ELNS1_3repE0EEENS1_30default_config_static_selectorELNS0_4arch9wavefront6targetE0EEEvT1_,"axG",@progbits,_ZN7rocprim17ROCPRIM_400000_NS6detail17trampoline_kernelINS0_14default_configENS1_25partition_config_selectorILNS1_17partition_subalgoE9EijbEEZZNS1_14partition_implILS5_9ELb0ES3_jN6thrust23THRUST_200600_302600_NS6detail15normal_iteratorINS9_10device_ptrIiEEEENSB_INSC_IjEEEEPNS0_10empty_typeENS0_5tupleIJNS9_16discard_iteratorINS9_11use_defaultEEESH_EEENSJ_IJSG_SI_EEENS0_18inequality_wrapperINS9_8equal_toIiEEEEPmJSH_EEE10hipError_tPvRmT3_T4_T5_T6_T7_T9_mT8_P12ihipStream_tbDpT10_ENKUlT_T0_E_clISt17integral_constantIbLb1EES1C_IbLb0EEEEDaS18_S19_EUlS18_E_NS1_11comp_targetILNS1_3genE5ELNS1_11target_archE942ELNS1_3gpuE9ELNS1_3repE0EEENS1_30default_config_static_selectorELNS0_4arch9wavefront6targetE0EEEvT1_,comdat
	.protected	_ZN7rocprim17ROCPRIM_400000_NS6detail17trampoline_kernelINS0_14default_configENS1_25partition_config_selectorILNS1_17partition_subalgoE9EijbEEZZNS1_14partition_implILS5_9ELb0ES3_jN6thrust23THRUST_200600_302600_NS6detail15normal_iteratorINS9_10device_ptrIiEEEENSB_INSC_IjEEEEPNS0_10empty_typeENS0_5tupleIJNS9_16discard_iteratorINS9_11use_defaultEEESH_EEENSJ_IJSG_SI_EEENS0_18inequality_wrapperINS9_8equal_toIiEEEEPmJSH_EEE10hipError_tPvRmT3_T4_T5_T6_T7_T9_mT8_P12ihipStream_tbDpT10_ENKUlT_T0_E_clISt17integral_constantIbLb1EES1C_IbLb0EEEEDaS18_S19_EUlS18_E_NS1_11comp_targetILNS1_3genE5ELNS1_11target_archE942ELNS1_3gpuE9ELNS1_3repE0EEENS1_30default_config_static_selectorELNS0_4arch9wavefront6targetE0EEEvT1_ ; -- Begin function _ZN7rocprim17ROCPRIM_400000_NS6detail17trampoline_kernelINS0_14default_configENS1_25partition_config_selectorILNS1_17partition_subalgoE9EijbEEZZNS1_14partition_implILS5_9ELb0ES3_jN6thrust23THRUST_200600_302600_NS6detail15normal_iteratorINS9_10device_ptrIiEEEENSB_INSC_IjEEEEPNS0_10empty_typeENS0_5tupleIJNS9_16discard_iteratorINS9_11use_defaultEEESH_EEENSJ_IJSG_SI_EEENS0_18inequality_wrapperINS9_8equal_toIiEEEEPmJSH_EEE10hipError_tPvRmT3_T4_T5_T6_T7_T9_mT8_P12ihipStream_tbDpT10_ENKUlT_T0_E_clISt17integral_constantIbLb1EES1C_IbLb0EEEEDaS18_S19_EUlS18_E_NS1_11comp_targetILNS1_3genE5ELNS1_11target_archE942ELNS1_3gpuE9ELNS1_3repE0EEENS1_30default_config_static_selectorELNS0_4arch9wavefront6targetE0EEEvT1_
	.globl	_ZN7rocprim17ROCPRIM_400000_NS6detail17trampoline_kernelINS0_14default_configENS1_25partition_config_selectorILNS1_17partition_subalgoE9EijbEEZZNS1_14partition_implILS5_9ELb0ES3_jN6thrust23THRUST_200600_302600_NS6detail15normal_iteratorINS9_10device_ptrIiEEEENSB_INSC_IjEEEEPNS0_10empty_typeENS0_5tupleIJNS9_16discard_iteratorINS9_11use_defaultEEESH_EEENSJ_IJSG_SI_EEENS0_18inequality_wrapperINS9_8equal_toIiEEEEPmJSH_EEE10hipError_tPvRmT3_T4_T5_T6_T7_T9_mT8_P12ihipStream_tbDpT10_ENKUlT_T0_E_clISt17integral_constantIbLb1EES1C_IbLb0EEEEDaS18_S19_EUlS18_E_NS1_11comp_targetILNS1_3genE5ELNS1_11target_archE942ELNS1_3gpuE9ELNS1_3repE0EEENS1_30default_config_static_selectorELNS0_4arch9wavefront6targetE0EEEvT1_
	.p2align	8
	.type	_ZN7rocprim17ROCPRIM_400000_NS6detail17trampoline_kernelINS0_14default_configENS1_25partition_config_selectorILNS1_17partition_subalgoE9EijbEEZZNS1_14partition_implILS5_9ELb0ES3_jN6thrust23THRUST_200600_302600_NS6detail15normal_iteratorINS9_10device_ptrIiEEEENSB_INSC_IjEEEEPNS0_10empty_typeENS0_5tupleIJNS9_16discard_iteratorINS9_11use_defaultEEESH_EEENSJ_IJSG_SI_EEENS0_18inequality_wrapperINS9_8equal_toIiEEEEPmJSH_EEE10hipError_tPvRmT3_T4_T5_T6_T7_T9_mT8_P12ihipStream_tbDpT10_ENKUlT_T0_E_clISt17integral_constantIbLb1EES1C_IbLb0EEEEDaS18_S19_EUlS18_E_NS1_11comp_targetILNS1_3genE5ELNS1_11target_archE942ELNS1_3gpuE9ELNS1_3repE0EEENS1_30default_config_static_selectorELNS0_4arch9wavefront6targetE0EEEvT1_,@function
_ZN7rocprim17ROCPRIM_400000_NS6detail17trampoline_kernelINS0_14default_configENS1_25partition_config_selectorILNS1_17partition_subalgoE9EijbEEZZNS1_14partition_implILS5_9ELb0ES3_jN6thrust23THRUST_200600_302600_NS6detail15normal_iteratorINS9_10device_ptrIiEEEENSB_INSC_IjEEEEPNS0_10empty_typeENS0_5tupleIJNS9_16discard_iteratorINS9_11use_defaultEEESH_EEENSJ_IJSG_SI_EEENS0_18inequality_wrapperINS9_8equal_toIiEEEEPmJSH_EEE10hipError_tPvRmT3_T4_T5_T6_T7_T9_mT8_P12ihipStream_tbDpT10_ENKUlT_T0_E_clISt17integral_constantIbLb1EES1C_IbLb0EEEEDaS18_S19_EUlS18_E_NS1_11comp_targetILNS1_3genE5ELNS1_11target_archE942ELNS1_3gpuE9ELNS1_3repE0EEENS1_30default_config_static_selectorELNS0_4arch9wavefront6targetE0EEEvT1_: ; @_ZN7rocprim17ROCPRIM_400000_NS6detail17trampoline_kernelINS0_14default_configENS1_25partition_config_selectorILNS1_17partition_subalgoE9EijbEEZZNS1_14partition_implILS5_9ELb0ES3_jN6thrust23THRUST_200600_302600_NS6detail15normal_iteratorINS9_10device_ptrIiEEEENSB_INSC_IjEEEEPNS0_10empty_typeENS0_5tupleIJNS9_16discard_iteratorINS9_11use_defaultEEESH_EEENSJ_IJSG_SI_EEENS0_18inequality_wrapperINS9_8equal_toIiEEEEPmJSH_EEE10hipError_tPvRmT3_T4_T5_T6_T7_T9_mT8_P12ihipStream_tbDpT10_ENKUlT_T0_E_clISt17integral_constantIbLb1EES1C_IbLb0EEEEDaS18_S19_EUlS18_E_NS1_11comp_targetILNS1_3genE5ELNS1_11target_archE942ELNS1_3gpuE9ELNS1_3repE0EEENS1_30default_config_static_selectorELNS0_4arch9wavefront6targetE0EEEvT1_
; %bb.0:
	.section	.rodata,"a",@progbits
	.p2align	6, 0x0
	.amdhsa_kernel _ZN7rocprim17ROCPRIM_400000_NS6detail17trampoline_kernelINS0_14default_configENS1_25partition_config_selectorILNS1_17partition_subalgoE9EijbEEZZNS1_14partition_implILS5_9ELb0ES3_jN6thrust23THRUST_200600_302600_NS6detail15normal_iteratorINS9_10device_ptrIiEEEENSB_INSC_IjEEEEPNS0_10empty_typeENS0_5tupleIJNS9_16discard_iteratorINS9_11use_defaultEEESH_EEENSJ_IJSG_SI_EEENS0_18inequality_wrapperINS9_8equal_toIiEEEEPmJSH_EEE10hipError_tPvRmT3_T4_T5_T6_T7_T9_mT8_P12ihipStream_tbDpT10_ENKUlT_T0_E_clISt17integral_constantIbLb1EES1C_IbLb0EEEEDaS18_S19_EUlS18_E_NS1_11comp_targetILNS1_3genE5ELNS1_11target_archE942ELNS1_3gpuE9ELNS1_3repE0EEENS1_30default_config_static_selectorELNS0_4arch9wavefront6targetE0EEEvT1_
		.amdhsa_group_segment_fixed_size 0
		.amdhsa_private_segment_fixed_size 0
		.amdhsa_kernarg_size 120
		.amdhsa_user_sgpr_count 15
		.amdhsa_user_sgpr_dispatch_ptr 0
		.amdhsa_user_sgpr_queue_ptr 0
		.amdhsa_user_sgpr_kernarg_segment_ptr 1
		.amdhsa_user_sgpr_dispatch_id 0
		.amdhsa_user_sgpr_private_segment_size 0
		.amdhsa_wavefront_size32 1
		.amdhsa_uses_dynamic_stack 0
		.amdhsa_enable_private_segment 0
		.amdhsa_system_sgpr_workgroup_id_x 1
		.amdhsa_system_sgpr_workgroup_id_y 0
		.amdhsa_system_sgpr_workgroup_id_z 0
		.amdhsa_system_sgpr_workgroup_info 0
		.amdhsa_system_vgpr_workitem_id 0
		.amdhsa_next_free_vgpr 1
		.amdhsa_next_free_sgpr 1
		.amdhsa_reserve_vcc 0
		.amdhsa_float_round_mode_32 0
		.amdhsa_float_round_mode_16_64 0
		.amdhsa_float_denorm_mode_32 3
		.amdhsa_float_denorm_mode_16_64 3
		.amdhsa_dx10_clamp 1
		.amdhsa_ieee_mode 1
		.amdhsa_fp16_overflow 0
		.amdhsa_workgroup_processor_mode 1
		.amdhsa_memory_ordered 1
		.amdhsa_forward_progress 0
		.amdhsa_shared_vgpr_count 0
		.amdhsa_exception_fp_ieee_invalid_op 0
		.amdhsa_exception_fp_denorm_src 0
		.amdhsa_exception_fp_ieee_div_zero 0
		.amdhsa_exception_fp_ieee_overflow 0
		.amdhsa_exception_fp_ieee_underflow 0
		.amdhsa_exception_fp_ieee_inexact 0
		.amdhsa_exception_int_div_zero 0
	.end_amdhsa_kernel
	.section	.text._ZN7rocprim17ROCPRIM_400000_NS6detail17trampoline_kernelINS0_14default_configENS1_25partition_config_selectorILNS1_17partition_subalgoE9EijbEEZZNS1_14partition_implILS5_9ELb0ES3_jN6thrust23THRUST_200600_302600_NS6detail15normal_iteratorINS9_10device_ptrIiEEEENSB_INSC_IjEEEEPNS0_10empty_typeENS0_5tupleIJNS9_16discard_iteratorINS9_11use_defaultEEESH_EEENSJ_IJSG_SI_EEENS0_18inequality_wrapperINS9_8equal_toIiEEEEPmJSH_EEE10hipError_tPvRmT3_T4_T5_T6_T7_T9_mT8_P12ihipStream_tbDpT10_ENKUlT_T0_E_clISt17integral_constantIbLb1EES1C_IbLb0EEEEDaS18_S19_EUlS18_E_NS1_11comp_targetILNS1_3genE5ELNS1_11target_archE942ELNS1_3gpuE9ELNS1_3repE0EEENS1_30default_config_static_selectorELNS0_4arch9wavefront6targetE0EEEvT1_,"axG",@progbits,_ZN7rocprim17ROCPRIM_400000_NS6detail17trampoline_kernelINS0_14default_configENS1_25partition_config_selectorILNS1_17partition_subalgoE9EijbEEZZNS1_14partition_implILS5_9ELb0ES3_jN6thrust23THRUST_200600_302600_NS6detail15normal_iteratorINS9_10device_ptrIiEEEENSB_INSC_IjEEEEPNS0_10empty_typeENS0_5tupleIJNS9_16discard_iteratorINS9_11use_defaultEEESH_EEENSJ_IJSG_SI_EEENS0_18inequality_wrapperINS9_8equal_toIiEEEEPmJSH_EEE10hipError_tPvRmT3_T4_T5_T6_T7_T9_mT8_P12ihipStream_tbDpT10_ENKUlT_T0_E_clISt17integral_constantIbLb1EES1C_IbLb0EEEEDaS18_S19_EUlS18_E_NS1_11comp_targetILNS1_3genE5ELNS1_11target_archE942ELNS1_3gpuE9ELNS1_3repE0EEENS1_30default_config_static_selectorELNS0_4arch9wavefront6targetE0EEEvT1_,comdat
.Lfunc_end1158:
	.size	_ZN7rocprim17ROCPRIM_400000_NS6detail17trampoline_kernelINS0_14default_configENS1_25partition_config_selectorILNS1_17partition_subalgoE9EijbEEZZNS1_14partition_implILS5_9ELb0ES3_jN6thrust23THRUST_200600_302600_NS6detail15normal_iteratorINS9_10device_ptrIiEEEENSB_INSC_IjEEEEPNS0_10empty_typeENS0_5tupleIJNS9_16discard_iteratorINS9_11use_defaultEEESH_EEENSJ_IJSG_SI_EEENS0_18inequality_wrapperINS9_8equal_toIiEEEEPmJSH_EEE10hipError_tPvRmT3_T4_T5_T6_T7_T9_mT8_P12ihipStream_tbDpT10_ENKUlT_T0_E_clISt17integral_constantIbLb1EES1C_IbLb0EEEEDaS18_S19_EUlS18_E_NS1_11comp_targetILNS1_3genE5ELNS1_11target_archE942ELNS1_3gpuE9ELNS1_3repE0EEENS1_30default_config_static_selectorELNS0_4arch9wavefront6targetE0EEEvT1_, .Lfunc_end1158-_ZN7rocprim17ROCPRIM_400000_NS6detail17trampoline_kernelINS0_14default_configENS1_25partition_config_selectorILNS1_17partition_subalgoE9EijbEEZZNS1_14partition_implILS5_9ELb0ES3_jN6thrust23THRUST_200600_302600_NS6detail15normal_iteratorINS9_10device_ptrIiEEEENSB_INSC_IjEEEEPNS0_10empty_typeENS0_5tupleIJNS9_16discard_iteratorINS9_11use_defaultEEESH_EEENSJ_IJSG_SI_EEENS0_18inequality_wrapperINS9_8equal_toIiEEEEPmJSH_EEE10hipError_tPvRmT3_T4_T5_T6_T7_T9_mT8_P12ihipStream_tbDpT10_ENKUlT_T0_E_clISt17integral_constantIbLb1EES1C_IbLb0EEEEDaS18_S19_EUlS18_E_NS1_11comp_targetILNS1_3genE5ELNS1_11target_archE942ELNS1_3gpuE9ELNS1_3repE0EEENS1_30default_config_static_selectorELNS0_4arch9wavefront6targetE0EEEvT1_
                                        ; -- End function
	.section	.AMDGPU.csdata,"",@progbits
; Kernel info:
; codeLenInByte = 0
; NumSgprs: 0
; NumVgprs: 0
; ScratchSize: 0
; MemoryBound: 0
; FloatMode: 240
; IeeeMode: 1
; LDSByteSize: 0 bytes/workgroup (compile time only)
; SGPRBlocks: 0
; VGPRBlocks: 0
; NumSGPRsForWavesPerEU: 1
; NumVGPRsForWavesPerEU: 1
; Occupancy: 16
; WaveLimiterHint : 0
; COMPUTE_PGM_RSRC2:SCRATCH_EN: 0
; COMPUTE_PGM_RSRC2:USER_SGPR: 15
; COMPUTE_PGM_RSRC2:TRAP_HANDLER: 0
; COMPUTE_PGM_RSRC2:TGID_X_EN: 1
; COMPUTE_PGM_RSRC2:TGID_Y_EN: 0
; COMPUTE_PGM_RSRC2:TGID_Z_EN: 0
; COMPUTE_PGM_RSRC2:TIDIG_COMP_CNT: 0
	.section	.text._ZN7rocprim17ROCPRIM_400000_NS6detail17trampoline_kernelINS0_14default_configENS1_25partition_config_selectorILNS1_17partition_subalgoE9EijbEEZZNS1_14partition_implILS5_9ELb0ES3_jN6thrust23THRUST_200600_302600_NS6detail15normal_iteratorINS9_10device_ptrIiEEEENSB_INSC_IjEEEEPNS0_10empty_typeENS0_5tupleIJNS9_16discard_iteratorINS9_11use_defaultEEESH_EEENSJ_IJSG_SI_EEENS0_18inequality_wrapperINS9_8equal_toIiEEEEPmJSH_EEE10hipError_tPvRmT3_T4_T5_T6_T7_T9_mT8_P12ihipStream_tbDpT10_ENKUlT_T0_E_clISt17integral_constantIbLb1EES1C_IbLb0EEEEDaS18_S19_EUlS18_E_NS1_11comp_targetILNS1_3genE4ELNS1_11target_archE910ELNS1_3gpuE8ELNS1_3repE0EEENS1_30default_config_static_selectorELNS0_4arch9wavefront6targetE0EEEvT1_,"axG",@progbits,_ZN7rocprim17ROCPRIM_400000_NS6detail17trampoline_kernelINS0_14default_configENS1_25partition_config_selectorILNS1_17partition_subalgoE9EijbEEZZNS1_14partition_implILS5_9ELb0ES3_jN6thrust23THRUST_200600_302600_NS6detail15normal_iteratorINS9_10device_ptrIiEEEENSB_INSC_IjEEEEPNS0_10empty_typeENS0_5tupleIJNS9_16discard_iteratorINS9_11use_defaultEEESH_EEENSJ_IJSG_SI_EEENS0_18inequality_wrapperINS9_8equal_toIiEEEEPmJSH_EEE10hipError_tPvRmT3_T4_T5_T6_T7_T9_mT8_P12ihipStream_tbDpT10_ENKUlT_T0_E_clISt17integral_constantIbLb1EES1C_IbLb0EEEEDaS18_S19_EUlS18_E_NS1_11comp_targetILNS1_3genE4ELNS1_11target_archE910ELNS1_3gpuE8ELNS1_3repE0EEENS1_30default_config_static_selectorELNS0_4arch9wavefront6targetE0EEEvT1_,comdat
	.protected	_ZN7rocprim17ROCPRIM_400000_NS6detail17trampoline_kernelINS0_14default_configENS1_25partition_config_selectorILNS1_17partition_subalgoE9EijbEEZZNS1_14partition_implILS5_9ELb0ES3_jN6thrust23THRUST_200600_302600_NS6detail15normal_iteratorINS9_10device_ptrIiEEEENSB_INSC_IjEEEEPNS0_10empty_typeENS0_5tupleIJNS9_16discard_iteratorINS9_11use_defaultEEESH_EEENSJ_IJSG_SI_EEENS0_18inequality_wrapperINS9_8equal_toIiEEEEPmJSH_EEE10hipError_tPvRmT3_T4_T5_T6_T7_T9_mT8_P12ihipStream_tbDpT10_ENKUlT_T0_E_clISt17integral_constantIbLb1EES1C_IbLb0EEEEDaS18_S19_EUlS18_E_NS1_11comp_targetILNS1_3genE4ELNS1_11target_archE910ELNS1_3gpuE8ELNS1_3repE0EEENS1_30default_config_static_selectorELNS0_4arch9wavefront6targetE0EEEvT1_ ; -- Begin function _ZN7rocprim17ROCPRIM_400000_NS6detail17trampoline_kernelINS0_14default_configENS1_25partition_config_selectorILNS1_17partition_subalgoE9EijbEEZZNS1_14partition_implILS5_9ELb0ES3_jN6thrust23THRUST_200600_302600_NS6detail15normal_iteratorINS9_10device_ptrIiEEEENSB_INSC_IjEEEEPNS0_10empty_typeENS0_5tupleIJNS9_16discard_iteratorINS9_11use_defaultEEESH_EEENSJ_IJSG_SI_EEENS0_18inequality_wrapperINS9_8equal_toIiEEEEPmJSH_EEE10hipError_tPvRmT3_T4_T5_T6_T7_T9_mT8_P12ihipStream_tbDpT10_ENKUlT_T0_E_clISt17integral_constantIbLb1EES1C_IbLb0EEEEDaS18_S19_EUlS18_E_NS1_11comp_targetILNS1_3genE4ELNS1_11target_archE910ELNS1_3gpuE8ELNS1_3repE0EEENS1_30default_config_static_selectorELNS0_4arch9wavefront6targetE0EEEvT1_
	.globl	_ZN7rocprim17ROCPRIM_400000_NS6detail17trampoline_kernelINS0_14default_configENS1_25partition_config_selectorILNS1_17partition_subalgoE9EijbEEZZNS1_14partition_implILS5_9ELb0ES3_jN6thrust23THRUST_200600_302600_NS6detail15normal_iteratorINS9_10device_ptrIiEEEENSB_INSC_IjEEEEPNS0_10empty_typeENS0_5tupleIJNS9_16discard_iteratorINS9_11use_defaultEEESH_EEENSJ_IJSG_SI_EEENS0_18inequality_wrapperINS9_8equal_toIiEEEEPmJSH_EEE10hipError_tPvRmT3_T4_T5_T6_T7_T9_mT8_P12ihipStream_tbDpT10_ENKUlT_T0_E_clISt17integral_constantIbLb1EES1C_IbLb0EEEEDaS18_S19_EUlS18_E_NS1_11comp_targetILNS1_3genE4ELNS1_11target_archE910ELNS1_3gpuE8ELNS1_3repE0EEENS1_30default_config_static_selectorELNS0_4arch9wavefront6targetE0EEEvT1_
	.p2align	8
	.type	_ZN7rocprim17ROCPRIM_400000_NS6detail17trampoline_kernelINS0_14default_configENS1_25partition_config_selectorILNS1_17partition_subalgoE9EijbEEZZNS1_14partition_implILS5_9ELb0ES3_jN6thrust23THRUST_200600_302600_NS6detail15normal_iteratorINS9_10device_ptrIiEEEENSB_INSC_IjEEEEPNS0_10empty_typeENS0_5tupleIJNS9_16discard_iteratorINS9_11use_defaultEEESH_EEENSJ_IJSG_SI_EEENS0_18inequality_wrapperINS9_8equal_toIiEEEEPmJSH_EEE10hipError_tPvRmT3_T4_T5_T6_T7_T9_mT8_P12ihipStream_tbDpT10_ENKUlT_T0_E_clISt17integral_constantIbLb1EES1C_IbLb0EEEEDaS18_S19_EUlS18_E_NS1_11comp_targetILNS1_3genE4ELNS1_11target_archE910ELNS1_3gpuE8ELNS1_3repE0EEENS1_30default_config_static_selectorELNS0_4arch9wavefront6targetE0EEEvT1_,@function
_ZN7rocprim17ROCPRIM_400000_NS6detail17trampoline_kernelINS0_14default_configENS1_25partition_config_selectorILNS1_17partition_subalgoE9EijbEEZZNS1_14partition_implILS5_9ELb0ES3_jN6thrust23THRUST_200600_302600_NS6detail15normal_iteratorINS9_10device_ptrIiEEEENSB_INSC_IjEEEEPNS0_10empty_typeENS0_5tupleIJNS9_16discard_iteratorINS9_11use_defaultEEESH_EEENSJ_IJSG_SI_EEENS0_18inequality_wrapperINS9_8equal_toIiEEEEPmJSH_EEE10hipError_tPvRmT3_T4_T5_T6_T7_T9_mT8_P12ihipStream_tbDpT10_ENKUlT_T0_E_clISt17integral_constantIbLb1EES1C_IbLb0EEEEDaS18_S19_EUlS18_E_NS1_11comp_targetILNS1_3genE4ELNS1_11target_archE910ELNS1_3gpuE8ELNS1_3repE0EEENS1_30default_config_static_selectorELNS0_4arch9wavefront6targetE0EEEvT1_: ; @_ZN7rocprim17ROCPRIM_400000_NS6detail17trampoline_kernelINS0_14default_configENS1_25partition_config_selectorILNS1_17partition_subalgoE9EijbEEZZNS1_14partition_implILS5_9ELb0ES3_jN6thrust23THRUST_200600_302600_NS6detail15normal_iteratorINS9_10device_ptrIiEEEENSB_INSC_IjEEEEPNS0_10empty_typeENS0_5tupleIJNS9_16discard_iteratorINS9_11use_defaultEEESH_EEENSJ_IJSG_SI_EEENS0_18inequality_wrapperINS9_8equal_toIiEEEEPmJSH_EEE10hipError_tPvRmT3_T4_T5_T6_T7_T9_mT8_P12ihipStream_tbDpT10_ENKUlT_T0_E_clISt17integral_constantIbLb1EES1C_IbLb0EEEEDaS18_S19_EUlS18_E_NS1_11comp_targetILNS1_3genE4ELNS1_11target_archE910ELNS1_3gpuE8ELNS1_3repE0EEENS1_30default_config_static_selectorELNS0_4arch9wavefront6targetE0EEEvT1_
; %bb.0:
	.section	.rodata,"a",@progbits
	.p2align	6, 0x0
	.amdhsa_kernel _ZN7rocprim17ROCPRIM_400000_NS6detail17trampoline_kernelINS0_14default_configENS1_25partition_config_selectorILNS1_17partition_subalgoE9EijbEEZZNS1_14partition_implILS5_9ELb0ES3_jN6thrust23THRUST_200600_302600_NS6detail15normal_iteratorINS9_10device_ptrIiEEEENSB_INSC_IjEEEEPNS0_10empty_typeENS0_5tupleIJNS9_16discard_iteratorINS9_11use_defaultEEESH_EEENSJ_IJSG_SI_EEENS0_18inequality_wrapperINS9_8equal_toIiEEEEPmJSH_EEE10hipError_tPvRmT3_T4_T5_T6_T7_T9_mT8_P12ihipStream_tbDpT10_ENKUlT_T0_E_clISt17integral_constantIbLb1EES1C_IbLb0EEEEDaS18_S19_EUlS18_E_NS1_11comp_targetILNS1_3genE4ELNS1_11target_archE910ELNS1_3gpuE8ELNS1_3repE0EEENS1_30default_config_static_selectorELNS0_4arch9wavefront6targetE0EEEvT1_
		.amdhsa_group_segment_fixed_size 0
		.amdhsa_private_segment_fixed_size 0
		.amdhsa_kernarg_size 120
		.amdhsa_user_sgpr_count 15
		.amdhsa_user_sgpr_dispatch_ptr 0
		.amdhsa_user_sgpr_queue_ptr 0
		.amdhsa_user_sgpr_kernarg_segment_ptr 1
		.amdhsa_user_sgpr_dispatch_id 0
		.amdhsa_user_sgpr_private_segment_size 0
		.amdhsa_wavefront_size32 1
		.amdhsa_uses_dynamic_stack 0
		.amdhsa_enable_private_segment 0
		.amdhsa_system_sgpr_workgroup_id_x 1
		.amdhsa_system_sgpr_workgroup_id_y 0
		.amdhsa_system_sgpr_workgroup_id_z 0
		.amdhsa_system_sgpr_workgroup_info 0
		.amdhsa_system_vgpr_workitem_id 0
		.amdhsa_next_free_vgpr 1
		.amdhsa_next_free_sgpr 1
		.amdhsa_reserve_vcc 0
		.amdhsa_float_round_mode_32 0
		.amdhsa_float_round_mode_16_64 0
		.amdhsa_float_denorm_mode_32 3
		.amdhsa_float_denorm_mode_16_64 3
		.amdhsa_dx10_clamp 1
		.amdhsa_ieee_mode 1
		.amdhsa_fp16_overflow 0
		.amdhsa_workgroup_processor_mode 1
		.amdhsa_memory_ordered 1
		.amdhsa_forward_progress 0
		.amdhsa_shared_vgpr_count 0
		.amdhsa_exception_fp_ieee_invalid_op 0
		.amdhsa_exception_fp_denorm_src 0
		.amdhsa_exception_fp_ieee_div_zero 0
		.amdhsa_exception_fp_ieee_overflow 0
		.amdhsa_exception_fp_ieee_underflow 0
		.amdhsa_exception_fp_ieee_inexact 0
		.amdhsa_exception_int_div_zero 0
	.end_amdhsa_kernel
	.section	.text._ZN7rocprim17ROCPRIM_400000_NS6detail17trampoline_kernelINS0_14default_configENS1_25partition_config_selectorILNS1_17partition_subalgoE9EijbEEZZNS1_14partition_implILS5_9ELb0ES3_jN6thrust23THRUST_200600_302600_NS6detail15normal_iteratorINS9_10device_ptrIiEEEENSB_INSC_IjEEEEPNS0_10empty_typeENS0_5tupleIJNS9_16discard_iteratorINS9_11use_defaultEEESH_EEENSJ_IJSG_SI_EEENS0_18inequality_wrapperINS9_8equal_toIiEEEEPmJSH_EEE10hipError_tPvRmT3_T4_T5_T6_T7_T9_mT8_P12ihipStream_tbDpT10_ENKUlT_T0_E_clISt17integral_constantIbLb1EES1C_IbLb0EEEEDaS18_S19_EUlS18_E_NS1_11comp_targetILNS1_3genE4ELNS1_11target_archE910ELNS1_3gpuE8ELNS1_3repE0EEENS1_30default_config_static_selectorELNS0_4arch9wavefront6targetE0EEEvT1_,"axG",@progbits,_ZN7rocprim17ROCPRIM_400000_NS6detail17trampoline_kernelINS0_14default_configENS1_25partition_config_selectorILNS1_17partition_subalgoE9EijbEEZZNS1_14partition_implILS5_9ELb0ES3_jN6thrust23THRUST_200600_302600_NS6detail15normal_iteratorINS9_10device_ptrIiEEEENSB_INSC_IjEEEEPNS0_10empty_typeENS0_5tupleIJNS9_16discard_iteratorINS9_11use_defaultEEESH_EEENSJ_IJSG_SI_EEENS0_18inequality_wrapperINS9_8equal_toIiEEEEPmJSH_EEE10hipError_tPvRmT3_T4_T5_T6_T7_T9_mT8_P12ihipStream_tbDpT10_ENKUlT_T0_E_clISt17integral_constantIbLb1EES1C_IbLb0EEEEDaS18_S19_EUlS18_E_NS1_11comp_targetILNS1_3genE4ELNS1_11target_archE910ELNS1_3gpuE8ELNS1_3repE0EEENS1_30default_config_static_selectorELNS0_4arch9wavefront6targetE0EEEvT1_,comdat
.Lfunc_end1159:
	.size	_ZN7rocprim17ROCPRIM_400000_NS6detail17trampoline_kernelINS0_14default_configENS1_25partition_config_selectorILNS1_17partition_subalgoE9EijbEEZZNS1_14partition_implILS5_9ELb0ES3_jN6thrust23THRUST_200600_302600_NS6detail15normal_iteratorINS9_10device_ptrIiEEEENSB_INSC_IjEEEEPNS0_10empty_typeENS0_5tupleIJNS9_16discard_iteratorINS9_11use_defaultEEESH_EEENSJ_IJSG_SI_EEENS0_18inequality_wrapperINS9_8equal_toIiEEEEPmJSH_EEE10hipError_tPvRmT3_T4_T5_T6_T7_T9_mT8_P12ihipStream_tbDpT10_ENKUlT_T0_E_clISt17integral_constantIbLb1EES1C_IbLb0EEEEDaS18_S19_EUlS18_E_NS1_11comp_targetILNS1_3genE4ELNS1_11target_archE910ELNS1_3gpuE8ELNS1_3repE0EEENS1_30default_config_static_selectorELNS0_4arch9wavefront6targetE0EEEvT1_, .Lfunc_end1159-_ZN7rocprim17ROCPRIM_400000_NS6detail17trampoline_kernelINS0_14default_configENS1_25partition_config_selectorILNS1_17partition_subalgoE9EijbEEZZNS1_14partition_implILS5_9ELb0ES3_jN6thrust23THRUST_200600_302600_NS6detail15normal_iteratorINS9_10device_ptrIiEEEENSB_INSC_IjEEEEPNS0_10empty_typeENS0_5tupleIJNS9_16discard_iteratorINS9_11use_defaultEEESH_EEENSJ_IJSG_SI_EEENS0_18inequality_wrapperINS9_8equal_toIiEEEEPmJSH_EEE10hipError_tPvRmT3_T4_T5_T6_T7_T9_mT8_P12ihipStream_tbDpT10_ENKUlT_T0_E_clISt17integral_constantIbLb1EES1C_IbLb0EEEEDaS18_S19_EUlS18_E_NS1_11comp_targetILNS1_3genE4ELNS1_11target_archE910ELNS1_3gpuE8ELNS1_3repE0EEENS1_30default_config_static_selectorELNS0_4arch9wavefront6targetE0EEEvT1_
                                        ; -- End function
	.section	.AMDGPU.csdata,"",@progbits
; Kernel info:
; codeLenInByte = 0
; NumSgprs: 0
; NumVgprs: 0
; ScratchSize: 0
; MemoryBound: 0
; FloatMode: 240
; IeeeMode: 1
; LDSByteSize: 0 bytes/workgroup (compile time only)
; SGPRBlocks: 0
; VGPRBlocks: 0
; NumSGPRsForWavesPerEU: 1
; NumVGPRsForWavesPerEU: 1
; Occupancy: 15
; WaveLimiterHint : 0
; COMPUTE_PGM_RSRC2:SCRATCH_EN: 0
; COMPUTE_PGM_RSRC2:USER_SGPR: 15
; COMPUTE_PGM_RSRC2:TRAP_HANDLER: 0
; COMPUTE_PGM_RSRC2:TGID_X_EN: 1
; COMPUTE_PGM_RSRC2:TGID_Y_EN: 0
; COMPUTE_PGM_RSRC2:TGID_Z_EN: 0
; COMPUTE_PGM_RSRC2:TIDIG_COMP_CNT: 0
	.section	.text._ZN7rocprim17ROCPRIM_400000_NS6detail17trampoline_kernelINS0_14default_configENS1_25partition_config_selectorILNS1_17partition_subalgoE9EijbEEZZNS1_14partition_implILS5_9ELb0ES3_jN6thrust23THRUST_200600_302600_NS6detail15normal_iteratorINS9_10device_ptrIiEEEENSB_INSC_IjEEEEPNS0_10empty_typeENS0_5tupleIJNS9_16discard_iteratorINS9_11use_defaultEEESH_EEENSJ_IJSG_SI_EEENS0_18inequality_wrapperINS9_8equal_toIiEEEEPmJSH_EEE10hipError_tPvRmT3_T4_T5_T6_T7_T9_mT8_P12ihipStream_tbDpT10_ENKUlT_T0_E_clISt17integral_constantIbLb1EES1C_IbLb0EEEEDaS18_S19_EUlS18_E_NS1_11comp_targetILNS1_3genE3ELNS1_11target_archE908ELNS1_3gpuE7ELNS1_3repE0EEENS1_30default_config_static_selectorELNS0_4arch9wavefront6targetE0EEEvT1_,"axG",@progbits,_ZN7rocprim17ROCPRIM_400000_NS6detail17trampoline_kernelINS0_14default_configENS1_25partition_config_selectorILNS1_17partition_subalgoE9EijbEEZZNS1_14partition_implILS5_9ELb0ES3_jN6thrust23THRUST_200600_302600_NS6detail15normal_iteratorINS9_10device_ptrIiEEEENSB_INSC_IjEEEEPNS0_10empty_typeENS0_5tupleIJNS9_16discard_iteratorINS9_11use_defaultEEESH_EEENSJ_IJSG_SI_EEENS0_18inequality_wrapperINS9_8equal_toIiEEEEPmJSH_EEE10hipError_tPvRmT3_T4_T5_T6_T7_T9_mT8_P12ihipStream_tbDpT10_ENKUlT_T0_E_clISt17integral_constantIbLb1EES1C_IbLb0EEEEDaS18_S19_EUlS18_E_NS1_11comp_targetILNS1_3genE3ELNS1_11target_archE908ELNS1_3gpuE7ELNS1_3repE0EEENS1_30default_config_static_selectorELNS0_4arch9wavefront6targetE0EEEvT1_,comdat
	.protected	_ZN7rocprim17ROCPRIM_400000_NS6detail17trampoline_kernelINS0_14default_configENS1_25partition_config_selectorILNS1_17partition_subalgoE9EijbEEZZNS1_14partition_implILS5_9ELb0ES3_jN6thrust23THRUST_200600_302600_NS6detail15normal_iteratorINS9_10device_ptrIiEEEENSB_INSC_IjEEEEPNS0_10empty_typeENS0_5tupleIJNS9_16discard_iteratorINS9_11use_defaultEEESH_EEENSJ_IJSG_SI_EEENS0_18inequality_wrapperINS9_8equal_toIiEEEEPmJSH_EEE10hipError_tPvRmT3_T4_T5_T6_T7_T9_mT8_P12ihipStream_tbDpT10_ENKUlT_T0_E_clISt17integral_constantIbLb1EES1C_IbLb0EEEEDaS18_S19_EUlS18_E_NS1_11comp_targetILNS1_3genE3ELNS1_11target_archE908ELNS1_3gpuE7ELNS1_3repE0EEENS1_30default_config_static_selectorELNS0_4arch9wavefront6targetE0EEEvT1_ ; -- Begin function _ZN7rocprim17ROCPRIM_400000_NS6detail17trampoline_kernelINS0_14default_configENS1_25partition_config_selectorILNS1_17partition_subalgoE9EijbEEZZNS1_14partition_implILS5_9ELb0ES3_jN6thrust23THRUST_200600_302600_NS6detail15normal_iteratorINS9_10device_ptrIiEEEENSB_INSC_IjEEEEPNS0_10empty_typeENS0_5tupleIJNS9_16discard_iteratorINS9_11use_defaultEEESH_EEENSJ_IJSG_SI_EEENS0_18inequality_wrapperINS9_8equal_toIiEEEEPmJSH_EEE10hipError_tPvRmT3_T4_T5_T6_T7_T9_mT8_P12ihipStream_tbDpT10_ENKUlT_T0_E_clISt17integral_constantIbLb1EES1C_IbLb0EEEEDaS18_S19_EUlS18_E_NS1_11comp_targetILNS1_3genE3ELNS1_11target_archE908ELNS1_3gpuE7ELNS1_3repE0EEENS1_30default_config_static_selectorELNS0_4arch9wavefront6targetE0EEEvT1_
	.globl	_ZN7rocprim17ROCPRIM_400000_NS6detail17trampoline_kernelINS0_14default_configENS1_25partition_config_selectorILNS1_17partition_subalgoE9EijbEEZZNS1_14partition_implILS5_9ELb0ES3_jN6thrust23THRUST_200600_302600_NS6detail15normal_iteratorINS9_10device_ptrIiEEEENSB_INSC_IjEEEEPNS0_10empty_typeENS0_5tupleIJNS9_16discard_iteratorINS9_11use_defaultEEESH_EEENSJ_IJSG_SI_EEENS0_18inequality_wrapperINS9_8equal_toIiEEEEPmJSH_EEE10hipError_tPvRmT3_T4_T5_T6_T7_T9_mT8_P12ihipStream_tbDpT10_ENKUlT_T0_E_clISt17integral_constantIbLb1EES1C_IbLb0EEEEDaS18_S19_EUlS18_E_NS1_11comp_targetILNS1_3genE3ELNS1_11target_archE908ELNS1_3gpuE7ELNS1_3repE0EEENS1_30default_config_static_selectorELNS0_4arch9wavefront6targetE0EEEvT1_
	.p2align	8
	.type	_ZN7rocprim17ROCPRIM_400000_NS6detail17trampoline_kernelINS0_14default_configENS1_25partition_config_selectorILNS1_17partition_subalgoE9EijbEEZZNS1_14partition_implILS5_9ELb0ES3_jN6thrust23THRUST_200600_302600_NS6detail15normal_iteratorINS9_10device_ptrIiEEEENSB_INSC_IjEEEEPNS0_10empty_typeENS0_5tupleIJNS9_16discard_iteratorINS9_11use_defaultEEESH_EEENSJ_IJSG_SI_EEENS0_18inequality_wrapperINS9_8equal_toIiEEEEPmJSH_EEE10hipError_tPvRmT3_T4_T5_T6_T7_T9_mT8_P12ihipStream_tbDpT10_ENKUlT_T0_E_clISt17integral_constantIbLb1EES1C_IbLb0EEEEDaS18_S19_EUlS18_E_NS1_11comp_targetILNS1_3genE3ELNS1_11target_archE908ELNS1_3gpuE7ELNS1_3repE0EEENS1_30default_config_static_selectorELNS0_4arch9wavefront6targetE0EEEvT1_,@function
_ZN7rocprim17ROCPRIM_400000_NS6detail17trampoline_kernelINS0_14default_configENS1_25partition_config_selectorILNS1_17partition_subalgoE9EijbEEZZNS1_14partition_implILS5_9ELb0ES3_jN6thrust23THRUST_200600_302600_NS6detail15normal_iteratorINS9_10device_ptrIiEEEENSB_INSC_IjEEEEPNS0_10empty_typeENS0_5tupleIJNS9_16discard_iteratorINS9_11use_defaultEEESH_EEENSJ_IJSG_SI_EEENS0_18inequality_wrapperINS9_8equal_toIiEEEEPmJSH_EEE10hipError_tPvRmT3_T4_T5_T6_T7_T9_mT8_P12ihipStream_tbDpT10_ENKUlT_T0_E_clISt17integral_constantIbLb1EES1C_IbLb0EEEEDaS18_S19_EUlS18_E_NS1_11comp_targetILNS1_3genE3ELNS1_11target_archE908ELNS1_3gpuE7ELNS1_3repE0EEENS1_30default_config_static_selectorELNS0_4arch9wavefront6targetE0EEEvT1_: ; @_ZN7rocprim17ROCPRIM_400000_NS6detail17trampoline_kernelINS0_14default_configENS1_25partition_config_selectorILNS1_17partition_subalgoE9EijbEEZZNS1_14partition_implILS5_9ELb0ES3_jN6thrust23THRUST_200600_302600_NS6detail15normal_iteratorINS9_10device_ptrIiEEEENSB_INSC_IjEEEEPNS0_10empty_typeENS0_5tupleIJNS9_16discard_iteratorINS9_11use_defaultEEESH_EEENSJ_IJSG_SI_EEENS0_18inequality_wrapperINS9_8equal_toIiEEEEPmJSH_EEE10hipError_tPvRmT3_T4_T5_T6_T7_T9_mT8_P12ihipStream_tbDpT10_ENKUlT_T0_E_clISt17integral_constantIbLb1EES1C_IbLb0EEEEDaS18_S19_EUlS18_E_NS1_11comp_targetILNS1_3genE3ELNS1_11target_archE908ELNS1_3gpuE7ELNS1_3repE0EEENS1_30default_config_static_selectorELNS0_4arch9wavefront6targetE0EEEvT1_
; %bb.0:
	.section	.rodata,"a",@progbits
	.p2align	6, 0x0
	.amdhsa_kernel _ZN7rocprim17ROCPRIM_400000_NS6detail17trampoline_kernelINS0_14default_configENS1_25partition_config_selectorILNS1_17partition_subalgoE9EijbEEZZNS1_14partition_implILS5_9ELb0ES3_jN6thrust23THRUST_200600_302600_NS6detail15normal_iteratorINS9_10device_ptrIiEEEENSB_INSC_IjEEEEPNS0_10empty_typeENS0_5tupleIJNS9_16discard_iteratorINS9_11use_defaultEEESH_EEENSJ_IJSG_SI_EEENS0_18inequality_wrapperINS9_8equal_toIiEEEEPmJSH_EEE10hipError_tPvRmT3_T4_T5_T6_T7_T9_mT8_P12ihipStream_tbDpT10_ENKUlT_T0_E_clISt17integral_constantIbLb1EES1C_IbLb0EEEEDaS18_S19_EUlS18_E_NS1_11comp_targetILNS1_3genE3ELNS1_11target_archE908ELNS1_3gpuE7ELNS1_3repE0EEENS1_30default_config_static_selectorELNS0_4arch9wavefront6targetE0EEEvT1_
		.amdhsa_group_segment_fixed_size 0
		.amdhsa_private_segment_fixed_size 0
		.amdhsa_kernarg_size 120
		.amdhsa_user_sgpr_count 15
		.amdhsa_user_sgpr_dispatch_ptr 0
		.amdhsa_user_sgpr_queue_ptr 0
		.amdhsa_user_sgpr_kernarg_segment_ptr 1
		.amdhsa_user_sgpr_dispatch_id 0
		.amdhsa_user_sgpr_private_segment_size 0
		.amdhsa_wavefront_size32 1
		.amdhsa_uses_dynamic_stack 0
		.amdhsa_enable_private_segment 0
		.amdhsa_system_sgpr_workgroup_id_x 1
		.amdhsa_system_sgpr_workgroup_id_y 0
		.amdhsa_system_sgpr_workgroup_id_z 0
		.amdhsa_system_sgpr_workgroup_info 0
		.amdhsa_system_vgpr_workitem_id 0
		.amdhsa_next_free_vgpr 1
		.amdhsa_next_free_sgpr 1
		.amdhsa_reserve_vcc 0
		.amdhsa_float_round_mode_32 0
		.amdhsa_float_round_mode_16_64 0
		.amdhsa_float_denorm_mode_32 3
		.amdhsa_float_denorm_mode_16_64 3
		.amdhsa_dx10_clamp 1
		.amdhsa_ieee_mode 1
		.amdhsa_fp16_overflow 0
		.amdhsa_workgroup_processor_mode 1
		.amdhsa_memory_ordered 1
		.amdhsa_forward_progress 0
		.amdhsa_shared_vgpr_count 0
		.amdhsa_exception_fp_ieee_invalid_op 0
		.amdhsa_exception_fp_denorm_src 0
		.amdhsa_exception_fp_ieee_div_zero 0
		.amdhsa_exception_fp_ieee_overflow 0
		.amdhsa_exception_fp_ieee_underflow 0
		.amdhsa_exception_fp_ieee_inexact 0
		.amdhsa_exception_int_div_zero 0
	.end_amdhsa_kernel
	.section	.text._ZN7rocprim17ROCPRIM_400000_NS6detail17trampoline_kernelINS0_14default_configENS1_25partition_config_selectorILNS1_17partition_subalgoE9EijbEEZZNS1_14partition_implILS5_9ELb0ES3_jN6thrust23THRUST_200600_302600_NS6detail15normal_iteratorINS9_10device_ptrIiEEEENSB_INSC_IjEEEEPNS0_10empty_typeENS0_5tupleIJNS9_16discard_iteratorINS9_11use_defaultEEESH_EEENSJ_IJSG_SI_EEENS0_18inequality_wrapperINS9_8equal_toIiEEEEPmJSH_EEE10hipError_tPvRmT3_T4_T5_T6_T7_T9_mT8_P12ihipStream_tbDpT10_ENKUlT_T0_E_clISt17integral_constantIbLb1EES1C_IbLb0EEEEDaS18_S19_EUlS18_E_NS1_11comp_targetILNS1_3genE3ELNS1_11target_archE908ELNS1_3gpuE7ELNS1_3repE0EEENS1_30default_config_static_selectorELNS0_4arch9wavefront6targetE0EEEvT1_,"axG",@progbits,_ZN7rocprim17ROCPRIM_400000_NS6detail17trampoline_kernelINS0_14default_configENS1_25partition_config_selectorILNS1_17partition_subalgoE9EijbEEZZNS1_14partition_implILS5_9ELb0ES3_jN6thrust23THRUST_200600_302600_NS6detail15normal_iteratorINS9_10device_ptrIiEEEENSB_INSC_IjEEEEPNS0_10empty_typeENS0_5tupleIJNS9_16discard_iteratorINS9_11use_defaultEEESH_EEENSJ_IJSG_SI_EEENS0_18inequality_wrapperINS9_8equal_toIiEEEEPmJSH_EEE10hipError_tPvRmT3_T4_T5_T6_T7_T9_mT8_P12ihipStream_tbDpT10_ENKUlT_T0_E_clISt17integral_constantIbLb1EES1C_IbLb0EEEEDaS18_S19_EUlS18_E_NS1_11comp_targetILNS1_3genE3ELNS1_11target_archE908ELNS1_3gpuE7ELNS1_3repE0EEENS1_30default_config_static_selectorELNS0_4arch9wavefront6targetE0EEEvT1_,comdat
.Lfunc_end1160:
	.size	_ZN7rocprim17ROCPRIM_400000_NS6detail17trampoline_kernelINS0_14default_configENS1_25partition_config_selectorILNS1_17partition_subalgoE9EijbEEZZNS1_14partition_implILS5_9ELb0ES3_jN6thrust23THRUST_200600_302600_NS6detail15normal_iteratorINS9_10device_ptrIiEEEENSB_INSC_IjEEEEPNS0_10empty_typeENS0_5tupleIJNS9_16discard_iteratorINS9_11use_defaultEEESH_EEENSJ_IJSG_SI_EEENS0_18inequality_wrapperINS9_8equal_toIiEEEEPmJSH_EEE10hipError_tPvRmT3_T4_T5_T6_T7_T9_mT8_P12ihipStream_tbDpT10_ENKUlT_T0_E_clISt17integral_constantIbLb1EES1C_IbLb0EEEEDaS18_S19_EUlS18_E_NS1_11comp_targetILNS1_3genE3ELNS1_11target_archE908ELNS1_3gpuE7ELNS1_3repE0EEENS1_30default_config_static_selectorELNS0_4arch9wavefront6targetE0EEEvT1_, .Lfunc_end1160-_ZN7rocprim17ROCPRIM_400000_NS6detail17trampoline_kernelINS0_14default_configENS1_25partition_config_selectorILNS1_17partition_subalgoE9EijbEEZZNS1_14partition_implILS5_9ELb0ES3_jN6thrust23THRUST_200600_302600_NS6detail15normal_iteratorINS9_10device_ptrIiEEEENSB_INSC_IjEEEEPNS0_10empty_typeENS0_5tupleIJNS9_16discard_iteratorINS9_11use_defaultEEESH_EEENSJ_IJSG_SI_EEENS0_18inequality_wrapperINS9_8equal_toIiEEEEPmJSH_EEE10hipError_tPvRmT3_T4_T5_T6_T7_T9_mT8_P12ihipStream_tbDpT10_ENKUlT_T0_E_clISt17integral_constantIbLb1EES1C_IbLb0EEEEDaS18_S19_EUlS18_E_NS1_11comp_targetILNS1_3genE3ELNS1_11target_archE908ELNS1_3gpuE7ELNS1_3repE0EEENS1_30default_config_static_selectorELNS0_4arch9wavefront6targetE0EEEvT1_
                                        ; -- End function
	.section	.AMDGPU.csdata,"",@progbits
; Kernel info:
; codeLenInByte = 0
; NumSgprs: 0
; NumVgprs: 0
; ScratchSize: 0
; MemoryBound: 0
; FloatMode: 240
; IeeeMode: 1
; LDSByteSize: 0 bytes/workgroup (compile time only)
; SGPRBlocks: 0
; VGPRBlocks: 0
; NumSGPRsForWavesPerEU: 1
; NumVGPRsForWavesPerEU: 1
; Occupancy: 16
; WaveLimiterHint : 0
; COMPUTE_PGM_RSRC2:SCRATCH_EN: 0
; COMPUTE_PGM_RSRC2:USER_SGPR: 15
; COMPUTE_PGM_RSRC2:TRAP_HANDLER: 0
; COMPUTE_PGM_RSRC2:TGID_X_EN: 1
; COMPUTE_PGM_RSRC2:TGID_Y_EN: 0
; COMPUTE_PGM_RSRC2:TGID_Z_EN: 0
; COMPUTE_PGM_RSRC2:TIDIG_COMP_CNT: 0
	.section	.text._ZN7rocprim17ROCPRIM_400000_NS6detail17trampoline_kernelINS0_14default_configENS1_25partition_config_selectorILNS1_17partition_subalgoE9EijbEEZZNS1_14partition_implILS5_9ELb0ES3_jN6thrust23THRUST_200600_302600_NS6detail15normal_iteratorINS9_10device_ptrIiEEEENSB_INSC_IjEEEEPNS0_10empty_typeENS0_5tupleIJNS9_16discard_iteratorINS9_11use_defaultEEESH_EEENSJ_IJSG_SI_EEENS0_18inequality_wrapperINS9_8equal_toIiEEEEPmJSH_EEE10hipError_tPvRmT3_T4_T5_T6_T7_T9_mT8_P12ihipStream_tbDpT10_ENKUlT_T0_E_clISt17integral_constantIbLb1EES1C_IbLb0EEEEDaS18_S19_EUlS18_E_NS1_11comp_targetILNS1_3genE2ELNS1_11target_archE906ELNS1_3gpuE6ELNS1_3repE0EEENS1_30default_config_static_selectorELNS0_4arch9wavefront6targetE0EEEvT1_,"axG",@progbits,_ZN7rocprim17ROCPRIM_400000_NS6detail17trampoline_kernelINS0_14default_configENS1_25partition_config_selectorILNS1_17partition_subalgoE9EijbEEZZNS1_14partition_implILS5_9ELb0ES3_jN6thrust23THRUST_200600_302600_NS6detail15normal_iteratorINS9_10device_ptrIiEEEENSB_INSC_IjEEEEPNS0_10empty_typeENS0_5tupleIJNS9_16discard_iteratorINS9_11use_defaultEEESH_EEENSJ_IJSG_SI_EEENS0_18inequality_wrapperINS9_8equal_toIiEEEEPmJSH_EEE10hipError_tPvRmT3_T4_T5_T6_T7_T9_mT8_P12ihipStream_tbDpT10_ENKUlT_T0_E_clISt17integral_constantIbLb1EES1C_IbLb0EEEEDaS18_S19_EUlS18_E_NS1_11comp_targetILNS1_3genE2ELNS1_11target_archE906ELNS1_3gpuE6ELNS1_3repE0EEENS1_30default_config_static_selectorELNS0_4arch9wavefront6targetE0EEEvT1_,comdat
	.protected	_ZN7rocprim17ROCPRIM_400000_NS6detail17trampoline_kernelINS0_14default_configENS1_25partition_config_selectorILNS1_17partition_subalgoE9EijbEEZZNS1_14partition_implILS5_9ELb0ES3_jN6thrust23THRUST_200600_302600_NS6detail15normal_iteratorINS9_10device_ptrIiEEEENSB_INSC_IjEEEEPNS0_10empty_typeENS0_5tupleIJNS9_16discard_iteratorINS9_11use_defaultEEESH_EEENSJ_IJSG_SI_EEENS0_18inequality_wrapperINS9_8equal_toIiEEEEPmJSH_EEE10hipError_tPvRmT3_T4_T5_T6_T7_T9_mT8_P12ihipStream_tbDpT10_ENKUlT_T0_E_clISt17integral_constantIbLb1EES1C_IbLb0EEEEDaS18_S19_EUlS18_E_NS1_11comp_targetILNS1_3genE2ELNS1_11target_archE906ELNS1_3gpuE6ELNS1_3repE0EEENS1_30default_config_static_selectorELNS0_4arch9wavefront6targetE0EEEvT1_ ; -- Begin function _ZN7rocprim17ROCPRIM_400000_NS6detail17trampoline_kernelINS0_14default_configENS1_25partition_config_selectorILNS1_17partition_subalgoE9EijbEEZZNS1_14partition_implILS5_9ELb0ES3_jN6thrust23THRUST_200600_302600_NS6detail15normal_iteratorINS9_10device_ptrIiEEEENSB_INSC_IjEEEEPNS0_10empty_typeENS0_5tupleIJNS9_16discard_iteratorINS9_11use_defaultEEESH_EEENSJ_IJSG_SI_EEENS0_18inequality_wrapperINS9_8equal_toIiEEEEPmJSH_EEE10hipError_tPvRmT3_T4_T5_T6_T7_T9_mT8_P12ihipStream_tbDpT10_ENKUlT_T0_E_clISt17integral_constantIbLb1EES1C_IbLb0EEEEDaS18_S19_EUlS18_E_NS1_11comp_targetILNS1_3genE2ELNS1_11target_archE906ELNS1_3gpuE6ELNS1_3repE0EEENS1_30default_config_static_selectorELNS0_4arch9wavefront6targetE0EEEvT1_
	.globl	_ZN7rocprim17ROCPRIM_400000_NS6detail17trampoline_kernelINS0_14default_configENS1_25partition_config_selectorILNS1_17partition_subalgoE9EijbEEZZNS1_14partition_implILS5_9ELb0ES3_jN6thrust23THRUST_200600_302600_NS6detail15normal_iteratorINS9_10device_ptrIiEEEENSB_INSC_IjEEEEPNS0_10empty_typeENS0_5tupleIJNS9_16discard_iteratorINS9_11use_defaultEEESH_EEENSJ_IJSG_SI_EEENS0_18inequality_wrapperINS9_8equal_toIiEEEEPmJSH_EEE10hipError_tPvRmT3_T4_T5_T6_T7_T9_mT8_P12ihipStream_tbDpT10_ENKUlT_T0_E_clISt17integral_constantIbLb1EES1C_IbLb0EEEEDaS18_S19_EUlS18_E_NS1_11comp_targetILNS1_3genE2ELNS1_11target_archE906ELNS1_3gpuE6ELNS1_3repE0EEENS1_30default_config_static_selectorELNS0_4arch9wavefront6targetE0EEEvT1_
	.p2align	8
	.type	_ZN7rocprim17ROCPRIM_400000_NS6detail17trampoline_kernelINS0_14default_configENS1_25partition_config_selectorILNS1_17partition_subalgoE9EijbEEZZNS1_14partition_implILS5_9ELb0ES3_jN6thrust23THRUST_200600_302600_NS6detail15normal_iteratorINS9_10device_ptrIiEEEENSB_INSC_IjEEEEPNS0_10empty_typeENS0_5tupleIJNS9_16discard_iteratorINS9_11use_defaultEEESH_EEENSJ_IJSG_SI_EEENS0_18inequality_wrapperINS9_8equal_toIiEEEEPmJSH_EEE10hipError_tPvRmT3_T4_T5_T6_T7_T9_mT8_P12ihipStream_tbDpT10_ENKUlT_T0_E_clISt17integral_constantIbLb1EES1C_IbLb0EEEEDaS18_S19_EUlS18_E_NS1_11comp_targetILNS1_3genE2ELNS1_11target_archE906ELNS1_3gpuE6ELNS1_3repE0EEENS1_30default_config_static_selectorELNS0_4arch9wavefront6targetE0EEEvT1_,@function
_ZN7rocprim17ROCPRIM_400000_NS6detail17trampoline_kernelINS0_14default_configENS1_25partition_config_selectorILNS1_17partition_subalgoE9EijbEEZZNS1_14partition_implILS5_9ELb0ES3_jN6thrust23THRUST_200600_302600_NS6detail15normal_iteratorINS9_10device_ptrIiEEEENSB_INSC_IjEEEEPNS0_10empty_typeENS0_5tupleIJNS9_16discard_iteratorINS9_11use_defaultEEESH_EEENSJ_IJSG_SI_EEENS0_18inequality_wrapperINS9_8equal_toIiEEEEPmJSH_EEE10hipError_tPvRmT3_T4_T5_T6_T7_T9_mT8_P12ihipStream_tbDpT10_ENKUlT_T0_E_clISt17integral_constantIbLb1EES1C_IbLb0EEEEDaS18_S19_EUlS18_E_NS1_11comp_targetILNS1_3genE2ELNS1_11target_archE906ELNS1_3gpuE6ELNS1_3repE0EEENS1_30default_config_static_selectorELNS0_4arch9wavefront6targetE0EEEvT1_: ; @_ZN7rocprim17ROCPRIM_400000_NS6detail17trampoline_kernelINS0_14default_configENS1_25partition_config_selectorILNS1_17partition_subalgoE9EijbEEZZNS1_14partition_implILS5_9ELb0ES3_jN6thrust23THRUST_200600_302600_NS6detail15normal_iteratorINS9_10device_ptrIiEEEENSB_INSC_IjEEEEPNS0_10empty_typeENS0_5tupleIJNS9_16discard_iteratorINS9_11use_defaultEEESH_EEENSJ_IJSG_SI_EEENS0_18inequality_wrapperINS9_8equal_toIiEEEEPmJSH_EEE10hipError_tPvRmT3_T4_T5_T6_T7_T9_mT8_P12ihipStream_tbDpT10_ENKUlT_T0_E_clISt17integral_constantIbLb1EES1C_IbLb0EEEEDaS18_S19_EUlS18_E_NS1_11comp_targetILNS1_3genE2ELNS1_11target_archE906ELNS1_3gpuE6ELNS1_3repE0EEENS1_30default_config_static_selectorELNS0_4arch9wavefront6targetE0EEEvT1_
; %bb.0:
	.section	.rodata,"a",@progbits
	.p2align	6, 0x0
	.amdhsa_kernel _ZN7rocprim17ROCPRIM_400000_NS6detail17trampoline_kernelINS0_14default_configENS1_25partition_config_selectorILNS1_17partition_subalgoE9EijbEEZZNS1_14partition_implILS5_9ELb0ES3_jN6thrust23THRUST_200600_302600_NS6detail15normal_iteratorINS9_10device_ptrIiEEEENSB_INSC_IjEEEEPNS0_10empty_typeENS0_5tupleIJNS9_16discard_iteratorINS9_11use_defaultEEESH_EEENSJ_IJSG_SI_EEENS0_18inequality_wrapperINS9_8equal_toIiEEEEPmJSH_EEE10hipError_tPvRmT3_T4_T5_T6_T7_T9_mT8_P12ihipStream_tbDpT10_ENKUlT_T0_E_clISt17integral_constantIbLb1EES1C_IbLb0EEEEDaS18_S19_EUlS18_E_NS1_11comp_targetILNS1_3genE2ELNS1_11target_archE906ELNS1_3gpuE6ELNS1_3repE0EEENS1_30default_config_static_selectorELNS0_4arch9wavefront6targetE0EEEvT1_
		.amdhsa_group_segment_fixed_size 0
		.amdhsa_private_segment_fixed_size 0
		.amdhsa_kernarg_size 120
		.amdhsa_user_sgpr_count 15
		.amdhsa_user_sgpr_dispatch_ptr 0
		.amdhsa_user_sgpr_queue_ptr 0
		.amdhsa_user_sgpr_kernarg_segment_ptr 1
		.amdhsa_user_sgpr_dispatch_id 0
		.amdhsa_user_sgpr_private_segment_size 0
		.amdhsa_wavefront_size32 1
		.amdhsa_uses_dynamic_stack 0
		.amdhsa_enable_private_segment 0
		.amdhsa_system_sgpr_workgroup_id_x 1
		.amdhsa_system_sgpr_workgroup_id_y 0
		.amdhsa_system_sgpr_workgroup_id_z 0
		.amdhsa_system_sgpr_workgroup_info 0
		.amdhsa_system_vgpr_workitem_id 0
		.amdhsa_next_free_vgpr 1
		.amdhsa_next_free_sgpr 1
		.amdhsa_reserve_vcc 0
		.amdhsa_float_round_mode_32 0
		.amdhsa_float_round_mode_16_64 0
		.amdhsa_float_denorm_mode_32 3
		.amdhsa_float_denorm_mode_16_64 3
		.amdhsa_dx10_clamp 1
		.amdhsa_ieee_mode 1
		.amdhsa_fp16_overflow 0
		.amdhsa_workgroup_processor_mode 1
		.amdhsa_memory_ordered 1
		.amdhsa_forward_progress 0
		.amdhsa_shared_vgpr_count 0
		.amdhsa_exception_fp_ieee_invalid_op 0
		.amdhsa_exception_fp_denorm_src 0
		.amdhsa_exception_fp_ieee_div_zero 0
		.amdhsa_exception_fp_ieee_overflow 0
		.amdhsa_exception_fp_ieee_underflow 0
		.amdhsa_exception_fp_ieee_inexact 0
		.amdhsa_exception_int_div_zero 0
	.end_amdhsa_kernel
	.section	.text._ZN7rocprim17ROCPRIM_400000_NS6detail17trampoline_kernelINS0_14default_configENS1_25partition_config_selectorILNS1_17partition_subalgoE9EijbEEZZNS1_14partition_implILS5_9ELb0ES3_jN6thrust23THRUST_200600_302600_NS6detail15normal_iteratorINS9_10device_ptrIiEEEENSB_INSC_IjEEEEPNS0_10empty_typeENS0_5tupleIJNS9_16discard_iteratorINS9_11use_defaultEEESH_EEENSJ_IJSG_SI_EEENS0_18inequality_wrapperINS9_8equal_toIiEEEEPmJSH_EEE10hipError_tPvRmT3_T4_T5_T6_T7_T9_mT8_P12ihipStream_tbDpT10_ENKUlT_T0_E_clISt17integral_constantIbLb1EES1C_IbLb0EEEEDaS18_S19_EUlS18_E_NS1_11comp_targetILNS1_3genE2ELNS1_11target_archE906ELNS1_3gpuE6ELNS1_3repE0EEENS1_30default_config_static_selectorELNS0_4arch9wavefront6targetE0EEEvT1_,"axG",@progbits,_ZN7rocprim17ROCPRIM_400000_NS6detail17trampoline_kernelINS0_14default_configENS1_25partition_config_selectorILNS1_17partition_subalgoE9EijbEEZZNS1_14partition_implILS5_9ELb0ES3_jN6thrust23THRUST_200600_302600_NS6detail15normal_iteratorINS9_10device_ptrIiEEEENSB_INSC_IjEEEEPNS0_10empty_typeENS0_5tupleIJNS9_16discard_iteratorINS9_11use_defaultEEESH_EEENSJ_IJSG_SI_EEENS0_18inequality_wrapperINS9_8equal_toIiEEEEPmJSH_EEE10hipError_tPvRmT3_T4_T5_T6_T7_T9_mT8_P12ihipStream_tbDpT10_ENKUlT_T0_E_clISt17integral_constantIbLb1EES1C_IbLb0EEEEDaS18_S19_EUlS18_E_NS1_11comp_targetILNS1_3genE2ELNS1_11target_archE906ELNS1_3gpuE6ELNS1_3repE0EEENS1_30default_config_static_selectorELNS0_4arch9wavefront6targetE0EEEvT1_,comdat
.Lfunc_end1161:
	.size	_ZN7rocprim17ROCPRIM_400000_NS6detail17trampoline_kernelINS0_14default_configENS1_25partition_config_selectorILNS1_17partition_subalgoE9EijbEEZZNS1_14partition_implILS5_9ELb0ES3_jN6thrust23THRUST_200600_302600_NS6detail15normal_iteratorINS9_10device_ptrIiEEEENSB_INSC_IjEEEEPNS0_10empty_typeENS0_5tupleIJNS9_16discard_iteratorINS9_11use_defaultEEESH_EEENSJ_IJSG_SI_EEENS0_18inequality_wrapperINS9_8equal_toIiEEEEPmJSH_EEE10hipError_tPvRmT3_T4_T5_T6_T7_T9_mT8_P12ihipStream_tbDpT10_ENKUlT_T0_E_clISt17integral_constantIbLb1EES1C_IbLb0EEEEDaS18_S19_EUlS18_E_NS1_11comp_targetILNS1_3genE2ELNS1_11target_archE906ELNS1_3gpuE6ELNS1_3repE0EEENS1_30default_config_static_selectorELNS0_4arch9wavefront6targetE0EEEvT1_, .Lfunc_end1161-_ZN7rocprim17ROCPRIM_400000_NS6detail17trampoline_kernelINS0_14default_configENS1_25partition_config_selectorILNS1_17partition_subalgoE9EijbEEZZNS1_14partition_implILS5_9ELb0ES3_jN6thrust23THRUST_200600_302600_NS6detail15normal_iteratorINS9_10device_ptrIiEEEENSB_INSC_IjEEEEPNS0_10empty_typeENS0_5tupleIJNS9_16discard_iteratorINS9_11use_defaultEEESH_EEENSJ_IJSG_SI_EEENS0_18inequality_wrapperINS9_8equal_toIiEEEEPmJSH_EEE10hipError_tPvRmT3_T4_T5_T6_T7_T9_mT8_P12ihipStream_tbDpT10_ENKUlT_T0_E_clISt17integral_constantIbLb1EES1C_IbLb0EEEEDaS18_S19_EUlS18_E_NS1_11comp_targetILNS1_3genE2ELNS1_11target_archE906ELNS1_3gpuE6ELNS1_3repE0EEENS1_30default_config_static_selectorELNS0_4arch9wavefront6targetE0EEEvT1_
                                        ; -- End function
	.section	.AMDGPU.csdata,"",@progbits
; Kernel info:
; codeLenInByte = 0
; NumSgprs: 0
; NumVgprs: 0
; ScratchSize: 0
; MemoryBound: 0
; FloatMode: 240
; IeeeMode: 1
; LDSByteSize: 0 bytes/workgroup (compile time only)
; SGPRBlocks: 0
; VGPRBlocks: 0
; NumSGPRsForWavesPerEU: 1
; NumVGPRsForWavesPerEU: 1
; Occupancy: 16
; WaveLimiterHint : 0
; COMPUTE_PGM_RSRC2:SCRATCH_EN: 0
; COMPUTE_PGM_RSRC2:USER_SGPR: 15
; COMPUTE_PGM_RSRC2:TRAP_HANDLER: 0
; COMPUTE_PGM_RSRC2:TGID_X_EN: 1
; COMPUTE_PGM_RSRC2:TGID_Y_EN: 0
; COMPUTE_PGM_RSRC2:TGID_Z_EN: 0
; COMPUTE_PGM_RSRC2:TIDIG_COMP_CNT: 0
	.section	.text._ZN7rocprim17ROCPRIM_400000_NS6detail17trampoline_kernelINS0_14default_configENS1_25partition_config_selectorILNS1_17partition_subalgoE9EijbEEZZNS1_14partition_implILS5_9ELb0ES3_jN6thrust23THRUST_200600_302600_NS6detail15normal_iteratorINS9_10device_ptrIiEEEENSB_INSC_IjEEEEPNS0_10empty_typeENS0_5tupleIJNS9_16discard_iteratorINS9_11use_defaultEEESH_EEENSJ_IJSG_SI_EEENS0_18inequality_wrapperINS9_8equal_toIiEEEEPmJSH_EEE10hipError_tPvRmT3_T4_T5_T6_T7_T9_mT8_P12ihipStream_tbDpT10_ENKUlT_T0_E_clISt17integral_constantIbLb1EES1C_IbLb0EEEEDaS18_S19_EUlS18_E_NS1_11comp_targetILNS1_3genE10ELNS1_11target_archE1200ELNS1_3gpuE4ELNS1_3repE0EEENS1_30default_config_static_selectorELNS0_4arch9wavefront6targetE0EEEvT1_,"axG",@progbits,_ZN7rocprim17ROCPRIM_400000_NS6detail17trampoline_kernelINS0_14default_configENS1_25partition_config_selectorILNS1_17partition_subalgoE9EijbEEZZNS1_14partition_implILS5_9ELb0ES3_jN6thrust23THRUST_200600_302600_NS6detail15normal_iteratorINS9_10device_ptrIiEEEENSB_INSC_IjEEEEPNS0_10empty_typeENS0_5tupleIJNS9_16discard_iteratorINS9_11use_defaultEEESH_EEENSJ_IJSG_SI_EEENS0_18inequality_wrapperINS9_8equal_toIiEEEEPmJSH_EEE10hipError_tPvRmT3_T4_T5_T6_T7_T9_mT8_P12ihipStream_tbDpT10_ENKUlT_T0_E_clISt17integral_constantIbLb1EES1C_IbLb0EEEEDaS18_S19_EUlS18_E_NS1_11comp_targetILNS1_3genE10ELNS1_11target_archE1200ELNS1_3gpuE4ELNS1_3repE0EEENS1_30default_config_static_selectorELNS0_4arch9wavefront6targetE0EEEvT1_,comdat
	.protected	_ZN7rocprim17ROCPRIM_400000_NS6detail17trampoline_kernelINS0_14default_configENS1_25partition_config_selectorILNS1_17partition_subalgoE9EijbEEZZNS1_14partition_implILS5_9ELb0ES3_jN6thrust23THRUST_200600_302600_NS6detail15normal_iteratorINS9_10device_ptrIiEEEENSB_INSC_IjEEEEPNS0_10empty_typeENS0_5tupleIJNS9_16discard_iteratorINS9_11use_defaultEEESH_EEENSJ_IJSG_SI_EEENS0_18inequality_wrapperINS9_8equal_toIiEEEEPmJSH_EEE10hipError_tPvRmT3_T4_T5_T6_T7_T9_mT8_P12ihipStream_tbDpT10_ENKUlT_T0_E_clISt17integral_constantIbLb1EES1C_IbLb0EEEEDaS18_S19_EUlS18_E_NS1_11comp_targetILNS1_3genE10ELNS1_11target_archE1200ELNS1_3gpuE4ELNS1_3repE0EEENS1_30default_config_static_selectorELNS0_4arch9wavefront6targetE0EEEvT1_ ; -- Begin function _ZN7rocprim17ROCPRIM_400000_NS6detail17trampoline_kernelINS0_14default_configENS1_25partition_config_selectorILNS1_17partition_subalgoE9EijbEEZZNS1_14partition_implILS5_9ELb0ES3_jN6thrust23THRUST_200600_302600_NS6detail15normal_iteratorINS9_10device_ptrIiEEEENSB_INSC_IjEEEEPNS0_10empty_typeENS0_5tupleIJNS9_16discard_iteratorINS9_11use_defaultEEESH_EEENSJ_IJSG_SI_EEENS0_18inequality_wrapperINS9_8equal_toIiEEEEPmJSH_EEE10hipError_tPvRmT3_T4_T5_T6_T7_T9_mT8_P12ihipStream_tbDpT10_ENKUlT_T0_E_clISt17integral_constantIbLb1EES1C_IbLb0EEEEDaS18_S19_EUlS18_E_NS1_11comp_targetILNS1_3genE10ELNS1_11target_archE1200ELNS1_3gpuE4ELNS1_3repE0EEENS1_30default_config_static_selectorELNS0_4arch9wavefront6targetE0EEEvT1_
	.globl	_ZN7rocprim17ROCPRIM_400000_NS6detail17trampoline_kernelINS0_14default_configENS1_25partition_config_selectorILNS1_17partition_subalgoE9EijbEEZZNS1_14partition_implILS5_9ELb0ES3_jN6thrust23THRUST_200600_302600_NS6detail15normal_iteratorINS9_10device_ptrIiEEEENSB_INSC_IjEEEEPNS0_10empty_typeENS0_5tupleIJNS9_16discard_iteratorINS9_11use_defaultEEESH_EEENSJ_IJSG_SI_EEENS0_18inequality_wrapperINS9_8equal_toIiEEEEPmJSH_EEE10hipError_tPvRmT3_T4_T5_T6_T7_T9_mT8_P12ihipStream_tbDpT10_ENKUlT_T0_E_clISt17integral_constantIbLb1EES1C_IbLb0EEEEDaS18_S19_EUlS18_E_NS1_11comp_targetILNS1_3genE10ELNS1_11target_archE1200ELNS1_3gpuE4ELNS1_3repE0EEENS1_30default_config_static_selectorELNS0_4arch9wavefront6targetE0EEEvT1_
	.p2align	8
	.type	_ZN7rocprim17ROCPRIM_400000_NS6detail17trampoline_kernelINS0_14default_configENS1_25partition_config_selectorILNS1_17partition_subalgoE9EijbEEZZNS1_14partition_implILS5_9ELb0ES3_jN6thrust23THRUST_200600_302600_NS6detail15normal_iteratorINS9_10device_ptrIiEEEENSB_INSC_IjEEEEPNS0_10empty_typeENS0_5tupleIJNS9_16discard_iteratorINS9_11use_defaultEEESH_EEENSJ_IJSG_SI_EEENS0_18inequality_wrapperINS9_8equal_toIiEEEEPmJSH_EEE10hipError_tPvRmT3_T4_T5_T6_T7_T9_mT8_P12ihipStream_tbDpT10_ENKUlT_T0_E_clISt17integral_constantIbLb1EES1C_IbLb0EEEEDaS18_S19_EUlS18_E_NS1_11comp_targetILNS1_3genE10ELNS1_11target_archE1200ELNS1_3gpuE4ELNS1_3repE0EEENS1_30default_config_static_selectorELNS0_4arch9wavefront6targetE0EEEvT1_,@function
_ZN7rocprim17ROCPRIM_400000_NS6detail17trampoline_kernelINS0_14default_configENS1_25partition_config_selectorILNS1_17partition_subalgoE9EijbEEZZNS1_14partition_implILS5_9ELb0ES3_jN6thrust23THRUST_200600_302600_NS6detail15normal_iteratorINS9_10device_ptrIiEEEENSB_INSC_IjEEEEPNS0_10empty_typeENS0_5tupleIJNS9_16discard_iteratorINS9_11use_defaultEEESH_EEENSJ_IJSG_SI_EEENS0_18inequality_wrapperINS9_8equal_toIiEEEEPmJSH_EEE10hipError_tPvRmT3_T4_T5_T6_T7_T9_mT8_P12ihipStream_tbDpT10_ENKUlT_T0_E_clISt17integral_constantIbLb1EES1C_IbLb0EEEEDaS18_S19_EUlS18_E_NS1_11comp_targetILNS1_3genE10ELNS1_11target_archE1200ELNS1_3gpuE4ELNS1_3repE0EEENS1_30default_config_static_selectorELNS0_4arch9wavefront6targetE0EEEvT1_: ; @_ZN7rocprim17ROCPRIM_400000_NS6detail17trampoline_kernelINS0_14default_configENS1_25partition_config_selectorILNS1_17partition_subalgoE9EijbEEZZNS1_14partition_implILS5_9ELb0ES3_jN6thrust23THRUST_200600_302600_NS6detail15normal_iteratorINS9_10device_ptrIiEEEENSB_INSC_IjEEEEPNS0_10empty_typeENS0_5tupleIJNS9_16discard_iteratorINS9_11use_defaultEEESH_EEENSJ_IJSG_SI_EEENS0_18inequality_wrapperINS9_8equal_toIiEEEEPmJSH_EEE10hipError_tPvRmT3_T4_T5_T6_T7_T9_mT8_P12ihipStream_tbDpT10_ENKUlT_T0_E_clISt17integral_constantIbLb1EES1C_IbLb0EEEEDaS18_S19_EUlS18_E_NS1_11comp_targetILNS1_3genE10ELNS1_11target_archE1200ELNS1_3gpuE4ELNS1_3repE0EEENS1_30default_config_static_selectorELNS0_4arch9wavefront6targetE0EEEvT1_
; %bb.0:
	.section	.rodata,"a",@progbits
	.p2align	6, 0x0
	.amdhsa_kernel _ZN7rocprim17ROCPRIM_400000_NS6detail17trampoline_kernelINS0_14default_configENS1_25partition_config_selectorILNS1_17partition_subalgoE9EijbEEZZNS1_14partition_implILS5_9ELb0ES3_jN6thrust23THRUST_200600_302600_NS6detail15normal_iteratorINS9_10device_ptrIiEEEENSB_INSC_IjEEEEPNS0_10empty_typeENS0_5tupleIJNS9_16discard_iteratorINS9_11use_defaultEEESH_EEENSJ_IJSG_SI_EEENS0_18inequality_wrapperINS9_8equal_toIiEEEEPmJSH_EEE10hipError_tPvRmT3_T4_T5_T6_T7_T9_mT8_P12ihipStream_tbDpT10_ENKUlT_T0_E_clISt17integral_constantIbLb1EES1C_IbLb0EEEEDaS18_S19_EUlS18_E_NS1_11comp_targetILNS1_3genE10ELNS1_11target_archE1200ELNS1_3gpuE4ELNS1_3repE0EEENS1_30default_config_static_selectorELNS0_4arch9wavefront6targetE0EEEvT1_
		.amdhsa_group_segment_fixed_size 0
		.amdhsa_private_segment_fixed_size 0
		.amdhsa_kernarg_size 120
		.amdhsa_user_sgpr_count 15
		.amdhsa_user_sgpr_dispatch_ptr 0
		.amdhsa_user_sgpr_queue_ptr 0
		.amdhsa_user_sgpr_kernarg_segment_ptr 1
		.amdhsa_user_sgpr_dispatch_id 0
		.amdhsa_user_sgpr_private_segment_size 0
		.amdhsa_wavefront_size32 1
		.amdhsa_uses_dynamic_stack 0
		.amdhsa_enable_private_segment 0
		.amdhsa_system_sgpr_workgroup_id_x 1
		.amdhsa_system_sgpr_workgroup_id_y 0
		.amdhsa_system_sgpr_workgroup_id_z 0
		.amdhsa_system_sgpr_workgroup_info 0
		.amdhsa_system_vgpr_workitem_id 0
		.amdhsa_next_free_vgpr 1
		.amdhsa_next_free_sgpr 1
		.amdhsa_reserve_vcc 0
		.amdhsa_float_round_mode_32 0
		.amdhsa_float_round_mode_16_64 0
		.amdhsa_float_denorm_mode_32 3
		.amdhsa_float_denorm_mode_16_64 3
		.amdhsa_dx10_clamp 1
		.amdhsa_ieee_mode 1
		.amdhsa_fp16_overflow 0
		.amdhsa_workgroup_processor_mode 1
		.amdhsa_memory_ordered 1
		.amdhsa_forward_progress 0
		.amdhsa_shared_vgpr_count 0
		.amdhsa_exception_fp_ieee_invalid_op 0
		.amdhsa_exception_fp_denorm_src 0
		.amdhsa_exception_fp_ieee_div_zero 0
		.amdhsa_exception_fp_ieee_overflow 0
		.amdhsa_exception_fp_ieee_underflow 0
		.amdhsa_exception_fp_ieee_inexact 0
		.amdhsa_exception_int_div_zero 0
	.end_amdhsa_kernel
	.section	.text._ZN7rocprim17ROCPRIM_400000_NS6detail17trampoline_kernelINS0_14default_configENS1_25partition_config_selectorILNS1_17partition_subalgoE9EijbEEZZNS1_14partition_implILS5_9ELb0ES3_jN6thrust23THRUST_200600_302600_NS6detail15normal_iteratorINS9_10device_ptrIiEEEENSB_INSC_IjEEEEPNS0_10empty_typeENS0_5tupleIJNS9_16discard_iteratorINS9_11use_defaultEEESH_EEENSJ_IJSG_SI_EEENS0_18inequality_wrapperINS9_8equal_toIiEEEEPmJSH_EEE10hipError_tPvRmT3_T4_T5_T6_T7_T9_mT8_P12ihipStream_tbDpT10_ENKUlT_T0_E_clISt17integral_constantIbLb1EES1C_IbLb0EEEEDaS18_S19_EUlS18_E_NS1_11comp_targetILNS1_3genE10ELNS1_11target_archE1200ELNS1_3gpuE4ELNS1_3repE0EEENS1_30default_config_static_selectorELNS0_4arch9wavefront6targetE0EEEvT1_,"axG",@progbits,_ZN7rocprim17ROCPRIM_400000_NS6detail17trampoline_kernelINS0_14default_configENS1_25partition_config_selectorILNS1_17partition_subalgoE9EijbEEZZNS1_14partition_implILS5_9ELb0ES3_jN6thrust23THRUST_200600_302600_NS6detail15normal_iteratorINS9_10device_ptrIiEEEENSB_INSC_IjEEEEPNS0_10empty_typeENS0_5tupleIJNS9_16discard_iteratorINS9_11use_defaultEEESH_EEENSJ_IJSG_SI_EEENS0_18inequality_wrapperINS9_8equal_toIiEEEEPmJSH_EEE10hipError_tPvRmT3_T4_T5_T6_T7_T9_mT8_P12ihipStream_tbDpT10_ENKUlT_T0_E_clISt17integral_constantIbLb1EES1C_IbLb0EEEEDaS18_S19_EUlS18_E_NS1_11comp_targetILNS1_3genE10ELNS1_11target_archE1200ELNS1_3gpuE4ELNS1_3repE0EEENS1_30default_config_static_selectorELNS0_4arch9wavefront6targetE0EEEvT1_,comdat
.Lfunc_end1162:
	.size	_ZN7rocprim17ROCPRIM_400000_NS6detail17trampoline_kernelINS0_14default_configENS1_25partition_config_selectorILNS1_17partition_subalgoE9EijbEEZZNS1_14partition_implILS5_9ELb0ES3_jN6thrust23THRUST_200600_302600_NS6detail15normal_iteratorINS9_10device_ptrIiEEEENSB_INSC_IjEEEEPNS0_10empty_typeENS0_5tupleIJNS9_16discard_iteratorINS9_11use_defaultEEESH_EEENSJ_IJSG_SI_EEENS0_18inequality_wrapperINS9_8equal_toIiEEEEPmJSH_EEE10hipError_tPvRmT3_T4_T5_T6_T7_T9_mT8_P12ihipStream_tbDpT10_ENKUlT_T0_E_clISt17integral_constantIbLb1EES1C_IbLb0EEEEDaS18_S19_EUlS18_E_NS1_11comp_targetILNS1_3genE10ELNS1_11target_archE1200ELNS1_3gpuE4ELNS1_3repE0EEENS1_30default_config_static_selectorELNS0_4arch9wavefront6targetE0EEEvT1_, .Lfunc_end1162-_ZN7rocprim17ROCPRIM_400000_NS6detail17trampoline_kernelINS0_14default_configENS1_25partition_config_selectorILNS1_17partition_subalgoE9EijbEEZZNS1_14partition_implILS5_9ELb0ES3_jN6thrust23THRUST_200600_302600_NS6detail15normal_iteratorINS9_10device_ptrIiEEEENSB_INSC_IjEEEEPNS0_10empty_typeENS0_5tupleIJNS9_16discard_iteratorINS9_11use_defaultEEESH_EEENSJ_IJSG_SI_EEENS0_18inequality_wrapperINS9_8equal_toIiEEEEPmJSH_EEE10hipError_tPvRmT3_T4_T5_T6_T7_T9_mT8_P12ihipStream_tbDpT10_ENKUlT_T0_E_clISt17integral_constantIbLb1EES1C_IbLb0EEEEDaS18_S19_EUlS18_E_NS1_11comp_targetILNS1_3genE10ELNS1_11target_archE1200ELNS1_3gpuE4ELNS1_3repE0EEENS1_30default_config_static_selectorELNS0_4arch9wavefront6targetE0EEEvT1_
                                        ; -- End function
	.section	.AMDGPU.csdata,"",@progbits
; Kernel info:
; codeLenInByte = 0
; NumSgprs: 0
; NumVgprs: 0
; ScratchSize: 0
; MemoryBound: 0
; FloatMode: 240
; IeeeMode: 1
; LDSByteSize: 0 bytes/workgroup (compile time only)
; SGPRBlocks: 0
; VGPRBlocks: 0
; NumSGPRsForWavesPerEU: 1
; NumVGPRsForWavesPerEU: 1
; Occupancy: 15
; WaveLimiterHint : 0
; COMPUTE_PGM_RSRC2:SCRATCH_EN: 0
; COMPUTE_PGM_RSRC2:USER_SGPR: 15
; COMPUTE_PGM_RSRC2:TRAP_HANDLER: 0
; COMPUTE_PGM_RSRC2:TGID_X_EN: 1
; COMPUTE_PGM_RSRC2:TGID_Y_EN: 0
; COMPUTE_PGM_RSRC2:TGID_Z_EN: 0
; COMPUTE_PGM_RSRC2:TIDIG_COMP_CNT: 0
	.section	.text._ZN7rocprim17ROCPRIM_400000_NS6detail17trampoline_kernelINS0_14default_configENS1_25partition_config_selectorILNS1_17partition_subalgoE9EijbEEZZNS1_14partition_implILS5_9ELb0ES3_jN6thrust23THRUST_200600_302600_NS6detail15normal_iteratorINS9_10device_ptrIiEEEENSB_INSC_IjEEEEPNS0_10empty_typeENS0_5tupleIJNS9_16discard_iteratorINS9_11use_defaultEEESH_EEENSJ_IJSG_SI_EEENS0_18inequality_wrapperINS9_8equal_toIiEEEEPmJSH_EEE10hipError_tPvRmT3_T4_T5_T6_T7_T9_mT8_P12ihipStream_tbDpT10_ENKUlT_T0_E_clISt17integral_constantIbLb1EES1C_IbLb0EEEEDaS18_S19_EUlS18_E_NS1_11comp_targetILNS1_3genE9ELNS1_11target_archE1100ELNS1_3gpuE3ELNS1_3repE0EEENS1_30default_config_static_selectorELNS0_4arch9wavefront6targetE0EEEvT1_,"axG",@progbits,_ZN7rocprim17ROCPRIM_400000_NS6detail17trampoline_kernelINS0_14default_configENS1_25partition_config_selectorILNS1_17partition_subalgoE9EijbEEZZNS1_14partition_implILS5_9ELb0ES3_jN6thrust23THRUST_200600_302600_NS6detail15normal_iteratorINS9_10device_ptrIiEEEENSB_INSC_IjEEEEPNS0_10empty_typeENS0_5tupleIJNS9_16discard_iteratorINS9_11use_defaultEEESH_EEENSJ_IJSG_SI_EEENS0_18inequality_wrapperINS9_8equal_toIiEEEEPmJSH_EEE10hipError_tPvRmT3_T4_T5_T6_T7_T9_mT8_P12ihipStream_tbDpT10_ENKUlT_T0_E_clISt17integral_constantIbLb1EES1C_IbLb0EEEEDaS18_S19_EUlS18_E_NS1_11comp_targetILNS1_3genE9ELNS1_11target_archE1100ELNS1_3gpuE3ELNS1_3repE0EEENS1_30default_config_static_selectorELNS0_4arch9wavefront6targetE0EEEvT1_,comdat
	.protected	_ZN7rocprim17ROCPRIM_400000_NS6detail17trampoline_kernelINS0_14default_configENS1_25partition_config_selectorILNS1_17partition_subalgoE9EijbEEZZNS1_14partition_implILS5_9ELb0ES3_jN6thrust23THRUST_200600_302600_NS6detail15normal_iteratorINS9_10device_ptrIiEEEENSB_INSC_IjEEEEPNS0_10empty_typeENS0_5tupleIJNS9_16discard_iteratorINS9_11use_defaultEEESH_EEENSJ_IJSG_SI_EEENS0_18inequality_wrapperINS9_8equal_toIiEEEEPmJSH_EEE10hipError_tPvRmT3_T4_T5_T6_T7_T9_mT8_P12ihipStream_tbDpT10_ENKUlT_T0_E_clISt17integral_constantIbLb1EES1C_IbLb0EEEEDaS18_S19_EUlS18_E_NS1_11comp_targetILNS1_3genE9ELNS1_11target_archE1100ELNS1_3gpuE3ELNS1_3repE0EEENS1_30default_config_static_selectorELNS0_4arch9wavefront6targetE0EEEvT1_ ; -- Begin function _ZN7rocprim17ROCPRIM_400000_NS6detail17trampoline_kernelINS0_14default_configENS1_25partition_config_selectorILNS1_17partition_subalgoE9EijbEEZZNS1_14partition_implILS5_9ELb0ES3_jN6thrust23THRUST_200600_302600_NS6detail15normal_iteratorINS9_10device_ptrIiEEEENSB_INSC_IjEEEEPNS0_10empty_typeENS0_5tupleIJNS9_16discard_iteratorINS9_11use_defaultEEESH_EEENSJ_IJSG_SI_EEENS0_18inequality_wrapperINS9_8equal_toIiEEEEPmJSH_EEE10hipError_tPvRmT3_T4_T5_T6_T7_T9_mT8_P12ihipStream_tbDpT10_ENKUlT_T0_E_clISt17integral_constantIbLb1EES1C_IbLb0EEEEDaS18_S19_EUlS18_E_NS1_11comp_targetILNS1_3genE9ELNS1_11target_archE1100ELNS1_3gpuE3ELNS1_3repE0EEENS1_30default_config_static_selectorELNS0_4arch9wavefront6targetE0EEEvT1_
	.globl	_ZN7rocprim17ROCPRIM_400000_NS6detail17trampoline_kernelINS0_14default_configENS1_25partition_config_selectorILNS1_17partition_subalgoE9EijbEEZZNS1_14partition_implILS5_9ELb0ES3_jN6thrust23THRUST_200600_302600_NS6detail15normal_iteratorINS9_10device_ptrIiEEEENSB_INSC_IjEEEEPNS0_10empty_typeENS0_5tupleIJNS9_16discard_iteratorINS9_11use_defaultEEESH_EEENSJ_IJSG_SI_EEENS0_18inequality_wrapperINS9_8equal_toIiEEEEPmJSH_EEE10hipError_tPvRmT3_T4_T5_T6_T7_T9_mT8_P12ihipStream_tbDpT10_ENKUlT_T0_E_clISt17integral_constantIbLb1EES1C_IbLb0EEEEDaS18_S19_EUlS18_E_NS1_11comp_targetILNS1_3genE9ELNS1_11target_archE1100ELNS1_3gpuE3ELNS1_3repE0EEENS1_30default_config_static_selectorELNS0_4arch9wavefront6targetE0EEEvT1_
	.p2align	8
	.type	_ZN7rocprim17ROCPRIM_400000_NS6detail17trampoline_kernelINS0_14default_configENS1_25partition_config_selectorILNS1_17partition_subalgoE9EijbEEZZNS1_14partition_implILS5_9ELb0ES3_jN6thrust23THRUST_200600_302600_NS6detail15normal_iteratorINS9_10device_ptrIiEEEENSB_INSC_IjEEEEPNS0_10empty_typeENS0_5tupleIJNS9_16discard_iteratorINS9_11use_defaultEEESH_EEENSJ_IJSG_SI_EEENS0_18inequality_wrapperINS9_8equal_toIiEEEEPmJSH_EEE10hipError_tPvRmT3_T4_T5_T6_T7_T9_mT8_P12ihipStream_tbDpT10_ENKUlT_T0_E_clISt17integral_constantIbLb1EES1C_IbLb0EEEEDaS18_S19_EUlS18_E_NS1_11comp_targetILNS1_3genE9ELNS1_11target_archE1100ELNS1_3gpuE3ELNS1_3repE0EEENS1_30default_config_static_selectorELNS0_4arch9wavefront6targetE0EEEvT1_,@function
_ZN7rocprim17ROCPRIM_400000_NS6detail17trampoline_kernelINS0_14default_configENS1_25partition_config_selectorILNS1_17partition_subalgoE9EijbEEZZNS1_14partition_implILS5_9ELb0ES3_jN6thrust23THRUST_200600_302600_NS6detail15normal_iteratorINS9_10device_ptrIiEEEENSB_INSC_IjEEEEPNS0_10empty_typeENS0_5tupleIJNS9_16discard_iteratorINS9_11use_defaultEEESH_EEENSJ_IJSG_SI_EEENS0_18inequality_wrapperINS9_8equal_toIiEEEEPmJSH_EEE10hipError_tPvRmT3_T4_T5_T6_T7_T9_mT8_P12ihipStream_tbDpT10_ENKUlT_T0_E_clISt17integral_constantIbLb1EES1C_IbLb0EEEEDaS18_S19_EUlS18_E_NS1_11comp_targetILNS1_3genE9ELNS1_11target_archE1100ELNS1_3gpuE3ELNS1_3repE0EEENS1_30default_config_static_selectorELNS0_4arch9wavefront6targetE0EEEvT1_: ; @_ZN7rocprim17ROCPRIM_400000_NS6detail17trampoline_kernelINS0_14default_configENS1_25partition_config_selectorILNS1_17partition_subalgoE9EijbEEZZNS1_14partition_implILS5_9ELb0ES3_jN6thrust23THRUST_200600_302600_NS6detail15normal_iteratorINS9_10device_ptrIiEEEENSB_INSC_IjEEEEPNS0_10empty_typeENS0_5tupleIJNS9_16discard_iteratorINS9_11use_defaultEEESH_EEENSJ_IJSG_SI_EEENS0_18inequality_wrapperINS9_8equal_toIiEEEEPmJSH_EEE10hipError_tPvRmT3_T4_T5_T6_T7_T9_mT8_P12ihipStream_tbDpT10_ENKUlT_T0_E_clISt17integral_constantIbLb1EES1C_IbLb0EEEEDaS18_S19_EUlS18_E_NS1_11comp_targetILNS1_3genE9ELNS1_11target_archE1100ELNS1_3gpuE3ELNS1_3repE0EEENS1_30default_config_static_selectorELNS0_4arch9wavefront6targetE0EEEvT1_
; %bb.0:
	s_clause 0x4
	s_load_b128 s[4:7], s[0:1], 0x8
	s_load_b32 s14, s[0:1], 0x70
	s_load_b128 s[16:19], s[0:1], 0x48
	s_load_b64 s[2:3], s[0:1], 0x58
	s_load_b64 s[8:9], s[0:1], 0x18
	s_mov_b32 s23, 0
	s_mul_i32 s22, s15, 0xc00
	v_lshrrev_b32_e32 v12, 3, v0
	v_add_nc_u32_e32 v21, 0x180, v0
	v_add_nc_u32_e32 v20, 0x300, v0
	;; [unrolled: 1-line block ×3, first 2 shown]
	v_or_b32_e32 v22, 0x600, v0
	v_add_nc_u32_e32 v17, 0x780, v0
	v_add_nc_u32_e32 v11, 0x900, v0
	v_add_nc_u32_e32 v18, 0xa80, v0
	s_waitcnt lgkmcnt(0)
	s_lshl_b64 s[12:13], s[6:7], 2
	s_mul_i32 s20, s14, 0xc00
	s_add_u32 s21, s4, s12
	s_addc_u32 s24, s5, s13
	s_add_i32 s4, s20, s6
	s_load_b64 s[10:11], s[18:19], 0x0
	s_sub_i32 s19, s2, s4
	s_add_i32 s14, s14, -1
	s_addk_i32 s19, 0xc00
	s_add_u32 s4, s6, s20
	s_addc_u32 s5, s7, 0
	s_cmp_eq_u32 s15, s14
	v_cmp_ge_u64_e64 s2, s[4:5], s[2:3]
	s_cselect_b32 s14, -1, 0
	s_lshl_b64 s[4:5], s[22:23], 2
	s_mov_b32 s22, -1
	s_delay_alu instid0(VALU_DEP_1) | instskip(NEXT) | instid1(SALU_CYCLE_1)
	s_and_b32 s20, s14, s2
	s_xor_b32 s18, s20, -1
	s_add_u32 s21, s21, s4
	s_addc_u32 s3, s24, s5
	s_and_b32 vcc_lo, exec_lo, s18
	s_cbranch_vccz .LBB1163_2
; %bb.1:
	v_lshlrev_b32_e32 v7, 2, v0
	v_lshrrev_b32_e32 v13, 3, v21
	v_lshrrev_b32_e32 v14, 3, v20
	;; [unrolled: 1-line block ×4, first 2 shown]
	v_add_co_u32 v1, s2, s21, v7
	s_delay_alu instid0(VALU_DEP_1) | instskip(SKIP_1) | instid1(VALU_DEP_3)
	v_add_co_ci_u32_e64 v2, null, s3, 0, s2
	v_lshrrev_b32_e32 v19, 3, v17
	v_add_co_u32 v3, vcc_lo, 0x1000, v1
	s_delay_alu instid0(VALU_DEP_3)
	v_add_co_ci_u32_e32 v4, vcc_lo, 0, v2, vcc_lo
	v_add_co_u32 v5, vcc_lo, 0x2000, v1
	v_add_co_ci_u32_e32 v6, vcc_lo, 0, v2, vcc_lo
	s_clause 0x7
	flat_load_b32 v8, v[1:2]
	flat_load_b32 v9, v[1:2] offset:1536
	flat_load_b32 v1, v[1:2] offset:3072
	;; [unrolled: 1-line block ×7, first 2 shown]
	v_and_b32_e32 v6, 60, v12
	v_lshrrev_b32_e32 v24, 3, v11
	v_lshrrev_b32_e32 v25, 3, v18
	v_and_b32_e32 v13, 0x7c, v13
	v_and_b32_e32 v14, 0xfc, v14
	;; [unrolled: 1-line block ×4, first 2 shown]
	v_add_nc_u32_e32 v6, v6, v7
	v_and_b32_e32 v19, 0x1fc, v19
	v_and_b32_e32 v24, 0x17c, v24
	;; [unrolled: 1-line block ×3, first 2 shown]
	v_add_nc_u32_e32 v13, v13, v7
	v_add_nc_u32_e32 v14, v14, v7
	;; [unrolled: 1-line block ×4, first 2 shown]
	s_mov_b32 s22, 0
	v_add_nc_u32_e32 v19, v19, v7
	v_add_nc_u32_e32 v24, v24, v7
	;; [unrolled: 1-line block ×3, first 2 shown]
	s_waitcnt vmcnt(7) lgkmcnt(0)
	ds_store_b32 v6, v8
	s_waitcnt vmcnt(6)
	ds_store_b32 v13, v9 offset:1536
	s_waitcnt vmcnt(5)
	ds_store_b32 v14, v1 offset:3072
	;; [unrolled: 2-line block ×7, first 2 shown]
	s_waitcnt lgkmcnt(0)
	s_barrier
.LBB1163_2:
	v_cmp_gt_u32_e64 s2, s19, v0
	s_and_not1_b32 vcc_lo, exec_lo, s22
	s_cbranch_vccnz .LBB1163_20
; %bb.3:
                                        ; implicit-def: $vgpr1_vgpr2_vgpr3_vgpr4_vgpr5_vgpr6_vgpr7_vgpr8
	s_delay_alu instid0(VALU_DEP_1)
	s_and_saveexec_b32 s22, s2
	s_cbranch_execz .LBB1163_11
; %bb.4:
	v_lshlrev_b32_e32 v1, 2, v0
	s_delay_alu instid0(VALU_DEP_1) | instskip(NEXT) | instid1(VALU_DEP_1)
	v_add_co_u32 v1, s2, s21, v1
	v_add_co_ci_u32_e64 v2, null, s3, 0, s2
	flat_load_b32 v1, v[1:2]
	s_or_b32 exec_lo, exec_lo, s22
	s_delay_alu instid0(SALU_CYCLE_1)
	s_mov_b32 s2, exec_lo
	v_cmpx_gt_u32_e64 s19, v21
	s_cbranch_execnz .LBB1163_12
.LBB1163_5:
	s_or_b32 exec_lo, exec_lo, s2
	s_delay_alu instid0(SALU_CYCLE_1)
	s_mov_b32 s2, exec_lo
	v_cmpx_gt_u32_e64 s19, v20
	s_cbranch_execz .LBB1163_13
.LBB1163_6:
	v_lshlrev_b32_e32 v3, 2, v0
	s_delay_alu instid0(VALU_DEP_1) | instskip(NEXT) | instid1(VALU_DEP_1)
	v_add_co_u32 v9, s22, s21, v3
	v_add_co_ci_u32_e64 v10, null, s3, 0, s22
	flat_load_b32 v3, v[9:10] offset:3072
	s_or_b32 exec_lo, exec_lo, s2
	s_delay_alu instid0(SALU_CYCLE_1)
	s_mov_b32 s2, exec_lo
	v_cmpx_gt_u32_e64 s19, v23
	s_cbranch_execnz .LBB1163_14
.LBB1163_7:
	s_or_b32 exec_lo, exec_lo, s2
	s_delay_alu instid0(SALU_CYCLE_1)
	s_mov_b32 s2, exec_lo
	v_cmpx_gt_u32_e64 s19, v22
	s_cbranch_execz .LBB1163_15
.LBB1163_8:
	v_lshlrev_b32_e32 v5, 2, v22
	s_delay_alu instid0(VALU_DEP_1) | instskip(NEXT) | instid1(VALU_DEP_1)
	v_add_co_u32 v9, s22, s21, v5
	v_add_co_ci_u32_e64 v10, null, s3, 0, s22
	flat_load_b32 v5, v[9:10]
	s_or_b32 exec_lo, exec_lo, s2
	s_delay_alu instid0(SALU_CYCLE_1)
	s_mov_b32 s2, exec_lo
	v_cmpx_gt_u32_e64 s19, v17
	s_cbranch_execnz .LBB1163_16
.LBB1163_9:
	s_or_b32 exec_lo, exec_lo, s2
	s_delay_alu instid0(SALU_CYCLE_1)
	s_mov_b32 s2, exec_lo
	v_cmpx_gt_u32_e64 s19, v11
	s_cbranch_execz .LBB1163_17
.LBB1163_10:
	v_lshlrev_b32_e32 v7, 2, v11
	s_delay_alu instid0(VALU_DEP_1) | instskip(NEXT) | instid1(VALU_DEP_1)
	v_add_co_u32 v9, s22, s21, v7
	v_add_co_ci_u32_e64 v10, null, s3, 0, s22
	flat_load_b32 v7, v[9:10]
	s_or_b32 exec_lo, exec_lo, s2
	s_delay_alu instid0(SALU_CYCLE_1)
	s_mov_b32 s2, exec_lo
	v_cmpx_gt_u32_e64 s19, v18
	s_cbranch_execnz .LBB1163_18
	s_branch .LBB1163_19
.LBB1163_11:
	s_or_b32 exec_lo, exec_lo, s22
	s_delay_alu instid0(SALU_CYCLE_1)
	s_mov_b32 s2, exec_lo
	v_cmpx_gt_u32_e64 s19, v21
	s_cbranch_execz .LBB1163_5
.LBB1163_12:
	v_lshlrev_b32_e32 v2, 2, v0
	s_delay_alu instid0(VALU_DEP_1) | instskip(NEXT) | instid1(VALU_DEP_1)
	v_add_co_u32 v9, s22, s21, v2
	v_add_co_ci_u32_e64 v10, null, s3, 0, s22
	flat_load_b32 v2, v[9:10] offset:1536
	s_or_b32 exec_lo, exec_lo, s2
	s_delay_alu instid0(SALU_CYCLE_1)
	s_mov_b32 s2, exec_lo
	v_cmpx_gt_u32_e64 s19, v20
	s_cbranch_execnz .LBB1163_6
.LBB1163_13:
	s_or_b32 exec_lo, exec_lo, s2
	s_delay_alu instid0(SALU_CYCLE_1)
	s_mov_b32 s2, exec_lo
	v_cmpx_gt_u32_e64 s19, v23
	s_cbranch_execz .LBB1163_7
.LBB1163_14:
	v_lshlrev_b32_e32 v4, 2, v23
	s_delay_alu instid0(VALU_DEP_1) | instskip(NEXT) | instid1(VALU_DEP_1)
	v_add_co_u32 v9, s22, s21, v4
	v_add_co_ci_u32_e64 v10, null, s3, 0, s22
	flat_load_b32 v4, v[9:10]
	s_or_b32 exec_lo, exec_lo, s2
	s_delay_alu instid0(SALU_CYCLE_1)
	s_mov_b32 s2, exec_lo
	v_cmpx_gt_u32_e64 s19, v22
	s_cbranch_execnz .LBB1163_8
.LBB1163_15:
	s_or_b32 exec_lo, exec_lo, s2
	s_delay_alu instid0(SALU_CYCLE_1)
	s_mov_b32 s2, exec_lo
	v_cmpx_gt_u32_e64 s19, v17
	s_cbranch_execz .LBB1163_9
.LBB1163_16:
	v_lshlrev_b32_e32 v6, 2, v17
	s_delay_alu instid0(VALU_DEP_1) | instskip(NEXT) | instid1(VALU_DEP_1)
	v_add_co_u32 v9, s22, s21, v6
	v_add_co_ci_u32_e64 v10, null, s3, 0, s22
	flat_load_b32 v6, v[9:10]
	s_or_b32 exec_lo, exec_lo, s2
	s_delay_alu instid0(SALU_CYCLE_1)
	s_mov_b32 s2, exec_lo
	v_cmpx_gt_u32_e64 s19, v11
	s_cbranch_execnz .LBB1163_10
.LBB1163_17:
	s_or_b32 exec_lo, exec_lo, s2
	s_delay_alu instid0(SALU_CYCLE_1)
	s_mov_b32 s2, exec_lo
	v_cmpx_gt_u32_e64 s19, v18
	s_cbranch_execz .LBB1163_19
.LBB1163_18:
	v_lshlrev_b32_e32 v8, 2, v18
	s_delay_alu instid0(VALU_DEP_1) | instskip(NEXT) | instid1(VALU_DEP_1)
	v_add_co_u32 v8, s22, s21, v8
	v_add_co_ci_u32_e64 v9, null, s3, 0, s22
	flat_load_b32 v8, v[8:9]
.LBB1163_19:
	s_or_b32 exec_lo, exec_lo, s2
	v_lshrrev_b32_e32 v9, 3, v21
	v_lshrrev_b32_e32 v10, 3, v20
	v_lshrrev_b32_e32 v15, 3, v23
	v_lshrrev_b32_e32 v16, 3, v22
	v_and_b32_e32 v13, 60, v12
	v_lshlrev_b32_e32 v14, 2, v0
	v_lshrrev_b32_e32 v19, 3, v17
	v_lshrrev_b32_e32 v24, 3, v11
	;; [unrolled: 1-line block ×3, first 2 shown]
	v_and_b32_e32 v9, 0x7c, v9
	v_and_b32_e32 v10, 0xfc, v10
	;; [unrolled: 1-line block ×4, first 2 shown]
	v_add_nc_u32_e32 v13, v13, v14
	v_and_b32_e32 v19, 0x1fc, v19
	v_and_b32_e32 v24, 0x1fc, v24
	;; [unrolled: 1-line block ×3, first 2 shown]
	v_add_nc_u32_e32 v9, v9, v14
	v_add_nc_u32_e32 v10, v10, v14
	;; [unrolled: 1-line block ×7, first 2 shown]
	s_waitcnt vmcnt(0) lgkmcnt(0)
	ds_store_b32 v13, v1
	ds_store_b32 v9, v2 offset:1536
	ds_store_b32 v10, v3 offset:3072
	;; [unrolled: 1-line block ×7, first 2 shown]
	s_waitcnt lgkmcnt(0)
	s_barrier
.LBB1163_20:
	v_lshlrev_b32_e32 v19, 3, v0
	v_lshrrev_b32_e32 v1, 2, v0
	s_waitcnt lgkmcnt(0)
	buffer_gl0_inv
	s_add_u32 s2, s8, s12
	s_addc_u32 s8, s9, s13
	s_add_u32 s2, s2, s4
	v_add_lshl_u32 v1, v1, v19, 2
	s_addc_u32 s4, s8, s5
	s_and_b32 vcc_lo, exec_lo, s18
	s_mov_b32 s5, -1
	ds_load_2addr_b32 v[15:16], v1 offset1:1
	ds_load_2addr_b32 v[13:14], v1 offset0:2 offset1:3
	ds_load_2addr_b32 v[9:10], v1 offset0:4 offset1:5
	;; [unrolled: 1-line block ×3, first 2 shown]
	s_waitcnt lgkmcnt(0)
	s_barrier
	buffer_gl0_inv
	s_cbranch_vccz .LBB1163_22
; %bb.21:
	v_lshlrev_b32_e32 v4, 2, v0
	v_lshrrev_b32_e32 v29, 3, v21
	v_lshrrev_b32_e32 v30, 3, v20
	v_lshrrev_b32_e32 v31, 3, v23
	v_lshrrev_b32_e32 v32, 3, v22
	v_add_co_u32 v2, s5, s2, v4
	s_delay_alu instid0(VALU_DEP_1) | instskip(SKIP_1) | instid1(VALU_DEP_3)
	v_add_co_ci_u32_e64 v3, null, s4, 0, s5
	v_lshrrev_b32_e32 v33, 3, v17
	v_add_co_u32 v7, vcc_lo, 0x1000, v2
	s_delay_alu instid0(VALU_DEP_3)
	v_add_co_ci_u32_e32 v8, vcc_lo, 0, v3, vcc_lo
	v_add_co_u32 v24, vcc_lo, 0x2000, v2
	v_add_co_ci_u32_e32 v25, vcc_lo, 0, v3, vcc_lo
	s_clause 0x7
	flat_load_b32 v26, v[2:3]
	flat_load_b32 v27, v[2:3] offset:1536
	flat_load_b32 v2, v[2:3] offset:3072
	;; [unrolled: 1-line block ×7, first 2 shown]
	v_and_b32_e32 v25, 60, v12
	v_lshrrev_b32_e32 v34, 3, v11
	v_lshrrev_b32_e32 v35, 3, v18
	v_and_b32_e32 v29, 0x7c, v29
	v_and_b32_e32 v30, 0xfc, v30
	;; [unrolled: 1-line block ×4, first 2 shown]
	v_add_nc_u32_e32 v25, v25, v4
	v_and_b32_e32 v33, 0x1fc, v33
	v_and_b32_e32 v34, 0x17c, v34
	;; [unrolled: 1-line block ×3, first 2 shown]
	v_add_nc_u32_e32 v29, v29, v4
	v_add_nc_u32_e32 v30, v30, v4
	;; [unrolled: 1-line block ×4, first 2 shown]
	s_mov_b32 s5, 0
	v_add_nc_u32_e32 v33, v33, v4
	v_add_nc_u32_e32 v34, v34, v4
	v_add_nc_u32_e32 v4, v35, v4
	s_waitcnt vmcnt(7) lgkmcnt(7)
	ds_store_b32 v25, v26
	s_waitcnt vmcnt(6) lgkmcnt(7)
	ds_store_b32 v29, v27 offset:1536
	s_waitcnt vmcnt(5) lgkmcnt(7)
	ds_store_b32 v30, v2 offset:3072
	;; [unrolled: 2-line block ×7, first 2 shown]
	s_waitcnt lgkmcnt(0)
	s_barrier
.LBB1163_22:
	s_and_not1_b32 vcc_lo, exec_lo, s5
	s_cbranch_vccnz .LBB1163_40
; %bb.23:
	s_mov_b32 s5, exec_lo
                                        ; implicit-def: $vgpr2
	v_cmpx_gt_u32_e64 s19, v0
	s_cbranch_execz .LBB1163_25
; %bb.24:
	v_lshlrev_b32_e32 v2, 2, v0
	s_delay_alu instid0(VALU_DEP_1) | instskip(NEXT) | instid1(VALU_DEP_1)
	v_add_co_u32 v2, s8, s2, v2
	v_add_co_ci_u32_e64 v3, null, s4, 0, s8
	flat_load_b32 v2, v[2:3]
.LBB1163_25:
	s_or_b32 exec_lo, exec_lo, s5
	s_delay_alu instid0(SALU_CYCLE_1)
	s_mov_b32 s5, exec_lo
                                        ; implicit-def: $vgpr3
	v_cmpx_gt_u32_e64 s19, v21
	s_cbranch_execz .LBB1163_27
; %bb.26:
	v_lshlrev_b32_e32 v3, 2, v0
	s_delay_alu instid0(VALU_DEP_1) | instskip(NEXT) | instid1(VALU_DEP_1)
	v_add_co_u32 v3, s8, s2, v3
	v_add_co_ci_u32_e64 v4, null, s4, 0, s8
	flat_load_b32 v3, v[3:4] offset:1536
.LBB1163_27:
	s_or_b32 exec_lo, exec_lo, s5
	s_delay_alu instid0(SALU_CYCLE_1)
	s_mov_b32 s5, exec_lo
                                        ; implicit-def: $vgpr4
	v_cmpx_gt_u32_e64 s19, v20
	s_cbranch_execz .LBB1163_29
; %bb.28:
	v_lshlrev_b32_e32 v4, 2, v0
	s_delay_alu instid0(VALU_DEP_1) | instskip(NEXT) | instid1(VALU_DEP_1)
	v_add_co_u32 v7, s8, s2, v4
	v_add_co_ci_u32_e64 v8, null, s4, 0, s8
	flat_load_b32 v4, v[7:8] offset:3072
.LBB1163_29:
	s_or_b32 exec_lo, exec_lo, s5
	s_delay_alu instid0(SALU_CYCLE_1)
	s_mov_b32 s5, exec_lo
                                        ; implicit-def: $vgpr7
	v_cmpx_gt_u32_e64 s19, v23
	s_cbranch_execz .LBB1163_31
; %bb.30:
	v_lshlrev_b32_e32 v7, 2, v23
	s_delay_alu instid0(VALU_DEP_1) | instskip(NEXT) | instid1(VALU_DEP_1)
	v_add_co_u32 v7, s8, s2, v7
	v_add_co_ci_u32_e64 v8, null, s4, 0, s8
	flat_load_b32 v7, v[7:8]
.LBB1163_31:
	s_or_b32 exec_lo, exec_lo, s5
	s_delay_alu instid0(SALU_CYCLE_1)
	s_mov_b32 s5, exec_lo
                                        ; implicit-def: $vgpr8
	v_cmpx_gt_u32_e64 s19, v22
	s_cbranch_execz .LBB1163_33
; %bb.32:
	v_lshlrev_b32_e32 v8, 2, v22
	s_delay_alu instid0(VALU_DEP_1) | instskip(NEXT) | instid1(VALU_DEP_1)
	v_add_co_u32 v24, s8, s2, v8
	v_add_co_ci_u32_e64 v25, null, s4, 0, s8
	flat_load_b32 v8, v[24:25]
.LBB1163_33:
	s_or_b32 exec_lo, exec_lo, s5
	s_delay_alu instid0(SALU_CYCLE_1)
	s_mov_b32 s5, exec_lo
                                        ; implicit-def: $vgpr24
	v_cmpx_gt_u32_e64 s19, v17
	s_cbranch_execz .LBB1163_35
; %bb.34:
	v_lshlrev_b32_e32 v24, 2, v17
	s_delay_alu instid0(VALU_DEP_1) | instskip(NEXT) | instid1(VALU_DEP_1)
	v_add_co_u32 v24, s8, s2, v24
	v_add_co_ci_u32_e64 v25, null, s4, 0, s8
	flat_load_b32 v24, v[24:25]
.LBB1163_35:
	s_or_b32 exec_lo, exec_lo, s5
	s_delay_alu instid0(SALU_CYCLE_1)
	s_mov_b32 s5, exec_lo
                                        ; implicit-def: $vgpr25
	v_cmpx_gt_u32_e64 s19, v11
	s_cbranch_execz .LBB1163_37
; %bb.36:
	v_lshlrev_b32_e32 v25, 2, v11
	s_delay_alu instid0(VALU_DEP_1) | instskip(NEXT) | instid1(VALU_DEP_1)
	v_add_co_u32 v25, s8, s2, v25
	v_add_co_ci_u32_e64 v26, null, s4, 0, s8
	flat_load_b32 v25, v[25:26]
.LBB1163_37:
	s_or_b32 exec_lo, exec_lo, s5
	s_delay_alu instid0(SALU_CYCLE_1)
	s_mov_b32 s5, exec_lo
                                        ; implicit-def: $vgpr26
	v_cmpx_gt_u32_e64 s19, v18
	s_cbranch_execz .LBB1163_39
; %bb.38:
	v_lshlrev_b32_e32 v26, 2, v18
	s_delay_alu instid0(VALU_DEP_1) | instskip(NEXT) | instid1(VALU_DEP_1)
	v_add_co_u32 v26, s2, s2, v26
	v_add_co_ci_u32_e64 v27, null, s4, 0, s2
	flat_load_b32 v26, v[26:27]
.LBB1163_39:
	s_or_b32 exec_lo, exec_lo, s5
	v_lshrrev_b32_e32 v21, 3, v21
	v_lshrrev_b32_e32 v20, 3, v20
	;; [unrolled: 1-line block ×4, first 2 shown]
	v_and_b32_e32 v12, 60, v12
	v_lshlrev_b32_e32 v27, 2, v0
	v_lshrrev_b32_e32 v17, 3, v17
	v_lshrrev_b32_e32 v11, 3, v11
	;; [unrolled: 1-line block ×3, first 2 shown]
	v_and_b32_e32 v21, 0x7c, v21
	v_and_b32_e32 v20, 0xfc, v20
	;; [unrolled: 1-line block ×4, first 2 shown]
	v_add_nc_u32_e32 v12, v12, v27
	v_and_b32_e32 v17, 0x1fc, v17
	v_and_b32_e32 v11, 0x1fc, v11
	;; [unrolled: 1-line block ×3, first 2 shown]
	v_add_nc_u32_e32 v21, v21, v27
	v_add_nc_u32_e32 v20, v20, v27
	;; [unrolled: 1-line block ×7, first 2 shown]
	s_waitcnt vmcnt(0) lgkmcnt(0)
	ds_store_b32 v12, v2
	ds_store_b32 v21, v3 offset:1536
	ds_store_b32 v20, v4 offset:3072
	;; [unrolled: 1-line block ×7, first 2 shown]
	s_waitcnt lgkmcnt(0)
	s_barrier
.LBB1163_40:
	buffer_gl0_inv
	ds_load_2addr_b32 v[11:12], v1 offset1:1
	ds_load_2addr_b32 v[7:8], v1 offset0:2 offset1:3
	ds_load_2addr_b32 v[3:4], v1 offset0:4 offset1:5
	;; [unrolled: 1-line block ×3, first 2 shown]
	s_cmp_lg_u32 s15, 0
	s_mov_b32 s12, 0
	s_cselect_b32 s9, -1, 0
	s_cmp_lg_u64 s[6:7], 0
	s_waitcnt lgkmcnt(0)
	s_cselect_b32 s2, -1, 0
	s_barrier
	s_or_b32 s2, s9, s2
	buffer_gl0_inv
	s_and_b32 vcc_lo, exec_lo, s2
	s_cbranch_vccz .LBB1163_45
; %bb.41:
	v_add_co_u32 v17, s2, -4, s21
	s_delay_alu instid0(VALU_DEP_1)
	v_add_co_ci_u32_e64 v18, null, -1, s3, s2
	v_lshlrev_b32_e32 v21, 2, v0
	s_mov_b32 s3, -1
	s_and_b32 vcc_lo, exec_lo, s18
	flat_load_b32 v20, v[17:18]
	ds_store_b32 v21, v6
	s_cbranch_vccz .LBB1163_46
; %bb.42:
	s_waitcnt vmcnt(0) lgkmcnt(1)
	v_mov_b32_e32 v17, v20
	s_mov_b32 s3, 0
	s_mov_b32 s2, exec_lo
	s_waitcnt lgkmcnt(0)
	s_barrier
	buffer_gl0_inv
	v_cmpx_ne_u32_e32 0, v0
	s_cbranch_execz .LBB1163_44
; %bb.43:
	v_add_nc_u32_e32 v17, -4, v21
	ds_load_b32 v17, v17
.LBB1163_44:
	s_or_b32 exec_lo, exec_lo, s2
	v_cmp_ne_u32_e32 vcc_lo, v5, v6
	s_waitcnt lgkmcnt(0)
	v_cmp_ne_u32_e64 s2, v17, v15
	v_cndmask_b32_e64 v18, 0, 1, vcc_lo
	v_cmp_ne_u32_e32 vcc_lo, v10, v5
	s_delay_alu instid0(VALU_DEP_2) | instskip(SKIP_2) | instid1(VALU_DEP_2)
	v_lshlrev_b16 v18, 8, v18
	v_cndmask_b32_e64 v22, 0, 1, vcc_lo
	v_cmp_ne_u32_e32 vcc_lo, v9, v10
	v_or_b32_e32 v18, v22, v18
	v_cndmask_b32_e64 v23, 0, 1, vcc_lo
	v_cmp_ne_u32_e32 vcc_lo, v13, v14
	s_delay_alu instid0(VALU_DEP_3) | instskip(NEXT) | instid1(VALU_DEP_3)
	v_lshlrev_b32_e32 v18, 16, v18
	v_lshlrev_b16 v23, 8, v23
	v_cndmask_b32_e64 v24, 0, 1, vcc_lo
	v_cmp_ne_u32_e32 vcc_lo, v14, v9
	s_delay_alu instid0(VALU_DEP_2) | instskip(SKIP_2) | instid1(VALU_DEP_2)
	v_lshlrev_b16 v24, 8, v24
	v_cndmask_b32_e64 v25, 0, 1, vcc_lo
	v_cmp_ne_u32_e32 vcc_lo, v16, v13
	v_or_b32_e32 v23, v25, v23
	v_cndmask_b32_e64 v26, 0, 1, vcc_lo
	v_cmp_ne_u32_e32 vcc_lo, v15, v16
	s_delay_alu instid0(VALU_DEP_3) | instskip(NEXT) | instid1(VALU_DEP_3)
	v_and_b32_e32 v23, 0xffff, v23
	v_or_b32_e32 v24, v26, v24
	v_cndmask_b32_e64 v27, 0, 1, vcc_lo
	s_delay_alu instid0(VALU_DEP_3) | instskip(NEXT) | instid1(VALU_DEP_3)
	v_or_b32_e32 v18, v23, v18
	v_lshlrev_b32_e32 v22, 16, v24
	s_delay_alu instid0(VALU_DEP_3) | instskip(NEXT) | instid1(VALU_DEP_1)
	v_lshlrev_b16 v26, 8, v27
	v_and_b32_e32 v24, 0xffff, v26
	s_delay_alu instid0(VALU_DEP_1)
	v_or_b32_e32 v17, v24, v22
	s_and_b32 vcc_lo, exec_lo, s3
	s_cbranch_vccnz .LBB1163_47
	s_branch .LBB1163_50
.LBB1163_45:
                                        ; implicit-def: $sgpr2
                                        ; implicit-def: $vgpr18
	s_branch .LBB1163_51
.LBB1163_46:
                                        ; implicit-def: $sgpr2
                                        ; implicit-def: $vgpr18
	s_and_b32 vcc_lo, exec_lo, s3
	s_cbranch_vccz .LBB1163_50
.LBB1163_47:
	s_mov_b32 s2, exec_lo
	s_waitcnt vmcnt(0) lgkmcnt(0)
	s_barrier
	buffer_gl0_inv
	v_cmpx_ne_u32_e32 0, v0
	s_cbranch_execz .LBB1163_49
; %bb.48:
	v_add_nc_u32_e32 v17, -4, v21
	ds_load_b32 v20, v17
.LBB1163_49:
	s_or_b32 exec_lo, exec_lo, s2
	v_or_b32_e32 v17, 7, v19
	v_or_b32_e32 v18, 6, v19
	;; [unrolled: 1-line block ×3, first 2 shown]
	v_cmp_ne_u32_e32 vcc_lo, v5, v6
	v_cmp_ne_u32_e64 s3, v10, v5
	v_cmp_gt_u32_e64 s2, s19, v17
	v_cmp_gt_u32_e64 s5, s19, v18
	v_cmp_ne_u32_e64 s4, v9, v10
	v_cmp_gt_u32_e64 s6, s19, v21
	v_or_b32_e32 v18, 3, v19
	s_and_b32 s2, s2, vcc_lo
	v_or_b32_e32 v22, 4, v19
	v_cndmask_b32_e64 v17, 0, 1, s2
	s_and_b32 s2, s5, s3
	v_cmp_gt_u32_e32 vcc_lo, s19, v18
	v_cndmask_b32_e64 v21, 0, 1, s2
	s_and_b32 s2, s6, s4
	v_or_b32_e32 v18, 2, v19
	v_cndmask_b32_e64 v23, 0, 1, s2
	v_cmp_ne_u32_e64 s2, v13, v14
	v_cmp_gt_u32_e64 s3, s19, v22
	v_or_b32_e32 v22, 1, v19
	v_cmp_ne_u32_e64 s4, v14, v9
	v_cmp_ne_u32_e64 s6, v15, v16
	s_and_b32 s2, vcc_lo, s2
	v_cmp_gt_u32_e32 vcc_lo, s19, v18
	v_cndmask_b32_e64 v24, 0, 1, s2
	v_cmp_ne_u32_e64 s2, v16, v13
	v_cmp_gt_u32_e64 s5, s19, v22
	s_and_b32 s3, s3, s4
	v_lshlrev_b16 v23, 8, v23
	v_cndmask_b32_e64 v18, 0, 1, s3
	s_and_b32 s2, vcc_lo, s2
	v_lshlrev_b16 v24, 8, v24
	v_cndmask_b32_e64 v22, 0, 1, s2
	s_and_b32 s2, s5, s6
	v_lshlrev_b16 v17, 8, v17
	v_cndmask_b32_e64 v25, 0, 1, s2
	v_or_b32_e32 v18, v18, v23
	v_or_b32_e32 v22, v22, v24
	v_cmp_gt_u32_e32 vcc_lo, s19, v19
	v_or_b32_e32 v17, v21, v17
	v_lshlrev_b16 v24, 8, v25
	v_and_b32_e32 v18, 0xffff, v18
	v_lshlrev_b32_e32 v21, 16, v22
	s_waitcnt lgkmcnt(0)
	v_cmp_ne_u32_e64 s2, v20, v15
	v_lshlrev_b32_e32 v23, 16, v17
	v_and_b32_e32 v22, 0xffff, v24
	s_delay_alu instid0(VALU_DEP_3) | instskip(NEXT) | instid1(VALU_DEP_2)
	s_and_b32 s2, vcc_lo, s2
	v_or_b32_e32 v18, v18, v23
	s_delay_alu instid0(VALU_DEP_2)
	v_or_b32_e32 v17, v22, v21
.LBB1163_50:
	s_mov_b32 s12, -1
	s_cbranch_execnz .LBB1163_59
.LBB1163_51:
	s_waitcnt vmcnt(0) lgkmcnt(1)
	v_lshlrev_b32_e32 v20, 2, v0
	v_cmp_ne_u32_e64 s3, v5, v6
	v_cmp_ne_u32_e64 s4, v10, v5
	;; [unrolled: 1-line block ×7, first 2 shown]
	s_and_b32 vcc_lo, exec_lo, s18
	ds_store_b32 v20, v6
	s_cbranch_vccz .LBB1163_55
; %bb.52:
	v_cndmask_b32_e64 v17, 0, 1, s3
	v_cndmask_b32_e64 v21, 0, 1, s5
	;; [unrolled: 1-line block ×7, first 2 shown]
	v_lshlrev_b16 v21, 8, v21
	v_lshlrev_b16 v17, 8, v17
	;; [unrolled: 1-line block ×4, first 2 shown]
	s_mov_b32 s3, 0
	v_or_b32_e32 v21, v22, v21
	v_or_b32_e32 v17, v18, v17
	;; [unrolled: 1-line block ×4, first 2 shown]
	s_mov_b32 s4, exec_lo
	v_and_b32_e32 v21, 0xffff, v21
	v_lshlrev_b32_e32 v17, 16, v17
	v_lshlrev_b32_e32 v23, 16, v18
	v_and_b32_e32 v22, 0xffff, v22
	s_waitcnt lgkmcnt(0)
	s_barrier
	v_or_b32_e32 v18, v21, v17
	buffer_gl0_inv
	v_or_b32_e32 v17, v22, v23
                                        ; implicit-def: $sgpr2
	v_cmpx_ne_u32_e32 0, v0
	s_xor_b32 s4, exec_lo, s4
	s_cbranch_execz .LBB1163_54
; %bb.53:
	v_add_nc_u32_e32 v21, -4, v20
	s_or_b32 s12, s12, exec_lo
	ds_load_b32 v21, v21
	s_waitcnt lgkmcnt(0)
	v_cmp_ne_u32_e32 vcc_lo, v21, v15
	s_and_b32 s2, vcc_lo, exec_lo
.LBB1163_54:
	s_or_b32 exec_lo, exec_lo, s4
	s_delay_alu instid0(SALU_CYCLE_1)
	s_and_b32 vcc_lo, exec_lo, s3
	s_cbranch_vccnz .LBB1163_56
	s_branch .LBB1163_59
.LBB1163_55:
                                        ; implicit-def: $sgpr2
                                        ; implicit-def: $vgpr18
	s_cbranch_execz .LBB1163_59
.LBB1163_56:
	v_or_b32_e32 v17, 7, v19
	v_or_b32_e32 v18, 6, v19
	v_cmp_ne_u32_e32 vcc_lo, v5, v6
	v_cmp_ne_u32_e64 s3, v10, v5
	v_or_b32_e32 v21, 5, v19
	v_cmp_gt_u32_e64 s2, s19, v17
	v_cmp_gt_u32_e64 s4, s19, v18
	v_or_b32_e32 v17, 4, v19
	v_or_b32_e32 v22, 3, v19
	v_cmp_gt_u32_e64 s5, s19, v21
	s_and_b32 s2, s2, vcc_lo
	v_cmp_ne_u32_e32 vcc_lo, v9, v10
	v_cndmask_b32_e64 v18, 0, 1, s2
	s_and_b32 s2, s4, s3
	v_cmp_ne_u32_e64 s3, v14, v9
	v_cndmask_b32_e64 v21, 0, 1, s2
	v_cmp_gt_u32_e64 s2, s19, v17
	v_or_b32_e32 v23, 1, v19
	s_and_b32 s4, s5, vcc_lo
	v_cmp_gt_u32_e32 vcc_lo, s19, v22
	v_cndmask_b32_e64 v17, 0, 1, s4
	s_and_b32 s2, s2, s3
	v_or_b32_e32 v25, 2, v19
	v_cndmask_b32_e64 v24, 0, 1, s2
	v_cmp_ne_u32_e64 s2, v13, v14
	v_cmp_gt_u32_e64 s3, s19, v23
	v_cmp_ne_u32_e64 s4, v15, v16
	v_cmp_gt_u32_e64 s5, s19, v25
	v_cmp_ne_u32_e64 s6, v16, v13
	s_and_b32 s2, vcc_lo, s2
	v_lshlrev_b16 v17, 8, v17
	v_cndmask_b32_e64 v22, 0, 1, s2
	s_and_b32 s2, s3, s4
	v_lshlrev_b16 v18, 8, v18
	v_cndmask_b32_e64 v23, 0, 1, s2
	s_and_b32 s2, s5, s6
	v_lshlrev_b16 v22, 8, v22
	v_cndmask_b32_e64 v25, 0, 1, s2
	v_or_b32_e32 v17, v24, v17
	v_lshlrev_b16 v23, 8, v23
	v_or_b32_e32 v18, v21, v18
	s_mov_b32 s3, exec_lo
	v_or_b32_e32 v21, v25, v22
	v_and_b32_e32 v17, 0xffff, v17
	v_or_b32_e32 v22, 1, v23
	v_lshlrev_b32_e32 v18, 16, v18
	s_waitcnt lgkmcnt(0)
	v_lshlrev_b32_e32 v21, 16, v21
	s_barrier
	v_and_b32_e32 v22, 0xffff, v22
	v_or_b32_e32 v18, v17, v18
	buffer_gl0_inv
                                        ; implicit-def: $sgpr2
	v_or_b32_e32 v17, v22, v21
	v_cmpx_ne_u32_e32 0, v0
	s_cbranch_execz .LBB1163_58
; %bb.57:
	v_add_nc_u32_e32 v20, -4, v20
	v_cmp_gt_u32_e32 vcc_lo, s19, v19
	s_or_b32 s12, s12, exec_lo
	ds_load_b32 v20, v20
	s_waitcnt lgkmcnt(0)
	v_cmp_ne_u32_e64 s2, v20, v15
	s_delay_alu instid0(VALU_DEP_1) | instskip(NEXT) | instid1(SALU_CYCLE_1)
	s_and_b32 s2, vcc_lo, s2
	s_and_b32 s2, s2, exec_lo
.LBB1163_58:
	s_or_b32 exec_lo, exec_lo, s3
.LBB1163_59:
	s_and_saveexec_b32 s3, s12
	s_cbranch_execz .LBB1163_61
; %bb.60:
	s_waitcnt vmcnt(0) lgkmcnt(1)
	v_and_b32_e32 v20, 0xffffff00, v17
	v_cndmask_b32_e64 v21, 0, 1, s2
	s_delay_alu instid0(VALU_DEP_1) | instskip(NEXT) | instid1(VALU_DEP_1)
	v_or_b32_e32 v20, v21, v20
	v_and_b32_e32 v20, 0xffff, v20
	s_delay_alu instid0(VALU_DEP_1)
	v_and_or_b32 v17, 0xffff0000, v17, v20
.LBB1163_61:
	s_or_b32 exec_lo, exec_lo, s3
	s_load_b64 s[12:13], s[0:1], 0x68
	s_and_not1_b32 vcc_lo, exec_lo, s20
	s_cbranch_vccnz .LBB1163_63
; %bb.62:
	v_cmp_gt_u32_e32 vcc_lo, s19, v19
	v_or_b32_e32 v21, 1, v19
	v_and_b32_e32 v22, 0xffffff00, v18
	v_or_b32_e32 v23, 2, v19
	s_waitcnt vmcnt(0) lgkmcnt(0)
	v_cndmask_b32_e32 v20, 0, v17, vcc_lo
	v_cmp_gt_u32_e32 vcc_lo, s19, v21
	v_or_b32_e32 v21, 4, v19
	v_cmp_gt_u32_e64 s2, s19, v23
	v_or_b32_e32 v23, 3, v19
	v_and_b32_e32 v20, 0xff, v20
	s_delay_alu instid0(VALU_DEP_2) | instskip(NEXT) | instid1(VALU_DEP_2)
	v_cmp_gt_u32_e64 s3, s19, v23
	v_cndmask_b32_e32 v20, v20, v17, vcc_lo
	v_cmp_gt_u32_e32 vcc_lo, s19, v21
	s_delay_alu instid0(VALU_DEP_2) | instskip(SKIP_1) | instid1(VALU_DEP_2)
	v_dual_cndmask_b32 v21, v22, v18 :: v_dual_and_b32 v20, 0xffff, v20
	v_or_b32_e32 v22, 5, v19
	v_cndmask_b32_e64 v20, v20, v17, s2
	s_delay_alu instid0(VALU_DEP_3) | instskip(NEXT) | instid1(VALU_DEP_3)
	v_and_b32_e32 v21, 0xffff00ff, v21
	v_cmp_gt_u32_e64 s2, s19, v22
	v_or_b32_e32 v22, 6, v19
	v_or_b32_e32 v19, 7, v19
	v_and_b32_e32 v20, 0xffffff, v20
	s_delay_alu instid0(VALU_DEP_4) | instskip(NEXT) | instid1(VALU_DEP_2)
	v_cndmask_b32_e64 v21, v21, v18, s2
	v_cndmask_b32_e64 v20, v20, v17, s3
	s_delay_alu instid0(VALU_DEP_2) | instskip(NEXT) | instid1(VALU_DEP_2)
	v_and_b32_e32 v21, 0xff00ffff, v21
	v_cndmask_b32_e32 v20, v20, v17, vcc_lo
	v_cmp_gt_u32_e32 vcc_lo, s19, v22
	s_delay_alu instid0(VALU_DEP_2) | instskip(NEXT) | instid1(VALU_DEP_1)
	v_cndmask_b32_e64 v20, v20, v17, s2
	v_dual_cndmask_b32 v21, v21, v18 :: v_dual_cndmask_b32 v20, v20, v17
	s_delay_alu instid0(VALU_DEP_1) | instskip(SKIP_1) | instid1(VALU_DEP_2)
	v_and_b32_e32 v21, 0xffffff, v21
	v_cmp_gt_u32_e32 vcc_lo, s19, v19
	v_dual_cndmask_b32 v18, v21, v18 :: v_dual_cndmask_b32 v17, v20, v17
.LBB1163_63:
	s_delay_alu instid0(VALU_DEP_1) | instskip(NEXT) | instid1(VALU_DEP_2)
	v_and_b32_e32 v28, 0xff, v17
	v_alignbit_b32 v19, v18, v17, 24
	v_bfe_u32 v30, v17, 8, 8
	v_bfe_u32 v32, v17, 16, 8
	v_and_b32_e32 v36, 0xff, v18
	v_bfe_u32 v38, v18, 8, 8
	v_and_b32_e32 v34, 0xff, v19
	v_add_nc_u32_e32 v19, v30, v28
	s_waitcnt vmcnt(0) lgkmcnt(0)
	v_and_b32_e32 v20, 0x1e0, v0
	v_mbcnt_lo_u32_b32 v41, -1, 0
	v_bfe_u32 v40, v18, 16, 8
	v_lshrrev_b32_e32 v39, 24, v18
	v_add3_u32 v19, v19, v32, v34
	v_min_u32_e32 v20, 0x160, v20
	v_and_b32_e32 v21, 15, v41
	v_lshrrev_b32_e32 v42, 5, v0
	s_and_b32 vcc_lo, exec_lo, s9
	v_add3_u32 v19, v19, v36, v38
	v_or_b32_e32 v20, 31, v20
	v_cmp_eq_u32_e64 s4, 0, v21
	v_cmp_lt_u32_e64 s5, 1, v21
	v_cmp_lt_u32_e64 s3, 3, v21
	v_add3_u32 v43, v19, v40, v39
	v_and_b32_e32 v19, 16, v41
	v_cmp_lt_u32_e64 s2, 7, v21
	v_cmp_eq_u32_e64 s6, v20, v0
	s_mov_b32 s19, -1
	s_delay_alu instid0(VALU_DEP_3)
	v_cmp_eq_u32_e64 s7, 0, v19
	s_barrier
	buffer_gl0_inv
	s_cbranch_vccz .LBB1163_94
; %bb.64:
	v_mov_b32_dpp v19, v43 row_shr:1 row_mask:0xf bank_mask:0xf
	s_delay_alu instid0(VALU_DEP_1) | instskip(NEXT) | instid1(VALU_DEP_1)
	v_cndmask_b32_e64 v19, v19, 0, s4
	v_add_nc_u32_e32 v19, v19, v43
	s_delay_alu instid0(VALU_DEP_1) | instskip(NEXT) | instid1(VALU_DEP_1)
	v_mov_b32_dpp v20, v19 row_shr:2 row_mask:0xf bank_mask:0xf
	v_cndmask_b32_e64 v20, 0, v20, s5
	s_delay_alu instid0(VALU_DEP_1) | instskip(NEXT) | instid1(VALU_DEP_1)
	v_add_nc_u32_e32 v19, v19, v20
	v_mov_b32_dpp v20, v19 row_shr:4 row_mask:0xf bank_mask:0xf
	s_delay_alu instid0(VALU_DEP_1) | instskip(NEXT) | instid1(VALU_DEP_1)
	v_cndmask_b32_e64 v20, 0, v20, s3
	v_add_nc_u32_e32 v19, v19, v20
	s_delay_alu instid0(VALU_DEP_1) | instskip(NEXT) | instid1(VALU_DEP_1)
	v_mov_b32_dpp v20, v19 row_shr:8 row_mask:0xf bank_mask:0xf
	v_cndmask_b32_e64 v20, 0, v20, s2
	s_delay_alu instid0(VALU_DEP_1) | instskip(SKIP_3) | instid1(VALU_DEP_1)
	v_add_nc_u32_e32 v19, v19, v20
	ds_swizzle_b32 v20, v19 offset:swizzle(BROADCAST,32,15)
	s_waitcnt lgkmcnt(0)
	v_cndmask_b32_e64 v20, v20, 0, s7
	v_add_nc_u32_e32 v19, v19, v20
	s_and_saveexec_b32 s8, s6
	s_cbranch_execz .LBB1163_66
; %bb.65:
	v_lshlrev_b32_e32 v20, 2, v42
	ds_store_b32 v20, v19
.LBB1163_66:
	s_or_b32 exec_lo, exec_lo, s8
	s_delay_alu instid0(SALU_CYCLE_1)
	s_mov_b32 s8, exec_lo
	s_waitcnt lgkmcnt(0)
	s_barrier
	buffer_gl0_inv
	v_cmpx_gt_u32_e32 12, v0
	s_cbranch_execz .LBB1163_68
; %bb.67:
	v_lshlrev_b32_e32 v20, 2, v0
	ds_load_b32 v21, v20
	s_waitcnt lgkmcnt(0)
	v_mov_b32_dpp v22, v21 row_shr:1 row_mask:0xf bank_mask:0xf
	s_delay_alu instid0(VALU_DEP_1) | instskip(NEXT) | instid1(VALU_DEP_1)
	v_cndmask_b32_e64 v22, v22, 0, s4
	v_add_nc_u32_e32 v21, v22, v21
	s_delay_alu instid0(VALU_DEP_1) | instskip(NEXT) | instid1(VALU_DEP_1)
	v_mov_b32_dpp v22, v21 row_shr:2 row_mask:0xf bank_mask:0xf
	v_cndmask_b32_e64 v22, 0, v22, s5
	s_delay_alu instid0(VALU_DEP_1) | instskip(NEXT) | instid1(VALU_DEP_1)
	v_add_nc_u32_e32 v21, v21, v22
	v_mov_b32_dpp v22, v21 row_shr:4 row_mask:0xf bank_mask:0xf
	s_delay_alu instid0(VALU_DEP_1) | instskip(NEXT) | instid1(VALU_DEP_1)
	v_cndmask_b32_e64 v22, 0, v22, s3
	v_add_nc_u32_e32 v21, v21, v22
	s_delay_alu instid0(VALU_DEP_1) | instskip(NEXT) | instid1(VALU_DEP_1)
	v_mov_b32_dpp v22, v21 row_shr:8 row_mask:0xf bank_mask:0xf
	v_cndmask_b32_e64 v22, 0, v22, s2
	s_delay_alu instid0(VALU_DEP_1)
	v_add_nc_u32_e32 v21, v21, v22
	ds_store_b32 v20, v21
.LBB1163_68:
	s_or_b32 exec_lo, exec_lo, s8
	v_cmp_gt_u32_e32 vcc_lo, 32, v0
	s_mov_b32 s9, exec_lo
	s_waitcnt lgkmcnt(0)
	s_barrier
	buffer_gl0_inv
                                        ; implicit-def: $vgpr27
	v_cmpx_lt_u32_e32 31, v0
	s_cbranch_execz .LBB1163_70
; %bb.69:
	v_lshl_add_u32 v20, v42, 2, -4
	ds_load_b32 v27, v20
	s_waitcnt lgkmcnt(0)
	v_add_nc_u32_e32 v19, v27, v19
.LBB1163_70:
	s_or_b32 exec_lo, exec_lo, s9
	v_add_nc_u32_e32 v20, -1, v41
	s_delay_alu instid0(VALU_DEP_1) | instskip(NEXT) | instid1(VALU_DEP_1)
	v_cmp_gt_i32_e64 s8, 0, v20
	v_cndmask_b32_e64 v20, v20, v41, s8
	v_cmp_eq_u32_e64 s8, 0, v41
	s_delay_alu instid0(VALU_DEP_2)
	v_lshlrev_b32_e32 v20, 2, v20
	ds_bpermute_b32 v29, v20, v19
	s_and_saveexec_b32 s9, vcc_lo
	s_cbranch_execz .LBB1163_93
; %bb.71:
	v_mov_b32_e32 v23, 0
	ds_load_b32 v19, v23 offset:44
	s_and_saveexec_b32 s19, s8
	s_cbranch_execz .LBB1163_73
; %bb.72:
	s_add_i32 s20, s15, 32
	s_mov_b32 s21, 0
	v_mov_b32_e32 v20, 1
	s_lshl_b64 s[20:21], s[20:21], 3
	s_delay_alu instid0(SALU_CYCLE_1)
	s_add_u32 s20, s12, s20
	s_addc_u32 s21, s13, s21
	s_waitcnt lgkmcnt(0)
	global_store_b64 v23, v[19:20], s[20:21]
.LBB1163_73:
	s_or_b32 exec_lo, exec_lo, s19
	v_xad_u32 v21, v41, -1, s15
	s_mov_b32 s20, 0
	s_mov_b32 s19, exec_lo
	s_delay_alu instid0(VALU_DEP_1) | instskip(NEXT) | instid1(VALU_DEP_1)
	v_add_nc_u32_e32 v22, 32, v21
	v_lshlrev_b64 v[22:23], 3, v[22:23]
	s_delay_alu instid0(VALU_DEP_1) | instskip(NEXT) | instid1(VALU_DEP_2)
	v_add_co_u32 v25, vcc_lo, s12, v22
	v_add_co_ci_u32_e32 v26, vcc_lo, s13, v23, vcc_lo
	global_load_b64 v[23:24], v[25:26], off glc
	s_waitcnt vmcnt(0)
	v_and_b32_e32 v20, 0xff, v24
	s_delay_alu instid0(VALU_DEP_1)
	v_cmpx_eq_u16_e32 0, v20
	s_cbranch_execz .LBB1163_79
; %bb.74:
	s_mov_b32 s21, 1
	.p2align	6
.LBB1163_75:                            ; =>This Loop Header: Depth=1
                                        ;     Child Loop BB1163_76 Depth 2
	s_delay_alu instid0(SALU_CYCLE_1)
	s_max_u32 s22, s21, 1
.LBB1163_76:                            ;   Parent Loop BB1163_75 Depth=1
                                        ; =>  This Inner Loop Header: Depth=2
	s_delay_alu instid0(SALU_CYCLE_1)
	s_add_i32 s22, s22, -1
	s_sleep 1
	s_cmp_eq_u32 s22, 0
	s_cbranch_scc0 .LBB1163_76
; %bb.77:                               ;   in Loop: Header=BB1163_75 Depth=1
	global_load_b64 v[23:24], v[25:26], off glc
	s_cmp_lt_u32 s21, 32
	s_cselect_b32 s22, -1, 0
	s_delay_alu instid0(SALU_CYCLE_1) | instskip(SKIP_3) | instid1(VALU_DEP_1)
	s_cmp_lg_u32 s22, 0
	s_addc_u32 s21, s21, 0
	s_waitcnt vmcnt(0)
	v_and_b32_e32 v20, 0xff, v24
	v_cmp_ne_u16_e32 vcc_lo, 0, v20
	s_or_b32 s20, vcc_lo, s20
	s_delay_alu instid0(SALU_CYCLE_1)
	s_and_not1_b32 exec_lo, exec_lo, s20
	s_cbranch_execnz .LBB1163_75
; %bb.78:
	s_or_b32 exec_lo, exec_lo, s20
.LBB1163_79:
	s_delay_alu instid0(SALU_CYCLE_1)
	s_or_b32 exec_lo, exec_lo, s19
	v_cmp_ne_u32_e32 vcc_lo, 31, v41
	v_lshlrev_b32_e64 v33, v41, -1
	v_add_nc_u32_e32 v37, 2, v41
	v_add_nc_u32_e32 v45, 4, v41
	;; [unrolled: 1-line block ×3, first 2 shown]
	v_add_co_ci_u32_e32 v20, vcc_lo, 0, v41, vcc_lo
	v_add_nc_u32_e32 v49, 16, v41
	s_delay_alu instid0(VALU_DEP_2)
	v_lshlrev_b32_e32 v31, 2, v20
	v_and_b32_e32 v20, 0xff, v24
	ds_bpermute_b32 v22, v31, v23
	v_cmp_eq_u16_e32 vcc_lo, 2, v20
	v_and_or_b32 v20, vcc_lo, v33, 0x80000000
	v_cmp_gt_u32_e32 vcc_lo, 30, v41
	s_delay_alu instid0(VALU_DEP_2) | instskip(SKIP_1) | instid1(VALU_DEP_2)
	v_ctz_i32_b32_e32 v20, v20
	v_cndmask_b32_e64 v25, 0, 1, vcc_lo
	v_cmp_lt_u32_e32 vcc_lo, v41, v20
	s_waitcnt lgkmcnt(0)
	s_delay_alu instid0(VALU_DEP_2) | instskip(NEXT) | instid1(VALU_DEP_1)
	v_dual_cndmask_b32 v22, 0, v22 :: v_dual_lshlrev_b32 v25, 1, v25
	v_add_lshl_u32 v35, v25, v41, 2
	v_cmp_gt_u32_e32 vcc_lo, 28, v41
	s_delay_alu instid0(VALU_DEP_3) | instskip(SKIP_4) | instid1(VALU_DEP_1)
	v_add_nc_u32_e32 v22, v22, v23
	v_cndmask_b32_e64 v25, 0, 1, vcc_lo
	v_cmp_le_u32_e32 vcc_lo, v37, v20
	ds_bpermute_b32 v23, v35, v22
	v_lshlrev_b32_e32 v25, 2, v25
	v_add_lshl_u32 v44, v25, v41, 2
	s_waitcnt lgkmcnt(0)
	v_cndmask_b32_e32 v23, 0, v23, vcc_lo
	v_cmp_gt_u32_e32 vcc_lo, 24, v41
	s_delay_alu instid0(VALU_DEP_2) | instskip(SKIP_4) | instid1(VALU_DEP_1)
	v_add_nc_u32_e32 v22, v22, v23
	v_cndmask_b32_e64 v25, 0, 1, vcc_lo
	v_cmp_le_u32_e32 vcc_lo, v45, v20
	ds_bpermute_b32 v23, v44, v22
	v_lshlrev_b32_e32 v25, 3, v25
	v_add_lshl_u32 v46, v25, v41, 2
	s_waitcnt lgkmcnt(0)
	v_cndmask_b32_e32 v23, 0, v23, vcc_lo
	v_cmp_gt_u32_e32 vcc_lo, 16, v41
	s_delay_alu instid0(VALU_DEP_2) | instskip(SKIP_4) | instid1(VALU_DEP_1)
	v_add_nc_u32_e32 v22, v22, v23
	v_cndmask_b32_e64 v25, 0, 1, vcc_lo
	v_cmp_le_u32_e32 vcc_lo, v47, v20
	ds_bpermute_b32 v23, v46, v22
	v_lshlrev_b32_e32 v25, 4, v25
	v_add_lshl_u32 v48, v25, v41, 2
	s_waitcnt lgkmcnt(0)
	v_cndmask_b32_e32 v23, 0, v23, vcc_lo
	v_cmp_le_u32_e32 vcc_lo, v49, v20
	s_delay_alu instid0(VALU_DEP_2) | instskip(SKIP_3) | instid1(VALU_DEP_1)
	v_add_nc_u32_e32 v22, v22, v23
	ds_bpermute_b32 v23, v48, v22
	s_waitcnt lgkmcnt(0)
	v_cndmask_b32_e32 v20, 0, v23, vcc_lo
	v_dual_mov_b32 v22, 0 :: v_dual_add_nc_u32 v23, v22, v20
	s_branch .LBB1163_81
.LBB1163_80:                            ;   in Loop: Header=BB1163_81 Depth=1
	s_or_b32 exec_lo, exec_lo, s19
	ds_bpermute_b32 v26, v31, v23
	v_and_b32_e32 v25, 0xff, v24
	v_subrev_nc_u32_e32 v21, 32, v21
	s_delay_alu instid0(VALU_DEP_2) | instskip(SKIP_1) | instid1(VALU_DEP_1)
	v_cmp_eq_u16_e32 vcc_lo, 2, v25
	v_and_or_b32 v25, vcc_lo, v33, 0x80000000
	v_ctz_i32_b32_e32 v25, v25
	s_delay_alu instid0(VALU_DEP_1) | instskip(SKIP_3) | instid1(VALU_DEP_2)
	v_cmp_lt_u32_e32 vcc_lo, v41, v25
	s_waitcnt lgkmcnt(0)
	v_cndmask_b32_e32 v26, 0, v26, vcc_lo
	v_cmp_le_u32_e32 vcc_lo, v37, v25
	v_add_nc_u32_e32 v23, v26, v23
	ds_bpermute_b32 v26, v35, v23
	s_waitcnt lgkmcnt(0)
	v_cndmask_b32_e32 v26, 0, v26, vcc_lo
	v_cmp_le_u32_e32 vcc_lo, v45, v25
	s_delay_alu instid0(VALU_DEP_2) | instskip(SKIP_4) | instid1(VALU_DEP_2)
	v_add_nc_u32_e32 v23, v23, v26
	ds_bpermute_b32 v26, v44, v23
	s_waitcnt lgkmcnt(0)
	v_cndmask_b32_e32 v26, 0, v26, vcc_lo
	v_cmp_le_u32_e32 vcc_lo, v47, v25
	v_add_nc_u32_e32 v23, v23, v26
	ds_bpermute_b32 v26, v46, v23
	s_waitcnt lgkmcnt(0)
	v_cndmask_b32_e32 v26, 0, v26, vcc_lo
	v_cmp_le_u32_e32 vcc_lo, v49, v25
	s_delay_alu instid0(VALU_DEP_2) | instskip(SKIP_3) | instid1(VALU_DEP_1)
	v_add_nc_u32_e32 v23, v23, v26
	ds_bpermute_b32 v26, v48, v23
	s_waitcnt lgkmcnt(0)
	v_cndmask_b32_e32 v25, 0, v26, vcc_lo
	v_add3_u32 v23, v25, v20, v23
.LBB1163_81:                            ; =>This Loop Header: Depth=1
                                        ;     Child Loop BB1163_84 Depth 2
                                        ;       Child Loop BB1163_85 Depth 3
	v_and_b32_e32 v20, 0xff, v24
	s_delay_alu instid0(VALU_DEP_1) | instskip(SKIP_2) | instid1(VALU_DEP_1)
	v_cmp_ne_u16_e32 vcc_lo, 2, v20
	v_cndmask_b32_e64 v20, 0, 1, vcc_lo
	;;#ASMSTART
	;;#ASMEND
	v_cmp_ne_u32_e32 vcc_lo, 0, v20
	v_mov_b32_e32 v20, v23
	s_cmp_lg_u32 vcc_lo, exec_lo
	s_cbranch_scc1 .LBB1163_88
; %bb.82:                               ;   in Loop: Header=BB1163_81 Depth=1
	v_lshlrev_b64 v[23:24], 3, v[21:22]
	s_mov_b32 s19, exec_lo
	s_delay_alu instid0(VALU_DEP_1) | instskip(NEXT) | instid1(VALU_DEP_2)
	v_add_co_u32 v25, vcc_lo, s12, v23
	v_add_co_ci_u32_e32 v26, vcc_lo, s13, v24, vcc_lo
	global_load_b64 v[23:24], v[25:26], off glc
	s_waitcnt vmcnt(0)
	v_and_b32_e32 v50, 0xff, v24
	s_delay_alu instid0(VALU_DEP_1)
	v_cmpx_eq_u16_e32 0, v50
	s_cbranch_execz .LBB1163_80
; %bb.83:                               ;   in Loop: Header=BB1163_81 Depth=1
	s_mov_b32 s21, 1
	s_mov_b32 s20, 0
	.p2align	6
.LBB1163_84:                            ;   Parent Loop BB1163_81 Depth=1
                                        ; =>  This Loop Header: Depth=2
                                        ;       Child Loop BB1163_85 Depth 3
	s_max_u32 s22, s21, 1
.LBB1163_85:                            ;   Parent Loop BB1163_81 Depth=1
                                        ;     Parent Loop BB1163_84 Depth=2
                                        ; =>    This Inner Loop Header: Depth=3
	s_delay_alu instid0(SALU_CYCLE_1)
	s_add_i32 s22, s22, -1
	s_sleep 1
	s_cmp_eq_u32 s22, 0
	s_cbranch_scc0 .LBB1163_85
; %bb.86:                               ;   in Loop: Header=BB1163_84 Depth=2
	global_load_b64 v[23:24], v[25:26], off glc
	s_cmp_lt_u32 s21, 32
	s_cselect_b32 s22, -1, 0
	s_delay_alu instid0(SALU_CYCLE_1) | instskip(SKIP_3) | instid1(VALU_DEP_1)
	s_cmp_lg_u32 s22, 0
	s_addc_u32 s21, s21, 0
	s_waitcnt vmcnt(0)
	v_and_b32_e32 v50, 0xff, v24
	v_cmp_ne_u16_e32 vcc_lo, 0, v50
	s_or_b32 s20, vcc_lo, s20
	s_delay_alu instid0(SALU_CYCLE_1)
	s_and_not1_b32 exec_lo, exec_lo, s20
	s_cbranch_execnz .LBB1163_84
; %bb.87:                               ;   in Loop: Header=BB1163_81 Depth=1
	s_or_b32 exec_lo, exec_lo, s20
	s_branch .LBB1163_80
.LBB1163_88:                            ;   in Loop: Header=BB1163_81 Depth=1
                                        ; implicit-def: $vgpr23
                                        ; implicit-def: $vgpr24
	s_cbranch_execz .LBB1163_81
; %bb.89:
	s_and_saveexec_b32 s19, s8
	s_cbranch_execz .LBB1163_91
; %bb.90:
	s_add_i32 s20, s15, 32
	s_mov_b32 s21, 0
	v_dual_mov_b32 v22, 2 :: v_dual_add_nc_u32 v21, v20, v19
	s_lshl_b64 s[20:21], s[20:21], 3
	v_mov_b32_e32 v23, 0
	s_add_u32 s20, s12, s20
	s_addc_u32 s21, s13, s21
	global_store_b64 v23, v[21:22], s[20:21]
	ds_store_b64 v23, v[19:20] offset:12672
.LBB1163_91:
	s_or_b32 exec_lo, exec_lo, s19
	v_cmp_eq_u32_e32 vcc_lo, 0, v0
	s_and_b32 exec_lo, exec_lo, vcc_lo
	s_cbranch_execz .LBB1163_93
; %bb.92:
	v_mov_b32_e32 v19, 0
	ds_store_b32 v19, v20 offset:44
.LBB1163_93:
	s_or_b32 exec_lo, exec_lo, s9
	v_mov_b32_e32 v19, 0
	s_waitcnt lgkmcnt(0)
	s_waitcnt_vscnt null, 0x0
	s_barrier
	buffer_gl0_inv
	v_cndmask_b32_e64 v21, v29, v27, s8
	ds_load_b32 v20, v19 offset:44
	v_cmp_ne_u32_e32 vcc_lo, 0, v0
	s_waitcnt lgkmcnt(0)
	s_barrier
	buffer_gl0_inv
	v_cndmask_b32_e32 v21, 0, v21, vcc_lo
	s_delay_alu instid0(VALU_DEP_1) | instskip(SKIP_2) | instid1(VALU_DEP_1)
	v_add_nc_u32_e32 v37, v20, v21
	ds_load_b64 v[19:20], v19 offset:12672
	v_add_nc_u32_e32 v35, v37, v28
	v_add_nc_u32_e32 v33, v35, v30
	s_delay_alu instid0(VALU_DEP_1) | instskip(NEXT) | instid1(VALU_DEP_1)
	v_add_nc_u32_e32 v31, v33, v32
	v_add_nc_u32_e32 v29, v31, v34
	s_delay_alu instid0(VALU_DEP_1) | instskip(NEXT) | instid1(VALU_DEP_1)
	v_add_nc_u32_e32 v27, v29, v36
	v_add_nc_u32_e32 v25, v27, v38
	s_delay_alu instid0(VALU_DEP_1)
	v_add_nc_u32_e32 v23, v25, v40
	s_load_b64 s[8:9], s[0:1], 0x38
	v_lshrrev_b64 v[21:22], 24, v[17:18]
	s_branch .LBB1163_104
.LBB1163_94:
                                        ; implicit-def: $vgpr23
                                        ; implicit-def: $vgpr25
                                        ; implicit-def: $vgpr27
                                        ; implicit-def: $vgpr29
                                        ; implicit-def: $vgpr31
                                        ; implicit-def: $vgpr33
                                        ; implicit-def: $vgpr35
                                        ; implicit-def: $vgpr37
                                        ; implicit-def: $vgpr20
	s_load_b64 s[8:9], s[0:1], 0x38
	v_lshrrev_b64 v[21:22], 24, v[17:18]
	s_and_b32 vcc_lo, exec_lo, s19
	s_cbranch_vccz .LBB1163_104
; %bb.95:
	s_waitcnt lgkmcnt(0)
	v_mov_b32_dpp v19, v43 row_shr:1 row_mask:0xf bank_mask:0xf
	s_delay_alu instid0(VALU_DEP_1) | instskip(NEXT) | instid1(VALU_DEP_1)
	v_cndmask_b32_e64 v19, v19, 0, s4
	v_add_nc_u32_e32 v19, v19, v43
	s_delay_alu instid0(VALU_DEP_1) | instskip(NEXT) | instid1(VALU_DEP_1)
	v_mov_b32_dpp v20, v19 row_shr:2 row_mask:0xf bank_mask:0xf
	v_cndmask_b32_e64 v20, 0, v20, s5
	s_delay_alu instid0(VALU_DEP_1) | instskip(NEXT) | instid1(VALU_DEP_1)
	v_add_nc_u32_e32 v19, v19, v20
	v_mov_b32_dpp v20, v19 row_shr:4 row_mask:0xf bank_mask:0xf
	s_delay_alu instid0(VALU_DEP_1) | instskip(NEXT) | instid1(VALU_DEP_1)
	v_cndmask_b32_e64 v20, 0, v20, s3
	v_add_nc_u32_e32 v19, v19, v20
	s_delay_alu instid0(VALU_DEP_1) | instskip(NEXT) | instid1(VALU_DEP_1)
	v_mov_b32_dpp v20, v19 row_shr:8 row_mask:0xf bank_mask:0xf
	v_cndmask_b32_e64 v20, 0, v20, s2
	s_delay_alu instid0(VALU_DEP_1) | instskip(SKIP_3) | instid1(VALU_DEP_1)
	v_add_nc_u32_e32 v19, v19, v20
	ds_swizzle_b32 v20, v19 offset:swizzle(BROADCAST,32,15)
	s_waitcnt lgkmcnt(0)
	v_cndmask_b32_e64 v20, v20, 0, s7
	v_add_nc_u32_e32 v19, v19, v20
	s_and_saveexec_b32 s0, s6
	s_cbranch_execz .LBB1163_97
; %bb.96:
	v_lshlrev_b32_e32 v20, 2, v42
	ds_store_b32 v20, v19
.LBB1163_97:
	s_or_b32 exec_lo, exec_lo, s0
	s_delay_alu instid0(SALU_CYCLE_1)
	s_mov_b32 s0, exec_lo
	s_waitcnt lgkmcnt(0)
	s_barrier
	buffer_gl0_inv
	v_cmpx_gt_u32_e32 12, v0
	s_cbranch_execz .LBB1163_99
; %bb.98:
	v_lshlrev_b32_e32 v20, 2, v0
	ds_load_b32 v22, v20
	s_waitcnt lgkmcnt(0)
	v_mov_b32_dpp v23, v22 row_shr:1 row_mask:0xf bank_mask:0xf
	s_delay_alu instid0(VALU_DEP_1) | instskip(NEXT) | instid1(VALU_DEP_1)
	v_cndmask_b32_e64 v23, v23, 0, s4
	v_add_nc_u32_e32 v22, v23, v22
	s_delay_alu instid0(VALU_DEP_1) | instskip(NEXT) | instid1(VALU_DEP_1)
	v_mov_b32_dpp v23, v22 row_shr:2 row_mask:0xf bank_mask:0xf
	v_cndmask_b32_e64 v23, 0, v23, s5
	s_delay_alu instid0(VALU_DEP_1) | instskip(NEXT) | instid1(VALU_DEP_1)
	v_add_nc_u32_e32 v22, v22, v23
	v_mov_b32_dpp v23, v22 row_shr:4 row_mask:0xf bank_mask:0xf
	s_delay_alu instid0(VALU_DEP_1) | instskip(NEXT) | instid1(VALU_DEP_1)
	v_cndmask_b32_e64 v23, 0, v23, s3
	v_add_nc_u32_e32 v22, v22, v23
	s_delay_alu instid0(VALU_DEP_1) | instskip(NEXT) | instid1(VALU_DEP_1)
	v_mov_b32_dpp v23, v22 row_shr:8 row_mask:0xf bank_mask:0xf
	v_cndmask_b32_e64 v23, 0, v23, s2
	s_delay_alu instid0(VALU_DEP_1)
	v_add_nc_u32_e32 v22, v22, v23
	ds_store_b32 v20, v22
.LBB1163_99:
	s_or_b32 exec_lo, exec_lo, s0
	v_mov_b32_e32 v20, 0
	v_mov_b32_e32 v22, 0
	s_mov_b32 s0, exec_lo
	s_waitcnt lgkmcnt(0)
	s_barrier
	buffer_gl0_inv
	v_cmpx_lt_u32_e32 31, v0
	s_cbranch_execz .LBB1163_101
; %bb.100:
	v_lshl_add_u32 v22, v42, 2, -4
	ds_load_b32 v22, v22
.LBB1163_101:
	s_or_b32 exec_lo, exec_lo, s0
	v_add_nc_u32_e32 v23, -1, v41
	s_waitcnt lgkmcnt(0)
	v_add_nc_u32_e32 v19, v22, v19
	s_delay_alu instid0(VALU_DEP_2) | instskip(SKIP_2) | instid1(VALU_DEP_2)
	v_cmp_gt_i32_e32 vcc_lo, 0, v23
	v_cndmask_b32_e32 v23, v23, v41, vcc_lo
	v_cmp_eq_u32_e32 vcc_lo, 0, v0
	v_lshlrev_b32_e32 v23, 2, v23
	ds_bpermute_b32 v23, v23, v19
	ds_load_b32 v19, v20 offset:44
	s_and_saveexec_b32 s0, vcc_lo
	s_cbranch_execz .LBB1163_103
; %bb.102:
	v_mov_b32_e32 v24, 0
	v_mov_b32_e32 v20, 2
	s_waitcnt lgkmcnt(0)
	global_store_b64 v24, v[19:20], s[12:13] offset:256
.LBB1163_103:
	s_or_b32 exec_lo, exec_lo, s0
	v_cmp_eq_u32_e64 s0, 0, v41
	s_waitcnt lgkmcnt(0)
	s_waitcnt_vscnt null, 0x0
	s_barrier
	buffer_gl0_inv
	v_cndmask_b32_e64 v20, v23, v22, s0
	s_delay_alu instid0(VALU_DEP_1) | instskip(NEXT) | instid1(VALU_DEP_1)
	v_cndmask_b32_e64 v37, v20, 0, vcc_lo
	v_dual_mov_b32 v20, 0 :: v_dual_add_nc_u32 v35, v37, v28
	s_delay_alu instid0(VALU_DEP_1) | instskip(NEXT) | instid1(VALU_DEP_1)
	v_add_nc_u32_e32 v33, v35, v30
	v_add_nc_u32_e32 v31, v33, v32
	s_delay_alu instid0(VALU_DEP_1) | instskip(NEXT) | instid1(VALU_DEP_1)
	v_add_nc_u32_e32 v29, v31, v34
	v_add_nc_u32_e32 v27, v29, v36
	s_delay_alu instid0(VALU_DEP_1) | instskip(NEXT) | instid1(VALU_DEP_1)
	v_add_nc_u32_e32 v25, v27, v38
	v_add_nc_u32_e32 v23, v25, v40
.LBB1163_104:
	v_lshrrev_b32_e32 v42, 8, v17
	v_lshrrev_b32_e32 v41, 16, v17
	v_and_b32_e32 v17, 1, v17
	s_waitcnt lgkmcnt(0)
	v_cmp_gt_u32_e64 s0, 0x181, v19
	v_lshrrev_b32_e32 v40, 8, v18
	v_lshrrev_b32_e32 v22, 16, v18
	v_cmp_eq_u32_e64 s1, 1, v17
	s_delay_alu instid0(VALU_DEP_4)
	s_and_b32 vcc_lo, exec_lo, s0
	s_cbranch_vccnz .LBB1163_122
; %bb.105:
	s_delay_alu instid0(VALU_DEP_1)
	s_and_saveexec_b32 s2, s1
	s_cbranch_execz .LBB1163_107
; %bb.106:
	v_sub_nc_u32_e32 v24, v37, v20
	s_delay_alu instid0(VALU_DEP_1)
	v_lshlrev_b32_e32 v24, 2, v24
	ds_store_b32 v24, v15
.LBB1163_107:
	s_or_b32 exec_lo, exec_lo, s2
	v_and_b32_e32 v15, 1, v42
	s_mov_b32 s1, exec_lo
	s_delay_alu instid0(VALU_DEP_1)
	v_cmpx_eq_u32_e32 1, v15
	s_cbranch_execz .LBB1163_109
; %bb.108:
	v_sub_nc_u32_e32 v15, v35, v20
	s_delay_alu instid0(VALU_DEP_1)
	v_lshlrev_b32_e32 v15, 2, v15
	ds_store_b32 v15, v16
.LBB1163_109:
	s_or_b32 exec_lo, exec_lo, s1
	v_and_b32_e32 v15, 1, v41
	s_mov_b32 s1, exec_lo
	s_delay_alu instid0(VALU_DEP_1)
	v_cmpx_eq_u32_e32 1, v15
	s_cbranch_execz .LBB1163_111
; %bb.110:
	v_sub_nc_u32_e32 v15, v33, v20
	s_delay_alu instid0(VALU_DEP_1)
	v_lshlrev_b32_e32 v15, 2, v15
	ds_store_b32 v15, v13
.LBB1163_111:
	s_or_b32 exec_lo, exec_lo, s1
	v_and_b32_e32 v13, 1, v21
	s_mov_b32 s1, exec_lo
	s_delay_alu instid0(VALU_DEP_1)
	v_cmpx_eq_u32_e32 1, v13
	s_cbranch_execz .LBB1163_113
; %bb.112:
	v_sub_nc_u32_e32 v13, v31, v20
	s_delay_alu instid0(VALU_DEP_1)
	v_lshlrev_b32_e32 v13, 2, v13
	ds_store_b32 v13, v14
.LBB1163_113:
	s_or_b32 exec_lo, exec_lo, s1
	v_and_b32_e32 v13, 1, v18
	s_mov_b32 s1, exec_lo
	s_delay_alu instid0(VALU_DEP_1)
	v_cmpx_eq_u32_e32 1, v13
	s_cbranch_execz .LBB1163_115
; %bb.114:
	v_sub_nc_u32_e32 v13, v29, v20
	s_delay_alu instid0(VALU_DEP_1)
	v_lshlrev_b32_e32 v13, 2, v13
	ds_store_b32 v13, v9
.LBB1163_115:
	s_or_b32 exec_lo, exec_lo, s1
	v_and_b32_e32 v9, 1, v40
	s_mov_b32 s1, exec_lo
	s_delay_alu instid0(VALU_DEP_1)
	v_cmpx_eq_u32_e32 1, v9
	s_cbranch_execz .LBB1163_117
; %bb.116:
	v_sub_nc_u32_e32 v9, v27, v20
	s_delay_alu instid0(VALU_DEP_1)
	v_lshlrev_b32_e32 v9, 2, v9
	ds_store_b32 v9, v10
.LBB1163_117:
	s_or_b32 exec_lo, exec_lo, s1
	v_and_b32_e32 v9, 1, v22
	s_mov_b32 s1, exec_lo
	s_delay_alu instid0(VALU_DEP_1)
	v_cmpx_eq_u32_e32 1, v9
	s_cbranch_execz .LBB1163_119
; %bb.118:
	v_sub_nc_u32_e32 v9, v25, v20
	s_delay_alu instid0(VALU_DEP_1)
	v_lshlrev_b32_e32 v9, 2, v9
	ds_store_b32 v9, v5
.LBB1163_119:
	s_or_b32 exec_lo, exec_lo, s1
	v_and_b32_e32 v5, 1, v39
	s_mov_b32 s1, exec_lo
	s_delay_alu instid0(VALU_DEP_1)
	v_cmpx_eq_u32_e32 1, v5
	s_cbranch_execz .LBB1163_121
; %bb.120:
	v_sub_nc_u32_e32 v5, v23, v20
	s_delay_alu instid0(VALU_DEP_1)
	v_lshlrev_b32_e32 v5, 2, v5
	ds_store_b32 v5, v6
.LBB1163_121:
	s_or_b32 exec_lo, exec_lo, s1
	s_waitcnt lgkmcnt(0)
	s_barrier
	buffer_gl0_inv
.LBB1163_122:
	s_and_b32 vcc_lo, exec_lo, s0
	s_mov_b32 s0, -1
	s_barrier
	buffer_gl0_inv
	s_cbranch_vccz .LBB1163_150
; %bb.123:
	v_add_nc_u32_e32 v5, v20, v19
	s_lshl_b64 s[0:1], s[10:11], 2
	s_delay_alu instid0(SALU_CYCLE_1) | instskip(SKIP_1) | instid1(VALU_DEP_1)
	s_add_u32 s0, s8, s0
	s_addc_u32 s1, s9, s1
	v_cmp_lt_u32_e32 vcc_lo, v37, v5
	s_or_b32 s3, s18, vcc_lo
	s_delay_alu instid0(SALU_CYCLE_1)
	s_and_saveexec_b32 s2, s3
	s_cbranch_execz .LBB1163_126
; %bb.124:
	v_cmp_eq_u32_e32 vcc_lo, 1, v17
	s_and_b32 exec_lo, exec_lo, vcc_lo
	s_cbranch_execz .LBB1163_126
; %bb.125:
	v_mov_b32_e32 v38, 0
	s_delay_alu instid0(VALU_DEP_1) | instskip(NEXT) | instid1(VALU_DEP_1)
	v_lshlrev_b64 v[9:10], 2, v[37:38]
	v_add_co_u32 v9, vcc_lo, s0, v9
	s_delay_alu instid0(VALU_DEP_2)
	v_add_co_ci_u32_e32 v10, vcc_lo, s1, v10, vcc_lo
	global_store_b32 v[9:10], v11, off
.LBB1163_126:
	s_or_b32 exec_lo, exec_lo, s2
	v_cmp_lt_u32_e32 vcc_lo, v35, v5
	s_or_b32 s3, s18, vcc_lo
	s_delay_alu instid0(SALU_CYCLE_1)
	s_and_saveexec_b32 s2, s3
	s_cbranch_execz .LBB1163_129
; %bb.127:
	v_and_b32_e32 v6, 1, v42
	s_delay_alu instid0(VALU_DEP_1)
	v_cmp_eq_u32_e32 vcc_lo, 1, v6
	s_and_b32 exec_lo, exec_lo, vcc_lo
	s_cbranch_execz .LBB1163_129
; %bb.128:
	v_mov_b32_e32 v36, 0
	s_delay_alu instid0(VALU_DEP_1) | instskip(NEXT) | instid1(VALU_DEP_1)
	v_lshlrev_b64 v[9:10], 2, v[35:36]
	v_add_co_u32 v9, vcc_lo, s0, v9
	s_delay_alu instid0(VALU_DEP_2)
	v_add_co_ci_u32_e32 v10, vcc_lo, s1, v10, vcc_lo
	global_store_b32 v[9:10], v12, off
.LBB1163_129:
	s_or_b32 exec_lo, exec_lo, s2
	v_cmp_lt_u32_e32 vcc_lo, v33, v5
	s_or_b32 s3, s18, vcc_lo
	s_delay_alu instid0(SALU_CYCLE_1)
	s_and_saveexec_b32 s2, s3
	s_cbranch_execz .LBB1163_132
; %bb.130:
	v_and_b32_e32 v6, 1, v41
	s_delay_alu instid0(VALU_DEP_1)
	v_cmp_eq_u32_e32 vcc_lo, 1, v6
	s_and_b32 exec_lo, exec_lo, vcc_lo
	s_cbranch_execz .LBB1163_132
; %bb.131:
	v_mov_b32_e32 v34, 0
	s_delay_alu instid0(VALU_DEP_1) | instskip(NEXT) | instid1(VALU_DEP_1)
	v_lshlrev_b64 v[9:10], 2, v[33:34]
	v_add_co_u32 v9, vcc_lo, s0, v9
	s_delay_alu instid0(VALU_DEP_2)
	v_add_co_ci_u32_e32 v10, vcc_lo, s1, v10, vcc_lo
	global_store_b32 v[9:10], v7, off
.LBB1163_132:
	s_or_b32 exec_lo, exec_lo, s2
	v_cmp_lt_u32_e32 vcc_lo, v31, v5
	s_or_b32 s3, s18, vcc_lo
	s_delay_alu instid0(SALU_CYCLE_1)
	s_and_saveexec_b32 s2, s3
	s_cbranch_execz .LBB1163_135
; %bb.133:
	v_and_b32_e32 v6, 1, v21
	s_delay_alu instid0(VALU_DEP_1)
	v_cmp_eq_u32_e32 vcc_lo, 1, v6
	s_and_b32 exec_lo, exec_lo, vcc_lo
	s_cbranch_execz .LBB1163_135
; %bb.134:
	v_mov_b32_e32 v32, 0
	s_delay_alu instid0(VALU_DEP_1) | instskip(NEXT) | instid1(VALU_DEP_1)
	v_lshlrev_b64 v[9:10], 2, v[31:32]
	v_add_co_u32 v9, vcc_lo, s0, v9
	s_delay_alu instid0(VALU_DEP_2)
	v_add_co_ci_u32_e32 v10, vcc_lo, s1, v10, vcc_lo
	global_store_b32 v[9:10], v8, off
.LBB1163_135:
	s_or_b32 exec_lo, exec_lo, s2
	v_cmp_lt_u32_e32 vcc_lo, v29, v5
	s_or_b32 s3, s18, vcc_lo
	s_delay_alu instid0(SALU_CYCLE_1)
	s_and_saveexec_b32 s2, s3
	s_cbranch_execz .LBB1163_138
; %bb.136:
	v_and_b32_e32 v6, 1, v18
	s_delay_alu instid0(VALU_DEP_1)
	v_cmp_eq_u32_e32 vcc_lo, 1, v6
	s_and_b32 exec_lo, exec_lo, vcc_lo
	s_cbranch_execz .LBB1163_138
; %bb.137:
	v_mov_b32_e32 v30, 0
	s_delay_alu instid0(VALU_DEP_1) | instskip(NEXT) | instid1(VALU_DEP_1)
	v_lshlrev_b64 v[9:10], 2, v[29:30]
	v_add_co_u32 v9, vcc_lo, s0, v9
	s_delay_alu instid0(VALU_DEP_2)
	v_add_co_ci_u32_e32 v10, vcc_lo, s1, v10, vcc_lo
	global_store_b32 v[9:10], v3, off
.LBB1163_138:
	s_or_b32 exec_lo, exec_lo, s2
	v_cmp_lt_u32_e32 vcc_lo, v27, v5
	s_or_b32 s3, s18, vcc_lo
	s_delay_alu instid0(SALU_CYCLE_1)
	s_and_saveexec_b32 s2, s3
	s_cbranch_execz .LBB1163_141
; %bb.139:
	v_and_b32_e32 v6, 1, v40
	s_delay_alu instid0(VALU_DEP_1)
	v_cmp_eq_u32_e32 vcc_lo, 1, v6
	s_and_b32 exec_lo, exec_lo, vcc_lo
	s_cbranch_execz .LBB1163_141
; %bb.140:
	v_mov_b32_e32 v28, 0
	s_delay_alu instid0(VALU_DEP_1) | instskip(NEXT) | instid1(VALU_DEP_1)
	v_lshlrev_b64 v[9:10], 2, v[27:28]
	v_add_co_u32 v9, vcc_lo, s0, v9
	s_delay_alu instid0(VALU_DEP_2)
	v_add_co_ci_u32_e32 v10, vcc_lo, s1, v10, vcc_lo
	global_store_b32 v[9:10], v4, off
.LBB1163_141:
	s_or_b32 exec_lo, exec_lo, s2
	v_cmp_lt_u32_e32 vcc_lo, v25, v5
	s_or_b32 s3, s18, vcc_lo
	s_delay_alu instid0(SALU_CYCLE_1)
	s_and_saveexec_b32 s2, s3
	s_cbranch_execz .LBB1163_144
; %bb.142:
	v_and_b32_e32 v6, 1, v22
	s_delay_alu instid0(VALU_DEP_1)
	v_cmp_eq_u32_e32 vcc_lo, 1, v6
	s_and_b32 exec_lo, exec_lo, vcc_lo
	s_cbranch_execz .LBB1163_144
; %bb.143:
	v_mov_b32_e32 v26, 0
	s_delay_alu instid0(VALU_DEP_1) | instskip(NEXT) | instid1(VALU_DEP_1)
	v_lshlrev_b64 v[9:10], 2, v[25:26]
	v_add_co_u32 v9, vcc_lo, s0, v9
	s_delay_alu instid0(VALU_DEP_2)
	v_add_co_ci_u32_e32 v10, vcc_lo, s1, v10, vcc_lo
	global_store_b32 v[9:10], v1, off
.LBB1163_144:
	s_or_b32 exec_lo, exec_lo, s2
	v_cmp_lt_u32_e32 vcc_lo, v23, v5
	s_or_b32 s3, s18, vcc_lo
	s_delay_alu instid0(SALU_CYCLE_1)
	s_and_saveexec_b32 s2, s3
	s_cbranch_execz .LBB1163_147
; %bb.145:
	v_and_b32_e32 v5, 1, v39
	s_delay_alu instid0(VALU_DEP_1)
	v_cmp_eq_u32_e32 vcc_lo, 1, v5
	s_and_b32 exec_lo, exec_lo, vcc_lo
	s_cbranch_execz .LBB1163_147
; %bb.146:
	v_mov_b32_e32 v24, 0
	s_delay_alu instid0(VALU_DEP_1) | instskip(NEXT) | instid1(VALU_DEP_1)
	v_lshlrev_b64 v[5:6], 2, v[23:24]
	v_add_co_u32 v5, vcc_lo, s0, v5
	s_delay_alu instid0(VALU_DEP_2)
	v_add_co_ci_u32_e32 v6, vcc_lo, s1, v6, vcc_lo
	global_store_b32 v[5:6], v2, off
.LBB1163_147:
	s_or_b32 exec_lo, exec_lo, s2
.LBB1163_148:
	v_cmp_eq_u32_e32 vcc_lo, 0, v0
	s_and_b32 s0, vcc_lo, s14
	s_delay_alu instid0(SALU_CYCLE_1)
	s_and_saveexec_b32 s1, s0
	s_cbranch_execz .LBB1163_171
.LBB1163_149:
	v_add_co_u32 v0, s0, s10, v19
	s_delay_alu instid0(VALU_DEP_1) | instskip(SKIP_1) | instid1(VALU_DEP_3)
	v_add_co_ci_u32_e64 v1, null, s11, 0, s0
	v_mov_b32_e32 v2, 0
	v_add_co_u32 v0, vcc_lo, v0, v20
	s_delay_alu instid0(VALU_DEP_3)
	v_add_co_ci_u32_e32 v1, vcc_lo, 0, v1, vcc_lo
	global_store_b64 v2, v[0:1], s[16:17]
	s_nop 0
	s_sendmsg sendmsg(MSG_DEALLOC_VGPRS)
	s_endpgm
.LBB1163_150:
	s_and_b32 vcc_lo, exec_lo, s0
	s_cbranch_vccz .LBB1163_148
; %bb.151:
	s_mov_b32 s0, exec_lo
	v_cmpx_eq_u32_e32 1, v17
	s_cbranch_execz .LBB1163_153
; %bb.152:
	v_sub_nc_u32_e32 v5, v37, v20
	s_delay_alu instid0(VALU_DEP_1)
	v_lshlrev_b32_e32 v5, 2, v5
	ds_store_b32 v5, v11
.LBB1163_153:
	s_or_b32 exec_lo, exec_lo, s0
	v_and_b32_e32 v5, 1, v42
	s_mov_b32 s0, exec_lo
	s_delay_alu instid0(VALU_DEP_1)
	v_cmpx_eq_u32_e32 1, v5
	s_cbranch_execz .LBB1163_155
; %bb.154:
	v_sub_nc_u32_e32 v5, v35, v20
	s_delay_alu instid0(VALU_DEP_1)
	v_lshlrev_b32_e32 v5, 2, v5
	ds_store_b32 v5, v12
.LBB1163_155:
	s_or_b32 exec_lo, exec_lo, s0
	v_and_b32_e32 v5, 1, v41
	s_mov_b32 s0, exec_lo
	s_delay_alu instid0(VALU_DEP_1)
	;; [unrolled: 12-line block ×7, first 2 shown]
	v_cmpx_eq_u32_e32 1, v1
	s_cbranch_execz .LBB1163_167
; %bb.166:
	v_sub_nc_u32_e32 v1, v23, v20
	s_delay_alu instid0(VALU_DEP_1)
	v_lshlrev_b32_e32 v1, 2, v1
	ds_store_b32 v1, v2
.LBB1163_167:
	s_or_b32 exec_lo, exec_lo, s0
	s_delay_alu instid0(SALU_CYCLE_1)
	s_mov_b32 s1, exec_lo
	s_waitcnt lgkmcnt(0)
	s_waitcnt_vscnt null, 0x0
	s_barrier
	buffer_gl0_inv
	v_cmpx_lt_u32_e64 v0, v19
	s_cbranch_execz .LBB1163_170
; %bb.168:
	v_dual_mov_b32 v2, 0 :: v_dual_mov_b32 v1, v20
	s_lshl_b64 s[2:3], s[10:11], 2
	v_lshlrev_b32_e32 v3, 2, v0
	s_add_u32 s0, s8, s2
	s_addc_u32 s2, s9, s3
	v_lshlrev_b64 v[4:5], 2, v[1:2]
	v_mov_b32_e32 v1, v0
	s_delay_alu instid0(VALU_DEP_2) | instskip(NEXT) | instid1(VALU_DEP_3)
	v_add_co_u32 v4, vcc_lo, s0, v4
	v_add_co_ci_u32_e32 v5, vcc_lo, s2, v5, vcc_lo
	s_mov_b32 s2, 0
	.p2align	6
.LBB1163_169:                           ; =>This Inner Loop Header: Depth=1
	ds_load_b32 v8, v3
	v_lshlrev_b64 v[6:7], 2, v[1:2]
	v_add_nc_u32_e32 v1, 0x180, v1
	v_add_nc_u32_e32 v3, 0x600, v3
	s_delay_alu instid0(VALU_DEP_2) | instskip(NEXT) | instid1(VALU_DEP_4)
	v_cmp_ge_u32_e32 vcc_lo, v1, v19
	v_add_co_u32 v6, s0, v4, v6
	s_delay_alu instid0(VALU_DEP_1)
	v_add_co_ci_u32_e64 v7, s0, v5, v7, s0
	s_or_b32 s2, vcc_lo, s2
	s_waitcnt lgkmcnt(0)
	global_store_b32 v[6:7], v8, off
	s_and_not1_b32 exec_lo, exec_lo, s2
	s_cbranch_execnz .LBB1163_169
.LBB1163_170:
	s_or_b32 exec_lo, exec_lo, s1
	v_cmp_eq_u32_e32 vcc_lo, 0, v0
	s_and_b32 s0, vcc_lo, s14
	s_delay_alu instid0(SALU_CYCLE_1)
	s_and_saveexec_b32 s1, s0
	s_cbranch_execnz .LBB1163_149
.LBB1163_171:
	s_nop 0
	s_sendmsg sendmsg(MSG_DEALLOC_VGPRS)
	s_endpgm
	.section	.rodata,"a",@progbits
	.p2align	6, 0x0
	.amdhsa_kernel _ZN7rocprim17ROCPRIM_400000_NS6detail17trampoline_kernelINS0_14default_configENS1_25partition_config_selectorILNS1_17partition_subalgoE9EijbEEZZNS1_14partition_implILS5_9ELb0ES3_jN6thrust23THRUST_200600_302600_NS6detail15normal_iteratorINS9_10device_ptrIiEEEENSB_INSC_IjEEEEPNS0_10empty_typeENS0_5tupleIJNS9_16discard_iteratorINS9_11use_defaultEEESH_EEENSJ_IJSG_SI_EEENS0_18inequality_wrapperINS9_8equal_toIiEEEEPmJSH_EEE10hipError_tPvRmT3_T4_T5_T6_T7_T9_mT8_P12ihipStream_tbDpT10_ENKUlT_T0_E_clISt17integral_constantIbLb1EES1C_IbLb0EEEEDaS18_S19_EUlS18_E_NS1_11comp_targetILNS1_3genE9ELNS1_11target_archE1100ELNS1_3gpuE3ELNS1_3repE0EEENS1_30default_config_static_selectorELNS0_4arch9wavefront6targetE0EEEvT1_
		.amdhsa_group_segment_fixed_size 12680
		.amdhsa_private_segment_fixed_size 0
		.amdhsa_kernarg_size 120
		.amdhsa_user_sgpr_count 15
		.amdhsa_user_sgpr_dispatch_ptr 0
		.amdhsa_user_sgpr_queue_ptr 0
		.amdhsa_user_sgpr_kernarg_segment_ptr 1
		.amdhsa_user_sgpr_dispatch_id 0
		.amdhsa_user_sgpr_private_segment_size 0
		.amdhsa_wavefront_size32 1
		.amdhsa_uses_dynamic_stack 0
		.amdhsa_enable_private_segment 0
		.amdhsa_system_sgpr_workgroup_id_x 1
		.amdhsa_system_sgpr_workgroup_id_y 0
		.amdhsa_system_sgpr_workgroup_id_z 0
		.amdhsa_system_sgpr_workgroup_info 0
		.amdhsa_system_vgpr_workitem_id 0
		.amdhsa_next_free_vgpr 51
		.amdhsa_next_free_sgpr 25
		.amdhsa_reserve_vcc 1
		.amdhsa_float_round_mode_32 0
		.amdhsa_float_round_mode_16_64 0
		.amdhsa_float_denorm_mode_32 3
		.amdhsa_float_denorm_mode_16_64 3
		.amdhsa_dx10_clamp 1
		.amdhsa_ieee_mode 1
		.amdhsa_fp16_overflow 0
		.amdhsa_workgroup_processor_mode 1
		.amdhsa_memory_ordered 1
		.amdhsa_forward_progress 0
		.amdhsa_shared_vgpr_count 0
		.amdhsa_exception_fp_ieee_invalid_op 0
		.amdhsa_exception_fp_denorm_src 0
		.amdhsa_exception_fp_ieee_div_zero 0
		.amdhsa_exception_fp_ieee_overflow 0
		.amdhsa_exception_fp_ieee_underflow 0
		.amdhsa_exception_fp_ieee_inexact 0
		.amdhsa_exception_int_div_zero 0
	.end_amdhsa_kernel
	.section	.text._ZN7rocprim17ROCPRIM_400000_NS6detail17trampoline_kernelINS0_14default_configENS1_25partition_config_selectorILNS1_17partition_subalgoE9EijbEEZZNS1_14partition_implILS5_9ELb0ES3_jN6thrust23THRUST_200600_302600_NS6detail15normal_iteratorINS9_10device_ptrIiEEEENSB_INSC_IjEEEEPNS0_10empty_typeENS0_5tupleIJNS9_16discard_iteratorINS9_11use_defaultEEESH_EEENSJ_IJSG_SI_EEENS0_18inequality_wrapperINS9_8equal_toIiEEEEPmJSH_EEE10hipError_tPvRmT3_T4_T5_T6_T7_T9_mT8_P12ihipStream_tbDpT10_ENKUlT_T0_E_clISt17integral_constantIbLb1EES1C_IbLb0EEEEDaS18_S19_EUlS18_E_NS1_11comp_targetILNS1_3genE9ELNS1_11target_archE1100ELNS1_3gpuE3ELNS1_3repE0EEENS1_30default_config_static_selectorELNS0_4arch9wavefront6targetE0EEEvT1_,"axG",@progbits,_ZN7rocprim17ROCPRIM_400000_NS6detail17trampoline_kernelINS0_14default_configENS1_25partition_config_selectorILNS1_17partition_subalgoE9EijbEEZZNS1_14partition_implILS5_9ELb0ES3_jN6thrust23THRUST_200600_302600_NS6detail15normal_iteratorINS9_10device_ptrIiEEEENSB_INSC_IjEEEEPNS0_10empty_typeENS0_5tupleIJNS9_16discard_iteratorINS9_11use_defaultEEESH_EEENSJ_IJSG_SI_EEENS0_18inequality_wrapperINS9_8equal_toIiEEEEPmJSH_EEE10hipError_tPvRmT3_T4_T5_T6_T7_T9_mT8_P12ihipStream_tbDpT10_ENKUlT_T0_E_clISt17integral_constantIbLb1EES1C_IbLb0EEEEDaS18_S19_EUlS18_E_NS1_11comp_targetILNS1_3genE9ELNS1_11target_archE1100ELNS1_3gpuE3ELNS1_3repE0EEENS1_30default_config_static_selectorELNS0_4arch9wavefront6targetE0EEEvT1_,comdat
.Lfunc_end1163:
	.size	_ZN7rocprim17ROCPRIM_400000_NS6detail17trampoline_kernelINS0_14default_configENS1_25partition_config_selectorILNS1_17partition_subalgoE9EijbEEZZNS1_14partition_implILS5_9ELb0ES3_jN6thrust23THRUST_200600_302600_NS6detail15normal_iteratorINS9_10device_ptrIiEEEENSB_INSC_IjEEEEPNS0_10empty_typeENS0_5tupleIJNS9_16discard_iteratorINS9_11use_defaultEEESH_EEENSJ_IJSG_SI_EEENS0_18inequality_wrapperINS9_8equal_toIiEEEEPmJSH_EEE10hipError_tPvRmT3_T4_T5_T6_T7_T9_mT8_P12ihipStream_tbDpT10_ENKUlT_T0_E_clISt17integral_constantIbLb1EES1C_IbLb0EEEEDaS18_S19_EUlS18_E_NS1_11comp_targetILNS1_3genE9ELNS1_11target_archE1100ELNS1_3gpuE3ELNS1_3repE0EEENS1_30default_config_static_selectorELNS0_4arch9wavefront6targetE0EEEvT1_, .Lfunc_end1163-_ZN7rocprim17ROCPRIM_400000_NS6detail17trampoline_kernelINS0_14default_configENS1_25partition_config_selectorILNS1_17partition_subalgoE9EijbEEZZNS1_14partition_implILS5_9ELb0ES3_jN6thrust23THRUST_200600_302600_NS6detail15normal_iteratorINS9_10device_ptrIiEEEENSB_INSC_IjEEEEPNS0_10empty_typeENS0_5tupleIJNS9_16discard_iteratorINS9_11use_defaultEEESH_EEENSJ_IJSG_SI_EEENS0_18inequality_wrapperINS9_8equal_toIiEEEEPmJSH_EEE10hipError_tPvRmT3_T4_T5_T6_T7_T9_mT8_P12ihipStream_tbDpT10_ENKUlT_T0_E_clISt17integral_constantIbLb1EES1C_IbLb0EEEEDaS18_S19_EUlS18_E_NS1_11comp_targetILNS1_3genE9ELNS1_11target_archE1100ELNS1_3gpuE3ELNS1_3repE0EEENS1_30default_config_static_selectorELNS0_4arch9wavefront6targetE0EEEvT1_
                                        ; -- End function
	.section	.AMDGPU.csdata,"",@progbits
; Kernel info:
; codeLenInByte = 8452
; NumSgprs: 27
; NumVgprs: 51
; ScratchSize: 0
; MemoryBound: 0
; FloatMode: 240
; IeeeMode: 1
; LDSByteSize: 12680 bytes/workgroup (compile time only)
; SGPRBlocks: 3
; VGPRBlocks: 6
; NumSGPRsForWavesPerEU: 27
; NumVGPRsForWavesPerEU: 51
; Occupancy: 15
; WaveLimiterHint : 1
; COMPUTE_PGM_RSRC2:SCRATCH_EN: 0
; COMPUTE_PGM_RSRC2:USER_SGPR: 15
; COMPUTE_PGM_RSRC2:TRAP_HANDLER: 0
; COMPUTE_PGM_RSRC2:TGID_X_EN: 1
; COMPUTE_PGM_RSRC2:TGID_Y_EN: 0
; COMPUTE_PGM_RSRC2:TGID_Z_EN: 0
; COMPUTE_PGM_RSRC2:TIDIG_COMP_CNT: 0
	.section	.text._ZN7rocprim17ROCPRIM_400000_NS6detail17trampoline_kernelINS0_14default_configENS1_25partition_config_selectorILNS1_17partition_subalgoE9EijbEEZZNS1_14partition_implILS5_9ELb0ES3_jN6thrust23THRUST_200600_302600_NS6detail15normal_iteratorINS9_10device_ptrIiEEEENSB_INSC_IjEEEEPNS0_10empty_typeENS0_5tupleIJNS9_16discard_iteratorINS9_11use_defaultEEESH_EEENSJ_IJSG_SI_EEENS0_18inequality_wrapperINS9_8equal_toIiEEEEPmJSH_EEE10hipError_tPvRmT3_T4_T5_T6_T7_T9_mT8_P12ihipStream_tbDpT10_ENKUlT_T0_E_clISt17integral_constantIbLb1EES1C_IbLb0EEEEDaS18_S19_EUlS18_E_NS1_11comp_targetILNS1_3genE8ELNS1_11target_archE1030ELNS1_3gpuE2ELNS1_3repE0EEENS1_30default_config_static_selectorELNS0_4arch9wavefront6targetE0EEEvT1_,"axG",@progbits,_ZN7rocprim17ROCPRIM_400000_NS6detail17trampoline_kernelINS0_14default_configENS1_25partition_config_selectorILNS1_17partition_subalgoE9EijbEEZZNS1_14partition_implILS5_9ELb0ES3_jN6thrust23THRUST_200600_302600_NS6detail15normal_iteratorINS9_10device_ptrIiEEEENSB_INSC_IjEEEEPNS0_10empty_typeENS0_5tupleIJNS9_16discard_iteratorINS9_11use_defaultEEESH_EEENSJ_IJSG_SI_EEENS0_18inequality_wrapperINS9_8equal_toIiEEEEPmJSH_EEE10hipError_tPvRmT3_T4_T5_T6_T7_T9_mT8_P12ihipStream_tbDpT10_ENKUlT_T0_E_clISt17integral_constantIbLb1EES1C_IbLb0EEEEDaS18_S19_EUlS18_E_NS1_11comp_targetILNS1_3genE8ELNS1_11target_archE1030ELNS1_3gpuE2ELNS1_3repE0EEENS1_30default_config_static_selectorELNS0_4arch9wavefront6targetE0EEEvT1_,comdat
	.protected	_ZN7rocprim17ROCPRIM_400000_NS6detail17trampoline_kernelINS0_14default_configENS1_25partition_config_selectorILNS1_17partition_subalgoE9EijbEEZZNS1_14partition_implILS5_9ELb0ES3_jN6thrust23THRUST_200600_302600_NS6detail15normal_iteratorINS9_10device_ptrIiEEEENSB_INSC_IjEEEEPNS0_10empty_typeENS0_5tupleIJNS9_16discard_iteratorINS9_11use_defaultEEESH_EEENSJ_IJSG_SI_EEENS0_18inequality_wrapperINS9_8equal_toIiEEEEPmJSH_EEE10hipError_tPvRmT3_T4_T5_T6_T7_T9_mT8_P12ihipStream_tbDpT10_ENKUlT_T0_E_clISt17integral_constantIbLb1EES1C_IbLb0EEEEDaS18_S19_EUlS18_E_NS1_11comp_targetILNS1_3genE8ELNS1_11target_archE1030ELNS1_3gpuE2ELNS1_3repE0EEENS1_30default_config_static_selectorELNS0_4arch9wavefront6targetE0EEEvT1_ ; -- Begin function _ZN7rocprim17ROCPRIM_400000_NS6detail17trampoline_kernelINS0_14default_configENS1_25partition_config_selectorILNS1_17partition_subalgoE9EijbEEZZNS1_14partition_implILS5_9ELb0ES3_jN6thrust23THRUST_200600_302600_NS6detail15normal_iteratorINS9_10device_ptrIiEEEENSB_INSC_IjEEEEPNS0_10empty_typeENS0_5tupleIJNS9_16discard_iteratorINS9_11use_defaultEEESH_EEENSJ_IJSG_SI_EEENS0_18inequality_wrapperINS9_8equal_toIiEEEEPmJSH_EEE10hipError_tPvRmT3_T4_T5_T6_T7_T9_mT8_P12ihipStream_tbDpT10_ENKUlT_T0_E_clISt17integral_constantIbLb1EES1C_IbLb0EEEEDaS18_S19_EUlS18_E_NS1_11comp_targetILNS1_3genE8ELNS1_11target_archE1030ELNS1_3gpuE2ELNS1_3repE0EEENS1_30default_config_static_selectorELNS0_4arch9wavefront6targetE0EEEvT1_
	.globl	_ZN7rocprim17ROCPRIM_400000_NS6detail17trampoline_kernelINS0_14default_configENS1_25partition_config_selectorILNS1_17partition_subalgoE9EijbEEZZNS1_14partition_implILS5_9ELb0ES3_jN6thrust23THRUST_200600_302600_NS6detail15normal_iteratorINS9_10device_ptrIiEEEENSB_INSC_IjEEEEPNS0_10empty_typeENS0_5tupleIJNS9_16discard_iteratorINS9_11use_defaultEEESH_EEENSJ_IJSG_SI_EEENS0_18inequality_wrapperINS9_8equal_toIiEEEEPmJSH_EEE10hipError_tPvRmT3_T4_T5_T6_T7_T9_mT8_P12ihipStream_tbDpT10_ENKUlT_T0_E_clISt17integral_constantIbLb1EES1C_IbLb0EEEEDaS18_S19_EUlS18_E_NS1_11comp_targetILNS1_3genE8ELNS1_11target_archE1030ELNS1_3gpuE2ELNS1_3repE0EEENS1_30default_config_static_selectorELNS0_4arch9wavefront6targetE0EEEvT1_
	.p2align	8
	.type	_ZN7rocprim17ROCPRIM_400000_NS6detail17trampoline_kernelINS0_14default_configENS1_25partition_config_selectorILNS1_17partition_subalgoE9EijbEEZZNS1_14partition_implILS5_9ELb0ES3_jN6thrust23THRUST_200600_302600_NS6detail15normal_iteratorINS9_10device_ptrIiEEEENSB_INSC_IjEEEEPNS0_10empty_typeENS0_5tupleIJNS9_16discard_iteratorINS9_11use_defaultEEESH_EEENSJ_IJSG_SI_EEENS0_18inequality_wrapperINS9_8equal_toIiEEEEPmJSH_EEE10hipError_tPvRmT3_T4_T5_T6_T7_T9_mT8_P12ihipStream_tbDpT10_ENKUlT_T0_E_clISt17integral_constantIbLb1EES1C_IbLb0EEEEDaS18_S19_EUlS18_E_NS1_11comp_targetILNS1_3genE8ELNS1_11target_archE1030ELNS1_3gpuE2ELNS1_3repE0EEENS1_30default_config_static_selectorELNS0_4arch9wavefront6targetE0EEEvT1_,@function
_ZN7rocprim17ROCPRIM_400000_NS6detail17trampoline_kernelINS0_14default_configENS1_25partition_config_selectorILNS1_17partition_subalgoE9EijbEEZZNS1_14partition_implILS5_9ELb0ES3_jN6thrust23THRUST_200600_302600_NS6detail15normal_iteratorINS9_10device_ptrIiEEEENSB_INSC_IjEEEEPNS0_10empty_typeENS0_5tupleIJNS9_16discard_iteratorINS9_11use_defaultEEESH_EEENSJ_IJSG_SI_EEENS0_18inequality_wrapperINS9_8equal_toIiEEEEPmJSH_EEE10hipError_tPvRmT3_T4_T5_T6_T7_T9_mT8_P12ihipStream_tbDpT10_ENKUlT_T0_E_clISt17integral_constantIbLb1EES1C_IbLb0EEEEDaS18_S19_EUlS18_E_NS1_11comp_targetILNS1_3genE8ELNS1_11target_archE1030ELNS1_3gpuE2ELNS1_3repE0EEENS1_30default_config_static_selectorELNS0_4arch9wavefront6targetE0EEEvT1_: ; @_ZN7rocprim17ROCPRIM_400000_NS6detail17trampoline_kernelINS0_14default_configENS1_25partition_config_selectorILNS1_17partition_subalgoE9EijbEEZZNS1_14partition_implILS5_9ELb0ES3_jN6thrust23THRUST_200600_302600_NS6detail15normal_iteratorINS9_10device_ptrIiEEEENSB_INSC_IjEEEEPNS0_10empty_typeENS0_5tupleIJNS9_16discard_iteratorINS9_11use_defaultEEESH_EEENSJ_IJSG_SI_EEENS0_18inequality_wrapperINS9_8equal_toIiEEEEPmJSH_EEE10hipError_tPvRmT3_T4_T5_T6_T7_T9_mT8_P12ihipStream_tbDpT10_ENKUlT_T0_E_clISt17integral_constantIbLb1EES1C_IbLb0EEEEDaS18_S19_EUlS18_E_NS1_11comp_targetILNS1_3genE8ELNS1_11target_archE1030ELNS1_3gpuE2ELNS1_3repE0EEENS1_30default_config_static_selectorELNS0_4arch9wavefront6targetE0EEEvT1_
; %bb.0:
	.section	.rodata,"a",@progbits
	.p2align	6, 0x0
	.amdhsa_kernel _ZN7rocprim17ROCPRIM_400000_NS6detail17trampoline_kernelINS0_14default_configENS1_25partition_config_selectorILNS1_17partition_subalgoE9EijbEEZZNS1_14partition_implILS5_9ELb0ES3_jN6thrust23THRUST_200600_302600_NS6detail15normal_iteratorINS9_10device_ptrIiEEEENSB_INSC_IjEEEEPNS0_10empty_typeENS0_5tupleIJNS9_16discard_iteratorINS9_11use_defaultEEESH_EEENSJ_IJSG_SI_EEENS0_18inequality_wrapperINS9_8equal_toIiEEEEPmJSH_EEE10hipError_tPvRmT3_T4_T5_T6_T7_T9_mT8_P12ihipStream_tbDpT10_ENKUlT_T0_E_clISt17integral_constantIbLb1EES1C_IbLb0EEEEDaS18_S19_EUlS18_E_NS1_11comp_targetILNS1_3genE8ELNS1_11target_archE1030ELNS1_3gpuE2ELNS1_3repE0EEENS1_30default_config_static_selectorELNS0_4arch9wavefront6targetE0EEEvT1_
		.amdhsa_group_segment_fixed_size 0
		.amdhsa_private_segment_fixed_size 0
		.amdhsa_kernarg_size 120
		.amdhsa_user_sgpr_count 15
		.amdhsa_user_sgpr_dispatch_ptr 0
		.amdhsa_user_sgpr_queue_ptr 0
		.amdhsa_user_sgpr_kernarg_segment_ptr 1
		.amdhsa_user_sgpr_dispatch_id 0
		.amdhsa_user_sgpr_private_segment_size 0
		.amdhsa_wavefront_size32 1
		.amdhsa_uses_dynamic_stack 0
		.amdhsa_enable_private_segment 0
		.amdhsa_system_sgpr_workgroup_id_x 1
		.amdhsa_system_sgpr_workgroup_id_y 0
		.amdhsa_system_sgpr_workgroup_id_z 0
		.amdhsa_system_sgpr_workgroup_info 0
		.amdhsa_system_vgpr_workitem_id 0
		.amdhsa_next_free_vgpr 1
		.amdhsa_next_free_sgpr 1
		.amdhsa_reserve_vcc 0
		.amdhsa_float_round_mode_32 0
		.amdhsa_float_round_mode_16_64 0
		.amdhsa_float_denorm_mode_32 3
		.amdhsa_float_denorm_mode_16_64 3
		.amdhsa_dx10_clamp 1
		.amdhsa_ieee_mode 1
		.amdhsa_fp16_overflow 0
		.amdhsa_workgroup_processor_mode 1
		.amdhsa_memory_ordered 1
		.amdhsa_forward_progress 0
		.amdhsa_shared_vgpr_count 0
		.amdhsa_exception_fp_ieee_invalid_op 0
		.amdhsa_exception_fp_denorm_src 0
		.amdhsa_exception_fp_ieee_div_zero 0
		.amdhsa_exception_fp_ieee_overflow 0
		.amdhsa_exception_fp_ieee_underflow 0
		.amdhsa_exception_fp_ieee_inexact 0
		.amdhsa_exception_int_div_zero 0
	.end_amdhsa_kernel
	.section	.text._ZN7rocprim17ROCPRIM_400000_NS6detail17trampoline_kernelINS0_14default_configENS1_25partition_config_selectorILNS1_17partition_subalgoE9EijbEEZZNS1_14partition_implILS5_9ELb0ES3_jN6thrust23THRUST_200600_302600_NS6detail15normal_iteratorINS9_10device_ptrIiEEEENSB_INSC_IjEEEEPNS0_10empty_typeENS0_5tupleIJNS9_16discard_iteratorINS9_11use_defaultEEESH_EEENSJ_IJSG_SI_EEENS0_18inequality_wrapperINS9_8equal_toIiEEEEPmJSH_EEE10hipError_tPvRmT3_T4_T5_T6_T7_T9_mT8_P12ihipStream_tbDpT10_ENKUlT_T0_E_clISt17integral_constantIbLb1EES1C_IbLb0EEEEDaS18_S19_EUlS18_E_NS1_11comp_targetILNS1_3genE8ELNS1_11target_archE1030ELNS1_3gpuE2ELNS1_3repE0EEENS1_30default_config_static_selectorELNS0_4arch9wavefront6targetE0EEEvT1_,"axG",@progbits,_ZN7rocprim17ROCPRIM_400000_NS6detail17trampoline_kernelINS0_14default_configENS1_25partition_config_selectorILNS1_17partition_subalgoE9EijbEEZZNS1_14partition_implILS5_9ELb0ES3_jN6thrust23THRUST_200600_302600_NS6detail15normal_iteratorINS9_10device_ptrIiEEEENSB_INSC_IjEEEEPNS0_10empty_typeENS0_5tupleIJNS9_16discard_iteratorINS9_11use_defaultEEESH_EEENSJ_IJSG_SI_EEENS0_18inequality_wrapperINS9_8equal_toIiEEEEPmJSH_EEE10hipError_tPvRmT3_T4_T5_T6_T7_T9_mT8_P12ihipStream_tbDpT10_ENKUlT_T0_E_clISt17integral_constantIbLb1EES1C_IbLb0EEEEDaS18_S19_EUlS18_E_NS1_11comp_targetILNS1_3genE8ELNS1_11target_archE1030ELNS1_3gpuE2ELNS1_3repE0EEENS1_30default_config_static_selectorELNS0_4arch9wavefront6targetE0EEEvT1_,comdat
.Lfunc_end1164:
	.size	_ZN7rocprim17ROCPRIM_400000_NS6detail17trampoline_kernelINS0_14default_configENS1_25partition_config_selectorILNS1_17partition_subalgoE9EijbEEZZNS1_14partition_implILS5_9ELb0ES3_jN6thrust23THRUST_200600_302600_NS6detail15normal_iteratorINS9_10device_ptrIiEEEENSB_INSC_IjEEEEPNS0_10empty_typeENS0_5tupleIJNS9_16discard_iteratorINS9_11use_defaultEEESH_EEENSJ_IJSG_SI_EEENS0_18inequality_wrapperINS9_8equal_toIiEEEEPmJSH_EEE10hipError_tPvRmT3_T4_T5_T6_T7_T9_mT8_P12ihipStream_tbDpT10_ENKUlT_T0_E_clISt17integral_constantIbLb1EES1C_IbLb0EEEEDaS18_S19_EUlS18_E_NS1_11comp_targetILNS1_3genE8ELNS1_11target_archE1030ELNS1_3gpuE2ELNS1_3repE0EEENS1_30default_config_static_selectorELNS0_4arch9wavefront6targetE0EEEvT1_, .Lfunc_end1164-_ZN7rocprim17ROCPRIM_400000_NS6detail17trampoline_kernelINS0_14default_configENS1_25partition_config_selectorILNS1_17partition_subalgoE9EijbEEZZNS1_14partition_implILS5_9ELb0ES3_jN6thrust23THRUST_200600_302600_NS6detail15normal_iteratorINS9_10device_ptrIiEEEENSB_INSC_IjEEEEPNS0_10empty_typeENS0_5tupleIJNS9_16discard_iteratorINS9_11use_defaultEEESH_EEENSJ_IJSG_SI_EEENS0_18inequality_wrapperINS9_8equal_toIiEEEEPmJSH_EEE10hipError_tPvRmT3_T4_T5_T6_T7_T9_mT8_P12ihipStream_tbDpT10_ENKUlT_T0_E_clISt17integral_constantIbLb1EES1C_IbLb0EEEEDaS18_S19_EUlS18_E_NS1_11comp_targetILNS1_3genE8ELNS1_11target_archE1030ELNS1_3gpuE2ELNS1_3repE0EEENS1_30default_config_static_selectorELNS0_4arch9wavefront6targetE0EEEvT1_
                                        ; -- End function
	.section	.AMDGPU.csdata,"",@progbits
; Kernel info:
; codeLenInByte = 0
; NumSgprs: 0
; NumVgprs: 0
; ScratchSize: 0
; MemoryBound: 0
; FloatMode: 240
; IeeeMode: 1
; LDSByteSize: 0 bytes/workgroup (compile time only)
; SGPRBlocks: 0
; VGPRBlocks: 0
; NumSGPRsForWavesPerEU: 1
; NumVGPRsForWavesPerEU: 1
; Occupancy: 16
; WaveLimiterHint : 0
; COMPUTE_PGM_RSRC2:SCRATCH_EN: 0
; COMPUTE_PGM_RSRC2:USER_SGPR: 15
; COMPUTE_PGM_RSRC2:TRAP_HANDLER: 0
; COMPUTE_PGM_RSRC2:TGID_X_EN: 1
; COMPUTE_PGM_RSRC2:TGID_Y_EN: 0
; COMPUTE_PGM_RSRC2:TGID_Z_EN: 0
; COMPUTE_PGM_RSRC2:TIDIG_COMP_CNT: 0
	.section	.text._ZN7rocprim17ROCPRIM_400000_NS6detail17trampoline_kernelINS0_14default_configENS1_25partition_config_selectorILNS1_17partition_subalgoE9EijbEEZZNS1_14partition_implILS5_9ELb0ES3_jN6thrust23THRUST_200600_302600_NS6detail15normal_iteratorINS9_10device_ptrIiEEEENSB_INSC_IjEEEEPNS0_10empty_typeENS0_5tupleIJNS9_16discard_iteratorINS9_11use_defaultEEESH_EEENSJ_IJSG_SI_EEENS0_18inequality_wrapperINS9_8equal_toIiEEEEPmJSH_EEE10hipError_tPvRmT3_T4_T5_T6_T7_T9_mT8_P12ihipStream_tbDpT10_ENKUlT_T0_E_clISt17integral_constantIbLb0EES1C_IbLb1EEEEDaS18_S19_EUlS18_E_NS1_11comp_targetILNS1_3genE0ELNS1_11target_archE4294967295ELNS1_3gpuE0ELNS1_3repE0EEENS1_30default_config_static_selectorELNS0_4arch9wavefront6targetE0EEEvT1_,"axG",@progbits,_ZN7rocprim17ROCPRIM_400000_NS6detail17trampoline_kernelINS0_14default_configENS1_25partition_config_selectorILNS1_17partition_subalgoE9EijbEEZZNS1_14partition_implILS5_9ELb0ES3_jN6thrust23THRUST_200600_302600_NS6detail15normal_iteratorINS9_10device_ptrIiEEEENSB_INSC_IjEEEEPNS0_10empty_typeENS0_5tupleIJNS9_16discard_iteratorINS9_11use_defaultEEESH_EEENSJ_IJSG_SI_EEENS0_18inequality_wrapperINS9_8equal_toIiEEEEPmJSH_EEE10hipError_tPvRmT3_T4_T5_T6_T7_T9_mT8_P12ihipStream_tbDpT10_ENKUlT_T0_E_clISt17integral_constantIbLb0EES1C_IbLb1EEEEDaS18_S19_EUlS18_E_NS1_11comp_targetILNS1_3genE0ELNS1_11target_archE4294967295ELNS1_3gpuE0ELNS1_3repE0EEENS1_30default_config_static_selectorELNS0_4arch9wavefront6targetE0EEEvT1_,comdat
	.protected	_ZN7rocprim17ROCPRIM_400000_NS6detail17trampoline_kernelINS0_14default_configENS1_25partition_config_selectorILNS1_17partition_subalgoE9EijbEEZZNS1_14partition_implILS5_9ELb0ES3_jN6thrust23THRUST_200600_302600_NS6detail15normal_iteratorINS9_10device_ptrIiEEEENSB_INSC_IjEEEEPNS0_10empty_typeENS0_5tupleIJNS9_16discard_iteratorINS9_11use_defaultEEESH_EEENSJ_IJSG_SI_EEENS0_18inequality_wrapperINS9_8equal_toIiEEEEPmJSH_EEE10hipError_tPvRmT3_T4_T5_T6_T7_T9_mT8_P12ihipStream_tbDpT10_ENKUlT_T0_E_clISt17integral_constantIbLb0EES1C_IbLb1EEEEDaS18_S19_EUlS18_E_NS1_11comp_targetILNS1_3genE0ELNS1_11target_archE4294967295ELNS1_3gpuE0ELNS1_3repE0EEENS1_30default_config_static_selectorELNS0_4arch9wavefront6targetE0EEEvT1_ ; -- Begin function _ZN7rocprim17ROCPRIM_400000_NS6detail17trampoline_kernelINS0_14default_configENS1_25partition_config_selectorILNS1_17partition_subalgoE9EijbEEZZNS1_14partition_implILS5_9ELb0ES3_jN6thrust23THRUST_200600_302600_NS6detail15normal_iteratorINS9_10device_ptrIiEEEENSB_INSC_IjEEEEPNS0_10empty_typeENS0_5tupleIJNS9_16discard_iteratorINS9_11use_defaultEEESH_EEENSJ_IJSG_SI_EEENS0_18inequality_wrapperINS9_8equal_toIiEEEEPmJSH_EEE10hipError_tPvRmT3_T4_T5_T6_T7_T9_mT8_P12ihipStream_tbDpT10_ENKUlT_T0_E_clISt17integral_constantIbLb0EES1C_IbLb1EEEEDaS18_S19_EUlS18_E_NS1_11comp_targetILNS1_3genE0ELNS1_11target_archE4294967295ELNS1_3gpuE0ELNS1_3repE0EEENS1_30default_config_static_selectorELNS0_4arch9wavefront6targetE0EEEvT1_
	.globl	_ZN7rocprim17ROCPRIM_400000_NS6detail17trampoline_kernelINS0_14default_configENS1_25partition_config_selectorILNS1_17partition_subalgoE9EijbEEZZNS1_14partition_implILS5_9ELb0ES3_jN6thrust23THRUST_200600_302600_NS6detail15normal_iteratorINS9_10device_ptrIiEEEENSB_INSC_IjEEEEPNS0_10empty_typeENS0_5tupleIJNS9_16discard_iteratorINS9_11use_defaultEEESH_EEENSJ_IJSG_SI_EEENS0_18inequality_wrapperINS9_8equal_toIiEEEEPmJSH_EEE10hipError_tPvRmT3_T4_T5_T6_T7_T9_mT8_P12ihipStream_tbDpT10_ENKUlT_T0_E_clISt17integral_constantIbLb0EES1C_IbLb1EEEEDaS18_S19_EUlS18_E_NS1_11comp_targetILNS1_3genE0ELNS1_11target_archE4294967295ELNS1_3gpuE0ELNS1_3repE0EEENS1_30default_config_static_selectorELNS0_4arch9wavefront6targetE0EEEvT1_
	.p2align	8
	.type	_ZN7rocprim17ROCPRIM_400000_NS6detail17trampoline_kernelINS0_14default_configENS1_25partition_config_selectorILNS1_17partition_subalgoE9EijbEEZZNS1_14partition_implILS5_9ELb0ES3_jN6thrust23THRUST_200600_302600_NS6detail15normal_iteratorINS9_10device_ptrIiEEEENSB_INSC_IjEEEEPNS0_10empty_typeENS0_5tupleIJNS9_16discard_iteratorINS9_11use_defaultEEESH_EEENSJ_IJSG_SI_EEENS0_18inequality_wrapperINS9_8equal_toIiEEEEPmJSH_EEE10hipError_tPvRmT3_T4_T5_T6_T7_T9_mT8_P12ihipStream_tbDpT10_ENKUlT_T0_E_clISt17integral_constantIbLb0EES1C_IbLb1EEEEDaS18_S19_EUlS18_E_NS1_11comp_targetILNS1_3genE0ELNS1_11target_archE4294967295ELNS1_3gpuE0ELNS1_3repE0EEENS1_30default_config_static_selectorELNS0_4arch9wavefront6targetE0EEEvT1_,@function
_ZN7rocprim17ROCPRIM_400000_NS6detail17trampoline_kernelINS0_14default_configENS1_25partition_config_selectorILNS1_17partition_subalgoE9EijbEEZZNS1_14partition_implILS5_9ELb0ES3_jN6thrust23THRUST_200600_302600_NS6detail15normal_iteratorINS9_10device_ptrIiEEEENSB_INSC_IjEEEEPNS0_10empty_typeENS0_5tupleIJNS9_16discard_iteratorINS9_11use_defaultEEESH_EEENSJ_IJSG_SI_EEENS0_18inequality_wrapperINS9_8equal_toIiEEEEPmJSH_EEE10hipError_tPvRmT3_T4_T5_T6_T7_T9_mT8_P12ihipStream_tbDpT10_ENKUlT_T0_E_clISt17integral_constantIbLb0EES1C_IbLb1EEEEDaS18_S19_EUlS18_E_NS1_11comp_targetILNS1_3genE0ELNS1_11target_archE4294967295ELNS1_3gpuE0ELNS1_3repE0EEENS1_30default_config_static_selectorELNS0_4arch9wavefront6targetE0EEEvT1_: ; @_ZN7rocprim17ROCPRIM_400000_NS6detail17trampoline_kernelINS0_14default_configENS1_25partition_config_selectorILNS1_17partition_subalgoE9EijbEEZZNS1_14partition_implILS5_9ELb0ES3_jN6thrust23THRUST_200600_302600_NS6detail15normal_iteratorINS9_10device_ptrIiEEEENSB_INSC_IjEEEEPNS0_10empty_typeENS0_5tupleIJNS9_16discard_iteratorINS9_11use_defaultEEESH_EEENSJ_IJSG_SI_EEENS0_18inequality_wrapperINS9_8equal_toIiEEEEPmJSH_EEE10hipError_tPvRmT3_T4_T5_T6_T7_T9_mT8_P12ihipStream_tbDpT10_ENKUlT_T0_E_clISt17integral_constantIbLb0EES1C_IbLb1EEEEDaS18_S19_EUlS18_E_NS1_11comp_targetILNS1_3genE0ELNS1_11target_archE4294967295ELNS1_3gpuE0ELNS1_3repE0EEENS1_30default_config_static_selectorELNS0_4arch9wavefront6targetE0EEEvT1_
; %bb.0:
	.section	.rodata,"a",@progbits
	.p2align	6, 0x0
	.amdhsa_kernel _ZN7rocprim17ROCPRIM_400000_NS6detail17trampoline_kernelINS0_14default_configENS1_25partition_config_selectorILNS1_17partition_subalgoE9EijbEEZZNS1_14partition_implILS5_9ELb0ES3_jN6thrust23THRUST_200600_302600_NS6detail15normal_iteratorINS9_10device_ptrIiEEEENSB_INSC_IjEEEEPNS0_10empty_typeENS0_5tupleIJNS9_16discard_iteratorINS9_11use_defaultEEESH_EEENSJ_IJSG_SI_EEENS0_18inequality_wrapperINS9_8equal_toIiEEEEPmJSH_EEE10hipError_tPvRmT3_T4_T5_T6_T7_T9_mT8_P12ihipStream_tbDpT10_ENKUlT_T0_E_clISt17integral_constantIbLb0EES1C_IbLb1EEEEDaS18_S19_EUlS18_E_NS1_11comp_targetILNS1_3genE0ELNS1_11target_archE4294967295ELNS1_3gpuE0ELNS1_3repE0EEENS1_30default_config_static_selectorELNS0_4arch9wavefront6targetE0EEEvT1_
		.amdhsa_group_segment_fixed_size 0
		.amdhsa_private_segment_fixed_size 0
		.amdhsa_kernarg_size 136
		.amdhsa_user_sgpr_count 15
		.amdhsa_user_sgpr_dispatch_ptr 0
		.amdhsa_user_sgpr_queue_ptr 0
		.amdhsa_user_sgpr_kernarg_segment_ptr 1
		.amdhsa_user_sgpr_dispatch_id 0
		.amdhsa_user_sgpr_private_segment_size 0
		.amdhsa_wavefront_size32 1
		.amdhsa_uses_dynamic_stack 0
		.amdhsa_enable_private_segment 0
		.amdhsa_system_sgpr_workgroup_id_x 1
		.amdhsa_system_sgpr_workgroup_id_y 0
		.amdhsa_system_sgpr_workgroup_id_z 0
		.amdhsa_system_sgpr_workgroup_info 0
		.amdhsa_system_vgpr_workitem_id 0
		.amdhsa_next_free_vgpr 1
		.amdhsa_next_free_sgpr 1
		.amdhsa_reserve_vcc 0
		.amdhsa_float_round_mode_32 0
		.amdhsa_float_round_mode_16_64 0
		.amdhsa_float_denorm_mode_32 3
		.amdhsa_float_denorm_mode_16_64 3
		.amdhsa_dx10_clamp 1
		.amdhsa_ieee_mode 1
		.amdhsa_fp16_overflow 0
		.amdhsa_workgroup_processor_mode 1
		.amdhsa_memory_ordered 1
		.amdhsa_forward_progress 0
		.amdhsa_shared_vgpr_count 0
		.amdhsa_exception_fp_ieee_invalid_op 0
		.amdhsa_exception_fp_denorm_src 0
		.amdhsa_exception_fp_ieee_div_zero 0
		.amdhsa_exception_fp_ieee_overflow 0
		.amdhsa_exception_fp_ieee_underflow 0
		.amdhsa_exception_fp_ieee_inexact 0
		.amdhsa_exception_int_div_zero 0
	.end_amdhsa_kernel
	.section	.text._ZN7rocprim17ROCPRIM_400000_NS6detail17trampoline_kernelINS0_14default_configENS1_25partition_config_selectorILNS1_17partition_subalgoE9EijbEEZZNS1_14partition_implILS5_9ELb0ES3_jN6thrust23THRUST_200600_302600_NS6detail15normal_iteratorINS9_10device_ptrIiEEEENSB_INSC_IjEEEEPNS0_10empty_typeENS0_5tupleIJNS9_16discard_iteratorINS9_11use_defaultEEESH_EEENSJ_IJSG_SI_EEENS0_18inequality_wrapperINS9_8equal_toIiEEEEPmJSH_EEE10hipError_tPvRmT3_T4_T5_T6_T7_T9_mT8_P12ihipStream_tbDpT10_ENKUlT_T0_E_clISt17integral_constantIbLb0EES1C_IbLb1EEEEDaS18_S19_EUlS18_E_NS1_11comp_targetILNS1_3genE0ELNS1_11target_archE4294967295ELNS1_3gpuE0ELNS1_3repE0EEENS1_30default_config_static_selectorELNS0_4arch9wavefront6targetE0EEEvT1_,"axG",@progbits,_ZN7rocprim17ROCPRIM_400000_NS6detail17trampoline_kernelINS0_14default_configENS1_25partition_config_selectorILNS1_17partition_subalgoE9EijbEEZZNS1_14partition_implILS5_9ELb0ES3_jN6thrust23THRUST_200600_302600_NS6detail15normal_iteratorINS9_10device_ptrIiEEEENSB_INSC_IjEEEEPNS0_10empty_typeENS0_5tupleIJNS9_16discard_iteratorINS9_11use_defaultEEESH_EEENSJ_IJSG_SI_EEENS0_18inequality_wrapperINS9_8equal_toIiEEEEPmJSH_EEE10hipError_tPvRmT3_T4_T5_T6_T7_T9_mT8_P12ihipStream_tbDpT10_ENKUlT_T0_E_clISt17integral_constantIbLb0EES1C_IbLb1EEEEDaS18_S19_EUlS18_E_NS1_11comp_targetILNS1_3genE0ELNS1_11target_archE4294967295ELNS1_3gpuE0ELNS1_3repE0EEENS1_30default_config_static_selectorELNS0_4arch9wavefront6targetE0EEEvT1_,comdat
.Lfunc_end1165:
	.size	_ZN7rocprim17ROCPRIM_400000_NS6detail17trampoline_kernelINS0_14default_configENS1_25partition_config_selectorILNS1_17partition_subalgoE9EijbEEZZNS1_14partition_implILS5_9ELb0ES3_jN6thrust23THRUST_200600_302600_NS6detail15normal_iteratorINS9_10device_ptrIiEEEENSB_INSC_IjEEEEPNS0_10empty_typeENS0_5tupleIJNS9_16discard_iteratorINS9_11use_defaultEEESH_EEENSJ_IJSG_SI_EEENS0_18inequality_wrapperINS9_8equal_toIiEEEEPmJSH_EEE10hipError_tPvRmT3_T4_T5_T6_T7_T9_mT8_P12ihipStream_tbDpT10_ENKUlT_T0_E_clISt17integral_constantIbLb0EES1C_IbLb1EEEEDaS18_S19_EUlS18_E_NS1_11comp_targetILNS1_3genE0ELNS1_11target_archE4294967295ELNS1_3gpuE0ELNS1_3repE0EEENS1_30default_config_static_selectorELNS0_4arch9wavefront6targetE0EEEvT1_, .Lfunc_end1165-_ZN7rocprim17ROCPRIM_400000_NS6detail17trampoline_kernelINS0_14default_configENS1_25partition_config_selectorILNS1_17partition_subalgoE9EijbEEZZNS1_14partition_implILS5_9ELb0ES3_jN6thrust23THRUST_200600_302600_NS6detail15normal_iteratorINS9_10device_ptrIiEEEENSB_INSC_IjEEEEPNS0_10empty_typeENS0_5tupleIJNS9_16discard_iteratorINS9_11use_defaultEEESH_EEENSJ_IJSG_SI_EEENS0_18inequality_wrapperINS9_8equal_toIiEEEEPmJSH_EEE10hipError_tPvRmT3_T4_T5_T6_T7_T9_mT8_P12ihipStream_tbDpT10_ENKUlT_T0_E_clISt17integral_constantIbLb0EES1C_IbLb1EEEEDaS18_S19_EUlS18_E_NS1_11comp_targetILNS1_3genE0ELNS1_11target_archE4294967295ELNS1_3gpuE0ELNS1_3repE0EEENS1_30default_config_static_selectorELNS0_4arch9wavefront6targetE0EEEvT1_
                                        ; -- End function
	.section	.AMDGPU.csdata,"",@progbits
; Kernel info:
; codeLenInByte = 0
; NumSgprs: 0
; NumVgprs: 0
; ScratchSize: 0
; MemoryBound: 0
; FloatMode: 240
; IeeeMode: 1
; LDSByteSize: 0 bytes/workgroup (compile time only)
; SGPRBlocks: 0
; VGPRBlocks: 0
; NumSGPRsForWavesPerEU: 1
; NumVGPRsForWavesPerEU: 1
; Occupancy: 16
; WaveLimiterHint : 0
; COMPUTE_PGM_RSRC2:SCRATCH_EN: 0
; COMPUTE_PGM_RSRC2:USER_SGPR: 15
; COMPUTE_PGM_RSRC2:TRAP_HANDLER: 0
; COMPUTE_PGM_RSRC2:TGID_X_EN: 1
; COMPUTE_PGM_RSRC2:TGID_Y_EN: 0
; COMPUTE_PGM_RSRC2:TGID_Z_EN: 0
; COMPUTE_PGM_RSRC2:TIDIG_COMP_CNT: 0
	.section	.text._ZN7rocprim17ROCPRIM_400000_NS6detail17trampoline_kernelINS0_14default_configENS1_25partition_config_selectorILNS1_17partition_subalgoE9EijbEEZZNS1_14partition_implILS5_9ELb0ES3_jN6thrust23THRUST_200600_302600_NS6detail15normal_iteratorINS9_10device_ptrIiEEEENSB_INSC_IjEEEEPNS0_10empty_typeENS0_5tupleIJNS9_16discard_iteratorINS9_11use_defaultEEESH_EEENSJ_IJSG_SI_EEENS0_18inequality_wrapperINS9_8equal_toIiEEEEPmJSH_EEE10hipError_tPvRmT3_T4_T5_T6_T7_T9_mT8_P12ihipStream_tbDpT10_ENKUlT_T0_E_clISt17integral_constantIbLb0EES1C_IbLb1EEEEDaS18_S19_EUlS18_E_NS1_11comp_targetILNS1_3genE5ELNS1_11target_archE942ELNS1_3gpuE9ELNS1_3repE0EEENS1_30default_config_static_selectorELNS0_4arch9wavefront6targetE0EEEvT1_,"axG",@progbits,_ZN7rocprim17ROCPRIM_400000_NS6detail17trampoline_kernelINS0_14default_configENS1_25partition_config_selectorILNS1_17partition_subalgoE9EijbEEZZNS1_14partition_implILS5_9ELb0ES3_jN6thrust23THRUST_200600_302600_NS6detail15normal_iteratorINS9_10device_ptrIiEEEENSB_INSC_IjEEEEPNS0_10empty_typeENS0_5tupleIJNS9_16discard_iteratorINS9_11use_defaultEEESH_EEENSJ_IJSG_SI_EEENS0_18inequality_wrapperINS9_8equal_toIiEEEEPmJSH_EEE10hipError_tPvRmT3_T4_T5_T6_T7_T9_mT8_P12ihipStream_tbDpT10_ENKUlT_T0_E_clISt17integral_constantIbLb0EES1C_IbLb1EEEEDaS18_S19_EUlS18_E_NS1_11comp_targetILNS1_3genE5ELNS1_11target_archE942ELNS1_3gpuE9ELNS1_3repE0EEENS1_30default_config_static_selectorELNS0_4arch9wavefront6targetE0EEEvT1_,comdat
	.protected	_ZN7rocprim17ROCPRIM_400000_NS6detail17trampoline_kernelINS0_14default_configENS1_25partition_config_selectorILNS1_17partition_subalgoE9EijbEEZZNS1_14partition_implILS5_9ELb0ES3_jN6thrust23THRUST_200600_302600_NS6detail15normal_iteratorINS9_10device_ptrIiEEEENSB_INSC_IjEEEEPNS0_10empty_typeENS0_5tupleIJNS9_16discard_iteratorINS9_11use_defaultEEESH_EEENSJ_IJSG_SI_EEENS0_18inequality_wrapperINS9_8equal_toIiEEEEPmJSH_EEE10hipError_tPvRmT3_T4_T5_T6_T7_T9_mT8_P12ihipStream_tbDpT10_ENKUlT_T0_E_clISt17integral_constantIbLb0EES1C_IbLb1EEEEDaS18_S19_EUlS18_E_NS1_11comp_targetILNS1_3genE5ELNS1_11target_archE942ELNS1_3gpuE9ELNS1_3repE0EEENS1_30default_config_static_selectorELNS0_4arch9wavefront6targetE0EEEvT1_ ; -- Begin function _ZN7rocprim17ROCPRIM_400000_NS6detail17trampoline_kernelINS0_14default_configENS1_25partition_config_selectorILNS1_17partition_subalgoE9EijbEEZZNS1_14partition_implILS5_9ELb0ES3_jN6thrust23THRUST_200600_302600_NS6detail15normal_iteratorINS9_10device_ptrIiEEEENSB_INSC_IjEEEEPNS0_10empty_typeENS0_5tupleIJNS9_16discard_iteratorINS9_11use_defaultEEESH_EEENSJ_IJSG_SI_EEENS0_18inequality_wrapperINS9_8equal_toIiEEEEPmJSH_EEE10hipError_tPvRmT3_T4_T5_T6_T7_T9_mT8_P12ihipStream_tbDpT10_ENKUlT_T0_E_clISt17integral_constantIbLb0EES1C_IbLb1EEEEDaS18_S19_EUlS18_E_NS1_11comp_targetILNS1_3genE5ELNS1_11target_archE942ELNS1_3gpuE9ELNS1_3repE0EEENS1_30default_config_static_selectorELNS0_4arch9wavefront6targetE0EEEvT1_
	.globl	_ZN7rocprim17ROCPRIM_400000_NS6detail17trampoline_kernelINS0_14default_configENS1_25partition_config_selectorILNS1_17partition_subalgoE9EijbEEZZNS1_14partition_implILS5_9ELb0ES3_jN6thrust23THRUST_200600_302600_NS6detail15normal_iteratorINS9_10device_ptrIiEEEENSB_INSC_IjEEEEPNS0_10empty_typeENS0_5tupleIJNS9_16discard_iteratorINS9_11use_defaultEEESH_EEENSJ_IJSG_SI_EEENS0_18inequality_wrapperINS9_8equal_toIiEEEEPmJSH_EEE10hipError_tPvRmT3_T4_T5_T6_T7_T9_mT8_P12ihipStream_tbDpT10_ENKUlT_T0_E_clISt17integral_constantIbLb0EES1C_IbLb1EEEEDaS18_S19_EUlS18_E_NS1_11comp_targetILNS1_3genE5ELNS1_11target_archE942ELNS1_3gpuE9ELNS1_3repE0EEENS1_30default_config_static_selectorELNS0_4arch9wavefront6targetE0EEEvT1_
	.p2align	8
	.type	_ZN7rocprim17ROCPRIM_400000_NS6detail17trampoline_kernelINS0_14default_configENS1_25partition_config_selectorILNS1_17partition_subalgoE9EijbEEZZNS1_14partition_implILS5_9ELb0ES3_jN6thrust23THRUST_200600_302600_NS6detail15normal_iteratorINS9_10device_ptrIiEEEENSB_INSC_IjEEEEPNS0_10empty_typeENS0_5tupleIJNS9_16discard_iteratorINS9_11use_defaultEEESH_EEENSJ_IJSG_SI_EEENS0_18inequality_wrapperINS9_8equal_toIiEEEEPmJSH_EEE10hipError_tPvRmT3_T4_T5_T6_T7_T9_mT8_P12ihipStream_tbDpT10_ENKUlT_T0_E_clISt17integral_constantIbLb0EES1C_IbLb1EEEEDaS18_S19_EUlS18_E_NS1_11comp_targetILNS1_3genE5ELNS1_11target_archE942ELNS1_3gpuE9ELNS1_3repE0EEENS1_30default_config_static_selectorELNS0_4arch9wavefront6targetE0EEEvT1_,@function
_ZN7rocprim17ROCPRIM_400000_NS6detail17trampoline_kernelINS0_14default_configENS1_25partition_config_selectorILNS1_17partition_subalgoE9EijbEEZZNS1_14partition_implILS5_9ELb0ES3_jN6thrust23THRUST_200600_302600_NS6detail15normal_iteratorINS9_10device_ptrIiEEEENSB_INSC_IjEEEEPNS0_10empty_typeENS0_5tupleIJNS9_16discard_iteratorINS9_11use_defaultEEESH_EEENSJ_IJSG_SI_EEENS0_18inequality_wrapperINS9_8equal_toIiEEEEPmJSH_EEE10hipError_tPvRmT3_T4_T5_T6_T7_T9_mT8_P12ihipStream_tbDpT10_ENKUlT_T0_E_clISt17integral_constantIbLb0EES1C_IbLb1EEEEDaS18_S19_EUlS18_E_NS1_11comp_targetILNS1_3genE5ELNS1_11target_archE942ELNS1_3gpuE9ELNS1_3repE0EEENS1_30default_config_static_selectorELNS0_4arch9wavefront6targetE0EEEvT1_: ; @_ZN7rocprim17ROCPRIM_400000_NS6detail17trampoline_kernelINS0_14default_configENS1_25partition_config_selectorILNS1_17partition_subalgoE9EijbEEZZNS1_14partition_implILS5_9ELb0ES3_jN6thrust23THRUST_200600_302600_NS6detail15normal_iteratorINS9_10device_ptrIiEEEENSB_INSC_IjEEEEPNS0_10empty_typeENS0_5tupleIJNS9_16discard_iteratorINS9_11use_defaultEEESH_EEENSJ_IJSG_SI_EEENS0_18inequality_wrapperINS9_8equal_toIiEEEEPmJSH_EEE10hipError_tPvRmT3_T4_T5_T6_T7_T9_mT8_P12ihipStream_tbDpT10_ENKUlT_T0_E_clISt17integral_constantIbLb0EES1C_IbLb1EEEEDaS18_S19_EUlS18_E_NS1_11comp_targetILNS1_3genE5ELNS1_11target_archE942ELNS1_3gpuE9ELNS1_3repE0EEENS1_30default_config_static_selectorELNS0_4arch9wavefront6targetE0EEEvT1_
; %bb.0:
	.section	.rodata,"a",@progbits
	.p2align	6, 0x0
	.amdhsa_kernel _ZN7rocprim17ROCPRIM_400000_NS6detail17trampoline_kernelINS0_14default_configENS1_25partition_config_selectorILNS1_17partition_subalgoE9EijbEEZZNS1_14partition_implILS5_9ELb0ES3_jN6thrust23THRUST_200600_302600_NS6detail15normal_iteratorINS9_10device_ptrIiEEEENSB_INSC_IjEEEEPNS0_10empty_typeENS0_5tupleIJNS9_16discard_iteratorINS9_11use_defaultEEESH_EEENSJ_IJSG_SI_EEENS0_18inequality_wrapperINS9_8equal_toIiEEEEPmJSH_EEE10hipError_tPvRmT3_T4_T5_T6_T7_T9_mT8_P12ihipStream_tbDpT10_ENKUlT_T0_E_clISt17integral_constantIbLb0EES1C_IbLb1EEEEDaS18_S19_EUlS18_E_NS1_11comp_targetILNS1_3genE5ELNS1_11target_archE942ELNS1_3gpuE9ELNS1_3repE0EEENS1_30default_config_static_selectorELNS0_4arch9wavefront6targetE0EEEvT1_
		.amdhsa_group_segment_fixed_size 0
		.amdhsa_private_segment_fixed_size 0
		.amdhsa_kernarg_size 136
		.amdhsa_user_sgpr_count 15
		.amdhsa_user_sgpr_dispatch_ptr 0
		.amdhsa_user_sgpr_queue_ptr 0
		.amdhsa_user_sgpr_kernarg_segment_ptr 1
		.amdhsa_user_sgpr_dispatch_id 0
		.amdhsa_user_sgpr_private_segment_size 0
		.amdhsa_wavefront_size32 1
		.amdhsa_uses_dynamic_stack 0
		.amdhsa_enable_private_segment 0
		.amdhsa_system_sgpr_workgroup_id_x 1
		.amdhsa_system_sgpr_workgroup_id_y 0
		.amdhsa_system_sgpr_workgroup_id_z 0
		.amdhsa_system_sgpr_workgroup_info 0
		.amdhsa_system_vgpr_workitem_id 0
		.amdhsa_next_free_vgpr 1
		.amdhsa_next_free_sgpr 1
		.amdhsa_reserve_vcc 0
		.amdhsa_float_round_mode_32 0
		.amdhsa_float_round_mode_16_64 0
		.amdhsa_float_denorm_mode_32 3
		.amdhsa_float_denorm_mode_16_64 3
		.amdhsa_dx10_clamp 1
		.amdhsa_ieee_mode 1
		.amdhsa_fp16_overflow 0
		.amdhsa_workgroup_processor_mode 1
		.amdhsa_memory_ordered 1
		.amdhsa_forward_progress 0
		.amdhsa_shared_vgpr_count 0
		.amdhsa_exception_fp_ieee_invalid_op 0
		.amdhsa_exception_fp_denorm_src 0
		.amdhsa_exception_fp_ieee_div_zero 0
		.amdhsa_exception_fp_ieee_overflow 0
		.amdhsa_exception_fp_ieee_underflow 0
		.amdhsa_exception_fp_ieee_inexact 0
		.amdhsa_exception_int_div_zero 0
	.end_amdhsa_kernel
	.section	.text._ZN7rocprim17ROCPRIM_400000_NS6detail17trampoline_kernelINS0_14default_configENS1_25partition_config_selectorILNS1_17partition_subalgoE9EijbEEZZNS1_14partition_implILS5_9ELb0ES3_jN6thrust23THRUST_200600_302600_NS6detail15normal_iteratorINS9_10device_ptrIiEEEENSB_INSC_IjEEEEPNS0_10empty_typeENS0_5tupleIJNS9_16discard_iteratorINS9_11use_defaultEEESH_EEENSJ_IJSG_SI_EEENS0_18inequality_wrapperINS9_8equal_toIiEEEEPmJSH_EEE10hipError_tPvRmT3_T4_T5_T6_T7_T9_mT8_P12ihipStream_tbDpT10_ENKUlT_T0_E_clISt17integral_constantIbLb0EES1C_IbLb1EEEEDaS18_S19_EUlS18_E_NS1_11comp_targetILNS1_3genE5ELNS1_11target_archE942ELNS1_3gpuE9ELNS1_3repE0EEENS1_30default_config_static_selectorELNS0_4arch9wavefront6targetE0EEEvT1_,"axG",@progbits,_ZN7rocprim17ROCPRIM_400000_NS6detail17trampoline_kernelINS0_14default_configENS1_25partition_config_selectorILNS1_17partition_subalgoE9EijbEEZZNS1_14partition_implILS5_9ELb0ES3_jN6thrust23THRUST_200600_302600_NS6detail15normal_iteratorINS9_10device_ptrIiEEEENSB_INSC_IjEEEEPNS0_10empty_typeENS0_5tupleIJNS9_16discard_iteratorINS9_11use_defaultEEESH_EEENSJ_IJSG_SI_EEENS0_18inequality_wrapperINS9_8equal_toIiEEEEPmJSH_EEE10hipError_tPvRmT3_T4_T5_T6_T7_T9_mT8_P12ihipStream_tbDpT10_ENKUlT_T0_E_clISt17integral_constantIbLb0EES1C_IbLb1EEEEDaS18_S19_EUlS18_E_NS1_11comp_targetILNS1_3genE5ELNS1_11target_archE942ELNS1_3gpuE9ELNS1_3repE0EEENS1_30default_config_static_selectorELNS0_4arch9wavefront6targetE0EEEvT1_,comdat
.Lfunc_end1166:
	.size	_ZN7rocprim17ROCPRIM_400000_NS6detail17trampoline_kernelINS0_14default_configENS1_25partition_config_selectorILNS1_17partition_subalgoE9EijbEEZZNS1_14partition_implILS5_9ELb0ES3_jN6thrust23THRUST_200600_302600_NS6detail15normal_iteratorINS9_10device_ptrIiEEEENSB_INSC_IjEEEEPNS0_10empty_typeENS0_5tupleIJNS9_16discard_iteratorINS9_11use_defaultEEESH_EEENSJ_IJSG_SI_EEENS0_18inequality_wrapperINS9_8equal_toIiEEEEPmJSH_EEE10hipError_tPvRmT3_T4_T5_T6_T7_T9_mT8_P12ihipStream_tbDpT10_ENKUlT_T0_E_clISt17integral_constantIbLb0EES1C_IbLb1EEEEDaS18_S19_EUlS18_E_NS1_11comp_targetILNS1_3genE5ELNS1_11target_archE942ELNS1_3gpuE9ELNS1_3repE0EEENS1_30default_config_static_selectorELNS0_4arch9wavefront6targetE0EEEvT1_, .Lfunc_end1166-_ZN7rocprim17ROCPRIM_400000_NS6detail17trampoline_kernelINS0_14default_configENS1_25partition_config_selectorILNS1_17partition_subalgoE9EijbEEZZNS1_14partition_implILS5_9ELb0ES3_jN6thrust23THRUST_200600_302600_NS6detail15normal_iteratorINS9_10device_ptrIiEEEENSB_INSC_IjEEEEPNS0_10empty_typeENS0_5tupleIJNS9_16discard_iteratorINS9_11use_defaultEEESH_EEENSJ_IJSG_SI_EEENS0_18inequality_wrapperINS9_8equal_toIiEEEEPmJSH_EEE10hipError_tPvRmT3_T4_T5_T6_T7_T9_mT8_P12ihipStream_tbDpT10_ENKUlT_T0_E_clISt17integral_constantIbLb0EES1C_IbLb1EEEEDaS18_S19_EUlS18_E_NS1_11comp_targetILNS1_3genE5ELNS1_11target_archE942ELNS1_3gpuE9ELNS1_3repE0EEENS1_30default_config_static_selectorELNS0_4arch9wavefront6targetE0EEEvT1_
                                        ; -- End function
	.section	.AMDGPU.csdata,"",@progbits
; Kernel info:
; codeLenInByte = 0
; NumSgprs: 0
; NumVgprs: 0
; ScratchSize: 0
; MemoryBound: 0
; FloatMode: 240
; IeeeMode: 1
; LDSByteSize: 0 bytes/workgroup (compile time only)
; SGPRBlocks: 0
; VGPRBlocks: 0
; NumSGPRsForWavesPerEU: 1
; NumVGPRsForWavesPerEU: 1
; Occupancy: 16
; WaveLimiterHint : 0
; COMPUTE_PGM_RSRC2:SCRATCH_EN: 0
; COMPUTE_PGM_RSRC2:USER_SGPR: 15
; COMPUTE_PGM_RSRC2:TRAP_HANDLER: 0
; COMPUTE_PGM_RSRC2:TGID_X_EN: 1
; COMPUTE_PGM_RSRC2:TGID_Y_EN: 0
; COMPUTE_PGM_RSRC2:TGID_Z_EN: 0
; COMPUTE_PGM_RSRC2:TIDIG_COMP_CNT: 0
	.section	.text._ZN7rocprim17ROCPRIM_400000_NS6detail17trampoline_kernelINS0_14default_configENS1_25partition_config_selectorILNS1_17partition_subalgoE9EijbEEZZNS1_14partition_implILS5_9ELb0ES3_jN6thrust23THRUST_200600_302600_NS6detail15normal_iteratorINS9_10device_ptrIiEEEENSB_INSC_IjEEEEPNS0_10empty_typeENS0_5tupleIJNS9_16discard_iteratorINS9_11use_defaultEEESH_EEENSJ_IJSG_SI_EEENS0_18inequality_wrapperINS9_8equal_toIiEEEEPmJSH_EEE10hipError_tPvRmT3_T4_T5_T6_T7_T9_mT8_P12ihipStream_tbDpT10_ENKUlT_T0_E_clISt17integral_constantIbLb0EES1C_IbLb1EEEEDaS18_S19_EUlS18_E_NS1_11comp_targetILNS1_3genE4ELNS1_11target_archE910ELNS1_3gpuE8ELNS1_3repE0EEENS1_30default_config_static_selectorELNS0_4arch9wavefront6targetE0EEEvT1_,"axG",@progbits,_ZN7rocprim17ROCPRIM_400000_NS6detail17trampoline_kernelINS0_14default_configENS1_25partition_config_selectorILNS1_17partition_subalgoE9EijbEEZZNS1_14partition_implILS5_9ELb0ES3_jN6thrust23THRUST_200600_302600_NS6detail15normal_iteratorINS9_10device_ptrIiEEEENSB_INSC_IjEEEEPNS0_10empty_typeENS0_5tupleIJNS9_16discard_iteratorINS9_11use_defaultEEESH_EEENSJ_IJSG_SI_EEENS0_18inequality_wrapperINS9_8equal_toIiEEEEPmJSH_EEE10hipError_tPvRmT3_T4_T5_T6_T7_T9_mT8_P12ihipStream_tbDpT10_ENKUlT_T0_E_clISt17integral_constantIbLb0EES1C_IbLb1EEEEDaS18_S19_EUlS18_E_NS1_11comp_targetILNS1_3genE4ELNS1_11target_archE910ELNS1_3gpuE8ELNS1_3repE0EEENS1_30default_config_static_selectorELNS0_4arch9wavefront6targetE0EEEvT1_,comdat
	.protected	_ZN7rocprim17ROCPRIM_400000_NS6detail17trampoline_kernelINS0_14default_configENS1_25partition_config_selectorILNS1_17partition_subalgoE9EijbEEZZNS1_14partition_implILS5_9ELb0ES3_jN6thrust23THRUST_200600_302600_NS6detail15normal_iteratorINS9_10device_ptrIiEEEENSB_INSC_IjEEEEPNS0_10empty_typeENS0_5tupleIJNS9_16discard_iteratorINS9_11use_defaultEEESH_EEENSJ_IJSG_SI_EEENS0_18inequality_wrapperINS9_8equal_toIiEEEEPmJSH_EEE10hipError_tPvRmT3_T4_T5_T6_T7_T9_mT8_P12ihipStream_tbDpT10_ENKUlT_T0_E_clISt17integral_constantIbLb0EES1C_IbLb1EEEEDaS18_S19_EUlS18_E_NS1_11comp_targetILNS1_3genE4ELNS1_11target_archE910ELNS1_3gpuE8ELNS1_3repE0EEENS1_30default_config_static_selectorELNS0_4arch9wavefront6targetE0EEEvT1_ ; -- Begin function _ZN7rocprim17ROCPRIM_400000_NS6detail17trampoline_kernelINS0_14default_configENS1_25partition_config_selectorILNS1_17partition_subalgoE9EijbEEZZNS1_14partition_implILS5_9ELb0ES3_jN6thrust23THRUST_200600_302600_NS6detail15normal_iteratorINS9_10device_ptrIiEEEENSB_INSC_IjEEEEPNS0_10empty_typeENS0_5tupleIJNS9_16discard_iteratorINS9_11use_defaultEEESH_EEENSJ_IJSG_SI_EEENS0_18inequality_wrapperINS9_8equal_toIiEEEEPmJSH_EEE10hipError_tPvRmT3_T4_T5_T6_T7_T9_mT8_P12ihipStream_tbDpT10_ENKUlT_T0_E_clISt17integral_constantIbLb0EES1C_IbLb1EEEEDaS18_S19_EUlS18_E_NS1_11comp_targetILNS1_3genE4ELNS1_11target_archE910ELNS1_3gpuE8ELNS1_3repE0EEENS1_30default_config_static_selectorELNS0_4arch9wavefront6targetE0EEEvT1_
	.globl	_ZN7rocprim17ROCPRIM_400000_NS6detail17trampoline_kernelINS0_14default_configENS1_25partition_config_selectorILNS1_17partition_subalgoE9EijbEEZZNS1_14partition_implILS5_9ELb0ES3_jN6thrust23THRUST_200600_302600_NS6detail15normal_iteratorINS9_10device_ptrIiEEEENSB_INSC_IjEEEEPNS0_10empty_typeENS0_5tupleIJNS9_16discard_iteratorINS9_11use_defaultEEESH_EEENSJ_IJSG_SI_EEENS0_18inequality_wrapperINS9_8equal_toIiEEEEPmJSH_EEE10hipError_tPvRmT3_T4_T5_T6_T7_T9_mT8_P12ihipStream_tbDpT10_ENKUlT_T0_E_clISt17integral_constantIbLb0EES1C_IbLb1EEEEDaS18_S19_EUlS18_E_NS1_11comp_targetILNS1_3genE4ELNS1_11target_archE910ELNS1_3gpuE8ELNS1_3repE0EEENS1_30default_config_static_selectorELNS0_4arch9wavefront6targetE0EEEvT1_
	.p2align	8
	.type	_ZN7rocprim17ROCPRIM_400000_NS6detail17trampoline_kernelINS0_14default_configENS1_25partition_config_selectorILNS1_17partition_subalgoE9EijbEEZZNS1_14partition_implILS5_9ELb0ES3_jN6thrust23THRUST_200600_302600_NS6detail15normal_iteratorINS9_10device_ptrIiEEEENSB_INSC_IjEEEEPNS0_10empty_typeENS0_5tupleIJNS9_16discard_iteratorINS9_11use_defaultEEESH_EEENSJ_IJSG_SI_EEENS0_18inequality_wrapperINS9_8equal_toIiEEEEPmJSH_EEE10hipError_tPvRmT3_T4_T5_T6_T7_T9_mT8_P12ihipStream_tbDpT10_ENKUlT_T0_E_clISt17integral_constantIbLb0EES1C_IbLb1EEEEDaS18_S19_EUlS18_E_NS1_11comp_targetILNS1_3genE4ELNS1_11target_archE910ELNS1_3gpuE8ELNS1_3repE0EEENS1_30default_config_static_selectorELNS0_4arch9wavefront6targetE0EEEvT1_,@function
_ZN7rocprim17ROCPRIM_400000_NS6detail17trampoline_kernelINS0_14default_configENS1_25partition_config_selectorILNS1_17partition_subalgoE9EijbEEZZNS1_14partition_implILS5_9ELb0ES3_jN6thrust23THRUST_200600_302600_NS6detail15normal_iteratorINS9_10device_ptrIiEEEENSB_INSC_IjEEEEPNS0_10empty_typeENS0_5tupleIJNS9_16discard_iteratorINS9_11use_defaultEEESH_EEENSJ_IJSG_SI_EEENS0_18inequality_wrapperINS9_8equal_toIiEEEEPmJSH_EEE10hipError_tPvRmT3_T4_T5_T6_T7_T9_mT8_P12ihipStream_tbDpT10_ENKUlT_T0_E_clISt17integral_constantIbLb0EES1C_IbLb1EEEEDaS18_S19_EUlS18_E_NS1_11comp_targetILNS1_3genE4ELNS1_11target_archE910ELNS1_3gpuE8ELNS1_3repE0EEENS1_30default_config_static_selectorELNS0_4arch9wavefront6targetE0EEEvT1_: ; @_ZN7rocprim17ROCPRIM_400000_NS6detail17trampoline_kernelINS0_14default_configENS1_25partition_config_selectorILNS1_17partition_subalgoE9EijbEEZZNS1_14partition_implILS5_9ELb0ES3_jN6thrust23THRUST_200600_302600_NS6detail15normal_iteratorINS9_10device_ptrIiEEEENSB_INSC_IjEEEEPNS0_10empty_typeENS0_5tupleIJNS9_16discard_iteratorINS9_11use_defaultEEESH_EEENSJ_IJSG_SI_EEENS0_18inequality_wrapperINS9_8equal_toIiEEEEPmJSH_EEE10hipError_tPvRmT3_T4_T5_T6_T7_T9_mT8_P12ihipStream_tbDpT10_ENKUlT_T0_E_clISt17integral_constantIbLb0EES1C_IbLb1EEEEDaS18_S19_EUlS18_E_NS1_11comp_targetILNS1_3genE4ELNS1_11target_archE910ELNS1_3gpuE8ELNS1_3repE0EEENS1_30default_config_static_selectorELNS0_4arch9wavefront6targetE0EEEvT1_
; %bb.0:
	.section	.rodata,"a",@progbits
	.p2align	6, 0x0
	.amdhsa_kernel _ZN7rocprim17ROCPRIM_400000_NS6detail17trampoline_kernelINS0_14default_configENS1_25partition_config_selectorILNS1_17partition_subalgoE9EijbEEZZNS1_14partition_implILS5_9ELb0ES3_jN6thrust23THRUST_200600_302600_NS6detail15normal_iteratorINS9_10device_ptrIiEEEENSB_INSC_IjEEEEPNS0_10empty_typeENS0_5tupleIJNS9_16discard_iteratorINS9_11use_defaultEEESH_EEENSJ_IJSG_SI_EEENS0_18inequality_wrapperINS9_8equal_toIiEEEEPmJSH_EEE10hipError_tPvRmT3_T4_T5_T6_T7_T9_mT8_P12ihipStream_tbDpT10_ENKUlT_T0_E_clISt17integral_constantIbLb0EES1C_IbLb1EEEEDaS18_S19_EUlS18_E_NS1_11comp_targetILNS1_3genE4ELNS1_11target_archE910ELNS1_3gpuE8ELNS1_3repE0EEENS1_30default_config_static_selectorELNS0_4arch9wavefront6targetE0EEEvT1_
		.amdhsa_group_segment_fixed_size 0
		.amdhsa_private_segment_fixed_size 0
		.amdhsa_kernarg_size 136
		.amdhsa_user_sgpr_count 15
		.amdhsa_user_sgpr_dispatch_ptr 0
		.amdhsa_user_sgpr_queue_ptr 0
		.amdhsa_user_sgpr_kernarg_segment_ptr 1
		.amdhsa_user_sgpr_dispatch_id 0
		.amdhsa_user_sgpr_private_segment_size 0
		.amdhsa_wavefront_size32 1
		.amdhsa_uses_dynamic_stack 0
		.amdhsa_enable_private_segment 0
		.amdhsa_system_sgpr_workgroup_id_x 1
		.amdhsa_system_sgpr_workgroup_id_y 0
		.amdhsa_system_sgpr_workgroup_id_z 0
		.amdhsa_system_sgpr_workgroup_info 0
		.amdhsa_system_vgpr_workitem_id 0
		.amdhsa_next_free_vgpr 1
		.amdhsa_next_free_sgpr 1
		.amdhsa_reserve_vcc 0
		.amdhsa_float_round_mode_32 0
		.amdhsa_float_round_mode_16_64 0
		.amdhsa_float_denorm_mode_32 3
		.amdhsa_float_denorm_mode_16_64 3
		.amdhsa_dx10_clamp 1
		.amdhsa_ieee_mode 1
		.amdhsa_fp16_overflow 0
		.amdhsa_workgroup_processor_mode 1
		.amdhsa_memory_ordered 1
		.amdhsa_forward_progress 0
		.amdhsa_shared_vgpr_count 0
		.amdhsa_exception_fp_ieee_invalid_op 0
		.amdhsa_exception_fp_denorm_src 0
		.amdhsa_exception_fp_ieee_div_zero 0
		.amdhsa_exception_fp_ieee_overflow 0
		.amdhsa_exception_fp_ieee_underflow 0
		.amdhsa_exception_fp_ieee_inexact 0
		.amdhsa_exception_int_div_zero 0
	.end_amdhsa_kernel
	.section	.text._ZN7rocprim17ROCPRIM_400000_NS6detail17trampoline_kernelINS0_14default_configENS1_25partition_config_selectorILNS1_17partition_subalgoE9EijbEEZZNS1_14partition_implILS5_9ELb0ES3_jN6thrust23THRUST_200600_302600_NS6detail15normal_iteratorINS9_10device_ptrIiEEEENSB_INSC_IjEEEEPNS0_10empty_typeENS0_5tupleIJNS9_16discard_iteratorINS9_11use_defaultEEESH_EEENSJ_IJSG_SI_EEENS0_18inequality_wrapperINS9_8equal_toIiEEEEPmJSH_EEE10hipError_tPvRmT3_T4_T5_T6_T7_T9_mT8_P12ihipStream_tbDpT10_ENKUlT_T0_E_clISt17integral_constantIbLb0EES1C_IbLb1EEEEDaS18_S19_EUlS18_E_NS1_11comp_targetILNS1_3genE4ELNS1_11target_archE910ELNS1_3gpuE8ELNS1_3repE0EEENS1_30default_config_static_selectorELNS0_4arch9wavefront6targetE0EEEvT1_,"axG",@progbits,_ZN7rocprim17ROCPRIM_400000_NS6detail17trampoline_kernelINS0_14default_configENS1_25partition_config_selectorILNS1_17partition_subalgoE9EijbEEZZNS1_14partition_implILS5_9ELb0ES3_jN6thrust23THRUST_200600_302600_NS6detail15normal_iteratorINS9_10device_ptrIiEEEENSB_INSC_IjEEEEPNS0_10empty_typeENS0_5tupleIJNS9_16discard_iteratorINS9_11use_defaultEEESH_EEENSJ_IJSG_SI_EEENS0_18inequality_wrapperINS9_8equal_toIiEEEEPmJSH_EEE10hipError_tPvRmT3_T4_T5_T6_T7_T9_mT8_P12ihipStream_tbDpT10_ENKUlT_T0_E_clISt17integral_constantIbLb0EES1C_IbLb1EEEEDaS18_S19_EUlS18_E_NS1_11comp_targetILNS1_3genE4ELNS1_11target_archE910ELNS1_3gpuE8ELNS1_3repE0EEENS1_30default_config_static_selectorELNS0_4arch9wavefront6targetE0EEEvT1_,comdat
.Lfunc_end1167:
	.size	_ZN7rocprim17ROCPRIM_400000_NS6detail17trampoline_kernelINS0_14default_configENS1_25partition_config_selectorILNS1_17partition_subalgoE9EijbEEZZNS1_14partition_implILS5_9ELb0ES3_jN6thrust23THRUST_200600_302600_NS6detail15normal_iteratorINS9_10device_ptrIiEEEENSB_INSC_IjEEEEPNS0_10empty_typeENS0_5tupleIJNS9_16discard_iteratorINS9_11use_defaultEEESH_EEENSJ_IJSG_SI_EEENS0_18inequality_wrapperINS9_8equal_toIiEEEEPmJSH_EEE10hipError_tPvRmT3_T4_T5_T6_T7_T9_mT8_P12ihipStream_tbDpT10_ENKUlT_T0_E_clISt17integral_constantIbLb0EES1C_IbLb1EEEEDaS18_S19_EUlS18_E_NS1_11comp_targetILNS1_3genE4ELNS1_11target_archE910ELNS1_3gpuE8ELNS1_3repE0EEENS1_30default_config_static_selectorELNS0_4arch9wavefront6targetE0EEEvT1_, .Lfunc_end1167-_ZN7rocprim17ROCPRIM_400000_NS6detail17trampoline_kernelINS0_14default_configENS1_25partition_config_selectorILNS1_17partition_subalgoE9EijbEEZZNS1_14partition_implILS5_9ELb0ES3_jN6thrust23THRUST_200600_302600_NS6detail15normal_iteratorINS9_10device_ptrIiEEEENSB_INSC_IjEEEEPNS0_10empty_typeENS0_5tupleIJNS9_16discard_iteratorINS9_11use_defaultEEESH_EEENSJ_IJSG_SI_EEENS0_18inequality_wrapperINS9_8equal_toIiEEEEPmJSH_EEE10hipError_tPvRmT3_T4_T5_T6_T7_T9_mT8_P12ihipStream_tbDpT10_ENKUlT_T0_E_clISt17integral_constantIbLb0EES1C_IbLb1EEEEDaS18_S19_EUlS18_E_NS1_11comp_targetILNS1_3genE4ELNS1_11target_archE910ELNS1_3gpuE8ELNS1_3repE0EEENS1_30default_config_static_selectorELNS0_4arch9wavefront6targetE0EEEvT1_
                                        ; -- End function
	.section	.AMDGPU.csdata,"",@progbits
; Kernel info:
; codeLenInByte = 0
; NumSgprs: 0
; NumVgprs: 0
; ScratchSize: 0
; MemoryBound: 0
; FloatMode: 240
; IeeeMode: 1
; LDSByteSize: 0 bytes/workgroup (compile time only)
; SGPRBlocks: 0
; VGPRBlocks: 0
; NumSGPRsForWavesPerEU: 1
; NumVGPRsForWavesPerEU: 1
; Occupancy: 15
; WaveLimiterHint : 0
; COMPUTE_PGM_RSRC2:SCRATCH_EN: 0
; COMPUTE_PGM_RSRC2:USER_SGPR: 15
; COMPUTE_PGM_RSRC2:TRAP_HANDLER: 0
; COMPUTE_PGM_RSRC2:TGID_X_EN: 1
; COMPUTE_PGM_RSRC2:TGID_Y_EN: 0
; COMPUTE_PGM_RSRC2:TGID_Z_EN: 0
; COMPUTE_PGM_RSRC2:TIDIG_COMP_CNT: 0
	.section	.text._ZN7rocprim17ROCPRIM_400000_NS6detail17trampoline_kernelINS0_14default_configENS1_25partition_config_selectorILNS1_17partition_subalgoE9EijbEEZZNS1_14partition_implILS5_9ELb0ES3_jN6thrust23THRUST_200600_302600_NS6detail15normal_iteratorINS9_10device_ptrIiEEEENSB_INSC_IjEEEEPNS0_10empty_typeENS0_5tupleIJNS9_16discard_iteratorINS9_11use_defaultEEESH_EEENSJ_IJSG_SI_EEENS0_18inequality_wrapperINS9_8equal_toIiEEEEPmJSH_EEE10hipError_tPvRmT3_T4_T5_T6_T7_T9_mT8_P12ihipStream_tbDpT10_ENKUlT_T0_E_clISt17integral_constantIbLb0EES1C_IbLb1EEEEDaS18_S19_EUlS18_E_NS1_11comp_targetILNS1_3genE3ELNS1_11target_archE908ELNS1_3gpuE7ELNS1_3repE0EEENS1_30default_config_static_selectorELNS0_4arch9wavefront6targetE0EEEvT1_,"axG",@progbits,_ZN7rocprim17ROCPRIM_400000_NS6detail17trampoline_kernelINS0_14default_configENS1_25partition_config_selectorILNS1_17partition_subalgoE9EijbEEZZNS1_14partition_implILS5_9ELb0ES3_jN6thrust23THRUST_200600_302600_NS6detail15normal_iteratorINS9_10device_ptrIiEEEENSB_INSC_IjEEEEPNS0_10empty_typeENS0_5tupleIJNS9_16discard_iteratorINS9_11use_defaultEEESH_EEENSJ_IJSG_SI_EEENS0_18inequality_wrapperINS9_8equal_toIiEEEEPmJSH_EEE10hipError_tPvRmT3_T4_T5_T6_T7_T9_mT8_P12ihipStream_tbDpT10_ENKUlT_T0_E_clISt17integral_constantIbLb0EES1C_IbLb1EEEEDaS18_S19_EUlS18_E_NS1_11comp_targetILNS1_3genE3ELNS1_11target_archE908ELNS1_3gpuE7ELNS1_3repE0EEENS1_30default_config_static_selectorELNS0_4arch9wavefront6targetE0EEEvT1_,comdat
	.protected	_ZN7rocprim17ROCPRIM_400000_NS6detail17trampoline_kernelINS0_14default_configENS1_25partition_config_selectorILNS1_17partition_subalgoE9EijbEEZZNS1_14partition_implILS5_9ELb0ES3_jN6thrust23THRUST_200600_302600_NS6detail15normal_iteratorINS9_10device_ptrIiEEEENSB_INSC_IjEEEEPNS0_10empty_typeENS0_5tupleIJNS9_16discard_iteratorINS9_11use_defaultEEESH_EEENSJ_IJSG_SI_EEENS0_18inequality_wrapperINS9_8equal_toIiEEEEPmJSH_EEE10hipError_tPvRmT3_T4_T5_T6_T7_T9_mT8_P12ihipStream_tbDpT10_ENKUlT_T0_E_clISt17integral_constantIbLb0EES1C_IbLb1EEEEDaS18_S19_EUlS18_E_NS1_11comp_targetILNS1_3genE3ELNS1_11target_archE908ELNS1_3gpuE7ELNS1_3repE0EEENS1_30default_config_static_selectorELNS0_4arch9wavefront6targetE0EEEvT1_ ; -- Begin function _ZN7rocprim17ROCPRIM_400000_NS6detail17trampoline_kernelINS0_14default_configENS1_25partition_config_selectorILNS1_17partition_subalgoE9EijbEEZZNS1_14partition_implILS5_9ELb0ES3_jN6thrust23THRUST_200600_302600_NS6detail15normal_iteratorINS9_10device_ptrIiEEEENSB_INSC_IjEEEEPNS0_10empty_typeENS0_5tupleIJNS9_16discard_iteratorINS9_11use_defaultEEESH_EEENSJ_IJSG_SI_EEENS0_18inequality_wrapperINS9_8equal_toIiEEEEPmJSH_EEE10hipError_tPvRmT3_T4_T5_T6_T7_T9_mT8_P12ihipStream_tbDpT10_ENKUlT_T0_E_clISt17integral_constantIbLb0EES1C_IbLb1EEEEDaS18_S19_EUlS18_E_NS1_11comp_targetILNS1_3genE3ELNS1_11target_archE908ELNS1_3gpuE7ELNS1_3repE0EEENS1_30default_config_static_selectorELNS0_4arch9wavefront6targetE0EEEvT1_
	.globl	_ZN7rocprim17ROCPRIM_400000_NS6detail17trampoline_kernelINS0_14default_configENS1_25partition_config_selectorILNS1_17partition_subalgoE9EijbEEZZNS1_14partition_implILS5_9ELb0ES3_jN6thrust23THRUST_200600_302600_NS6detail15normal_iteratorINS9_10device_ptrIiEEEENSB_INSC_IjEEEEPNS0_10empty_typeENS0_5tupleIJNS9_16discard_iteratorINS9_11use_defaultEEESH_EEENSJ_IJSG_SI_EEENS0_18inequality_wrapperINS9_8equal_toIiEEEEPmJSH_EEE10hipError_tPvRmT3_T4_T5_T6_T7_T9_mT8_P12ihipStream_tbDpT10_ENKUlT_T0_E_clISt17integral_constantIbLb0EES1C_IbLb1EEEEDaS18_S19_EUlS18_E_NS1_11comp_targetILNS1_3genE3ELNS1_11target_archE908ELNS1_3gpuE7ELNS1_3repE0EEENS1_30default_config_static_selectorELNS0_4arch9wavefront6targetE0EEEvT1_
	.p2align	8
	.type	_ZN7rocprim17ROCPRIM_400000_NS6detail17trampoline_kernelINS0_14default_configENS1_25partition_config_selectorILNS1_17partition_subalgoE9EijbEEZZNS1_14partition_implILS5_9ELb0ES3_jN6thrust23THRUST_200600_302600_NS6detail15normal_iteratorINS9_10device_ptrIiEEEENSB_INSC_IjEEEEPNS0_10empty_typeENS0_5tupleIJNS9_16discard_iteratorINS9_11use_defaultEEESH_EEENSJ_IJSG_SI_EEENS0_18inequality_wrapperINS9_8equal_toIiEEEEPmJSH_EEE10hipError_tPvRmT3_T4_T5_T6_T7_T9_mT8_P12ihipStream_tbDpT10_ENKUlT_T0_E_clISt17integral_constantIbLb0EES1C_IbLb1EEEEDaS18_S19_EUlS18_E_NS1_11comp_targetILNS1_3genE3ELNS1_11target_archE908ELNS1_3gpuE7ELNS1_3repE0EEENS1_30default_config_static_selectorELNS0_4arch9wavefront6targetE0EEEvT1_,@function
_ZN7rocprim17ROCPRIM_400000_NS6detail17trampoline_kernelINS0_14default_configENS1_25partition_config_selectorILNS1_17partition_subalgoE9EijbEEZZNS1_14partition_implILS5_9ELb0ES3_jN6thrust23THRUST_200600_302600_NS6detail15normal_iteratorINS9_10device_ptrIiEEEENSB_INSC_IjEEEEPNS0_10empty_typeENS0_5tupleIJNS9_16discard_iteratorINS9_11use_defaultEEESH_EEENSJ_IJSG_SI_EEENS0_18inequality_wrapperINS9_8equal_toIiEEEEPmJSH_EEE10hipError_tPvRmT3_T4_T5_T6_T7_T9_mT8_P12ihipStream_tbDpT10_ENKUlT_T0_E_clISt17integral_constantIbLb0EES1C_IbLb1EEEEDaS18_S19_EUlS18_E_NS1_11comp_targetILNS1_3genE3ELNS1_11target_archE908ELNS1_3gpuE7ELNS1_3repE0EEENS1_30default_config_static_selectorELNS0_4arch9wavefront6targetE0EEEvT1_: ; @_ZN7rocprim17ROCPRIM_400000_NS6detail17trampoline_kernelINS0_14default_configENS1_25partition_config_selectorILNS1_17partition_subalgoE9EijbEEZZNS1_14partition_implILS5_9ELb0ES3_jN6thrust23THRUST_200600_302600_NS6detail15normal_iteratorINS9_10device_ptrIiEEEENSB_INSC_IjEEEEPNS0_10empty_typeENS0_5tupleIJNS9_16discard_iteratorINS9_11use_defaultEEESH_EEENSJ_IJSG_SI_EEENS0_18inequality_wrapperINS9_8equal_toIiEEEEPmJSH_EEE10hipError_tPvRmT3_T4_T5_T6_T7_T9_mT8_P12ihipStream_tbDpT10_ENKUlT_T0_E_clISt17integral_constantIbLb0EES1C_IbLb1EEEEDaS18_S19_EUlS18_E_NS1_11comp_targetILNS1_3genE3ELNS1_11target_archE908ELNS1_3gpuE7ELNS1_3repE0EEENS1_30default_config_static_selectorELNS0_4arch9wavefront6targetE0EEEvT1_
; %bb.0:
	.section	.rodata,"a",@progbits
	.p2align	6, 0x0
	.amdhsa_kernel _ZN7rocprim17ROCPRIM_400000_NS6detail17trampoline_kernelINS0_14default_configENS1_25partition_config_selectorILNS1_17partition_subalgoE9EijbEEZZNS1_14partition_implILS5_9ELb0ES3_jN6thrust23THRUST_200600_302600_NS6detail15normal_iteratorINS9_10device_ptrIiEEEENSB_INSC_IjEEEEPNS0_10empty_typeENS0_5tupleIJNS9_16discard_iteratorINS9_11use_defaultEEESH_EEENSJ_IJSG_SI_EEENS0_18inequality_wrapperINS9_8equal_toIiEEEEPmJSH_EEE10hipError_tPvRmT3_T4_T5_T6_T7_T9_mT8_P12ihipStream_tbDpT10_ENKUlT_T0_E_clISt17integral_constantIbLb0EES1C_IbLb1EEEEDaS18_S19_EUlS18_E_NS1_11comp_targetILNS1_3genE3ELNS1_11target_archE908ELNS1_3gpuE7ELNS1_3repE0EEENS1_30default_config_static_selectorELNS0_4arch9wavefront6targetE0EEEvT1_
		.amdhsa_group_segment_fixed_size 0
		.amdhsa_private_segment_fixed_size 0
		.amdhsa_kernarg_size 136
		.amdhsa_user_sgpr_count 15
		.amdhsa_user_sgpr_dispatch_ptr 0
		.amdhsa_user_sgpr_queue_ptr 0
		.amdhsa_user_sgpr_kernarg_segment_ptr 1
		.amdhsa_user_sgpr_dispatch_id 0
		.amdhsa_user_sgpr_private_segment_size 0
		.amdhsa_wavefront_size32 1
		.amdhsa_uses_dynamic_stack 0
		.amdhsa_enable_private_segment 0
		.amdhsa_system_sgpr_workgroup_id_x 1
		.amdhsa_system_sgpr_workgroup_id_y 0
		.amdhsa_system_sgpr_workgroup_id_z 0
		.amdhsa_system_sgpr_workgroup_info 0
		.amdhsa_system_vgpr_workitem_id 0
		.amdhsa_next_free_vgpr 1
		.amdhsa_next_free_sgpr 1
		.amdhsa_reserve_vcc 0
		.amdhsa_float_round_mode_32 0
		.amdhsa_float_round_mode_16_64 0
		.amdhsa_float_denorm_mode_32 3
		.amdhsa_float_denorm_mode_16_64 3
		.amdhsa_dx10_clamp 1
		.amdhsa_ieee_mode 1
		.amdhsa_fp16_overflow 0
		.amdhsa_workgroup_processor_mode 1
		.amdhsa_memory_ordered 1
		.amdhsa_forward_progress 0
		.amdhsa_shared_vgpr_count 0
		.amdhsa_exception_fp_ieee_invalid_op 0
		.amdhsa_exception_fp_denorm_src 0
		.amdhsa_exception_fp_ieee_div_zero 0
		.amdhsa_exception_fp_ieee_overflow 0
		.amdhsa_exception_fp_ieee_underflow 0
		.amdhsa_exception_fp_ieee_inexact 0
		.amdhsa_exception_int_div_zero 0
	.end_amdhsa_kernel
	.section	.text._ZN7rocprim17ROCPRIM_400000_NS6detail17trampoline_kernelINS0_14default_configENS1_25partition_config_selectorILNS1_17partition_subalgoE9EijbEEZZNS1_14partition_implILS5_9ELb0ES3_jN6thrust23THRUST_200600_302600_NS6detail15normal_iteratorINS9_10device_ptrIiEEEENSB_INSC_IjEEEEPNS0_10empty_typeENS0_5tupleIJNS9_16discard_iteratorINS9_11use_defaultEEESH_EEENSJ_IJSG_SI_EEENS0_18inequality_wrapperINS9_8equal_toIiEEEEPmJSH_EEE10hipError_tPvRmT3_T4_T5_T6_T7_T9_mT8_P12ihipStream_tbDpT10_ENKUlT_T0_E_clISt17integral_constantIbLb0EES1C_IbLb1EEEEDaS18_S19_EUlS18_E_NS1_11comp_targetILNS1_3genE3ELNS1_11target_archE908ELNS1_3gpuE7ELNS1_3repE0EEENS1_30default_config_static_selectorELNS0_4arch9wavefront6targetE0EEEvT1_,"axG",@progbits,_ZN7rocprim17ROCPRIM_400000_NS6detail17trampoline_kernelINS0_14default_configENS1_25partition_config_selectorILNS1_17partition_subalgoE9EijbEEZZNS1_14partition_implILS5_9ELb0ES3_jN6thrust23THRUST_200600_302600_NS6detail15normal_iteratorINS9_10device_ptrIiEEEENSB_INSC_IjEEEEPNS0_10empty_typeENS0_5tupleIJNS9_16discard_iteratorINS9_11use_defaultEEESH_EEENSJ_IJSG_SI_EEENS0_18inequality_wrapperINS9_8equal_toIiEEEEPmJSH_EEE10hipError_tPvRmT3_T4_T5_T6_T7_T9_mT8_P12ihipStream_tbDpT10_ENKUlT_T0_E_clISt17integral_constantIbLb0EES1C_IbLb1EEEEDaS18_S19_EUlS18_E_NS1_11comp_targetILNS1_3genE3ELNS1_11target_archE908ELNS1_3gpuE7ELNS1_3repE0EEENS1_30default_config_static_selectorELNS0_4arch9wavefront6targetE0EEEvT1_,comdat
.Lfunc_end1168:
	.size	_ZN7rocprim17ROCPRIM_400000_NS6detail17trampoline_kernelINS0_14default_configENS1_25partition_config_selectorILNS1_17partition_subalgoE9EijbEEZZNS1_14partition_implILS5_9ELb0ES3_jN6thrust23THRUST_200600_302600_NS6detail15normal_iteratorINS9_10device_ptrIiEEEENSB_INSC_IjEEEEPNS0_10empty_typeENS0_5tupleIJNS9_16discard_iteratorINS9_11use_defaultEEESH_EEENSJ_IJSG_SI_EEENS0_18inequality_wrapperINS9_8equal_toIiEEEEPmJSH_EEE10hipError_tPvRmT3_T4_T5_T6_T7_T9_mT8_P12ihipStream_tbDpT10_ENKUlT_T0_E_clISt17integral_constantIbLb0EES1C_IbLb1EEEEDaS18_S19_EUlS18_E_NS1_11comp_targetILNS1_3genE3ELNS1_11target_archE908ELNS1_3gpuE7ELNS1_3repE0EEENS1_30default_config_static_selectorELNS0_4arch9wavefront6targetE0EEEvT1_, .Lfunc_end1168-_ZN7rocprim17ROCPRIM_400000_NS6detail17trampoline_kernelINS0_14default_configENS1_25partition_config_selectorILNS1_17partition_subalgoE9EijbEEZZNS1_14partition_implILS5_9ELb0ES3_jN6thrust23THRUST_200600_302600_NS6detail15normal_iteratorINS9_10device_ptrIiEEEENSB_INSC_IjEEEEPNS0_10empty_typeENS0_5tupleIJNS9_16discard_iteratorINS9_11use_defaultEEESH_EEENSJ_IJSG_SI_EEENS0_18inequality_wrapperINS9_8equal_toIiEEEEPmJSH_EEE10hipError_tPvRmT3_T4_T5_T6_T7_T9_mT8_P12ihipStream_tbDpT10_ENKUlT_T0_E_clISt17integral_constantIbLb0EES1C_IbLb1EEEEDaS18_S19_EUlS18_E_NS1_11comp_targetILNS1_3genE3ELNS1_11target_archE908ELNS1_3gpuE7ELNS1_3repE0EEENS1_30default_config_static_selectorELNS0_4arch9wavefront6targetE0EEEvT1_
                                        ; -- End function
	.section	.AMDGPU.csdata,"",@progbits
; Kernel info:
; codeLenInByte = 0
; NumSgprs: 0
; NumVgprs: 0
; ScratchSize: 0
; MemoryBound: 0
; FloatMode: 240
; IeeeMode: 1
; LDSByteSize: 0 bytes/workgroup (compile time only)
; SGPRBlocks: 0
; VGPRBlocks: 0
; NumSGPRsForWavesPerEU: 1
; NumVGPRsForWavesPerEU: 1
; Occupancy: 16
; WaveLimiterHint : 0
; COMPUTE_PGM_RSRC2:SCRATCH_EN: 0
; COMPUTE_PGM_RSRC2:USER_SGPR: 15
; COMPUTE_PGM_RSRC2:TRAP_HANDLER: 0
; COMPUTE_PGM_RSRC2:TGID_X_EN: 1
; COMPUTE_PGM_RSRC2:TGID_Y_EN: 0
; COMPUTE_PGM_RSRC2:TGID_Z_EN: 0
; COMPUTE_PGM_RSRC2:TIDIG_COMP_CNT: 0
	.section	.text._ZN7rocprim17ROCPRIM_400000_NS6detail17trampoline_kernelINS0_14default_configENS1_25partition_config_selectorILNS1_17partition_subalgoE9EijbEEZZNS1_14partition_implILS5_9ELb0ES3_jN6thrust23THRUST_200600_302600_NS6detail15normal_iteratorINS9_10device_ptrIiEEEENSB_INSC_IjEEEEPNS0_10empty_typeENS0_5tupleIJNS9_16discard_iteratorINS9_11use_defaultEEESH_EEENSJ_IJSG_SI_EEENS0_18inequality_wrapperINS9_8equal_toIiEEEEPmJSH_EEE10hipError_tPvRmT3_T4_T5_T6_T7_T9_mT8_P12ihipStream_tbDpT10_ENKUlT_T0_E_clISt17integral_constantIbLb0EES1C_IbLb1EEEEDaS18_S19_EUlS18_E_NS1_11comp_targetILNS1_3genE2ELNS1_11target_archE906ELNS1_3gpuE6ELNS1_3repE0EEENS1_30default_config_static_selectorELNS0_4arch9wavefront6targetE0EEEvT1_,"axG",@progbits,_ZN7rocprim17ROCPRIM_400000_NS6detail17trampoline_kernelINS0_14default_configENS1_25partition_config_selectorILNS1_17partition_subalgoE9EijbEEZZNS1_14partition_implILS5_9ELb0ES3_jN6thrust23THRUST_200600_302600_NS6detail15normal_iteratorINS9_10device_ptrIiEEEENSB_INSC_IjEEEEPNS0_10empty_typeENS0_5tupleIJNS9_16discard_iteratorINS9_11use_defaultEEESH_EEENSJ_IJSG_SI_EEENS0_18inequality_wrapperINS9_8equal_toIiEEEEPmJSH_EEE10hipError_tPvRmT3_T4_T5_T6_T7_T9_mT8_P12ihipStream_tbDpT10_ENKUlT_T0_E_clISt17integral_constantIbLb0EES1C_IbLb1EEEEDaS18_S19_EUlS18_E_NS1_11comp_targetILNS1_3genE2ELNS1_11target_archE906ELNS1_3gpuE6ELNS1_3repE0EEENS1_30default_config_static_selectorELNS0_4arch9wavefront6targetE0EEEvT1_,comdat
	.protected	_ZN7rocprim17ROCPRIM_400000_NS6detail17trampoline_kernelINS0_14default_configENS1_25partition_config_selectorILNS1_17partition_subalgoE9EijbEEZZNS1_14partition_implILS5_9ELb0ES3_jN6thrust23THRUST_200600_302600_NS6detail15normal_iteratorINS9_10device_ptrIiEEEENSB_INSC_IjEEEEPNS0_10empty_typeENS0_5tupleIJNS9_16discard_iteratorINS9_11use_defaultEEESH_EEENSJ_IJSG_SI_EEENS0_18inequality_wrapperINS9_8equal_toIiEEEEPmJSH_EEE10hipError_tPvRmT3_T4_T5_T6_T7_T9_mT8_P12ihipStream_tbDpT10_ENKUlT_T0_E_clISt17integral_constantIbLb0EES1C_IbLb1EEEEDaS18_S19_EUlS18_E_NS1_11comp_targetILNS1_3genE2ELNS1_11target_archE906ELNS1_3gpuE6ELNS1_3repE0EEENS1_30default_config_static_selectorELNS0_4arch9wavefront6targetE0EEEvT1_ ; -- Begin function _ZN7rocprim17ROCPRIM_400000_NS6detail17trampoline_kernelINS0_14default_configENS1_25partition_config_selectorILNS1_17partition_subalgoE9EijbEEZZNS1_14partition_implILS5_9ELb0ES3_jN6thrust23THRUST_200600_302600_NS6detail15normal_iteratorINS9_10device_ptrIiEEEENSB_INSC_IjEEEEPNS0_10empty_typeENS0_5tupleIJNS9_16discard_iteratorINS9_11use_defaultEEESH_EEENSJ_IJSG_SI_EEENS0_18inequality_wrapperINS9_8equal_toIiEEEEPmJSH_EEE10hipError_tPvRmT3_T4_T5_T6_T7_T9_mT8_P12ihipStream_tbDpT10_ENKUlT_T0_E_clISt17integral_constantIbLb0EES1C_IbLb1EEEEDaS18_S19_EUlS18_E_NS1_11comp_targetILNS1_3genE2ELNS1_11target_archE906ELNS1_3gpuE6ELNS1_3repE0EEENS1_30default_config_static_selectorELNS0_4arch9wavefront6targetE0EEEvT1_
	.globl	_ZN7rocprim17ROCPRIM_400000_NS6detail17trampoline_kernelINS0_14default_configENS1_25partition_config_selectorILNS1_17partition_subalgoE9EijbEEZZNS1_14partition_implILS5_9ELb0ES3_jN6thrust23THRUST_200600_302600_NS6detail15normal_iteratorINS9_10device_ptrIiEEEENSB_INSC_IjEEEEPNS0_10empty_typeENS0_5tupleIJNS9_16discard_iteratorINS9_11use_defaultEEESH_EEENSJ_IJSG_SI_EEENS0_18inequality_wrapperINS9_8equal_toIiEEEEPmJSH_EEE10hipError_tPvRmT3_T4_T5_T6_T7_T9_mT8_P12ihipStream_tbDpT10_ENKUlT_T0_E_clISt17integral_constantIbLb0EES1C_IbLb1EEEEDaS18_S19_EUlS18_E_NS1_11comp_targetILNS1_3genE2ELNS1_11target_archE906ELNS1_3gpuE6ELNS1_3repE0EEENS1_30default_config_static_selectorELNS0_4arch9wavefront6targetE0EEEvT1_
	.p2align	8
	.type	_ZN7rocprim17ROCPRIM_400000_NS6detail17trampoline_kernelINS0_14default_configENS1_25partition_config_selectorILNS1_17partition_subalgoE9EijbEEZZNS1_14partition_implILS5_9ELb0ES3_jN6thrust23THRUST_200600_302600_NS6detail15normal_iteratorINS9_10device_ptrIiEEEENSB_INSC_IjEEEEPNS0_10empty_typeENS0_5tupleIJNS9_16discard_iteratorINS9_11use_defaultEEESH_EEENSJ_IJSG_SI_EEENS0_18inequality_wrapperINS9_8equal_toIiEEEEPmJSH_EEE10hipError_tPvRmT3_T4_T5_T6_T7_T9_mT8_P12ihipStream_tbDpT10_ENKUlT_T0_E_clISt17integral_constantIbLb0EES1C_IbLb1EEEEDaS18_S19_EUlS18_E_NS1_11comp_targetILNS1_3genE2ELNS1_11target_archE906ELNS1_3gpuE6ELNS1_3repE0EEENS1_30default_config_static_selectorELNS0_4arch9wavefront6targetE0EEEvT1_,@function
_ZN7rocprim17ROCPRIM_400000_NS6detail17trampoline_kernelINS0_14default_configENS1_25partition_config_selectorILNS1_17partition_subalgoE9EijbEEZZNS1_14partition_implILS5_9ELb0ES3_jN6thrust23THRUST_200600_302600_NS6detail15normal_iteratorINS9_10device_ptrIiEEEENSB_INSC_IjEEEEPNS0_10empty_typeENS0_5tupleIJNS9_16discard_iteratorINS9_11use_defaultEEESH_EEENSJ_IJSG_SI_EEENS0_18inequality_wrapperINS9_8equal_toIiEEEEPmJSH_EEE10hipError_tPvRmT3_T4_T5_T6_T7_T9_mT8_P12ihipStream_tbDpT10_ENKUlT_T0_E_clISt17integral_constantIbLb0EES1C_IbLb1EEEEDaS18_S19_EUlS18_E_NS1_11comp_targetILNS1_3genE2ELNS1_11target_archE906ELNS1_3gpuE6ELNS1_3repE0EEENS1_30default_config_static_selectorELNS0_4arch9wavefront6targetE0EEEvT1_: ; @_ZN7rocprim17ROCPRIM_400000_NS6detail17trampoline_kernelINS0_14default_configENS1_25partition_config_selectorILNS1_17partition_subalgoE9EijbEEZZNS1_14partition_implILS5_9ELb0ES3_jN6thrust23THRUST_200600_302600_NS6detail15normal_iteratorINS9_10device_ptrIiEEEENSB_INSC_IjEEEEPNS0_10empty_typeENS0_5tupleIJNS9_16discard_iteratorINS9_11use_defaultEEESH_EEENSJ_IJSG_SI_EEENS0_18inequality_wrapperINS9_8equal_toIiEEEEPmJSH_EEE10hipError_tPvRmT3_T4_T5_T6_T7_T9_mT8_P12ihipStream_tbDpT10_ENKUlT_T0_E_clISt17integral_constantIbLb0EES1C_IbLb1EEEEDaS18_S19_EUlS18_E_NS1_11comp_targetILNS1_3genE2ELNS1_11target_archE906ELNS1_3gpuE6ELNS1_3repE0EEENS1_30default_config_static_selectorELNS0_4arch9wavefront6targetE0EEEvT1_
; %bb.0:
	.section	.rodata,"a",@progbits
	.p2align	6, 0x0
	.amdhsa_kernel _ZN7rocprim17ROCPRIM_400000_NS6detail17trampoline_kernelINS0_14default_configENS1_25partition_config_selectorILNS1_17partition_subalgoE9EijbEEZZNS1_14partition_implILS5_9ELb0ES3_jN6thrust23THRUST_200600_302600_NS6detail15normal_iteratorINS9_10device_ptrIiEEEENSB_INSC_IjEEEEPNS0_10empty_typeENS0_5tupleIJNS9_16discard_iteratorINS9_11use_defaultEEESH_EEENSJ_IJSG_SI_EEENS0_18inequality_wrapperINS9_8equal_toIiEEEEPmJSH_EEE10hipError_tPvRmT3_T4_T5_T6_T7_T9_mT8_P12ihipStream_tbDpT10_ENKUlT_T0_E_clISt17integral_constantIbLb0EES1C_IbLb1EEEEDaS18_S19_EUlS18_E_NS1_11comp_targetILNS1_3genE2ELNS1_11target_archE906ELNS1_3gpuE6ELNS1_3repE0EEENS1_30default_config_static_selectorELNS0_4arch9wavefront6targetE0EEEvT1_
		.amdhsa_group_segment_fixed_size 0
		.amdhsa_private_segment_fixed_size 0
		.amdhsa_kernarg_size 136
		.amdhsa_user_sgpr_count 15
		.amdhsa_user_sgpr_dispatch_ptr 0
		.amdhsa_user_sgpr_queue_ptr 0
		.amdhsa_user_sgpr_kernarg_segment_ptr 1
		.amdhsa_user_sgpr_dispatch_id 0
		.amdhsa_user_sgpr_private_segment_size 0
		.amdhsa_wavefront_size32 1
		.amdhsa_uses_dynamic_stack 0
		.amdhsa_enable_private_segment 0
		.amdhsa_system_sgpr_workgroup_id_x 1
		.amdhsa_system_sgpr_workgroup_id_y 0
		.amdhsa_system_sgpr_workgroup_id_z 0
		.amdhsa_system_sgpr_workgroup_info 0
		.amdhsa_system_vgpr_workitem_id 0
		.amdhsa_next_free_vgpr 1
		.amdhsa_next_free_sgpr 1
		.amdhsa_reserve_vcc 0
		.amdhsa_float_round_mode_32 0
		.amdhsa_float_round_mode_16_64 0
		.amdhsa_float_denorm_mode_32 3
		.amdhsa_float_denorm_mode_16_64 3
		.amdhsa_dx10_clamp 1
		.amdhsa_ieee_mode 1
		.amdhsa_fp16_overflow 0
		.amdhsa_workgroup_processor_mode 1
		.amdhsa_memory_ordered 1
		.amdhsa_forward_progress 0
		.amdhsa_shared_vgpr_count 0
		.amdhsa_exception_fp_ieee_invalid_op 0
		.amdhsa_exception_fp_denorm_src 0
		.amdhsa_exception_fp_ieee_div_zero 0
		.amdhsa_exception_fp_ieee_overflow 0
		.amdhsa_exception_fp_ieee_underflow 0
		.amdhsa_exception_fp_ieee_inexact 0
		.amdhsa_exception_int_div_zero 0
	.end_amdhsa_kernel
	.section	.text._ZN7rocprim17ROCPRIM_400000_NS6detail17trampoline_kernelINS0_14default_configENS1_25partition_config_selectorILNS1_17partition_subalgoE9EijbEEZZNS1_14partition_implILS5_9ELb0ES3_jN6thrust23THRUST_200600_302600_NS6detail15normal_iteratorINS9_10device_ptrIiEEEENSB_INSC_IjEEEEPNS0_10empty_typeENS0_5tupleIJNS9_16discard_iteratorINS9_11use_defaultEEESH_EEENSJ_IJSG_SI_EEENS0_18inequality_wrapperINS9_8equal_toIiEEEEPmJSH_EEE10hipError_tPvRmT3_T4_T5_T6_T7_T9_mT8_P12ihipStream_tbDpT10_ENKUlT_T0_E_clISt17integral_constantIbLb0EES1C_IbLb1EEEEDaS18_S19_EUlS18_E_NS1_11comp_targetILNS1_3genE2ELNS1_11target_archE906ELNS1_3gpuE6ELNS1_3repE0EEENS1_30default_config_static_selectorELNS0_4arch9wavefront6targetE0EEEvT1_,"axG",@progbits,_ZN7rocprim17ROCPRIM_400000_NS6detail17trampoline_kernelINS0_14default_configENS1_25partition_config_selectorILNS1_17partition_subalgoE9EijbEEZZNS1_14partition_implILS5_9ELb0ES3_jN6thrust23THRUST_200600_302600_NS6detail15normal_iteratorINS9_10device_ptrIiEEEENSB_INSC_IjEEEEPNS0_10empty_typeENS0_5tupleIJNS9_16discard_iteratorINS9_11use_defaultEEESH_EEENSJ_IJSG_SI_EEENS0_18inequality_wrapperINS9_8equal_toIiEEEEPmJSH_EEE10hipError_tPvRmT3_T4_T5_T6_T7_T9_mT8_P12ihipStream_tbDpT10_ENKUlT_T0_E_clISt17integral_constantIbLb0EES1C_IbLb1EEEEDaS18_S19_EUlS18_E_NS1_11comp_targetILNS1_3genE2ELNS1_11target_archE906ELNS1_3gpuE6ELNS1_3repE0EEENS1_30default_config_static_selectorELNS0_4arch9wavefront6targetE0EEEvT1_,comdat
.Lfunc_end1169:
	.size	_ZN7rocprim17ROCPRIM_400000_NS6detail17trampoline_kernelINS0_14default_configENS1_25partition_config_selectorILNS1_17partition_subalgoE9EijbEEZZNS1_14partition_implILS5_9ELb0ES3_jN6thrust23THRUST_200600_302600_NS6detail15normal_iteratorINS9_10device_ptrIiEEEENSB_INSC_IjEEEEPNS0_10empty_typeENS0_5tupleIJNS9_16discard_iteratorINS9_11use_defaultEEESH_EEENSJ_IJSG_SI_EEENS0_18inequality_wrapperINS9_8equal_toIiEEEEPmJSH_EEE10hipError_tPvRmT3_T4_T5_T6_T7_T9_mT8_P12ihipStream_tbDpT10_ENKUlT_T0_E_clISt17integral_constantIbLb0EES1C_IbLb1EEEEDaS18_S19_EUlS18_E_NS1_11comp_targetILNS1_3genE2ELNS1_11target_archE906ELNS1_3gpuE6ELNS1_3repE0EEENS1_30default_config_static_selectorELNS0_4arch9wavefront6targetE0EEEvT1_, .Lfunc_end1169-_ZN7rocprim17ROCPRIM_400000_NS6detail17trampoline_kernelINS0_14default_configENS1_25partition_config_selectorILNS1_17partition_subalgoE9EijbEEZZNS1_14partition_implILS5_9ELb0ES3_jN6thrust23THRUST_200600_302600_NS6detail15normal_iteratorINS9_10device_ptrIiEEEENSB_INSC_IjEEEEPNS0_10empty_typeENS0_5tupleIJNS9_16discard_iteratorINS9_11use_defaultEEESH_EEENSJ_IJSG_SI_EEENS0_18inequality_wrapperINS9_8equal_toIiEEEEPmJSH_EEE10hipError_tPvRmT3_T4_T5_T6_T7_T9_mT8_P12ihipStream_tbDpT10_ENKUlT_T0_E_clISt17integral_constantIbLb0EES1C_IbLb1EEEEDaS18_S19_EUlS18_E_NS1_11comp_targetILNS1_3genE2ELNS1_11target_archE906ELNS1_3gpuE6ELNS1_3repE0EEENS1_30default_config_static_selectorELNS0_4arch9wavefront6targetE0EEEvT1_
                                        ; -- End function
	.section	.AMDGPU.csdata,"",@progbits
; Kernel info:
; codeLenInByte = 0
; NumSgprs: 0
; NumVgprs: 0
; ScratchSize: 0
; MemoryBound: 0
; FloatMode: 240
; IeeeMode: 1
; LDSByteSize: 0 bytes/workgroup (compile time only)
; SGPRBlocks: 0
; VGPRBlocks: 0
; NumSGPRsForWavesPerEU: 1
; NumVGPRsForWavesPerEU: 1
; Occupancy: 16
; WaveLimiterHint : 0
; COMPUTE_PGM_RSRC2:SCRATCH_EN: 0
; COMPUTE_PGM_RSRC2:USER_SGPR: 15
; COMPUTE_PGM_RSRC2:TRAP_HANDLER: 0
; COMPUTE_PGM_RSRC2:TGID_X_EN: 1
; COMPUTE_PGM_RSRC2:TGID_Y_EN: 0
; COMPUTE_PGM_RSRC2:TGID_Z_EN: 0
; COMPUTE_PGM_RSRC2:TIDIG_COMP_CNT: 0
	.section	.text._ZN7rocprim17ROCPRIM_400000_NS6detail17trampoline_kernelINS0_14default_configENS1_25partition_config_selectorILNS1_17partition_subalgoE9EijbEEZZNS1_14partition_implILS5_9ELb0ES3_jN6thrust23THRUST_200600_302600_NS6detail15normal_iteratorINS9_10device_ptrIiEEEENSB_INSC_IjEEEEPNS0_10empty_typeENS0_5tupleIJNS9_16discard_iteratorINS9_11use_defaultEEESH_EEENSJ_IJSG_SI_EEENS0_18inequality_wrapperINS9_8equal_toIiEEEEPmJSH_EEE10hipError_tPvRmT3_T4_T5_T6_T7_T9_mT8_P12ihipStream_tbDpT10_ENKUlT_T0_E_clISt17integral_constantIbLb0EES1C_IbLb1EEEEDaS18_S19_EUlS18_E_NS1_11comp_targetILNS1_3genE10ELNS1_11target_archE1200ELNS1_3gpuE4ELNS1_3repE0EEENS1_30default_config_static_selectorELNS0_4arch9wavefront6targetE0EEEvT1_,"axG",@progbits,_ZN7rocprim17ROCPRIM_400000_NS6detail17trampoline_kernelINS0_14default_configENS1_25partition_config_selectorILNS1_17partition_subalgoE9EijbEEZZNS1_14partition_implILS5_9ELb0ES3_jN6thrust23THRUST_200600_302600_NS6detail15normal_iteratorINS9_10device_ptrIiEEEENSB_INSC_IjEEEEPNS0_10empty_typeENS0_5tupleIJNS9_16discard_iteratorINS9_11use_defaultEEESH_EEENSJ_IJSG_SI_EEENS0_18inequality_wrapperINS9_8equal_toIiEEEEPmJSH_EEE10hipError_tPvRmT3_T4_T5_T6_T7_T9_mT8_P12ihipStream_tbDpT10_ENKUlT_T0_E_clISt17integral_constantIbLb0EES1C_IbLb1EEEEDaS18_S19_EUlS18_E_NS1_11comp_targetILNS1_3genE10ELNS1_11target_archE1200ELNS1_3gpuE4ELNS1_3repE0EEENS1_30default_config_static_selectorELNS0_4arch9wavefront6targetE0EEEvT1_,comdat
	.protected	_ZN7rocprim17ROCPRIM_400000_NS6detail17trampoline_kernelINS0_14default_configENS1_25partition_config_selectorILNS1_17partition_subalgoE9EijbEEZZNS1_14partition_implILS5_9ELb0ES3_jN6thrust23THRUST_200600_302600_NS6detail15normal_iteratorINS9_10device_ptrIiEEEENSB_INSC_IjEEEEPNS0_10empty_typeENS0_5tupleIJNS9_16discard_iteratorINS9_11use_defaultEEESH_EEENSJ_IJSG_SI_EEENS0_18inequality_wrapperINS9_8equal_toIiEEEEPmJSH_EEE10hipError_tPvRmT3_T4_T5_T6_T7_T9_mT8_P12ihipStream_tbDpT10_ENKUlT_T0_E_clISt17integral_constantIbLb0EES1C_IbLb1EEEEDaS18_S19_EUlS18_E_NS1_11comp_targetILNS1_3genE10ELNS1_11target_archE1200ELNS1_3gpuE4ELNS1_3repE0EEENS1_30default_config_static_selectorELNS0_4arch9wavefront6targetE0EEEvT1_ ; -- Begin function _ZN7rocprim17ROCPRIM_400000_NS6detail17trampoline_kernelINS0_14default_configENS1_25partition_config_selectorILNS1_17partition_subalgoE9EijbEEZZNS1_14partition_implILS5_9ELb0ES3_jN6thrust23THRUST_200600_302600_NS6detail15normal_iteratorINS9_10device_ptrIiEEEENSB_INSC_IjEEEEPNS0_10empty_typeENS0_5tupleIJNS9_16discard_iteratorINS9_11use_defaultEEESH_EEENSJ_IJSG_SI_EEENS0_18inequality_wrapperINS9_8equal_toIiEEEEPmJSH_EEE10hipError_tPvRmT3_T4_T5_T6_T7_T9_mT8_P12ihipStream_tbDpT10_ENKUlT_T0_E_clISt17integral_constantIbLb0EES1C_IbLb1EEEEDaS18_S19_EUlS18_E_NS1_11comp_targetILNS1_3genE10ELNS1_11target_archE1200ELNS1_3gpuE4ELNS1_3repE0EEENS1_30default_config_static_selectorELNS0_4arch9wavefront6targetE0EEEvT1_
	.globl	_ZN7rocprim17ROCPRIM_400000_NS6detail17trampoline_kernelINS0_14default_configENS1_25partition_config_selectorILNS1_17partition_subalgoE9EijbEEZZNS1_14partition_implILS5_9ELb0ES3_jN6thrust23THRUST_200600_302600_NS6detail15normal_iteratorINS9_10device_ptrIiEEEENSB_INSC_IjEEEEPNS0_10empty_typeENS0_5tupleIJNS9_16discard_iteratorINS9_11use_defaultEEESH_EEENSJ_IJSG_SI_EEENS0_18inequality_wrapperINS9_8equal_toIiEEEEPmJSH_EEE10hipError_tPvRmT3_T4_T5_T6_T7_T9_mT8_P12ihipStream_tbDpT10_ENKUlT_T0_E_clISt17integral_constantIbLb0EES1C_IbLb1EEEEDaS18_S19_EUlS18_E_NS1_11comp_targetILNS1_3genE10ELNS1_11target_archE1200ELNS1_3gpuE4ELNS1_3repE0EEENS1_30default_config_static_selectorELNS0_4arch9wavefront6targetE0EEEvT1_
	.p2align	8
	.type	_ZN7rocprim17ROCPRIM_400000_NS6detail17trampoline_kernelINS0_14default_configENS1_25partition_config_selectorILNS1_17partition_subalgoE9EijbEEZZNS1_14partition_implILS5_9ELb0ES3_jN6thrust23THRUST_200600_302600_NS6detail15normal_iteratorINS9_10device_ptrIiEEEENSB_INSC_IjEEEEPNS0_10empty_typeENS0_5tupleIJNS9_16discard_iteratorINS9_11use_defaultEEESH_EEENSJ_IJSG_SI_EEENS0_18inequality_wrapperINS9_8equal_toIiEEEEPmJSH_EEE10hipError_tPvRmT3_T4_T5_T6_T7_T9_mT8_P12ihipStream_tbDpT10_ENKUlT_T0_E_clISt17integral_constantIbLb0EES1C_IbLb1EEEEDaS18_S19_EUlS18_E_NS1_11comp_targetILNS1_3genE10ELNS1_11target_archE1200ELNS1_3gpuE4ELNS1_3repE0EEENS1_30default_config_static_selectorELNS0_4arch9wavefront6targetE0EEEvT1_,@function
_ZN7rocprim17ROCPRIM_400000_NS6detail17trampoline_kernelINS0_14default_configENS1_25partition_config_selectorILNS1_17partition_subalgoE9EijbEEZZNS1_14partition_implILS5_9ELb0ES3_jN6thrust23THRUST_200600_302600_NS6detail15normal_iteratorINS9_10device_ptrIiEEEENSB_INSC_IjEEEEPNS0_10empty_typeENS0_5tupleIJNS9_16discard_iteratorINS9_11use_defaultEEESH_EEENSJ_IJSG_SI_EEENS0_18inequality_wrapperINS9_8equal_toIiEEEEPmJSH_EEE10hipError_tPvRmT3_T4_T5_T6_T7_T9_mT8_P12ihipStream_tbDpT10_ENKUlT_T0_E_clISt17integral_constantIbLb0EES1C_IbLb1EEEEDaS18_S19_EUlS18_E_NS1_11comp_targetILNS1_3genE10ELNS1_11target_archE1200ELNS1_3gpuE4ELNS1_3repE0EEENS1_30default_config_static_selectorELNS0_4arch9wavefront6targetE0EEEvT1_: ; @_ZN7rocprim17ROCPRIM_400000_NS6detail17trampoline_kernelINS0_14default_configENS1_25partition_config_selectorILNS1_17partition_subalgoE9EijbEEZZNS1_14partition_implILS5_9ELb0ES3_jN6thrust23THRUST_200600_302600_NS6detail15normal_iteratorINS9_10device_ptrIiEEEENSB_INSC_IjEEEEPNS0_10empty_typeENS0_5tupleIJNS9_16discard_iteratorINS9_11use_defaultEEESH_EEENSJ_IJSG_SI_EEENS0_18inequality_wrapperINS9_8equal_toIiEEEEPmJSH_EEE10hipError_tPvRmT3_T4_T5_T6_T7_T9_mT8_P12ihipStream_tbDpT10_ENKUlT_T0_E_clISt17integral_constantIbLb0EES1C_IbLb1EEEEDaS18_S19_EUlS18_E_NS1_11comp_targetILNS1_3genE10ELNS1_11target_archE1200ELNS1_3gpuE4ELNS1_3repE0EEENS1_30default_config_static_selectorELNS0_4arch9wavefront6targetE0EEEvT1_
; %bb.0:
	.section	.rodata,"a",@progbits
	.p2align	6, 0x0
	.amdhsa_kernel _ZN7rocprim17ROCPRIM_400000_NS6detail17trampoline_kernelINS0_14default_configENS1_25partition_config_selectorILNS1_17partition_subalgoE9EijbEEZZNS1_14partition_implILS5_9ELb0ES3_jN6thrust23THRUST_200600_302600_NS6detail15normal_iteratorINS9_10device_ptrIiEEEENSB_INSC_IjEEEEPNS0_10empty_typeENS0_5tupleIJNS9_16discard_iteratorINS9_11use_defaultEEESH_EEENSJ_IJSG_SI_EEENS0_18inequality_wrapperINS9_8equal_toIiEEEEPmJSH_EEE10hipError_tPvRmT3_T4_T5_T6_T7_T9_mT8_P12ihipStream_tbDpT10_ENKUlT_T0_E_clISt17integral_constantIbLb0EES1C_IbLb1EEEEDaS18_S19_EUlS18_E_NS1_11comp_targetILNS1_3genE10ELNS1_11target_archE1200ELNS1_3gpuE4ELNS1_3repE0EEENS1_30default_config_static_selectorELNS0_4arch9wavefront6targetE0EEEvT1_
		.amdhsa_group_segment_fixed_size 0
		.amdhsa_private_segment_fixed_size 0
		.amdhsa_kernarg_size 136
		.amdhsa_user_sgpr_count 15
		.amdhsa_user_sgpr_dispatch_ptr 0
		.amdhsa_user_sgpr_queue_ptr 0
		.amdhsa_user_sgpr_kernarg_segment_ptr 1
		.amdhsa_user_sgpr_dispatch_id 0
		.amdhsa_user_sgpr_private_segment_size 0
		.amdhsa_wavefront_size32 1
		.amdhsa_uses_dynamic_stack 0
		.amdhsa_enable_private_segment 0
		.amdhsa_system_sgpr_workgroup_id_x 1
		.amdhsa_system_sgpr_workgroup_id_y 0
		.amdhsa_system_sgpr_workgroup_id_z 0
		.amdhsa_system_sgpr_workgroup_info 0
		.amdhsa_system_vgpr_workitem_id 0
		.amdhsa_next_free_vgpr 1
		.amdhsa_next_free_sgpr 1
		.amdhsa_reserve_vcc 0
		.amdhsa_float_round_mode_32 0
		.amdhsa_float_round_mode_16_64 0
		.amdhsa_float_denorm_mode_32 3
		.amdhsa_float_denorm_mode_16_64 3
		.amdhsa_dx10_clamp 1
		.amdhsa_ieee_mode 1
		.amdhsa_fp16_overflow 0
		.amdhsa_workgroup_processor_mode 1
		.amdhsa_memory_ordered 1
		.amdhsa_forward_progress 0
		.amdhsa_shared_vgpr_count 0
		.amdhsa_exception_fp_ieee_invalid_op 0
		.amdhsa_exception_fp_denorm_src 0
		.amdhsa_exception_fp_ieee_div_zero 0
		.amdhsa_exception_fp_ieee_overflow 0
		.amdhsa_exception_fp_ieee_underflow 0
		.amdhsa_exception_fp_ieee_inexact 0
		.amdhsa_exception_int_div_zero 0
	.end_amdhsa_kernel
	.section	.text._ZN7rocprim17ROCPRIM_400000_NS6detail17trampoline_kernelINS0_14default_configENS1_25partition_config_selectorILNS1_17partition_subalgoE9EijbEEZZNS1_14partition_implILS5_9ELb0ES3_jN6thrust23THRUST_200600_302600_NS6detail15normal_iteratorINS9_10device_ptrIiEEEENSB_INSC_IjEEEEPNS0_10empty_typeENS0_5tupleIJNS9_16discard_iteratorINS9_11use_defaultEEESH_EEENSJ_IJSG_SI_EEENS0_18inequality_wrapperINS9_8equal_toIiEEEEPmJSH_EEE10hipError_tPvRmT3_T4_T5_T6_T7_T9_mT8_P12ihipStream_tbDpT10_ENKUlT_T0_E_clISt17integral_constantIbLb0EES1C_IbLb1EEEEDaS18_S19_EUlS18_E_NS1_11comp_targetILNS1_3genE10ELNS1_11target_archE1200ELNS1_3gpuE4ELNS1_3repE0EEENS1_30default_config_static_selectorELNS0_4arch9wavefront6targetE0EEEvT1_,"axG",@progbits,_ZN7rocprim17ROCPRIM_400000_NS6detail17trampoline_kernelINS0_14default_configENS1_25partition_config_selectorILNS1_17partition_subalgoE9EijbEEZZNS1_14partition_implILS5_9ELb0ES3_jN6thrust23THRUST_200600_302600_NS6detail15normal_iteratorINS9_10device_ptrIiEEEENSB_INSC_IjEEEEPNS0_10empty_typeENS0_5tupleIJNS9_16discard_iteratorINS9_11use_defaultEEESH_EEENSJ_IJSG_SI_EEENS0_18inequality_wrapperINS9_8equal_toIiEEEEPmJSH_EEE10hipError_tPvRmT3_T4_T5_T6_T7_T9_mT8_P12ihipStream_tbDpT10_ENKUlT_T0_E_clISt17integral_constantIbLb0EES1C_IbLb1EEEEDaS18_S19_EUlS18_E_NS1_11comp_targetILNS1_3genE10ELNS1_11target_archE1200ELNS1_3gpuE4ELNS1_3repE0EEENS1_30default_config_static_selectorELNS0_4arch9wavefront6targetE0EEEvT1_,comdat
.Lfunc_end1170:
	.size	_ZN7rocprim17ROCPRIM_400000_NS6detail17trampoline_kernelINS0_14default_configENS1_25partition_config_selectorILNS1_17partition_subalgoE9EijbEEZZNS1_14partition_implILS5_9ELb0ES3_jN6thrust23THRUST_200600_302600_NS6detail15normal_iteratorINS9_10device_ptrIiEEEENSB_INSC_IjEEEEPNS0_10empty_typeENS0_5tupleIJNS9_16discard_iteratorINS9_11use_defaultEEESH_EEENSJ_IJSG_SI_EEENS0_18inequality_wrapperINS9_8equal_toIiEEEEPmJSH_EEE10hipError_tPvRmT3_T4_T5_T6_T7_T9_mT8_P12ihipStream_tbDpT10_ENKUlT_T0_E_clISt17integral_constantIbLb0EES1C_IbLb1EEEEDaS18_S19_EUlS18_E_NS1_11comp_targetILNS1_3genE10ELNS1_11target_archE1200ELNS1_3gpuE4ELNS1_3repE0EEENS1_30default_config_static_selectorELNS0_4arch9wavefront6targetE0EEEvT1_, .Lfunc_end1170-_ZN7rocprim17ROCPRIM_400000_NS6detail17trampoline_kernelINS0_14default_configENS1_25partition_config_selectorILNS1_17partition_subalgoE9EijbEEZZNS1_14partition_implILS5_9ELb0ES3_jN6thrust23THRUST_200600_302600_NS6detail15normal_iteratorINS9_10device_ptrIiEEEENSB_INSC_IjEEEEPNS0_10empty_typeENS0_5tupleIJNS9_16discard_iteratorINS9_11use_defaultEEESH_EEENSJ_IJSG_SI_EEENS0_18inequality_wrapperINS9_8equal_toIiEEEEPmJSH_EEE10hipError_tPvRmT3_T4_T5_T6_T7_T9_mT8_P12ihipStream_tbDpT10_ENKUlT_T0_E_clISt17integral_constantIbLb0EES1C_IbLb1EEEEDaS18_S19_EUlS18_E_NS1_11comp_targetILNS1_3genE10ELNS1_11target_archE1200ELNS1_3gpuE4ELNS1_3repE0EEENS1_30default_config_static_selectorELNS0_4arch9wavefront6targetE0EEEvT1_
                                        ; -- End function
	.section	.AMDGPU.csdata,"",@progbits
; Kernel info:
; codeLenInByte = 0
; NumSgprs: 0
; NumVgprs: 0
; ScratchSize: 0
; MemoryBound: 0
; FloatMode: 240
; IeeeMode: 1
; LDSByteSize: 0 bytes/workgroup (compile time only)
; SGPRBlocks: 0
; VGPRBlocks: 0
; NumSGPRsForWavesPerEU: 1
; NumVGPRsForWavesPerEU: 1
; Occupancy: 15
; WaveLimiterHint : 0
; COMPUTE_PGM_RSRC2:SCRATCH_EN: 0
; COMPUTE_PGM_RSRC2:USER_SGPR: 15
; COMPUTE_PGM_RSRC2:TRAP_HANDLER: 0
; COMPUTE_PGM_RSRC2:TGID_X_EN: 1
; COMPUTE_PGM_RSRC2:TGID_Y_EN: 0
; COMPUTE_PGM_RSRC2:TGID_Z_EN: 0
; COMPUTE_PGM_RSRC2:TIDIG_COMP_CNT: 0
	.section	.text._ZN7rocprim17ROCPRIM_400000_NS6detail17trampoline_kernelINS0_14default_configENS1_25partition_config_selectorILNS1_17partition_subalgoE9EijbEEZZNS1_14partition_implILS5_9ELb0ES3_jN6thrust23THRUST_200600_302600_NS6detail15normal_iteratorINS9_10device_ptrIiEEEENSB_INSC_IjEEEEPNS0_10empty_typeENS0_5tupleIJNS9_16discard_iteratorINS9_11use_defaultEEESH_EEENSJ_IJSG_SI_EEENS0_18inequality_wrapperINS9_8equal_toIiEEEEPmJSH_EEE10hipError_tPvRmT3_T4_T5_T6_T7_T9_mT8_P12ihipStream_tbDpT10_ENKUlT_T0_E_clISt17integral_constantIbLb0EES1C_IbLb1EEEEDaS18_S19_EUlS18_E_NS1_11comp_targetILNS1_3genE9ELNS1_11target_archE1100ELNS1_3gpuE3ELNS1_3repE0EEENS1_30default_config_static_selectorELNS0_4arch9wavefront6targetE0EEEvT1_,"axG",@progbits,_ZN7rocprim17ROCPRIM_400000_NS6detail17trampoline_kernelINS0_14default_configENS1_25partition_config_selectorILNS1_17partition_subalgoE9EijbEEZZNS1_14partition_implILS5_9ELb0ES3_jN6thrust23THRUST_200600_302600_NS6detail15normal_iteratorINS9_10device_ptrIiEEEENSB_INSC_IjEEEEPNS0_10empty_typeENS0_5tupleIJNS9_16discard_iteratorINS9_11use_defaultEEESH_EEENSJ_IJSG_SI_EEENS0_18inequality_wrapperINS9_8equal_toIiEEEEPmJSH_EEE10hipError_tPvRmT3_T4_T5_T6_T7_T9_mT8_P12ihipStream_tbDpT10_ENKUlT_T0_E_clISt17integral_constantIbLb0EES1C_IbLb1EEEEDaS18_S19_EUlS18_E_NS1_11comp_targetILNS1_3genE9ELNS1_11target_archE1100ELNS1_3gpuE3ELNS1_3repE0EEENS1_30default_config_static_selectorELNS0_4arch9wavefront6targetE0EEEvT1_,comdat
	.protected	_ZN7rocprim17ROCPRIM_400000_NS6detail17trampoline_kernelINS0_14default_configENS1_25partition_config_selectorILNS1_17partition_subalgoE9EijbEEZZNS1_14partition_implILS5_9ELb0ES3_jN6thrust23THRUST_200600_302600_NS6detail15normal_iteratorINS9_10device_ptrIiEEEENSB_INSC_IjEEEEPNS0_10empty_typeENS0_5tupleIJNS9_16discard_iteratorINS9_11use_defaultEEESH_EEENSJ_IJSG_SI_EEENS0_18inequality_wrapperINS9_8equal_toIiEEEEPmJSH_EEE10hipError_tPvRmT3_T4_T5_T6_T7_T9_mT8_P12ihipStream_tbDpT10_ENKUlT_T0_E_clISt17integral_constantIbLb0EES1C_IbLb1EEEEDaS18_S19_EUlS18_E_NS1_11comp_targetILNS1_3genE9ELNS1_11target_archE1100ELNS1_3gpuE3ELNS1_3repE0EEENS1_30default_config_static_selectorELNS0_4arch9wavefront6targetE0EEEvT1_ ; -- Begin function _ZN7rocprim17ROCPRIM_400000_NS6detail17trampoline_kernelINS0_14default_configENS1_25partition_config_selectorILNS1_17partition_subalgoE9EijbEEZZNS1_14partition_implILS5_9ELb0ES3_jN6thrust23THRUST_200600_302600_NS6detail15normal_iteratorINS9_10device_ptrIiEEEENSB_INSC_IjEEEEPNS0_10empty_typeENS0_5tupleIJNS9_16discard_iteratorINS9_11use_defaultEEESH_EEENSJ_IJSG_SI_EEENS0_18inequality_wrapperINS9_8equal_toIiEEEEPmJSH_EEE10hipError_tPvRmT3_T4_T5_T6_T7_T9_mT8_P12ihipStream_tbDpT10_ENKUlT_T0_E_clISt17integral_constantIbLb0EES1C_IbLb1EEEEDaS18_S19_EUlS18_E_NS1_11comp_targetILNS1_3genE9ELNS1_11target_archE1100ELNS1_3gpuE3ELNS1_3repE0EEENS1_30default_config_static_selectorELNS0_4arch9wavefront6targetE0EEEvT1_
	.globl	_ZN7rocprim17ROCPRIM_400000_NS6detail17trampoline_kernelINS0_14default_configENS1_25partition_config_selectorILNS1_17partition_subalgoE9EijbEEZZNS1_14partition_implILS5_9ELb0ES3_jN6thrust23THRUST_200600_302600_NS6detail15normal_iteratorINS9_10device_ptrIiEEEENSB_INSC_IjEEEEPNS0_10empty_typeENS0_5tupleIJNS9_16discard_iteratorINS9_11use_defaultEEESH_EEENSJ_IJSG_SI_EEENS0_18inequality_wrapperINS9_8equal_toIiEEEEPmJSH_EEE10hipError_tPvRmT3_T4_T5_T6_T7_T9_mT8_P12ihipStream_tbDpT10_ENKUlT_T0_E_clISt17integral_constantIbLb0EES1C_IbLb1EEEEDaS18_S19_EUlS18_E_NS1_11comp_targetILNS1_3genE9ELNS1_11target_archE1100ELNS1_3gpuE3ELNS1_3repE0EEENS1_30default_config_static_selectorELNS0_4arch9wavefront6targetE0EEEvT1_
	.p2align	8
	.type	_ZN7rocprim17ROCPRIM_400000_NS6detail17trampoline_kernelINS0_14default_configENS1_25partition_config_selectorILNS1_17partition_subalgoE9EijbEEZZNS1_14partition_implILS5_9ELb0ES3_jN6thrust23THRUST_200600_302600_NS6detail15normal_iteratorINS9_10device_ptrIiEEEENSB_INSC_IjEEEEPNS0_10empty_typeENS0_5tupleIJNS9_16discard_iteratorINS9_11use_defaultEEESH_EEENSJ_IJSG_SI_EEENS0_18inequality_wrapperINS9_8equal_toIiEEEEPmJSH_EEE10hipError_tPvRmT3_T4_T5_T6_T7_T9_mT8_P12ihipStream_tbDpT10_ENKUlT_T0_E_clISt17integral_constantIbLb0EES1C_IbLb1EEEEDaS18_S19_EUlS18_E_NS1_11comp_targetILNS1_3genE9ELNS1_11target_archE1100ELNS1_3gpuE3ELNS1_3repE0EEENS1_30default_config_static_selectorELNS0_4arch9wavefront6targetE0EEEvT1_,@function
_ZN7rocprim17ROCPRIM_400000_NS6detail17trampoline_kernelINS0_14default_configENS1_25partition_config_selectorILNS1_17partition_subalgoE9EijbEEZZNS1_14partition_implILS5_9ELb0ES3_jN6thrust23THRUST_200600_302600_NS6detail15normal_iteratorINS9_10device_ptrIiEEEENSB_INSC_IjEEEEPNS0_10empty_typeENS0_5tupleIJNS9_16discard_iteratorINS9_11use_defaultEEESH_EEENSJ_IJSG_SI_EEENS0_18inequality_wrapperINS9_8equal_toIiEEEEPmJSH_EEE10hipError_tPvRmT3_T4_T5_T6_T7_T9_mT8_P12ihipStream_tbDpT10_ENKUlT_T0_E_clISt17integral_constantIbLb0EES1C_IbLb1EEEEDaS18_S19_EUlS18_E_NS1_11comp_targetILNS1_3genE9ELNS1_11target_archE1100ELNS1_3gpuE3ELNS1_3repE0EEENS1_30default_config_static_selectorELNS0_4arch9wavefront6targetE0EEEvT1_: ; @_ZN7rocprim17ROCPRIM_400000_NS6detail17trampoline_kernelINS0_14default_configENS1_25partition_config_selectorILNS1_17partition_subalgoE9EijbEEZZNS1_14partition_implILS5_9ELb0ES3_jN6thrust23THRUST_200600_302600_NS6detail15normal_iteratorINS9_10device_ptrIiEEEENSB_INSC_IjEEEEPNS0_10empty_typeENS0_5tupleIJNS9_16discard_iteratorINS9_11use_defaultEEESH_EEENSJ_IJSG_SI_EEENS0_18inequality_wrapperINS9_8equal_toIiEEEEPmJSH_EEE10hipError_tPvRmT3_T4_T5_T6_T7_T9_mT8_P12ihipStream_tbDpT10_ENKUlT_T0_E_clISt17integral_constantIbLb0EES1C_IbLb1EEEEDaS18_S19_EUlS18_E_NS1_11comp_targetILNS1_3genE9ELNS1_11target_archE1100ELNS1_3gpuE3ELNS1_3repE0EEENS1_30default_config_static_selectorELNS0_4arch9wavefront6targetE0EEEvT1_
; %bb.0:
	s_clause 0x5
	s_load_b128 s[4:7], s[0:1], 0x8
	s_load_b64 s[8:9], s[0:1], 0x18
	s_load_b64 s[10:11], s[0:1], 0x38
	s_load_b128 s[12:15], s[0:1], 0x48
	s_load_b64 s[18:19], s[0:1], 0x58
	s_load_b64 s[16:17], s[0:1], 0x68
	v_cmp_ne_u32_e64 s3, 0, v0
	v_cmp_eq_u32_e64 s2, 0, v0
	s_delay_alu instid0(VALU_DEP_1)
	s_and_saveexec_b32 s20, s2
	s_cbranch_execz .LBB1171_4
; %bb.1:
	s_mov_b32 s22, exec_lo
	s_mov_b32 s21, exec_lo
	v_mbcnt_lo_u32_b32 v1, s22, 0
                                        ; implicit-def: $vgpr2
	s_delay_alu instid0(VALU_DEP_1)
	v_cmpx_eq_u32_e32 0, v1
	s_cbranch_execz .LBB1171_3
; %bb.2:
	s_load_b64 s[24:25], s[0:1], 0x78
	s_bcnt1_i32_b32 s22, s22
	s_delay_alu instid0(SALU_CYCLE_1)
	v_dual_mov_b32 v2, 0 :: v_dual_mov_b32 v3, s22
	s_waitcnt lgkmcnt(0)
	global_atomic_add_u32 v2, v2, v3, s[24:25] glc
.LBB1171_3:
	s_or_b32 exec_lo, exec_lo, s21
	s_waitcnt vmcnt(0)
	v_readfirstlane_b32 s21, v2
	s_delay_alu instid0(VALU_DEP_1)
	v_dual_mov_b32 v2, 0 :: v_dual_add_nc_u32 v1, s21, v1
	ds_store_b32 v2, v1
.LBB1171_4:
	s_or_b32 exec_lo, exec_lo, s20
	v_dual_mov_b32 v1, 0 :: v_dual_add_nc_u32 v24, 0x300, v0
	s_waitcnt lgkmcnt(0)
	s_barrier
	buffer_gl0_inv
	ds_load_b32 v2, v1
	s_waitcnt lgkmcnt(0)
	s_barrier
	buffer_gl0_inv
	global_load_b64 v[9:10], v1, s[14:15]
	s_load_b32 s0, s[0:1], 0x70
	s_lshl_b64 s[14:15], s[6:7], 2
	v_lshrrev_b32_e32 v23, 3, v0
	s_add_u32 s23, s4, s14
	s_addc_u32 s24, s5, s15
	v_add_nc_u32_e32 v25, 0x180, v0
	v_add_nc_u32_e32 v22, 0x480, v0
	v_or_b32_e32 v20, 0x600, v0
	v_add_nc_u32_e32 v19, 0x780, v0
	v_add_nc_u32_e32 v14, 0x900, v0
	;; [unrolled: 1-line block ×3, first 2 shown]
	v_readfirstlane_b32 s20, v2
	s_waitcnt lgkmcnt(0)
	s_mul_i32 s1, s0, 0xc00
	s_delay_alu instid0(SALU_CYCLE_1) | instskip(NEXT) | instid1(SALU_CYCLE_1)
	s_add_i32 s4, s1, s6
	s_sub_i32 s21, s18, s4
	s_add_i32 s4, s0, -1
	s_addk_i32 s21, 0xc00
	s_add_u32 s0, s6, s1
	s_addc_u32 s1, s7, 0
	s_cmp_eq_u32 s20, s4
	v_cmp_ge_u64_e64 s5, s[0:1], s[18:19]
	s_cselect_b32 s18, -1, 0
	s_mul_i32 s0, s20, 0xc00
	s_mov_b32 s1, 0
	s_delay_alu instid0(VALU_DEP_1)
	s_and_b32 s22, s5, s18
	s_lshl_b64 s[4:5], s[0:1], 2
	s_xor_b32 s19, s22, -1
	s_add_u32 s23, s23, s4
	s_addc_u32 s1, s24, s5
	s_and_b32 vcc_lo, exec_lo, s19
	s_mov_b32 s24, -1
	s_cbranch_vccz .LBB1171_6
; %bb.5:
	v_lshlrev_b32_e32 v7, 2, v0
	v_lshrrev_b32_e32 v15, 3, v25
	v_lshrrev_b32_e32 v16, 3, v24
	v_lshrrev_b32_e32 v17, 3, v22
	v_lshrrev_b32_e32 v18, 3, v20
	v_add_co_u32 v1, s0, s23, v7
	s_delay_alu instid0(VALU_DEP_1) | instskip(SKIP_1) | instid1(VALU_DEP_3)
	v_add_co_ci_u32_e64 v2, null, s1, 0, s0
	v_lshrrev_b32_e32 v21, 3, v19
	v_add_co_u32 v3, vcc_lo, 0x1000, v1
	s_delay_alu instid0(VALU_DEP_3)
	v_add_co_ci_u32_e32 v4, vcc_lo, 0, v2, vcc_lo
	v_add_co_u32 v5, vcc_lo, 0x2000, v1
	v_add_co_ci_u32_e32 v6, vcc_lo, 0, v2, vcc_lo
	s_clause 0x7
	flat_load_b32 v8, v[1:2]
	flat_load_b32 v11, v[1:2] offset:1536
	flat_load_b32 v1, v[1:2] offset:3072
	;; [unrolled: 1-line block ×7, first 2 shown]
	v_and_b32_e32 v6, 60, v23
	v_lshrrev_b32_e32 v26, 3, v14
	v_lshrrev_b32_e32 v27, 3, v13
	v_and_b32_e32 v15, 0x7c, v15
	v_and_b32_e32 v16, 0xfc, v16
	;; [unrolled: 1-line block ×4, first 2 shown]
	v_add_nc_u32_e32 v6, v6, v7
	v_and_b32_e32 v21, 0x1fc, v21
	v_and_b32_e32 v26, 0x17c, v26
	;; [unrolled: 1-line block ×3, first 2 shown]
	v_add_nc_u32_e32 v15, v15, v7
	v_add_nc_u32_e32 v16, v16, v7
	;; [unrolled: 1-line block ×4, first 2 shown]
	s_mov_b32 s24, 0
	v_add_nc_u32_e32 v21, v21, v7
	v_add_nc_u32_e32 v26, v26, v7
	;; [unrolled: 1-line block ×3, first 2 shown]
	s_waitcnt vmcnt(7) lgkmcnt(7)
	ds_store_b32 v6, v8
	s_waitcnt vmcnt(6) lgkmcnt(7)
	ds_store_b32 v15, v11 offset:1536
	s_waitcnt vmcnt(5) lgkmcnt(7)
	ds_store_b32 v16, v1 offset:3072
	s_waitcnt vmcnt(4) lgkmcnt(7)
	ds_store_b32 v17, v2 offset:4608
	s_waitcnt vmcnt(3) lgkmcnt(7)
	ds_store_b32 v18, v12 offset:6144
	s_waitcnt vmcnt(2) lgkmcnt(7)
	ds_store_b32 v21, v3 offset:7680
	s_waitcnt vmcnt(1) lgkmcnt(7)
	ds_store_b32 v26, v4 offset:9216
	s_waitcnt vmcnt(0) lgkmcnt(7)
	ds_store_b32 v7, v5 offset:10752
	s_waitcnt lgkmcnt(0)
	s_barrier
.LBB1171_6:
	v_cmp_gt_u32_e64 s0, s21, v0
	s_and_not1_b32 vcc_lo, exec_lo, s24
	s_cbranch_vccnz .LBB1171_24
; %bb.7:
                                        ; implicit-def: $vgpr1_vgpr2_vgpr3_vgpr4_vgpr5_vgpr6_vgpr7_vgpr8
	s_delay_alu instid0(VALU_DEP_1)
	s_and_saveexec_b32 s24, s0
	s_cbranch_execz .LBB1171_15
; %bb.8:
	v_lshlrev_b32_e32 v1, 2, v0
	s_delay_alu instid0(VALU_DEP_1) | instskip(NEXT) | instid1(VALU_DEP_1)
	v_add_co_u32 v1, s0, s23, v1
	v_add_co_ci_u32_e64 v2, null, s1, 0, s0
	flat_load_b32 v1, v[1:2]
	s_or_b32 exec_lo, exec_lo, s24
	s_delay_alu instid0(SALU_CYCLE_1)
	s_mov_b32 s0, exec_lo
	v_cmpx_gt_u32_e64 s21, v25
	s_cbranch_execnz .LBB1171_16
.LBB1171_9:
	s_or_b32 exec_lo, exec_lo, s0
	s_delay_alu instid0(SALU_CYCLE_1)
	s_mov_b32 s0, exec_lo
	v_cmpx_gt_u32_e64 s21, v24
	s_cbranch_execz .LBB1171_17
.LBB1171_10:
	v_lshlrev_b32_e32 v3, 2, v0
	s_delay_alu instid0(VALU_DEP_1) | instskip(NEXT) | instid1(VALU_DEP_1)
	v_add_co_u32 v11, s24, s23, v3
	v_add_co_ci_u32_e64 v12, null, s1, 0, s24
	flat_load_b32 v3, v[11:12] offset:3072
	s_or_b32 exec_lo, exec_lo, s0
	s_delay_alu instid0(SALU_CYCLE_1)
	s_mov_b32 s0, exec_lo
	v_cmpx_gt_u32_e64 s21, v22
	s_cbranch_execnz .LBB1171_18
.LBB1171_11:
	s_or_b32 exec_lo, exec_lo, s0
	s_delay_alu instid0(SALU_CYCLE_1)
	s_mov_b32 s0, exec_lo
	v_cmpx_gt_u32_e64 s21, v20
	s_cbranch_execz .LBB1171_19
.LBB1171_12:
	v_lshlrev_b32_e32 v5, 2, v20
	s_delay_alu instid0(VALU_DEP_1) | instskip(NEXT) | instid1(VALU_DEP_1)
	v_add_co_u32 v11, s24, s23, v5
	v_add_co_ci_u32_e64 v12, null, s1, 0, s24
	flat_load_b32 v5, v[11:12]
	s_or_b32 exec_lo, exec_lo, s0
	s_delay_alu instid0(SALU_CYCLE_1)
	s_mov_b32 s0, exec_lo
	v_cmpx_gt_u32_e64 s21, v19
	s_cbranch_execnz .LBB1171_20
.LBB1171_13:
	s_or_b32 exec_lo, exec_lo, s0
	s_delay_alu instid0(SALU_CYCLE_1)
	s_mov_b32 s0, exec_lo
	v_cmpx_gt_u32_e64 s21, v14
	s_cbranch_execz .LBB1171_21
.LBB1171_14:
	v_lshlrev_b32_e32 v7, 2, v14
	s_delay_alu instid0(VALU_DEP_1) | instskip(NEXT) | instid1(VALU_DEP_1)
	v_add_co_u32 v11, s24, s23, v7
	v_add_co_ci_u32_e64 v12, null, s1, 0, s24
	flat_load_b32 v7, v[11:12]
	s_or_b32 exec_lo, exec_lo, s0
	s_delay_alu instid0(SALU_CYCLE_1)
	s_mov_b32 s0, exec_lo
	v_cmpx_gt_u32_e64 s21, v13
	s_cbranch_execnz .LBB1171_22
	s_branch .LBB1171_23
.LBB1171_15:
	s_or_b32 exec_lo, exec_lo, s24
	s_delay_alu instid0(SALU_CYCLE_1)
	s_mov_b32 s0, exec_lo
	v_cmpx_gt_u32_e64 s21, v25
	s_cbranch_execz .LBB1171_9
.LBB1171_16:
	v_lshlrev_b32_e32 v2, 2, v0
	s_delay_alu instid0(VALU_DEP_1) | instskip(NEXT) | instid1(VALU_DEP_1)
	v_add_co_u32 v11, s24, s23, v2
	v_add_co_ci_u32_e64 v12, null, s1, 0, s24
	flat_load_b32 v2, v[11:12] offset:1536
	s_or_b32 exec_lo, exec_lo, s0
	s_delay_alu instid0(SALU_CYCLE_1)
	s_mov_b32 s0, exec_lo
	v_cmpx_gt_u32_e64 s21, v24
	s_cbranch_execnz .LBB1171_10
.LBB1171_17:
	s_or_b32 exec_lo, exec_lo, s0
	s_delay_alu instid0(SALU_CYCLE_1)
	s_mov_b32 s0, exec_lo
	v_cmpx_gt_u32_e64 s21, v22
	s_cbranch_execz .LBB1171_11
.LBB1171_18:
	v_lshlrev_b32_e32 v4, 2, v22
	s_delay_alu instid0(VALU_DEP_1) | instskip(NEXT) | instid1(VALU_DEP_1)
	v_add_co_u32 v11, s24, s23, v4
	v_add_co_ci_u32_e64 v12, null, s1, 0, s24
	flat_load_b32 v4, v[11:12]
	s_or_b32 exec_lo, exec_lo, s0
	s_delay_alu instid0(SALU_CYCLE_1)
	s_mov_b32 s0, exec_lo
	v_cmpx_gt_u32_e64 s21, v20
	s_cbranch_execnz .LBB1171_12
.LBB1171_19:
	s_or_b32 exec_lo, exec_lo, s0
	s_delay_alu instid0(SALU_CYCLE_1)
	s_mov_b32 s0, exec_lo
	v_cmpx_gt_u32_e64 s21, v19
	s_cbranch_execz .LBB1171_13
.LBB1171_20:
	v_lshlrev_b32_e32 v6, 2, v19
	s_delay_alu instid0(VALU_DEP_1) | instskip(NEXT) | instid1(VALU_DEP_1)
	v_add_co_u32 v11, s24, s23, v6
	v_add_co_ci_u32_e64 v12, null, s1, 0, s24
	flat_load_b32 v6, v[11:12]
	s_or_b32 exec_lo, exec_lo, s0
	s_delay_alu instid0(SALU_CYCLE_1)
	s_mov_b32 s0, exec_lo
	v_cmpx_gt_u32_e64 s21, v14
	s_cbranch_execnz .LBB1171_14
.LBB1171_21:
	s_or_b32 exec_lo, exec_lo, s0
	s_delay_alu instid0(SALU_CYCLE_1)
	s_mov_b32 s0, exec_lo
	v_cmpx_gt_u32_e64 s21, v13
	s_cbranch_execz .LBB1171_23
.LBB1171_22:
	v_lshlrev_b32_e32 v8, 2, v13
	s_delay_alu instid0(VALU_DEP_1) | instskip(NEXT) | instid1(VALU_DEP_1)
	v_add_co_u32 v11, s24, s23, v8
	v_add_co_ci_u32_e64 v12, null, s1, 0, s24
	flat_load_b32 v8, v[11:12]
.LBB1171_23:
	s_or_b32 exec_lo, exec_lo, s0
	v_lshrrev_b32_e32 v11, 3, v25
	v_lshrrev_b32_e32 v12, 3, v24
	;; [unrolled: 1-line block ×4, first 2 shown]
	v_and_b32_e32 v15, 60, v23
	v_lshlrev_b32_e32 v16, 2, v0
	v_lshrrev_b32_e32 v21, 3, v19
	v_lshrrev_b32_e32 v26, 3, v14
	;; [unrolled: 1-line block ×3, first 2 shown]
	v_and_b32_e32 v11, 0x7c, v11
	v_and_b32_e32 v12, 0xfc, v12
	;; [unrolled: 1-line block ×4, first 2 shown]
	v_add_nc_u32_e32 v15, v15, v16
	v_and_b32_e32 v21, 0x1fc, v21
	v_and_b32_e32 v26, 0x1fc, v26
	;; [unrolled: 1-line block ×3, first 2 shown]
	v_add_nc_u32_e32 v11, v11, v16
	v_add_nc_u32_e32 v12, v12, v16
	v_add_nc_u32_e32 v17, v17, v16
	v_add_nc_u32_e32 v18, v18, v16
	v_add_nc_u32_e32 v21, v21, v16
	v_add_nc_u32_e32 v26, v26, v16
	v_add_nc_u32_e32 v16, v27, v16
	s_waitcnt vmcnt(0) lgkmcnt(0)
	ds_store_b32 v15, v1
	ds_store_b32 v11, v2 offset:1536
	ds_store_b32 v12, v3 offset:3072
	;; [unrolled: 1-line block ×7, first 2 shown]
	s_waitcnt lgkmcnt(0)
	s_barrier
.LBB1171_24:
	v_lshlrev_b32_e32 v21, 3, v0
	v_lshrrev_b32_e32 v1, 2, v0
	s_waitcnt vmcnt(0)
	buffer_gl0_inv
	s_add_u32 s0, s8, s14
	s_addc_u32 s8, s9, s15
	s_add_u32 s0, s0, s4
	v_add_lshl_u32 v1, v1, v21, 2
	s_addc_u32 s4, s8, s5
	s_and_b32 vcc_lo, exec_lo, s19
	s_mov_b32 s5, -1
	ds_load_2addr_b32 v[17:18], v1 offset1:1
	ds_load_2addr_b32 v[15:16], v1 offset0:2 offset1:3
	ds_load_2addr_b32 v[11:12], v1 offset0:4 offset1:5
	;; [unrolled: 1-line block ×3, first 2 shown]
	s_waitcnt lgkmcnt(0)
	s_barrier
	buffer_gl0_inv
	s_cbranch_vccz .LBB1171_26
; %bb.25:
	v_lshlrev_b32_e32 v4, 2, v0
	v_lshrrev_b32_e32 v31, 3, v25
	v_lshrrev_b32_e32 v32, 3, v24
	;; [unrolled: 1-line block ×4, first 2 shown]
	v_add_co_u32 v2, s5, s0, v4
	s_delay_alu instid0(VALU_DEP_1) | instskip(SKIP_1) | instid1(VALU_DEP_3)
	v_add_co_ci_u32_e64 v3, null, s4, 0, s5
	v_lshrrev_b32_e32 v35, 3, v19
	v_add_co_u32 v7, vcc_lo, 0x1000, v2
	s_delay_alu instid0(VALU_DEP_3)
	v_add_co_ci_u32_e32 v8, vcc_lo, 0, v3, vcc_lo
	v_add_co_u32 v26, vcc_lo, 0x2000, v2
	v_add_co_ci_u32_e32 v27, vcc_lo, 0, v3, vcc_lo
	s_clause 0x7
	flat_load_b32 v28, v[2:3]
	flat_load_b32 v29, v[2:3] offset:1536
	flat_load_b32 v2, v[2:3] offset:3072
	;; [unrolled: 1-line block ×7, first 2 shown]
	v_and_b32_e32 v27, 60, v23
	v_lshrrev_b32_e32 v36, 3, v14
	v_lshrrev_b32_e32 v37, 3, v13
	v_and_b32_e32 v31, 0x7c, v31
	v_and_b32_e32 v32, 0xfc, v32
	;; [unrolled: 1-line block ×4, first 2 shown]
	v_add_nc_u32_e32 v27, v27, v4
	v_and_b32_e32 v35, 0x1fc, v35
	v_and_b32_e32 v36, 0x17c, v36
	;; [unrolled: 1-line block ×3, first 2 shown]
	v_add_nc_u32_e32 v31, v31, v4
	v_add_nc_u32_e32 v32, v32, v4
	;; [unrolled: 1-line block ×4, first 2 shown]
	s_mov_b32 s5, 0
	v_add_nc_u32_e32 v35, v35, v4
	v_add_nc_u32_e32 v36, v36, v4
	;; [unrolled: 1-line block ×3, first 2 shown]
	s_waitcnt vmcnt(7) lgkmcnt(7)
	ds_store_b32 v27, v28
	s_waitcnt vmcnt(6) lgkmcnt(7)
	ds_store_b32 v31, v29 offset:1536
	s_waitcnt vmcnt(5) lgkmcnt(7)
	ds_store_b32 v32, v2 offset:3072
	;; [unrolled: 2-line block ×7, first 2 shown]
	s_waitcnt lgkmcnt(0)
	s_barrier
.LBB1171_26:
	s_and_not1_b32 vcc_lo, exec_lo, s5
	s_cbranch_vccnz .LBB1171_44
; %bb.27:
	s_mov_b32 s5, exec_lo
                                        ; implicit-def: $vgpr2
	v_cmpx_gt_u32_e64 s21, v0
	s_cbranch_execz .LBB1171_29
; %bb.28:
	v_lshlrev_b32_e32 v2, 2, v0
	s_delay_alu instid0(VALU_DEP_1) | instskip(NEXT) | instid1(VALU_DEP_1)
	v_add_co_u32 v2, s8, s0, v2
	v_add_co_ci_u32_e64 v3, null, s4, 0, s8
	flat_load_b32 v2, v[2:3]
.LBB1171_29:
	s_or_b32 exec_lo, exec_lo, s5
	s_delay_alu instid0(SALU_CYCLE_1)
	s_mov_b32 s5, exec_lo
                                        ; implicit-def: $vgpr3
	v_cmpx_gt_u32_e64 s21, v25
	s_cbranch_execz .LBB1171_31
; %bb.30:
	v_lshlrev_b32_e32 v3, 2, v0
	s_delay_alu instid0(VALU_DEP_1) | instskip(NEXT) | instid1(VALU_DEP_1)
	v_add_co_u32 v3, s8, s0, v3
	v_add_co_ci_u32_e64 v4, null, s4, 0, s8
	flat_load_b32 v3, v[3:4] offset:1536
.LBB1171_31:
	s_or_b32 exec_lo, exec_lo, s5
	s_delay_alu instid0(SALU_CYCLE_1)
	s_mov_b32 s5, exec_lo
                                        ; implicit-def: $vgpr4
	v_cmpx_gt_u32_e64 s21, v24
	s_cbranch_execz .LBB1171_33
; %bb.32:
	v_lshlrev_b32_e32 v4, 2, v0
	s_delay_alu instid0(VALU_DEP_1) | instskip(NEXT) | instid1(VALU_DEP_1)
	v_add_co_u32 v7, s8, s0, v4
	v_add_co_ci_u32_e64 v8, null, s4, 0, s8
	flat_load_b32 v4, v[7:8] offset:3072
.LBB1171_33:
	s_or_b32 exec_lo, exec_lo, s5
	s_delay_alu instid0(SALU_CYCLE_1)
	s_mov_b32 s5, exec_lo
                                        ; implicit-def: $vgpr7
	v_cmpx_gt_u32_e64 s21, v22
	s_cbranch_execz .LBB1171_35
; %bb.34:
	v_lshlrev_b32_e32 v7, 2, v22
	s_delay_alu instid0(VALU_DEP_1) | instskip(NEXT) | instid1(VALU_DEP_1)
	v_add_co_u32 v7, s8, s0, v7
	v_add_co_ci_u32_e64 v8, null, s4, 0, s8
	flat_load_b32 v7, v[7:8]
.LBB1171_35:
	s_or_b32 exec_lo, exec_lo, s5
	s_delay_alu instid0(SALU_CYCLE_1)
	s_mov_b32 s5, exec_lo
                                        ; implicit-def: $vgpr8
	v_cmpx_gt_u32_e64 s21, v20
	s_cbranch_execz .LBB1171_37
; %bb.36:
	v_lshlrev_b32_e32 v8, 2, v20
	s_delay_alu instid0(VALU_DEP_1) | instskip(NEXT) | instid1(VALU_DEP_1)
	v_add_co_u32 v26, s8, s0, v8
	v_add_co_ci_u32_e64 v27, null, s4, 0, s8
	flat_load_b32 v8, v[26:27]
.LBB1171_37:
	s_or_b32 exec_lo, exec_lo, s5
	s_delay_alu instid0(SALU_CYCLE_1)
	s_mov_b32 s5, exec_lo
                                        ; implicit-def: $vgpr26
	v_cmpx_gt_u32_e64 s21, v19
	s_cbranch_execz .LBB1171_39
; %bb.38:
	v_lshlrev_b32_e32 v26, 2, v19
	s_delay_alu instid0(VALU_DEP_1) | instskip(NEXT) | instid1(VALU_DEP_1)
	v_add_co_u32 v26, s8, s0, v26
	v_add_co_ci_u32_e64 v27, null, s4, 0, s8
	flat_load_b32 v26, v[26:27]
.LBB1171_39:
	s_or_b32 exec_lo, exec_lo, s5
	s_delay_alu instid0(SALU_CYCLE_1)
	s_mov_b32 s5, exec_lo
                                        ; implicit-def: $vgpr27
	v_cmpx_gt_u32_e64 s21, v14
	s_cbranch_execz .LBB1171_41
; %bb.40:
	v_lshlrev_b32_e32 v27, 2, v14
	s_delay_alu instid0(VALU_DEP_1) | instskip(NEXT) | instid1(VALU_DEP_1)
	v_add_co_u32 v27, s8, s0, v27
	v_add_co_ci_u32_e64 v28, null, s4, 0, s8
	flat_load_b32 v27, v[27:28]
.LBB1171_41:
	s_or_b32 exec_lo, exec_lo, s5
	s_delay_alu instid0(SALU_CYCLE_1)
	s_mov_b32 s5, exec_lo
                                        ; implicit-def: $vgpr28
	v_cmpx_gt_u32_e64 s21, v13
	s_cbranch_execz .LBB1171_43
; %bb.42:
	v_lshlrev_b32_e32 v28, 2, v13
	s_delay_alu instid0(VALU_DEP_1) | instskip(NEXT) | instid1(VALU_DEP_1)
	v_add_co_u32 v28, s0, s0, v28
	v_add_co_ci_u32_e64 v29, null, s4, 0, s0
	flat_load_b32 v28, v[28:29]
.LBB1171_43:
	s_or_b32 exec_lo, exec_lo, s5
	v_lshrrev_b32_e32 v25, 3, v25
	v_lshrrev_b32_e32 v24, 3, v24
	;; [unrolled: 1-line block ×4, first 2 shown]
	v_and_b32_e32 v23, 60, v23
	v_lshlrev_b32_e32 v29, 2, v0
	v_lshrrev_b32_e32 v19, 3, v19
	v_lshrrev_b32_e32 v14, 3, v14
	;; [unrolled: 1-line block ×3, first 2 shown]
	v_and_b32_e32 v25, 0x7c, v25
	v_and_b32_e32 v24, 0xfc, v24
	;; [unrolled: 1-line block ×4, first 2 shown]
	v_add_nc_u32_e32 v23, v23, v29
	v_and_b32_e32 v19, 0x1fc, v19
	v_and_b32_e32 v14, 0x1fc, v14
	;; [unrolled: 1-line block ×3, first 2 shown]
	v_add_nc_u32_e32 v25, v25, v29
	v_add_nc_u32_e32 v24, v24, v29
	;; [unrolled: 1-line block ×7, first 2 shown]
	s_waitcnt vmcnt(0) lgkmcnt(0)
	ds_store_b32 v23, v2
	ds_store_b32 v25, v3 offset:1536
	ds_store_b32 v24, v4 offset:3072
	ds_store_b32 v22, v7 offset:4608
	ds_store_b32 v20, v8 offset:6144
	ds_store_b32 v19, v26 offset:7680
	ds_store_b32 v14, v27 offset:9216
	ds_store_b32 v13, v28 offset:10752
	s_waitcnt lgkmcnt(0)
	s_barrier
.LBB1171_44:
	buffer_gl0_inv
	ds_load_2addr_b32 v[13:14], v1 offset1:1
	ds_load_2addr_b32 v[7:8], v1 offset0:2 offset1:3
	ds_load_2addr_b32 v[3:4], v1 offset0:4 offset1:5
	;; [unrolled: 1-line block ×3, first 2 shown]
	s_cmp_lg_u32 s20, 0
	s_mov_b32 s14, 0
	s_cselect_b32 s9, -1, 0
	s_cmp_lg_u64 s[6:7], 0
	s_waitcnt lgkmcnt(0)
	s_cselect_b32 s0, -1, 0
	s_barrier
	s_or_b32 s0, s0, s9
	buffer_gl0_inv
	s_and_b32 vcc_lo, exec_lo, s0
	s_cbranch_vccz .LBB1171_49
; %bb.45:
	v_add_co_u32 v19, s0, -4, s23
	s_delay_alu instid0(VALU_DEP_1)
	v_add_co_ci_u32_e64 v20, null, -1, s1, s0
	v_lshlrev_b32_e32 v23, 2, v0
	s_mov_b32 s1, -1
	s_and_b32 vcc_lo, exec_lo, s19
	flat_load_b32 v22, v[19:20]
	ds_store_b32 v23, v6
	s_cbranch_vccz .LBB1171_50
; %bb.46:
	s_waitcnt vmcnt(0) lgkmcnt(1)
	v_mov_b32_e32 v19, v22
	s_waitcnt lgkmcnt(0)
	s_barrier
	buffer_gl0_inv
	s_and_saveexec_b32 s0, s3
	s_cbranch_execz .LBB1171_48
; %bb.47:
	v_add_nc_u32_e32 v19, -4, v23
	ds_load_b32 v19, v19
.LBB1171_48:
	s_or_b32 exec_lo, exec_lo, s0
	v_cmp_ne_u32_e32 vcc_lo, v5, v6
	s_waitcnt lgkmcnt(0)
	v_cmp_ne_u32_e64 s0, v19, v17
	v_cndmask_b32_e64 v20, 0, 1, vcc_lo
	v_cmp_ne_u32_e32 vcc_lo, v12, v5
	s_delay_alu instid0(VALU_DEP_2) | instskip(SKIP_2) | instid1(VALU_DEP_2)
	v_lshlrev_b16 v20, 8, v20
	v_cndmask_b32_e64 v24, 0, 1, vcc_lo
	v_cmp_ne_u32_e32 vcc_lo, v11, v12
	v_or_b32_e32 v20, v24, v20
	v_cndmask_b32_e64 v25, 0, 1, vcc_lo
	v_cmp_ne_u32_e32 vcc_lo, v15, v16
	s_delay_alu instid0(VALU_DEP_3) | instskip(NEXT) | instid1(VALU_DEP_3)
	v_lshlrev_b32_e32 v20, 16, v20
	v_lshlrev_b16 v25, 8, v25
	v_cndmask_b32_e64 v26, 0, 1, vcc_lo
	v_cmp_ne_u32_e32 vcc_lo, v16, v11
	s_delay_alu instid0(VALU_DEP_2) | instskip(SKIP_2) | instid1(VALU_DEP_2)
	v_lshlrev_b16 v26, 8, v26
	v_cndmask_b32_e64 v27, 0, 1, vcc_lo
	v_cmp_ne_u32_e32 vcc_lo, v18, v15
	v_or_b32_e32 v25, v27, v25
	v_cndmask_b32_e64 v28, 0, 1, vcc_lo
	v_cmp_ne_u32_e32 vcc_lo, v17, v18
	s_delay_alu instid0(VALU_DEP_3) | instskip(NEXT) | instid1(VALU_DEP_3)
	v_and_b32_e32 v25, 0xffff, v25
	v_or_b32_e32 v26, v28, v26
	v_cndmask_b32_e64 v29, 0, 1, vcc_lo
	s_delay_alu instid0(VALU_DEP_3) | instskip(NEXT) | instid1(VALU_DEP_3)
	v_or_b32_e32 v20, v25, v20
	v_lshlrev_b32_e32 v24, 16, v26
	s_delay_alu instid0(VALU_DEP_3) | instskip(NEXT) | instid1(VALU_DEP_1)
	v_lshlrev_b16 v28, 8, v29
	v_and_b32_e32 v26, 0xffff, v28
	s_delay_alu instid0(VALU_DEP_1)
	v_or_b32_e32 v19, v26, v24
	s_branch .LBB1171_54
.LBB1171_49:
                                        ; implicit-def: $sgpr0
                                        ; implicit-def: $vgpr20
	s_branch .LBB1171_55
.LBB1171_50:
                                        ; implicit-def: $sgpr0
                                        ; implicit-def: $vgpr20
	s_and_b32 vcc_lo, exec_lo, s1
	s_cbranch_vccz .LBB1171_54
; %bb.51:
	s_waitcnt vmcnt(0) lgkmcnt(0)
	s_barrier
	buffer_gl0_inv
	s_and_saveexec_b32 s0, s3
	s_cbranch_execz .LBB1171_53
; %bb.52:
	v_add_nc_u32_e32 v19, -4, v23
	ds_load_b32 v22, v19
.LBB1171_53:
	s_or_b32 exec_lo, exec_lo, s0
	v_or_b32_e32 v19, 7, v21
	v_or_b32_e32 v20, 6, v21
	;; [unrolled: 1-line block ×3, first 2 shown]
	v_cmp_ne_u32_e32 vcc_lo, v5, v6
	v_cmp_ne_u32_e64 s1, v12, v5
	v_cmp_gt_u32_e64 s0, s21, v19
	v_cmp_gt_u32_e64 s5, s21, v20
	v_cmp_ne_u32_e64 s4, v11, v12
	v_cmp_gt_u32_e64 s6, s21, v23
	v_or_b32_e32 v20, 3, v21
	s_and_b32 s0, s0, vcc_lo
	v_or_b32_e32 v24, 4, v21
	v_cndmask_b32_e64 v19, 0, 1, s0
	s_and_b32 s0, s5, s1
	v_cmp_gt_u32_e32 vcc_lo, s21, v20
	v_cndmask_b32_e64 v23, 0, 1, s0
	s_and_b32 s0, s6, s4
	v_or_b32_e32 v20, 2, v21
	v_cndmask_b32_e64 v25, 0, 1, s0
	v_cmp_ne_u32_e64 s0, v15, v16
	v_cmp_gt_u32_e64 s1, s21, v24
	v_or_b32_e32 v24, 1, v21
	v_cmp_ne_u32_e64 s4, v16, v11
	v_cmp_ne_u32_e64 s6, v17, v18
	s_and_b32 s0, vcc_lo, s0
	v_cmp_gt_u32_e32 vcc_lo, s21, v20
	v_cndmask_b32_e64 v26, 0, 1, s0
	v_cmp_ne_u32_e64 s0, v18, v15
	v_cmp_gt_u32_e64 s5, s21, v24
	s_and_b32 s1, s1, s4
	v_lshlrev_b16 v25, 8, v25
	v_cndmask_b32_e64 v20, 0, 1, s1
	s_and_b32 s0, vcc_lo, s0
	v_lshlrev_b16 v26, 8, v26
	v_cndmask_b32_e64 v24, 0, 1, s0
	s_and_b32 s0, s5, s6
	v_lshlrev_b16 v19, 8, v19
	v_cndmask_b32_e64 v27, 0, 1, s0
	v_or_b32_e32 v20, v20, v25
	v_or_b32_e32 v24, v24, v26
	v_cmp_gt_u32_e32 vcc_lo, s21, v21
	v_or_b32_e32 v19, v23, v19
	v_lshlrev_b16 v26, 8, v27
	v_and_b32_e32 v20, 0xffff, v20
	v_lshlrev_b32_e32 v23, 16, v24
	s_waitcnt lgkmcnt(0)
	v_cmp_ne_u32_e64 s0, v22, v17
	v_lshlrev_b32_e32 v25, 16, v19
	v_and_b32_e32 v24, 0xffff, v26
	s_delay_alu instid0(VALU_DEP_3) | instskip(NEXT) | instid1(VALU_DEP_2)
	s_and_b32 s0, vcc_lo, s0
	v_or_b32_e32 v20, v20, v25
	s_delay_alu instid0(VALU_DEP_2)
	v_or_b32_e32 v19, v24, v23
.LBB1171_54:
	s_mov_b32 s14, -1
	s_cbranch_execnz .LBB1171_63
.LBB1171_55:
	s_waitcnt vmcnt(0) lgkmcnt(1)
	v_lshlrev_b32_e32 v22, 2, v0
	v_cmp_ne_u32_e64 s1, v5, v6
	v_cmp_ne_u32_e64 s4, v12, v5
	;; [unrolled: 1-line block ×7, first 2 shown]
	s_and_b32 vcc_lo, exec_lo, s19
	ds_store_b32 v22, v6
	s_cbranch_vccz .LBB1171_59
; %bb.56:
	v_cndmask_b32_e64 v19, 0, 1, s1
	v_cndmask_b32_e64 v23, 0, 1, s5
	;; [unrolled: 1-line block ×7, first 2 shown]
	v_lshlrev_b16 v23, 8, v23
	v_lshlrev_b16 v19, 8, v19
	;; [unrolled: 1-line block ×4, first 2 shown]
	s_waitcnt lgkmcnt(0)
	v_or_b32_e32 v23, v24, v23
	v_or_b32_e32 v19, v20, v19
	;; [unrolled: 1-line block ×4, first 2 shown]
	s_barrier
	v_and_b32_e32 v23, 0xffff, v23
	v_lshlrev_b32_e32 v19, 16, v19
	v_lshlrev_b32_e32 v25, 16, v20
	v_and_b32_e32 v24, 0xffff, v24
	buffer_gl0_inv
                                        ; implicit-def: $sgpr0
	v_or_b32_e32 v20, v23, v19
	v_or_b32_e32 v19, v24, v25
	s_and_saveexec_b32 s1, s3
	s_delay_alu instid0(SALU_CYCLE_1)
	s_xor_b32 s1, exec_lo, s1
	s_cbranch_execz .LBB1171_58
; %bb.57:
	v_add_nc_u32_e32 v23, -4, v22
	s_or_b32 s14, s14, exec_lo
	ds_load_b32 v23, v23
	s_waitcnt lgkmcnt(0)
	v_cmp_ne_u32_e32 vcc_lo, v23, v17
	s_and_b32 s0, vcc_lo, exec_lo
.LBB1171_58:
	s_or_b32 exec_lo, exec_lo, s1
	s_branch .LBB1171_63
.LBB1171_59:
                                        ; implicit-def: $sgpr0
                                        ; implicit-def: $vgpr20
	s_cbranch_execz .LBB1171_63
; %bb.60:
	v_or_b32_e32 v19, 7, v21
	v_or_b32_e32 v20, 6, v21
	v_cmp_ne_u32_e32 vcc_lo, v5, v6
	v_cmp_ne_u32_e64 s1, v12, v5
	v_or_b32_e32 v23, 5, v21
	v_cmp_gt_u32_e64 s0, s21, v19
	v_cmp_gt_u32_e64 s4, s21, v20
	v_or_b32_e32 v19, 4, v21
	v_or_b32_e32 v24, 3, v21
	v_cmp_gt_u32_e64 s5, s21, v23
	s_and_b32 s0, s0, vcc_lo
	v_cmp_ne_u32_e32 vcc_lo, v11, v12
	v_cndmask_b32_e64 v20, 0, 1, s0
	s_and_b32 s0, s4, s1
	v_cmp_ne_u32_e64 s1, v16, v11
	v_cndmask_b32_e64 v23, 0, 1, s0
	v_cmp_gt_u32_e64 s0, s21, v19
	v_or_b32_e32 v25, 1, v21
	s_and_b32 s4, s5, vcc_lo
	v_cmp_gt_u32_e32 vcc_lo, s21, v24
	v_cndmask_b32_e64 v19, 0, 1, s4
	s_and_b32 s0, s0, s1
	v_or_b32_e32 v27, 2, v21
	v_cndmask_b32_e64 v26, 0, 1, s0
	v_cmp_ne_u32_e64 s0, v15, v16
	v_cmp_gt_u32_e64 s1, s21, v25
	v_cmp_ne_u32_e64 s4, v17, v18
	v_cmp_gt_u32_e64 s5, s21, v27
	v_cmp_ne_u32_e64 s6, v18, v15
	s_and_b32 s0, vcc_lo, s0
	v_lshlrev_b16 v19, 8, v19
	v_cndmask_b32_e64 v24, 0, 1, s0
	s_and_b32 s0, s1, s4
	v_lshlrev_b16 v20, 8, v20
	v_cndmask_b32_e64 v25, 0, 1, s0
	s_and_b32 s0, s5, s6
	v_lshlrev_b16 v24, 8, v24
	v_cndmask_b32_e64 v27, 0, 1, s0
	v_or_b32_e32 v19, v26, v19
	v_lshlrev_b16 v25, 8, v25
	v_or_b32_e32 v20, v23, v20
	s_waitcnt lgkmcnt(0)
	v_or_b32_e32 v23, v27, v24
	v_and_b32_e32 v19, 0xffff, v19
	v_or_b32_e32 v24, 1, v25
	v_lshlrev_b32_e32 v20, 16, v20
	s_barrier
	v_lshlrev_b32_e32 v23, 16, v23
	buffer_gl0_inv
	v_and_b32_e32 v24, 0xffff, v24
	v_or_b32_e32 v20, v19, v20
                                        ; implicit-def: $sgpr0
	s_delay_alu instid0(VALU_DEP_2)
	v_or_b32_e32 v19, v24, v23
	s_and_saveexec_b32 s1, s3
	s_cbranch_execz .LBB1171_62
; %bb.61:
	v_add_nc_u32_e32 v22, -4, v22
	v_cmp_gt_u32_e32 vcc_lo, s21, v21
	s_or_b32 s14, s14, exec_lo
	ds_load_b32 v22, v22
	s_waitcnt lgkmcnt(0)
	v_cmp_ne_u32_e64 s0, v22, v17
	s_delay_alu instid0(VALU_DEP_1) | instskip(NEXT) | instid1(SALU_CYCLE_1)
	s_and_b32 s0, vcc_lo, s0
	s_and_b32 s0, s0, exec_lo
.LBB1171_62:
	s_or_b32 exec_lo, exec_lo, s1
.LBB1171_63:
	s_and_saveexec_b32 s1, s14
	s_cbranch_execz .LBB1171_65
; %bb.64:
	s_waitcnt vmcnt(0) lgkmcnt(1)
	v_and_b32_e32 v22, 0xffffff00, v19
	v_cndmask_b32_e64 v23, 0, 1, s0
	s_delay_alu instid0(VALU_DEP_1) | instskip(NEXT) | instid1(VALU_DEP_1)
	v_or_b32_e32 v22, v23, v22
	v_and_b32_e32 v22, 0xffff, v22
	s_delay_alu instid0(VALU_DEP_1)
	v_and_or_b32 v19, 0xffff0000, v19, v22
.LBB1171_65:
	s_or_b32 exec_lo, exec_lo, s1
	s_delay_alu instid0(SALU_CYCLE_1)
	s_and_not1_b32 vcc_lo, exec_lo, s22
	s_cbranch_vccnz .LBB1171_67
; %bb.66:
	v_cmp_gt_u32_e32 vcc_lo, s21, v21
	v_or_b32_e32 v23, 1, v21
	v_and_b32_e32 v24, 0xffffff00, v20
	v_or_b32_e32 v25, 2, v21
	s_waitcnt vmcnt(0) lgkmcnt(1)
	v_cndmask_b32_e32 v22, 0, v19, vcc_lo
	v_cmp_gt_u32_e32 vcc_lo, s21, v23
	v_or_b32_e32 v23, 4, v21
	v_cmp_gt_u32_e64 s0, s21, v25
	v_or_b32_e32 v25, 3, v21
	v_and_b32_e32 v22, 0xff, v22
	s_delay_alu instid0(VALU_DEP_2) | instskip(NEXT) | instid1(VALU_DEP_2)
	v_cmp_gt_u32_e64 s1, s21, v25
	v_cndmask_b32_e32 v22, v22, v19, vcc_lo
	v_cmp_gt_u32_e32 vcc_lo, s21, v23
	s_delay_alu instid0(VALU_DEP_2) | instskip(SKIP_1) | instid1(VALU_DEP_2)
	v_dual_cndmask_b32 v23, v24, v20 :: v_dual_and_b32 v22, 0xffff, v22
	v_or_b32_e32 v24, 5, v21
	v_cndmask_b32_e64 v22, v22, v19, s0
	s_delay_alu instid0(VALU_DEP_3) | instskip(NEXT) | instid1(VALU_DEP_3)
	v_and_b32_e32 v23, 0xffff00ff, v23
	v_cmp_gt_u32_e64 s0, s21, v24
	v_or_b32_e32 v24, 6, v21
	v_or_b32_e32 v21, 7, v21
	v_and_b32_e32 v22, 0xffffff, v22
	s_delay_alu instid0(VALU_DEP_4) | instskip(NEXT) | instid1(VALU_DEP_2)
	v_cndmask_b32_e64 v23, v23, v20, s0
	v_cndmask_b32_e64 v22, v22, v19, s1
	s_delay_alu instid0(VALU_DEP_2) | instskip(NEXT) | instid1(VALU_DEP_2)
	v_and_b32_e32 v23, 0xff00ffff, v23
	v_cndmask_b32_e32 v22, v22, v19, vcc_lo
	v_cmp_gt_u32_e32 vcc_lo, s21, v24
	s_delay_alu instid0(VALU_DEP_2) | instskip(NEXT) | instid1(VALU_DEP_1)
	v_cndmask_b32_e64 v22, v22, v19, s0
	v_dual_cndmask_b32 v23, v23, v20 :: v_dual_cndmask_b32 v22, v22, v19
	s_delay_alu instid0(VALU_DEP_1) | instskip(SKIP_1) | instid1(VALU_DEP_2)
	v_and_b32_e32 v23, 0xffffff, v23
	v_cmp_gt_u32_e32 vcc_lo, s21, v21
	v_dual_cndmask_b32 v20, v23, v20 :: v_dual_cndmask_b32 v19, v22, v19
.LBB1171_67:
	s_delay_alu instid0(VALU_DEP_1) | instskip(NEXT) | instid1(VALU_DEP_2)
	v_and_b32_e32 v30, 0xff, v19
	v_alignbit_b32 v21, v20, v19, 24
	v_bfe_u32 v32, v19, 8, 8
	v_bfe_u32 v34, v19, 16, 8
	v_and_b32_e32 v38, 0xff, v20
	v_bfe_u32 v40, v20, 8, 8
	v_and_b32_e32 v36, 0xff, v21
	v_add_nc_u32_e32 v21, v32, v30
	s_waitcnt vmcnt(0) lgkmcnt(1)
	v_and_b32_e32 v22, 0x1e0, v0
	v_mbcnt_lo_u32_b32 v43, -1, 0
	v_bfe_u32 v42, v20, 16, 8
	v_lshrrev_b32_e32 v41, 24, v20
	v_add3_u32 v21, v21, v34, v36
	v_min_u32_e32 v22, 0x160, v22
	v_and_b32_e32 v23, 15, v43
	v_lshrrev_b32_e32 v44, 5, v0
	s_and_b32 vcc_lo, exec_lo, s9
	v_add3_u32 v21, v21, v38, v40
	v_or_b32_e32 v22, 31, v22
	v_cmp_eq_u32_e64 s3, 0, v23
	v_cmp_lt_u32_e64 s4, 1, v23
	v_cmp_lt_u32_e64 s1, 3, v23
	v_add3_u32 v45, v21, v42, v41
	v_and_b32_e32 v21, 16, v43
	v_cmp_lt_u32_e64 s0, 7, v23
	v_cmp_eq_u32_e64 s5, v22, v0
	s_mov_b32 s7, -1
	s_waitcnt lgkmcnt(0)
	v_cmp_eq_u32_e64 s6, 0, v21
	s_barrier
	buffer_gl0_inv
	s_cbranch_vccz .LBB1171_93
; %bb.68:
	v_mov_b32_dpp v21, v45 row_shr:1 row_mask:0xf bank_mask:0xf
	s_delay_alu instid0(VALU_DEP_1) | instskip(NEXT) | instid1(VALU_DEP_1)
	v_cndmask_b32_e64 v21, v21, 0, s3
	v_add_nc_u32_e32 v21, v21, v45
	s_delay_alu instid0(VALU_DEP_1) | instskip(NEXT) | instid1(VALU_DEP_1)
	v_mov_b32_dpp v22, v21 row_shr:2 row_mask:0xf bank_mask:0xf
	v_cndmask_b32_e64 v22, 0, v22, s4
	s_delay_alu instid0(VALU_DEP_1) | instskip(NEXT) | instid1(VALU_DEP_1)
	v_add_nc_u32_e32 v21, v21, v22
	v_mov_b32_dpp v22, v21 row_shr:4 row_mask:0xf bank_mask:0xf
	s_delay_alu instid0(VALU_DEP_1) | instskip(NEXT) | instid1(VALU_DEP_1)
	v_cndmask_b32_e64 v22, 0, v22, s1
	v_add_nc_u32_e32 v21, v21, v22
	s_delay_alu instid0(VALU_DEP_1) | instskip(NEXT) | instid1(VALU_DEP_1)
	v_mov_b32_dpp v22, v21 row_shr:8 row_mask:0xf bank_mask:0xf
	v_cndmask_b32_e64 v22, 0, v22, s0
	s_delay_alu instid0(VALU_DEP_1) | instskip(SKIP_3) | instid1(VALU_DEP_1)
	v_add_nc_u32_e32 v21, v21, v22
	ds_swizzle_b32 v22, v21 offset:swizzle(BROADCAST,32,15)
	s_waitcnt lgkmcnt(0)
	v_cndmask_b32_e64 v22, v22, 0, s6
	v_add_nc_u32_e32 v21, v21, v22
	s_and_saveexec_b32 s7, s5
	s_cbranch_execz .LBB1171_70
; %bb.69:
	v_lshlrev_b32_e32 v22, 2, v44
	ds_store_b32 v22, v21
.LBB1171_70:
	s_or_b32 exec_lo, exec_lo, s7
	s_delay_alu instid0(SALU_CYCLE_1)
	s_mov_b32 s7, exec_lo
	s_waitcnt lgkmcnt(0)
	s_barrier
	buffer_gl0_inv
	v_cmpx_gt_u32_e32 12, v0
	s_cbranch_execz .LBB1171_72
; %bb.71:
	v_lshlrev_b32_e32 v22, 2, v0
	ds_load_b32 v23, v22
	s_waitcnt lgkmcnt(0)
	v_mov_b32_dpp v24, v23 row_shr:1 row_mask:0xf bank_mask:0xf
	s_delay_alu instid0(VALU_DEP_1) | instskip(NEXT) | instid1(VALU_DEP_1)
	v_cndmask_b32_e64 v24, v24, 0, s3
	v_add_nc_u32_e32 v23, v24, v23
	s_delay_alu instid0(VALU_DEP_1) | instskip(NEXT) | instid1(VALU_DEP_1)
	v_mov_b32_dpp v24, v23 row_shr:2 row_mask:0xf bank_mask:0xf
	v_cndmask_b32_e64 v24, 0, v24, s4
	s_delay_alu instid0(VALU_DEP_1) | instskip(NEXT) | instid1(VALU_DEP_1)
	v_add_nc_u32_e32 v23, v23, v24
	v_mov_b32_dpp v24, v23 row_shr:4 row_mask:0xf bank_mask:0xf
	s_delay_alu instid0(VALU_DEP_1) | instskip(NEXT) | instid1(VALU_DEP_1)
	v_cndmask_b32_e64 v24, 0, v24, s1
	v_add_nc_u32_e32 v23, v23, v24
	s_delay_alu instid0(VALU_DEP_1) | instskip(NEXT) | instid1(VALU_DEP_1)
	v_mov_b32_dpp v24, v23 row_shr:8 row_mask:0xf bank_mask:0xf
	v_cndmask_b32_e64 v24, 0, v24, s0
	s_delay_alu instid0(VALU_DEP_1)
	v_add_nc_u32_e32 v23, v23, v24
	ds_store_b32 v22, v23
.LBB1171_72:
	s_or_b32 exec_lo, exec_lo, s7
	v_cmp_gt_u32_e32 vcc_lo, 32, v0
	s_mov_b32 s8, exec_lo
	s_waitcnt lgkmcnt(0)
	s_barrier
	buffer_gl0_inv
                                        ; implicit-def: $vgpr29
	v_cmpx_lt_u32_e32 31, v0
	s_cbranch_execz .LBB1171_74
; %bb.73:
	v_lshl_add_u32 v22, v44, 2, -4
	ds_load_b32 v29, v22
	s_waitcnt lgkmcnt(0)
	v_add_nc_u32_e32 v21, v29, v21
.LBB1171_74:
	s_or_b32 exec_lo, exec_lo, s8
	v_add_nc_u32_e32 v22, -1, v43
	s_delay_alu instid0(VALU_DEP_1) | instskip(NEXT) | instid1(VALU_DEP_1)
	v_cmp_gt_i32_e64 s7, 0, v22
	v_cndmask_b32_e64 v22, v22, v43, s7
	v_cmp_eq_u32_e64 s7, 0, v43
	s_delay_alu instid0(VALU_DEP_2)
	v_lshlrev_b32_e32 v22, 2, v22
	ds_bpermute_b32 v31, v22, v21
	s_and_saveexec_b32 s8, vcc_lo
	s_cbranch_execz .LBB1171_92
; %bb.75:
	v_mov_b32_e32 v25, 0
	ds_load_b32 v21, v25 offset:44
	s_and_saveexec_b32 s9, s7
	s_cbranch_execz .LBB1171_77
; %bb.76:
	s_add_i32 s14, s20, 32
	s_mov_b32 s15, 0
	v_mov_b32_e32 v22, 1
	s_lshl_b64 s[14:15], s[14:15], 3
	s_delay_alu instid0(SALU_CYCLE_1)
	s_add_u32 s14, s16, s14
	s_addc_u32 s15, s17, s15
	s_waitcnt lgkmcnt(0)
	global_store_b64 v25, v[21:22], s[14:15]
.LBB1171_77:
	s_or_b32 exec_lo, exec_lo, s9
	v_xad_u32 v23, v43, -1, s20
	s_mov_b32 s14, 0
	s_mov_b32 s9, exec_lo
	s_delay_alu instid0(VALU_DEP_1) | instskip(NEXT) | instid1(VALU_DEP_1)
	v_add_nc_u32_e32 v24, 32, v23
	v_lshlrev_b64 v[24:25], 3, v[24:25]
	s_delay_alu instid0(VALU_DEP_1) | instskip(NEXT) | instid1(VALU_DEP_2)
	v_add_co_u32 v27, vcc_lo, s16, v24
	v_add_co_ci_u32_e32 v28, vcc_lo, s17, v25, vcc_lo
	global_load_b64 v[25:26], v[27:28], off glc
	s_waitcnt vmcnt(0)
	v_and_b32_e32 v22, 0xff, v26
	s_delay_alu instid0(VALU_DEP_1)
	v_cmpx_eq_u16_e32 0, v22
	s_cbranch_execz .LBB1171_80
.LBB1171_78:                            ; =>This Inner Loop Header: Depth=1
	global_load_b64 v[25:26], v[27:28], off glc
	s_waitcnt vmcnt(0)
	v_and_b32_e32 v22, 0xff, v26
	s_delay_alu instid0(VALU_DEP_1) | instskip(SKIP_1) | instid1(SALU_CYCLE_1)
	v_cmp_ne_u16_e32 vcc_lo, 0, v22
	s_or_b32 s14, vcc_lo, s14
	s_and_not1_b32 exec_lo, exec_lo, s14
	s_cbranch_execnz .LBB1171_78
; %bb.79:
	s_or_b32 exec_lo, exec_lo, s14
.LBB1171_80:
	s_delay_alu instid0(SALU_CYCLE_1)
	s_or_b32 exec_lo, exec_lo, s9
	v_cmp_ne_u32_e32 vcc_lo, 31, v43
	v_lshlrev_b32_e64 v35, v43, -1
	v_add_nc_u32_e32 v39, 2, v43
	v_add_nc_u32_e32 v47, 4, v43
	;; [unrolled: 1-line block ×3, first 2 shown]
	v_add_co_ci_u32_e32 v22, vcc_lo, 0, v43, vcc_lo
	v_add_nc_u32_e32 v51, 16, v43
	s_delay_alu instid0(VALU_DEP_2)
	v_lshlrev_b32_e32 v33, 2, v22
	v_and_b32_e32 v22, 0xff, v26
	ds_bpermute_b32 v24, v33, v25
	v_cmp_eq_u16_e32 vcc_lo, 2, v22
	v_and_or_b32 v22, vcc_lo, v35, 0x80000000
	v_cmp_gt_u32_e32 vcc_lo, 30, v43
	s_delay_alu instid0(VALU_DEP_2) | instskip(SKIP_1) | instid1(VALU_DEP_2)
	v_ctz_i32_b32_e32 v22, v22
	v_cndmask_b32_e64 v27, 0, 1, vcc_lo
	v_cmp_lt_u32_e32 vcc_lo, v43, v22
	s_waitcnt lgkmcnt(0)
	s_delay_alu instid0(VALU_DEP_2) | instskip(NEXT) | instid1(VALU_DEP_1)
	v_dual_cndmask_b32 v24, 0, v24 :: v_dual_lshlrev_b32 v27, 1, v27
	v_add_lshl_u32 v37, v27, v43, 2
	v_cmp_gt_u32_e32 vcc_lo, 28, v43
	s_delay_alu instid0(VALU_DEP_3) | instskip(SKIP_4) | instid1(VALU_DEP_1)
	v_add_nc_u32_e32 v24, v24, v25
	v_cndmask_b32_e64 v27, 0, 1, vcc_lo
	v_cmp_le_u32_e32 vcc_lo, v39, v22
	ds_bpermute_b32 v25, v37, v24
	v_lshlrev_b32_e32 v27, 2, v27
	v_add_lshl_u32 v46, v27, v43, 2
	s_waitcnt lgkmcnt(0)
	v_cndmask_b32_e32 v25, 0, v25, vcc_lo
	v_cmp_gt_u32_e32 vcc_lo, 24, v43
	s_delay_alu instid0(VALU_DEP_2) | instskip(SKIP_4) | instid1(VALU_DEP_1)
	v_add_nc_u32_e32 v24, v24, v25
	v_cndmask_b32_e64 v27, 0, 1, vcc_lo
	v_cmp_le_u32_e32 vcc_lo, v47, v22
	ds_bpermute_b32 v25, v46, v24
	v_lshlrev_b32_e32 v27, 3, v27
	v_add_lshl_u32 v48, v27, v43, 2
	s_waitcnt lgkmcnt(0)
	v_cndmask_b32_e32 v25, 0, v25, vcc_lo
	v_cmp_gt_u32_e32 vcc_lo, 16, v43
	s_delay_alu instid0(VALU_DEP_2) | instskip(SKIP_4) | instid1(VALU_DEP_1)
	v_add_nc_u32_e32 v24, v24, v25
	v_cndmask_b32_e64 v27, 0, 1, vcc_lo
	v_cmp_le_u32_e32 vcc_lo, v49, v22
	ds_bpermute_b32 v25, v48, v24
	v_lshlrev_b32_e32 v27, 4, v27
	v_add_lshl_u32 v50, v27, v43, 2
	s_waitcnt lgkmcnt(0)
	v_cndmask_b32_e32 v25, 0, v25, vcc_lo
	v_cmp_le_u32_e32 vcc_lo, v51, v22
	s_delay_alu instid0(VALU_DEP_2) | instskip(SKIP_3) | instid1(VALU_DEP_1)
	v_add_nc_u32_e32 v24, v24, v25
	ds_bpermute_b32 v25, v50, v24
	s_waitcnt lgkmcnt(0)
	v_cndmask_b32_e32 v22, 0, v25, vcc_lo
	v_dual_mov_b32 v24, 0 :: v_dual_add_nc_u32 v25, v24, v22
	s_branch .LBB1171_82
.LBB1171_81:                            ;   in Loop: Header=BB1171_82 Depth=1
	s_or_b32 exec_lo, exec_lo, s9
	ds_bpermute_b32 v28, v33, v25
	v_and_b32_e32 v27, 0xff, v26
	v_subrev_nc_u32_e32 v23, 32, v23
	s_delay_alu instid0(VALU_DEP_2) | instskip(SKIP_1) | instid1(VALU_DEP_1)
	v_cmp_eq_u16_e32 vcc_lo, 2, v27
	v_and_or_b32 v27, vcc_lo, v35, 0x80000000
	v_ctz_i32_b32_e32 v27, v27
	s_delay_alu instid0(VALU_DEP_1) | instskip(SKIP_3) | instid1(VALU_DEP_2)
	v_cmp_lt_u32_e32 vcc_lo, v43, v27
	s_waitcnt lgkmcnt(0)
	v_cndmask_b32_e32 v28, 0, v28, vcc_lo
	v_cmp_le_u32_e32 vcc_lo, v39, v27
	v_add_nc_u32_e32 v25, v28, v25
	ds_bpermute_b32 v28, v37, v25
	s_waitcnt lgkmcnt(0)
	v_cndmask_b32_e32 v28, 0, v28, vcc_lo
	v_cmp_le_u32_e32 vcc_lo, v47, v27
	s_delay_alu instid0(VALU_DEP_2) | instskip(SKIP_4) | instid1(VALU_DEP_2)
	v_add_nc_u32_e32 v25, v25, v28
	ds_bpermute_b32 v28, v46, v25
	s_waitcnt lgkmcnt(0)
	v_cndmask_b32_e32 v28, 0, v28, vcc_lo
	v_cmp_le_u32_e32 vcc_lo, v49, v27
	v_add_nc_u32_e32 v25, v25, v28
	ds_bpermute_b32 v28, v48, v25
	s_waitcnt lgkmcnt(0)
	v_cndmask_b32_e32 v28, 0, v28, vcc_lo
	v_cmp_le_u32_e32 vcc_lo, v51, v27
	s_delay_alu instid0(VALU_DEP_2) | instskip(SKIP_3) | instid1(VALU_DEP_1)
	v_add_nc_u32_e32 v25, v25, v28
	ds_bpermute_b32 v28, v50, v25
	s_waitcnt lgkmcnt(0)
	v_cndmask_b32_e32 v27, 0, v28, vcc_lo
	v_add3_u32 v25, v27, v22, v25
.LBB1171_82:                            ; =>This Loop Header: Depth=1
                                        ;     Child Loop BB1171_85 Depth 2
	v_and_b32_e32 v22, 0xff, v26
	s_delay_alu instid0(VALU_DEP_1) | instskip(SKIP_2) | instid1(VALU_DEP_1)
	v_cmp_ne_u16_e32 vcc_lo, 2, v22
	v_cndmask_b32_e64 v22, 0, 1, vcc_lo
	;;#ASMSTART
	;;#ASMEND
	v_cmp_ne_u32_e32 vcc_lo, 0, v22
	v_mov_b32_e32 v22, v25
	s_cmp_lg_u32 vcc_lo, exec_lo
	s_cbranch_scc1 .LBB1171_87
; %bb.83:                               ;   in Loop: Header=BB1171_82 Depth=1
	v_lshlrev_b64 v[25:26], 3, v[23:24]
	s_mov_b32 s9, exec_lo
	s_delay_alu instid0(VALU_DEP_1) | instskip(NEXT) | instid1(VALU_DEP_2)
	v_add_co_u32 v27, vcc_lo, s16, v25
	v_add_co_ci_u32_e32 v28, vcc_lo, s17, v26, vcc_lo
	global_load_b64 v[25:26], v[27:28], off glc
	s_waitcnt vmcnt(0)
	v_and_b32_e32 v52, 0xff, v26
	s_delay_alu instid0(VALU_DEP_1)
	v_cmpx_eq_u16_e32 0, v52
	s_cbranch_execz .LBB1171_81
; %bb.84:                               ;   in Loop: Header=BB1171_82 Depth=1
	s_mov_b32 s14, 0
.LBB1171_85:                            ;   Parent Loop BB1171_82 Depth=1
                                        ; =>  This Inner Loop Header: Depth=2
	global_load_b64 v[25:26], v[27:28], off glc
	s_waitcnt vmcnt(0)
	v_and_b32_e32 v52, 0xff, v26
	s_delay_alu instid0(VALU_DEP_1) | instskip(SKIP_1) | instid1(SALU_CYCLE_1)
	v_cmp_ne_u16_e32 vcc_lo, 0, v52
	s_or_b32 s14, vcc_lo, s14
	s_and_not1_b32 exec_lo, exec_lo, s14
	s_cbranch_execnz .LBB1171_85
; %bb.86:                               ;   in Loop: Header=BB1171_82 Depth=1
	s_or_b32 exec_lo, exec_lo, s14
	s_branch .LBB1171_81
.LBB1171_87:                            ;   in Loop: Header=BB1171_82 Depth=1
                                        ; implicit-def: $vgpr25
                                        ; implicit-def: $vgpr26
	s_cbranch_execz .LBB1171_82
; %bb.88:
	s_and_saveexec_b32 s9, s7
	s_cbranch_execz .LBB1171_90
; %bb.89:
	s_add_i32 s14, s20, 32
	s_mov_b32 s15, 0
	v_dual_mov_b32 v24, 2 :: v_dual_add_nc_u32 v23, v22, v21
	s_lshl_b64 s[14:15], s[14:15], 3
	v_mov_b32_e32 v25, 0
	s_add_u32 s14, s16, s14
	s_addc_u32 s15, s17, s15
	global_store_b64 v25, v[23:24], s[14:15]
	ds_store_b64 v25, v[21:22] offset:12672
.LBB1171_90:
	s_or_b32 exec_lo, exec_lo, s9
	s_delay_alu instid0(SALU_CYCLE_1)
	s_and_b32 exec_lo, exec_lo, s2
	s_cbranch_execz .LBB1171_92
; %bb.91:
	v_mov_b32_e32 v21, 0
	ds_store_b32 v21, v22 offset:44
.LBB1171_92:
	s_or_b32 exec_lo, exec_lo, s8
	v_mov_b32_e32 v21, 0
	s_waitcnt lgkmcnt(0)
	s_waitcnt_vscnt null, 0x0
	s_barrier
	buffer_gl0_inv
	v_cndmask_b32_e64 v23, v31, v29, s7
	ds_load_b32 v22, v21 offset:44
	s_waitcnt lgkmcnt(0)
	s_barrier
	buffer_gl0_inv
	v_cndmask_b32_e64 v23, v23, 0, s2
	s_delay_alu instid0(VALU_DEP_1) | instskip(SKIP_2) | instid1(VALU_DEP_1)
	v_add_nc_u32_e32 v39, v22, v23
	ds_load_b64 v[21:22], v21 offset:12672
	v_add_nc_u32_e32 v37, v39, v30
	v_add_nc_u32_e32 v35, v37, v32
	s_delay_alu instid0(VALU_DEP_1) | instskip(NEXT) | instid1(VALU_DEP_1)
	v_add_nc_u32_e32 v33, v35, v34
	v_add_nc_u32_e32 v31, v33, v36
	s_delay_alu instid0(VALU_DEP_1) | instskip(NEXT) | instid1(VALU_DEP_1)
	v_add_nc_u32_e32 v29, v31, v38
	v_add_nc_u32_e32 v27, v29, v40
	s_delay_alu instid0(VALU_DEP_1)
	v_add_nc_u32_e32 v25, v27, v42
	v_lshrrev_b64 v[23:24], 24, v[19:20]
	s_branch .LBB1171_103
.LBB1171_93:
                                        ; implicit-def: $vgpr25
                                        ; implicit-def: $vgpr27
                                        ; implicit-def: $vgpr29
                                        ; implicit-def: $vgpr31
                                        ; implicit-def: $vgpr33
                                        ; implicit-def: $vgpr35
                                        ; implicit-def: $vgpr37
                                        ; implicit-def: $vgpr39
                                        ; implicit-def: $vgpr22
	v_lshrrev_b64 v[23:24], 24, v[19:20]
	s_and_b32 vcc_lo, exec_lo, s7
	s_cbranch_vccz .LBB1171_103
; %bb.94:
	s_waitcnt lgkmcnt(0)
	v_mov_b32_dpp v21, v45 row_shr:1 row_mask:0xf bank_mask:0xf
	s_delay_alu instid0(VALU_DEP_1) | instskip(NEXT) | instid1(VALU_DEP_1)
	v_cndmask_b32_e64 v21, v21, 0, s3
	v_add_nc_u32_e32 v21, v21, v45
	s_delay_alu instid0(VALU_DEP_1) | instskip(NEXT) | instid1(VALU_DEP_1)
	v_mov_b32_dpp v22, v21 row_shr:2 row_mask:0xf bank_mask:0xf
	v_cndmask_b32_e64 v22, 0, v22, s4
	s_delay_alu instid0(VALU_DEP_1) | instskip(NEXT) | instid1(VALU_DEP_1)
	v_add_nc_u32_e32 v21, v21, v22
	v_mov_b32_dpp v22, v21 row_shr:4 row_mask:0xf bank_mask:0xf
	s_delay_alu instid0(VALU_DEP_1) | instskip(NEXT) | instid1(VALU_DEP_1)
	v_cndmask_b32_e64 v22, 0, v22, s1
	v_add_nc_u32_e32 v21, v21, v22
	s_delay_alu instid0(VALU_DEP_1) | instskip(NEXT) | instid1(VALU_DEP_1)
	v_mov_b32_dpp v22, v21 row_shr:8 row_mask:0xf bank_mask:0xf
	v_cndmask_b32_e64 v22, 0, v22, s0
	s_delay_alu instid0(VALU_DEP_1) | instskip(SKIP_3) | instid1(VALU_DEP_1)
	v_add_nc_u32_e32 v21, v21, v22
	ds_swizzle_b32 v22, v21 offset:swizzle(BROADCAST,32,15)
	s_waitcnt lgkmcnt(0)
	v_cndmask_b32_e64 v22, v22, 0, s6
	v_add_nc_u32_e32 v21, v21, v22
	s_and_saveexec_b32 s6, s5
	s_cbranch_execz .LBB1171_96
; %bb.95:
	v_lshlrev_b32_e32 v22, 2, v44
	ds_store_b32 v22, v21
.LBB1171_96:
	s_or_b32 exec_lo, exec_lo, s6
	s_delay_alu instid0(SALU_CYCLE_1)
	s_mov_b32 s5, exec_lo
	s_waitcnt lgkmcnt(0)
	s_barrier
	buffer_gl0_inv
	v_cmpx_gt_u32_e32 12, v0
	s_cbranch_execz .LBB1171_98
; %bb.97:
	v_lshlrev_b32_e32 v22, 2, v0
	ds_load_b32 v24, v22
	s_waitcnt lgkmcnt(0)
	v_mov_b32_dpp v25, v24 row_shr:1 row_mask:0xf bank_mask:0xf
	s_delay_alu instid0(VALU_DEP_1) | instskip(NEXT) | instid1(VALU_DEP_1)
	v_cndmask_b32_e64 v25, v25, 0, s3
	v_add_nc_u32_e32 v24, v25, v24
	s_delay_alu instid0(VALU_DEP_1) | instskip(NEXT) | instid1(VALU_DEP_1)
	v_mov_b32_dpp v25, v24 row_shr:2 row_mask:0xf bank_mask:0xf
	v_cndmask_b32_e64 v25, 0, v25, s4
	s_delay_alu instid0(VALU_DEP_1) | instskip(NEXT) | instid1(VALU_DEP_1)
	v_add_nc_u32_e32 v24, v24, v25
	v_mov_b32_dpp v25, v24 row_shr:4 row_mask:0xf bank_mask:0xf
	s_delay_alu instid0(VALU_DEP_1) | instskip(NEXT) | instid1(VALU_DEP_1)
	v_cndmask_b32_e64 v25, 0, v25, s1
	v_add_nc_u32_e32 v24, v24, v25
	s_delay_alu instid0(VALU_DEP_1) | instskip(NEXT) | instid1(VALU_DEP_1)
	v_mov_b32_dpp v25, v24 row_shr:8 row_mask:0xf bank_mask:0xf
	v_cndmask_b32_e64 v25, 0, v25, s0
	s_delay_alu instid0(VALU_DEP_1)
	v_add_nc_u32_e32 v24, v24, v25
	ds_store_b32 v22, v24
.LBB1171_98:
	s_or_b32 exec_lo, exec_lo, s5
	v_mov_b32_e32 v22, 0
	v_mov_b32_e32 v24, 0
	s_mov_b32 s0, exec_lo
	s_waitcnt lgkmcnt(0)
	s_barrier
	buffer_gl0_inv
	v_cmpx_lt_u32_e32 31, v0
	s_cbranch_execz .LBB1171_100
; %bb.99:
	v_lshl_add_u32 v24, v44, 2, -4
	ds_load_b32 v24, v24
.LBB1171_100:
	s_or_b32 exec_lo, exec_lo, s0
	v_add_nc_u32_e32 v25, -1, v43
	s_waitcnt lgkmcnt(0)
	v_add_nc_u32_e32 v21, v24, v21
	s_delay_alu instid0(VALU_DEP_2) | instskip(SKIP_1) | instid1(VALU_DEP_1)
	v_cmp_gt_i32_e32 vcc_lo, 0, v25
	v_cndmask_b32_e32 v25, v25, v43, vcc_lo
	v_lshlrev_b32_e32 v25, 2, v25
	ds_bpermute_b32 v25, v25, v21
	ds_load_b32 v21, v22 offset:44
	s_and_saveexec_b32 s0, s2
	s_cbranch_execz .LBB1171_102
; %bb.101:
	v_mov_b32_e32 v26, 0
	v_mov_b32_e32 v22, 2
	s_waitcnt lgkmcnt(0)
	global_store_b64 v26, v[21:22], s[16:17] offset:256
.LBB1171_102:
	s_or_b32 exec_lo, exec_lo, s0
	v_cmp_eq_u32_e32 vcc_lo, 0, v43
	s_waitcnt lgkmcnt(0)
	s_waitcnt_vscnt null, 0x0
	s_barrier
	buffer_gl0_inv
	v_cndmask_b32_e32 v22, v25, v24, vcc_lo
	s_delay_alu instid0(VALU_DEP_1) | instskip(NEXT) | instid1(VALU_DEP_1)
	v_cndmask_b32_e64 v39, v22, 0, s2
	v_dual_mov_b32 v22, 0 :: v_dual_add_nc_u32 v37, v39, v30
	s_delay_alu instid0(VALU_DEP_1) | instskip(NEXT) | instid1(VALU_DEP_1)
	v_add_nc_u32_e32 v35, v37, v32
	v_add_nc_u32_e32 v33, v35, v34
	s_delay_alu instid0(VALU_DEP_1) | instskip(NEXT) | instid1(VALU_DEP_1)
	v_add_nc_u32_e32 v31, v33, v36
	v_add_nc_u32_e32 v29, v31, v38
	;; [unrolled: 3-line block ×3, first 2 shown]
.LBB1171_103:
	v_lshrrev_b32_e32 v44, 8, v19
	v_lshrrev_b32_e32 v43, 16, v19
	v_and_b32_e32 v19, 1, v19
	s_waitcnt lgkmcnt(0)
	v_cmp_gt_u32_e64 s0, 0x181, v21
	v_lshrrev_b32_e32 v42, 8, v20
	v_lshrrev_b32_e32 v24, 16, v20
	v_cmp_eq_u32_e64 s1, 1, v19
	s_delay_alu instid0(VALU_DEP_4)
	s_and_b32 vcc_lo, exec_lo, s0
	s_cbranch_vccnz .LBB1171_121
; %bb.104:
	s_delay_alu instid0(VALU_DEP_1)
	s_and_saveexec_b32 s3, s1
	s_cbranch_execz .LBB1171_106
; %bb.105:
	v_sub_nc_u32_e32 v26, v39, v22
	s_delay_alu instid0(VALU_DEP_1)
	v_lshlrev_b32_e32 v26, 2, v26
	ds_store_b32 v26, v17
.LBB1171_106:
	s_or_b32 exec_lo, exec_lo, s3
	v_and_b32_e32 v17, 1, v44
	s_mov_b32 s1, exec_lo
	s_delay_alu instid0(VALU_DEP_1)
	v_cmpx_eq_u32_e32 1, v17
	s_cbranch_execz .LBB1171_108
; %bb.107:
	v_sub_nc_u32_e32 v17, v37, v22
	s_delay_alu instid0(VALU_DEP_1)
	v_lshlrev_b32_e32 v17, 2, v17
	ds_store_b32 v17, v18
.LBB1171_108:
	s_or_b32 exec_lo, exec_lo, s1
	v_and_b32_e32 v17, 1, v43
	s_mov_b32 s1, exec_lo
	s_delay_alu instid0(VALU_DEP_1)
	v_cmpx_eq_u32_e32 1, v17
	;; [unrolled: 12-line block ×7, first 2 shown]
	s_cbranch_execz .LBB1171_120
; %bb.119:
	v_sub_nc_u32_e32 v5, v25, v22
	s_delay_alu instid0(VALU_DEP_1)
	v_lshlrev_b32_e32 v5, 2, v5
	ds_store_b32 v5, v6
.LBB1171_120:
	s_or_b32 exec_lo, exec_lo, s1
	s_waitcnt lgkmcnt(0)
	s_barrier
	buffer_gl0_inv
.LBB1171_121:
	s_and_b32 vcc_lo, exec_lo, s0
	s_mov_b32 s0, -1
	s_barrier
	buffer_gl0_inv
	s_cbranch_vccz .LBB1171_149
; %bb.122:
	v_lshlrev_b64 v[5:6], 2, v[9:10]
	v_add_nc_u32_e32 v11, v22, v21
	s_delay_alu instid0(VALU_DEP_1) | instskip(NEXT) | instid1(VALU_DEP_3)
	v_cmp_lt_u32_e32 vcc_lo, v39, v11
	v_add_co_u32 v5, s0, s10, v5
	s_delay_alu instid0(VALU_DEP_1) | instskip(SKIP_1) | instid1(SALU_CYCLE_1)
	v_add_co_ci_u32_e64 v6, s0, s11, v6, s0
	s_or_b32 s1, s19, vcc_lo
	s_and_saveexec_b32 s0, s1
	s_cbranch_execz .LBB1171_125
; %bb.123:
	v_cmp_eq_u32_e32 vcc_lo, 1, v19
	s_and_b32 exec_lo, exec_lo, vcc_lo
	s_cbranch_execz .LBB1171_125
; %bb.124:
	v_mov_b32_e32 v40, 0
	s_delay_alu instid0(VALU_DEP_1) | instskip(NEXT) | instid1(VALU_DEP_1)
	v_lshlrev_b64 v[15:16], 2, v[39:40]
	v_add_co_u32 v15, vcc_lo, v5, v15
	s_delay_alu instid0(VALU_DEP_2)
	v_add_co_ci_u32_e32 v16, vcc_lo, v6, v16, vcc_lo
	global_store_b32 v[15:16], v13, off
.LBB1171_125:
	s_or_b32 exec_lo, exec_lo, s0
	v_cmp_lt_u32_e32 vcc_lo, v37, v11
	s_or_b32 s1, s19, vcc_lo
	s_delay_alu instid0(SALU_CYCLE_1)
	s_and_saveexec_b32 s0, s1
	s_cbranch_execz .LBB1171_128
; %bb.126:
	v_and_b32_e32 v12, 1, v44
	s_delay_alu instid0(VALU_DEP_1)
	v_cmp_eq_u32_e32 vcc_lo, 1, v12
	s_and_b32 exec_lo, exec_lo, vcc_lo
	s_cbranch_execz .LBB1171_128
; %bb.127:
	v_mov_b32_e32 v38, 0
	s_delay_alu instid0(VALU_DEP_1) | instskip(NEXT) | instid1(VALU_DEP_1)
	v_lshlrev_b64 v[15:16], 2, v[37:38]
	v_add_co_u32 v15, vcc_lo, v5, v15
	s_delay_alu instid0(VALU_DEP_2)
	v_add_co_ci_u32_e32 v16, vcc_lo, v6, v16, vcc_lo
	global_store_b32 v[15:16], v14, off
.LBB1171_128:
	s_or_b32 exec_lo, exec_lo, s0
	v_cmp_lt_u32_e32 vcc_lo, v35, v11
	s_or_b32 s1, s19, vcc_lo
	s_delay_alu instid0(SALU_CYCLE_1)
	s_and_saveexec_b32 s0, s1
	s_cbranch_execz .LBB1171_131
; %bb.129:
	v_and_b32_e32 v12, 1, v43
	s_delay_alu instid0(VALU_DEP_1)
	v_cmp_eq_u32_e32 vcc_lo, 1, v12
	s_and_b32 exec_lo, exec_lo, vcc_lo
	s_cbranch_execz .LBB1171_131
; %bb.130:
	v_mov_b32_e32 v36, 0
	s_delay_alu instid0(VALU_DEP_1) | instskip(NEXT) | instid1(VALU_DEP_1)
	v_lshlrev_b64 v[15:16], 2, v[35:36]
	v_add_co_u32 v15, vcc_lo, v5, v15
	s_delay_alu instid0(VALU_DEP_2)
	v_add_co_ci_u32_e32 v16, vcc_lo, v6, v16, vcc_lo
	global_store_b32 v[15:16], v7, off
.LBB1171_131:
	;; [unrolled: 21-line block ×7, first 2 shown]
	s_or_b32 exec_lo, exec_lo, s0
.LBB1171_147:
	s_and_b32 s0, s2, s18
	s_delay_alu instid0(SALU_CYCLE_1)
	s_and_saveexec_b32 s1, s0
	s_cbranch_execz .LBB1171_170
.LBB1171_148:
	v_add_co_u32 v0, vcc_lo, v9, v21
	v_add_co_ci_u32_e32 v1, vcc_lo, 0, v10, vcc_lo
	v_mov_b32_e32 v2, 0
	s_delay_alu instid0(VALU_DEP_3) | instskip(NEXT) | instid1(VALU_DEP_3)
	v_add_co_u32 v0, vcc_lo, v0, v22
	v_add_co_ci_u32_e32 v1, vcc_lo, 0, v1, vcc_lo
	global_store_b64 v2, v[0:1], s[12:13]
	s_nop 0
	s_sendmsg sendmsg(MSG_DEALLOC_VGPRS)
	s_endpgm
.LBB1171_149:
	s_and_b32 vcc_lo, exec_lo, s0
	s_cbranch_vccz .LBB1171_147
; %bb.150:
	s_mov_b32 s0, exec_lo
	v_cmpx_eq_u32_e32 1, v19
	s_cbranch_execz .LBB1171_152
; %bb.151:
	v_sub_nc_u32_e32 v5, v39, v22
	s_delay_alu instid0(VALU_DEP_1)
	v_lshlrev_b32_e32 v5, 2, v5
	ds_store_b32 v5, v13
.LBB1171_152:
	s_or_b32 exec_lo, exec_lo, s0
	v_and_b32_e32 v5, 1, v44
	s_mov_b32 s0, exec_lo
	s_delay_alu instid0(VALU_DEP_1)
	v_cmpx_eq_u32_e32 1, v5
	s_cbranch_execz .LBB1171_154
; %bb.153:
	v_sub_nc_u32_e32 v5, v37, v22
	s_delay_alu instid0(VALU_DEP_1)
	v_lshlrev_b32_e32 v5, 2, v5
	ds_store_b32 v5, v14
.LBB1171_154:
	s_or_b32 exec_lo, exec_lo, s0
	v_and_b32_e32 v5, 1, v43
	s_mov_b32 s0, exec_lo
	s_delay_alu instid0(VALU_DEP_1)
	;; [unrolled: 12-line block ×7, first 2 shown]
	v_cmpx_eq_u32_e32 1, v1
	s_cbranch_execz .LBB1171_166
; %bb.165:
	v_sub_nc_u32_e32 v1, v25, v22
	s_delay_alu instid0(VALU_DEP_1)
	v_lshlrev_b32_e32 v1, 2, v1
	ds_store_b32 v1, v2
.LBB1171_166:
	s_or_b32 exec_lo, exec_lo, s0
	s_delay_alu instid0(SALU_CYCLE_1)
	s_mov_b32 s1, exec_lo
	s_waitcnt lgkmcnt(0)
	s_waitcnt_vscnt null, 0x0
	s_barrier
	buffer_gl0_inv
	v_cmpx_lt_u32_e64 v0, v21
	s_cbranch_execz .LBB1171_169
; %bb.167:
	v_dual_mov_b32 v1, 0 :: v_dual_mov_b32 v2, v22
	v_lshlrev_b64 v[4:5], 2, v[9:10]
	s_mov_b32 s3, 0
	s_delay_alu instid0(VALU_DEP_2) | instskip(NEXT) | instid1(VALU_DEP_2)
	v_mov_b32_e32 v3, v1
	v_add_co_u32 v4, vcc_lo, s10, v4
	s_delay_alu instid0(VALU_DEP_2) | instskip(NEXT) | instid1(VALU_DEP_4)
	v_lshlrev_b64 v[2:3], 2, v[2:3]
	v_add_co_ci_u32_e32 v5, vcc_lo, s11, v5, vcc_lo
	s_delay_alu instid0(VALU_DEP_2) | instskip(SKIP_1) | instid1(VALU_DEP_3)
	v_add_co_u32 v2, vcc_lo, v4, v2
	v_lshlrev_b32_e32 v4, 2, v0
	v_add_co_ci_u32_e32 v3, vcc_lo, v5, v3, vcc_lo
	.p2align	6
.LBB1171_168:                           ; =>This Inner Loop Header: Depth=1
	ds_load_b32 v7, v4
	v_lshlrev_b64 v[5:6], 2, v[0:1]
	v_add_nc_u32_e32 v0, 0x180, v0
	v_add_nc_u32_e32 v4, 0x600, v4
	s_delay_alu instid0(VALU_DEP_2) | instskip(NEXT) | instid1(VALU_DEP_4)
	v_cmp_ge_u32_e32 vcc_lo, v0, v21
	v_add_co_u32 v5, s0, v2, v5
	s_delay_alu instid0(VALU_DEP_1)
	v_add_co_ci_u32_e64 v6, s0, v3, v6, s0
	s_or_b32 s3, vcc_lo, s3
	s_waitcnt lgkmcnt(0)
	global_store_b32 v[5:6], v7, off
	s_and_not1_b32 exec_lo, exec_lo, s3
	s_cbranch_execnz .LBB1171_168
.LBB1171_169:
	s_or_b32 exec_lo, exec_lo, s1
	s_and_b32 s0, s2, s18
	s_delay_alu instid0(SALU_CYCLE_1)
	s_and_saveexec_b32 s1, s0
	s_cbranch_execnz .LBB1171_148
.LBB1171_170:
	s_nop 0
	s_sendmsg sendmsg(MSG_DEALLOC_VGPRS)
	s_endpgm
	.section	.rodata,"a",@progbits
	.p2align	6, 0x0
	.amdhsa_kernel _ZN7rocprim17ROCPRIM_400000_NS6detail17trampoline_kernelINS0_14default_configENS1_25partition_config_selectorILNS1_17partition_subalgoE9EijbEEZZNS1_14partition_implILS5_9ELb0ES3_jN6thrust23THRUST_200600_302600_NS6detail15normal_iteratorINS9_10device_ptrIiEEEENSB_INSC_IjEEEEPNS0_10empty_typeENS0_5tupleIJNS9_16discard_iteratorINS9_11use_defaultEEESH_EEENSJ_IJSG_SI_EEENS0_18inequality_wrapperINS9_8equal_toIiEEEEPmJSH_EEE10hipError_tPvRmT3_T4_T5_T6_T7_T9_mT8_P12ihipStream_tbDpT10_ENKUlT_T0_E_clISt17integral_constantIbLb0EES1C_IbLb1EEEEDaS18_S19_EUlS18_E_NS1_11comp_targetILNS1_3genE9ELNS1_11target_archE1100ELNS1_3gpuE3ELNS1_3repE0EEENS1_30default_config_static_selectorELNS0_4arch9wavefront6targetE0EEEvT1_
		.amdhsa_group_segment_fixed_size 12680
		.amdhsa_private_segment_fixed_size 0
		.amdhsa_kernarg_size 136
		.amdhsa_user_sgpr_count 15
		.amdhsa_user_sgpr_dispatch_ptr 0
		.amdhsa_user_sgpr_queue_ptr 0
		.amdhsa_user_sgpr_kernarg_segment_ptr 1
		.amdhsa_user_sgpr_dispatch_id 0
		.amdhsa_user_sgpr_private_segment_size 0
		.amdhsa_wavefront_size32 1
		.amdhsa_uses_dynamic_stack 0
		.amdhsa_enable_private_segment 0
		.amdhsa_system_sgpr_workgroup_id_x 1
		.amdhsa_system_sgpr_workgroup_id_y 0
		.amdhsa_system_sgpr_workgroup_id_z 0
		.amdhsa_system_sgpr_workgroup_info 0
		.amdhsa_system_vgpr_workitem_id 0
		.amdhsa_next_free_vgpr 53
		.amdhsa_next_free_sgpr 26
		.amdhsa_reserve_vcc 1
		.amdhsa_float_round_mode_32 0
		.amdhsa_float_round_mode_16_64 0
		.amdhsa_float_denorm_mode_32 3
		.amdhsa_float_denorm_mode_16_64 3
		.amdhsa_dx10_clamp 1
		.amdhsa_ieee_mode 1
		.amdhsa_fp16_overflow 0
		.amdhsa_workgroup_processor_mode 1
		.amdhsa_memory_ordered 1
		.amdhsa_forward_progress 0
		.amdhsa_shared_vgpr_count 0
		.amdhsa_exception_fp_ieee_invalid_op 0
		.amdhsa_exception_fp_denorm_src 0
		.amdhsa_exception_fp_ieee_div_zero 0
		.amdhsa_exception_fp_ieee_overflow 0
		.amdhsa_exception_fp_ieee_underflow 0
		.amdhsa_exception_fp_ieee_inexact 0
		.amdhsa_exception_int_div_zero 0
	.end_amdhsa_kernel
	.section	.text._ZN7rocprim17ROCPRIM_400000_NS6detail17trampoline_kernelINS0_14default_configENS1_25partition_config_selectorILNS1_17partition_subalgoE9EijbEEZZNS1_14partition_implILS5_9ELb0ES3_jN6thrust23THRUST_200600_302600_NS6detail15normal_iteratorINS9_10device_ptrIiEEEENSB_INSC_IjEEEEPNS0_10empty_typeENS0_5tupleIJNS9_16discard_iteratorINS9_11use_defaultEEESH_EEENSJ_IJSG_SI_EEENS0_18inequality_wrapperINS9_8equal_toIiEEEEPmJSH_EEE10hipError_tPvRmT3_T4_T5_T6_T7_T9_mT8_P12ihipStream_tbDpT10_ENKUlT_T0_E_clISt17integral_constantIbLb0EES1C_IbLb1EEEEDaS18_S19_EUlS18_E_NS1_11comp_targetILNS1_3genE9ELNS1_11target_archE1100ELNS1_3gpuE3ELNS1_3repE0EEENS1_30default_config_static_selectorELNS0_4arch9wavefront6targetE0EEEvT1_,"axG",@progbits,_ZN7rocprim17ROCPRIM_400000_NS6detail17trampoline_kernelINS0_14default_configENS1_25partition_config_selectorILNS1_17partition_subalgoE9EijbEEZZNS1_14partition_implILS5_9ELb0ES3_jN6thrust23THRUST_200600_302600_NS6detail15normal_iteratorINS9_10device_ptrIiEEEENSB_INSC_IjEEEEPNS0_10empty_typeENS0_5tupleIJNS9_16discard_iteratorINS9_11use_defaultEEESH_EEENSJ_IJSG_SI_EEENS0_18inequality_wrapperINS9_8equal_toIiEEEEPmJSH_EEE10hipError_tPvRmT3_T4_T5_T6_T7_T9_mT8_P12ihipStream_tbDpT10_ENKUlT_T0_E_clISt17integral_constantIbLb0EES1C_IbLb1EEEEDaS18_S19_EUlS18_E_NS1_11comp_targetILNS1_3genE9ELNS1_11target_archE1100ELNS1_3gpuE3ELNS1_3repE0EEENS1_30default_config_static_selectorELNS0_4arch9wavefront6targetE0EEEvT1_,comdat
.Lfunc_end1171:
	.size	_ZN7rocprim17ROCPRIM_400000_NS6detail17trampoline_kernelINS0_14default_configENS1_25partition_config_selectorILNS1_17partition_subalgoE9EijbEEZZNS1_14partition_implILS5_9ELb0ES3_jN6thrust23THRUST_200600_302600_NS6detail15normal_iteratorINS9_10device_ptrIiEEEENSB_INSC_IjEEEEPNS0_10empty_typeENS0_5tupleIJNS9_16discard_iteratorINS9_11use_defaultEEESH_EEENSJ_IJSG_SI_EEENS0_18inequality_wrapperINS9_8equal_toIiEEEEPmJSH_EEE10hipError_tPvRmT3_T4_T5_T6_T7_T9_mT8_P12ihipStream_tbDpT10_ENKUlT_T0_E_clISt17integral_constantIbLb0EES1C_IbLb1EEEEDaS18_S19_EUlS18_E_NS1_11comp_targetILNS1_3genE9ELNS1_11target_archE1100ELNS1_3gpuE3ELNS1_3repE0EEENS1_30default_config_static_selectorELNS0_4arch9wavefront6targetE0EEEvT1_, .Lfunc_end1171-_ZN7rocprim17ROCPRIM_400000_NS6detail17trampoline_kernelINS0_14default_configENS1_25partition_config_selectorILNS1_17partition_subalgoE9EijbEEZZNS1_14partition_implILS5_9ELb0ES3_jN6thrust23THRUST_200600_302600_NS6detail15normal_iteratorINS9_10device_ptrIiEEEENSB_INSC_IjEEEEPNS0_10empty_typeENS0_5tupleIJNS9_16discard_iteratorINS9_11use_defaultEEESH_EEENSJ_IJSG_SI_EEENS0_18inequality_wrapperINS9_8equal_toIiEEEEPmJSH_EEE10hipError_tPvRmT3_T4_T5_T6_T7_T9_mT8_P12ihipStream_tbDpT10_ENKUlT_T0_E_clISt17integral_constantIbLb0EES1C_IbLb1EEEEDaS18_S19_EUlS18_E_NS1_11comp_targetILNS1_3genE9ELNS1_11target_archE1100ELNS1_3gpuE3ELNS1_3repE0EEENS1_30default_config_static_selectorELNS0_4arch9wavefront6targetE0EEEvT1_
                                        ; -- End function
	.section	.AMDGPU.csdata,"",@progbits
; Kernel info:
; codeLenInByte = 8492
; NumSgprs: 28
; NumVgprs: 53
; ScratchSize: 0
; MemoryBound: 0
; FloatMode: 240
; IeeeMode: 1
; LDSByteSize: 12680 bytes/workgroup (compile time only)
; SGPRBlocks: 3
; VGPRBlocks: 6
; NumSGPRsForWavesPerEU: 28
; NumVGPRsForWavesPerEU: 53
; Occupancy: 15
; WaveLimiterHint : 1
; COMPUTE_PGM_RSRC2:SCRATCH_EN: 0
; COMPUTE_PGM_RSRC2:USER_SGPR: 15
; COMPUTE_PGM_RSRC2:TRAP_HANDLER: 0
; COMPUTE_PGM_RSRC2:TGID_X_EN: 1
; COMPUTE_PGM_RSRC2:TGID_Y_EN: 0
; COMPUTE_PGM_RSRC2:TGID_Z_EN: 0
; COMPUTE_PGM_RSRC2:TIDIG_COMP_CNT: 0
	.section	.text._ZN7rocprim17ROCPRIM_400000_NS6detail17trampoline_kernelINS0_14default_configENS1_25partition_config_selectorILNS1_17partition_subalgoE9EijbEEZZNS1_14partition_implILS5_9ELb0ES3_jN6thrust23THRUST_200600_302600_NS6detail15normal_iteratorINS9_10device_ptrIiEEEENSB_INSC_IjEEEEPNS0_10empty_typeENS0_5tupleIJNS9_16discard_iteratorINS9_11use_defaultEEESH_EEENSJ_IJSG_SI_EEENS0_18inequality_wrapperINS9_8equal_toIiEEEEPmJSH_EEE10hipError_tPvRmT3_T4_T5_T6_T7_T9_mT8_P12ihipStream_tbDpT10_ENKUlT_T0_E_clISt17integral_constantIbLb0EES1C_IbLb1EEEEDaS18_S19_EUlS18_E_NS1_11comp_targetILNS1_3genE8ELNS1_11target_archE1030ELNS1_3gpuE2ELNS1_3repE0EEENS1_30default_config_static_selectorELNS0_4arch9wavefront6targetE0EEEvT1_,"axG",@progbits,_ZN7rocprim17ROCPRIM_400000_NS6detail17trampoline_kernelINS0_14default_configENS1_25partition_config_selectorILNS1_17partition_subalgoE9EijbEEZZNS1_14partition_implILS5_9ELb0ES3_jN6thrust23THRUST_200600_302600_NS6detail15normal_iteratorINS9_10device_ptrIiEEEENSB_INSC_IjEEEEPNS0_10empty_typeENS0_5tupleIJNS9_16discard_iteratorINS9_11use_defaultEEESH_EEENSJ_IJSG_SI_EEENS0_18inequality_wrapperINS9_8equal_toIiEEEEPmJSH_EEE10hipError_tPvRmT3_T4_T5_T6_T7_T9_mT8_P12ihipStream_tbDpT10_ENKUlT_T0_E_clISt17integral_constantIbLb0EES1C_IbLb1EEEEDaS18_S19_EUlS18_E_NS1_11comp_targetILNS1_3genE8ELNS1_11target_archE1030ELNS1_3gpuE2ELNS1_3repE0EEENS1_30default_config_static_selectorELNS0_4arch9wavefront6targetE0EEEvT1_,comdat
	.protected	_ZN7rocprim17ROCPRIM_400000_NS6detail17trampoline_kernelINS0_14default_configENS1_25partition_config_selectorILNS1_17partition_subalgoE9EijbEEZZNS1_14partition_implILS5_9ELb0ES3_jN6thrust23THRUST_200600_302600_NS6detail15normal_iteratorINS9_10device_ptrIiEEEENSB_INSC_IjEEEEPNS0_10empty_typeENS0_5tupleIJNS9_16discard_iteratorINS9_11use_defaultEEESH_EEENSJ_IJSG_SI_EEENS0_18inequality_wrapperINS9_8equal_toIiEEEEPmJSH_EEE10hipError_tPvRmT3_T4_T5_T6_T7_T9_mT8_P12ihipStream_tbDpT10_ENKUlT_T0_E_clISt17integral_constantIbLb0EES1C_IbLb1EEEEDaS18_S19_EUlS18_E_NS1_11comp_targetILNS1_3genE8ELNS1_11target_archE1030ELNS1_3gpuE2ELNS1_3repE0EEENS1_30default_config_static_selectorELNS0_4arch9wavefront6targetE0EEEvT1_ ; -- Begin function _ZN7rocprim17ROCPRIM_400000_NS6detail17trampoline_kernelINS0_14default_configENS1_25partition_config_selectorILNS1_17partition_subalgoE9EijbEEZZNS1_14partition_implILS5_9ELb0ES3_jN6thrust23THRUST_200600_302600_NS6detail15normal_iteratorINS9_10device_ptrIiEEEENSB_INSC_IjEEEEPNS0_10empty_typeENS0_5tupleIJNS9_16discard_iteratorINS9_11use_defaultEEESH_EEENSJ_IJSG_SI_EEENS0_18inequality_wrapperINS9_8equal_toIiEEEEPmJSH_EEE10hipError_tPvRmT3_T4_T5_T6_T7_T9_mT8_P12ihipStream_tbDpT10_ENKUlT_T0_E_clISt17integral_constantIbLb0EES1C_IbLb1EEEEDaS18_S19_EUlS18_E_NS1_11comp_targetILNS1_3genE8ELNS1_11target_archE1030ELNS1_3gpuE2ELNS1_3repE0EEENS1_30default_config_static_selectorELNS0_4arch9wavefront6targetE0EEEvT1_
	.globl	_ZN7rocprim17ROCPRIM_400000_NS6detail17trampoline_kernelINS0_14default_configENS1_25partition_config_selectorILNS1_17partition_subalgoE9EijbEEZZNS1_14partition_implILS5_9ELb0ES3_jN6thrust23THRUST_200600_302600_NS6detail15normal_iteratorINS9_10device_ptrIiEEEENSB_INSC_IjEEEEPNS0_10empty_typeENS0_5tupleIJNS9_16discard_iteratorINS9_11use_defaultEEESH_EEENSJ_IJSG_SI_EEENS0_18inequality_wrapperINS9_8equal_toIiEEEEPmJSH_EEE10hipError_tPvRmT3_T4_T5_T6_T7_T9_mT8_P12ihipStream_tbDpT10_ENKUlT_T0_E_clISt17integral_constantIbLb0EES1C_IbLb1EEEEDaS18_S19_EUlS18_E_NS1_11comp_targetILNS1_3genE8ELNS1_11target_archE1030ELNS1_3gpuE2ELNS1_3repE0EEENS1_30default_config_static_selectorELNS0_4arch9wavefront6targetE0EEEvT1_
	.p2align	8
	.type	_ZN7rocprim17ROCPRIM_400000_NS6detail17trampoline_kernelINS0_14default_configENS1_25partition_config_selectorILNS1_17partition_subalgoE9EijbEEZZNS1_14partition_implILS5_9ELb0ES3_jN6thrust23THRUST_200600_302600_NS6detail15normal_iteratorINS9_10device_ptrIiEEEENSB_INSC_IjEEEEPNS0_10empty_typeENS0_5tupleIJNS9_16discard_iteratorINS9_11use_defaultEEESH_EEENSJ_IJSG_SI_EEENS0_18inequality_wrapperINS9_8equal_toIiEEEEPmJSH_EEE10hipError_tPvRmT3_T4_T5_T6_T7_T9_mT8_P12ihipStream_tbDpT10_ENKUlT_T0_E_clISt17integral_constantIbLb0EES1C_IbLb1EEEEDaS18_S19_EUlS18_E_NS1_11comp_targetILNS1_3genE8ELNS1_11target_archE1030ELNS1_3gpuE2ELNS1_3repE0EEENS1_30default_config_static_selectorELNS0_4arch9wavefront6targetE0EEEvT1_,@function
_ZN7rocprim17ROCPRIM_400000_NS6detail17trampoline_kernelINS0_14default_configENS1_25partition_config_selectorILNS1_17partition_subalgoE9EijbEEZZNS1_14partition_implILS5_9ELb0ES3_jN6thrust23THRUST_200600_302600_NS6detail15normal_iteratorINS9_10device_ptrIiEEEENSB_INSC_IjEEEEPNS0_10empty_typeENS0_5tupleIJNS9_16discard_iteratorINS9_11use_defaultEEESH_EEENSJ_IJSG_SI_EEENS0_18inequality_wrapperINS9_8equal_toIiEEEEPmJSH_EEE10hipError_tPvRmT3_T4_T5_T6_T7_T9_mT8_P12ihipStream_tbDpT10_ENKUlT_T0_E_clISt17integral_constantIbLb0EES1C_IbLb1EEEEDaS18_S19_EUlS18_E_NS1_11comp_targetILNS1_3genE8ELNS1_11target_archE1030ELNS1_3gpuE2ELNS1_3repE0EEENS1_30default_config_static_selectorELNS0_4arch9wavefront6targetE0EEEvT1_: ; @_ZN7rocprim17ROCPRIM_400000_NS6detail17trampoline_kernelINS0_14default_configENS1_25partition_config_selectorILNS1_17partition_subalgoE9EijbEEZZNS1_14partition_implILS5_9ELb0ES3_jN6thrust23THRUST_200600_302600_NS6detail15normal_iteratorINS9_10device_ptrIiEEEENSB_INSC_IjEEEEPNS0_10empty_typeENS0_5tupleIJNS9_16discard_iteratorINS9_11use_defaultEEESH_EEENSJ_IJSG_SI_EEENS0_18inequality_wrapperINS9_8equal_toIiEEEEPmJSH_EEE10hipError_tPvRmT3_T4_T5_T6_T7_T9_mT8_P12ihipStream_tbDpT10_ENKUlT_T0_E_clISt17integral_constantIbLb0EES1C_IbLb1EEEEDaS18_S19_EUlS18_E_NS1_11comp_targetILNS1_3genE8ELNS1_11target_archE1030ELNS1_3gpuE2ELNS1_3repE0EEENS1_30default_config_static_selectorELNS0_4arch9wavefront6targetE0EEEvT1_
; %bb.0:
	.section	.rodata,"a",@progbits
	.p2align	6, 0x0
	.amdhsa_kernel _ZN7rocprim17ROCPRIM_400000_NS6detail17trampoline_kernelINS0_14default_configENS1_25partition_config_selectorILNS1_17partition_subalgoE9EijbEEZZNS1_14partition_implILS5_9ELb0ES3_jN6thrust23THRUST_200600_302600_NS6detail15normal_iteratorINS9_10device_ptrIiEEEENSB_INSC_IjEEEEPNS0_10empty_typeENS0_5tupleIJNS9_16discard_iteratorINS9_11use_defaultEEESH_EEENSJ_IJSG_SI_EEENS0_18inequality_wrapperINS9_8equal_toIiEEEEPmJSH_EEE10hipError_tPvRmT3_T4_T5_T6_T7_T9_mT8_P12ihipStream_tbDpT10_ENKUlT_T0_E_clISt17integral_constantIbLb0EES1C_IbLb1EEEEDaS18_S19_EUlS18_E_NS1_11comp_targetILNS1_3genE8ELNS1_11target_archE1030ELNS1_3gpuE2ELNS1_3repE0EEENS1_30default_config_static_selectorELNS0_4arch9wavefront6targetE0EEEvT1_
		.amdhsa_group_segment_fixed_size 0
		.amdhsa_private_segment_fixed_size 0
		.amdhsa_kernarg_size 136
		.amdhsa_user_sgpr_count 15
		.amdhsa_user_sgpr_dispatch_ptr 0
		.amdhsa_user_sgpr_queue_ptr 0
		.amdhsa_user_sgpr_kernarg_segment_ptr 1
		.amdhsa_user_sgpr_dispatch_id 0
		.amdhsa_user_sgpr_private_segment_size 0
		.amdhsa_wavefront_size32 1
		.amdhsa_uses_dynamic_stack 0
		.amdhsa_enable_private_segment 0
		.amdhsa_system_sgpr_workgroup_id_x 1
		.amdhsa_system_sgpr_workgroup_id_y 0
		.amdhsa_system_sgpr_workgroup_id_z 0
		.amdhsa_system_sgpr_workgroup_info 0
		.amdhsa_system_vgpr_workitem_id 0
		.amdhsa_next_free_vgpr 1
		.amdhsa_next_free_sgpr 1
		.amdhsa_reserve_vcc 0
		.amdhsa_float_round_mode_32 0
		.amdhsa_float_round_mode_16_64 0
		.amdhsa_float_denorm_mode_32 3
		.amdhsa_float_denorm_mode_16_64 3
		.amdhsa_dx10_clamp 1
		.amdhsa_ieee_mode 1
		.amdhsa_fp16_overflow 0
		.amdhsa_workgroup_processor_mode 1
		.amdhsa_memory_ordered 1
		.amdhsa_forward_progress 0
		.amdhsa_shared_vgpr_count 0
		.amdhsa_exception_fp_ieee_invalid_op 0
		.amdhsa_exception_fp_denorm_src 0
		.amdhsa_exception_fp_ieee_div_zero 0
		.amdhsa_exception_fp_ieee_overflow 0
		.amdhsa_exception_fp_ieee_underflow 0
		.amdhsa_exception_fp_ieee_inexact 0
		.amdhsa_exception_int_div_zero 0
	.end_amdhsa_kernel
	.section	.text._ZN7rocprim17ROCPRIM_400000_NS6detail17trampoline_kernelINS0_14default_configENS1_25partition_config_selectorILNS1_17partition_subalgoE9EijbEEZZNS1_14partition_implILS5_9ELb0ES3_jN6thrust23THRUST_200600_302600_NS6detail15normal_iteratorINS9_10device_ptrIiEEEENSB_INSC_IjEEEEPNS0_10empty_typeENS0_5tupleIJNS9_16discard_iteratorINS9_11use_defaultEEESH_EEENSJ_IJSG_SI_EEENS0_18inequality_wrapperINS9_8equal_toIiEEEEPmJSH_EEE10hipError_tPvRmT3_T4_T5_T6_T7_T9_mT8_P12ihipStream_tbDpT10_ENKUlT_T0_E_clISt17integral_constantIbLb0EES1C_IbLb1EEEEDaS18_S19_EUlS18_E_NS1_11comp_targetILNS1_3genE8ELNS1_11target_archE1030ELNS1_3gpuE2ELNS1_3repE0EEENS1_30default_config_static_selectorELNS0_4arch9wavefront6targetE0EEEvT1_,"axG",@progbits,_ZN7rocprim17ROCPRIM_400000_NS6detail17trampoline_kernelINS0_14default_configENS1_25partition_config_selectorILNS1_17partition_subalgoE9EijbEEZZNS1_14partition_implILS5_9ELb0ES3_jN6thrust23THRUST_200600_302600_NS6detail15normal_iteratorINS9_10device_ptrIiEEEENSB_INSC_IjEEEEPNS0_10empty_typeENS0_5tupleIJNS9_16discard_iteratorINS9_11use_defaultEEESH_EEENSJ_IJSG_SI_EEENS0_18inequality_wrapperINS9_8equal_toIiEEEEPmJSH_EEE10hipError_tPvRmT3_T4_T5_T6_T7_T9_mT8_P12ihipStream_tbDpT10_ENKUlT_T0_E_clISt17integral_constantIbLb0EES1C_IbLb1EEEEDaS18_S19_EUlS18_E_NS1_11comp_targetILNS1_3genE8ELNS1_11target_archE1030ELNS1_3gpuE2ELNS1_3repE0EEENS1_30default_config_static_selectorELNS0_4arch9wavefront6targetE0EEEvT1_,comdat
.Lfunc_end1172:
	.size	_ZN7rocprim17ROCPRIM_400000_NS6detail17trampoline_kernelINS0_14default_configENS1_25partition_config_selectorILNS1_17partition_subalgoE9EijbEEZZNS1_14partition_implILS5_9ELb0ES3_jN6thrust23THRUST_200600_302600_NS6detail15normal_iteratorINS9_10device_ptrIiEEEENSB_INSC_IjEEEEPNS0_10empty_typeENS0_5tupleIJNS9_16discard_iteratorINS9_11use_defaultEEESH_EEENSJ_IJSG_SI_EEENS0_18inequality_wrapperINS9_8equal_toIiEEEEPmJSH_EEE10hipError_tPvRmT3_T4_T5_T6_T7_T9_mT8_P12ihipStream_tbDpT10_ENKUlT_T0_E_clISt17integral_constantIbLb0EES1C_IbLb1EEEEDaS18_S19_EUlS18_E_NS1_11comp_targetILNS1_3genE8ELNS1_11target_archE1030ELNS1_3gpuE2ELNS1_3repE0EEENS1_30default_config_static_selectorELNS0_4arch9wavefront6targetE0EEEvT1_, .Lfunc_end1172-_ZN7rocprim17ROCPRIM_400000_NS6detail17trampoline_kernelINS0_14default_configENS1_25partition_config_selectorILNS1_17partition_subalgoE9EijbEEZZNS1_14partition_implILS5_9ELb0ES3_jN6thrust23THRUST_200600_302600_NS6detail15normal_iteratorINS9_10device_ptrIiEEEENSB_INSC_IjEEEEPNS0_10empty_typeENS0_5tupleIJNS9_16discard_iteratorINS9_11use_defaultEEESH_EEENSJ_IJSG_SI_EEENS0_18inequality_wrapperINS9_8equal_toIiEEEEPmJSH_EEE10hipError_tPvRmT3_T4_T5_T6_T7_T9_mT8_P12ihipStream_tbDpT10_ENKUlT_T0_E_clISt17integral_constantIbLb0EES1C_IbLb1EEEEDaS18_S19_EUlS18_E_NS1_11comp_targetILNS1_3genE8ELNS1_11target_archE1030ELNS1_3gpuE2ELNS1_3repE0EEENS1_30default_config_static_selectorELNS0_4arch9wavefront6targetE0EEEvT1_
                                        ; -- End function
	.section	.AMDGPU.csdata,"",@progbits
; Kernel info:
; codeLenInByte = 0
; NumSgprs: 0
; NumVgprs: 0
; ScratchSize: 0
; MemoryBound: 0
; FloatMode: 240
; IeeeMode: 1
; LDSByteSize: 0 bytes/workgroup (compile time only)
; SGPRBlocks: 0
; VGPRBlocks: 0
; NumSGPRsForWavesPerEU: 1
; NumVGPRsForWavesPerEU: 1
; Occupancy: 16
; WaveLimiterHint : 0
; COMPUTE_PGM_RSRC2:SCRATCH_EN: 0
; COMPUTE_PGM_RSRC2:USER_SGPR: 15
; COMPUTE_PGM_RSRC2:TRAP_HANDLER: 0
; COMPUTE_PGM_RSRC2:TGID_X_EN: 1
; COMPUTE_PGM_RSRC2:TGID_Y_EN: 0
; COMPUTE_PGM_RSRC2:TGID_Z_EN: 0
; COMPUTE_PGM_RSRC2:TIDIG_COMP_CNT: 0
	.section	.text._ZN7rocprim17ROCPRIM_400000_NS6detail17trampoline_kernelINS0_14default_configENS1_25partition_config_selectorILNS1_17partition_subalgoE9EsjbEEZZNS1_14partition_implILS5_9ELb0ES3_jN6thrust23THRUST_200600_302600_NS6detail15normal_iteratorINS9_10device_ptrIsEEEENSB_INSC_IjEEEEPNS0_10empty_typeENS0_5tupleIJNS9_16discard_iteratorINS9_11use_defaultEEESH_EEENSJ_IJSM_SI_EEENS0_18inequality_wrapperINS9_8equal_toIsEEEEPmJSH_EEE10hipError_tPvRmT3_T4_T5_T6_T7_T9_mT8_P12ihipStream_tbDpT10_ENKUlT_T0_E_clISt17integral_constantIbLb0EES1D_EEDaS18_S19_EUlS18_E_NS1_11comp_targetILNS1_3genE0ELNS1_11target_archE4294967295ELNS1_3gpuE0ELNS1_3repE0EEENS1_30default_config_static_selectorELNS0_4arch9wavefront6targetE0EEEvT1_,"axG",@progbits,_ZN7rocprim17ROCPRIM_400000_NS6detail17trampoline_kernelINS0_14default_configENS1_25partition_config_selectorILNS1_17partition_subalgoE9EsjbEEZZNS1_14partition_implILS5_9ELb0ES3_jN6thrust23THRUST_200600_302600_NS6detail15normal_iteratorINS9_10device_ptrIsEEEENSB_INSC_IjEEEEPNS0_10empty_typeENS0_5tupleIJNS9_16discard_iteratorINS9_11use_defaultEEESH_EEENSJ_IJSM_SI_EEENS0_18inequality_wrapperINS9_8equal_toIsEEEEPmJSH_EEE10hipError_tPvRmT3_T4_T5_T6_T7_T9_mT8_P12ihipStream_tbDpT10_ENKUlT_T0_E_clISt17integral_constantIbLb0EES1D_EEDaS18_S19_EUlS18_E_NS1_11comp_targetILNS1_3genE0ELNS1_11target_archE4294967295ELNS1_3gpuE0ELNS1_3repE0EEENS1_30default_config_static_selectorELNS0_4arch9wavefront6targetE0EEEvT1_,comdat
	.protected	_ZN7rocprim17ROCPRIM_400000_NS6detail17trampoline_kernelINS0_14default_configENS1_25partition_config_selectorILNS1_17partition_subalgoE9EsjbEEZZNS1_14partition_implILS5_9ELb0ES3_jN6thrust23THRUST_200600_302600_NS6detail15normal_iteratorINS9_10device_ptrIsEEEENSB_INSC_IjEEEEPNS0_10empty_typeENS0_5tupleIJNS9_16discard_iteratorINS9_11use_defaultEEESH_EEENSJ_IJSM_SI_EEENS0_18inequality_wrapperINS9_8equal_toIsEEEEPmJSH_EEE10hipError_tPvRmT3_T4_T5_T6_T7_T9_mT8_P12ihipStream_tbDpT10_ENKUlT_T0_E_clISt17integral_constantIbLb0EES1D_EEDaS18_S19_EUlS18_E_NS1_11comp_targetILNS1_3genE0ELNS1_11target_archE4294967295ELNS1_3gpuE0ELNS1_3repE0EEENS1_30default_config_static_selectorELNS0_4arch9wavefront6targetE0EEEvT1_ ; -- Begin function _ZN7rocprim17ROCPRIM_400000_NS6detail17trampoline_kernelINS0_14default_configENS1_25partition_config_selectorILNS1_17partition_subalgoE9EsjbEEZZNS1_14partition_implILS5_9ELb0ES3_jN6thrust23THRUST_200600_302600_NS6detail15normal_iteratorINS9_10device_ptrIsEEEENSB_INSC_IjEEEEPNS0_10empty_typeENS0_5tupleIJNS9_16discard_iteratorINS9_11use_defaultEEESH_EEENSJ_IJSM_SI_EEENS0_18inequality_wrapperINS9_8equal_toIsEEEEPmJSH_EEE10hipError_tPvRmT3_T4_T5_T6_T7_T9_mT8_P12ihipStream_tbDpT10_ENKUlT_T0_E_clISt17integral_constantIbLb0EES1D_EEDaS18_S19_EUlS18_E_NS1_11comp_targetILNS1_3genE0ELNS1_11target_archE4294967295ELNS1_3gpuE0ELNS1_3repE0EEENS1_30default_config_static_selectorELNS0_4arch9wavefront6targetE0EEEvT1_
	.globl	_ZN7rocprim17ROCPRIM_400000_NS6detail17trampoline_kernelINS0_14default_configENS1_25partition_config_selectorILNS1_17partition_subalgoE9EsjbEEZZNS1_14partition_implILS5_9ELb0ES3_jN6thrust23THRUST_200600_302600_NS6detail15normal_iteratorINS9_10device_ptrIsEEEENSB_INSC_IjEEEEPNS0_10empty_typeENS0_5tupleIJNS9_16discard_iteratorINS9_11use_defaultEEESH_EEENSJ_IJSM_SI_EEENS0_18inequality_wrapperINS9_8equal_toIsEEEEPmJSH_EEE10hipError_tPvRmT3_T4_T5_T6_T7_T9_mT8_P12ihipStream_tbDpT10_ENKUlT_T0_E_clISt17integral_constantIbLb0EES1D_EEDaS18_S19_EUlS18_E_NS1_11comp_targetILNS1_3genE0ELNS1_11target_archE4294967295ELNS1_3gpuE0ELNS1_3repE0EEENS1_30default_config_static_selectorELNS0_4arch9wavefront6targetE0EEEvT1_
	.p2align	8
	.type	_ZN7rocprim17ROCPRIM_400000_NS6detail17trampoline_kernelINS0_14default_configENS1_25partition_config_selectorILNS1_17partition_subalgoE9EsjbEEZZNS1_14partition_implILS5_9ELb0ES3_jN6thrust23THRUST_200600_302600_NS6detail15normal_iteratorINS9_10device_ptrIsEEEENSB_INSC_IjEEEEPNS0_10empty_typeENS0_5tupleIJNS9_16discard_iteratorINS9_11use_defaultEEESH_EEENSJ_IJSM_SI_EEENS0_18inequality_wrapperINS9_8equal_toIsEEEEPmJSH_EEE10hipError_tPvRmT3_T4_T5_T6_T7_T9_mT8_P12ihipStream_tbDpT10_ENKUlT_T0_E_clISt17integral_constantIbLb0EES1D_EEDaS18_S19_EUlS18_E_NS1_11comp_targetILNS1_3genE0ELNS1_11target_archE4294967295ELNS1_3gpuE0ELNS1_3repE0EEENS1_30default_config_static_selectorELNS0_4arch9wavefront6targetE0EEEvT1_,@function
_ZN7rocprim17ROCPRIM_400000_NS6detail17trampoline_kernelINS0_14default_configENS1_25partition_config_selectorILNS1_17partition_subalgoE9EsjbEEZZNS1_14partition_implILS5_9ELb0ES3_jN6thrust23THRUST_200600_302600_NS6detail15normal_iteratorINS9_10device_ptrIsEEEENSB_INSC_IjEEEEPNS0_10empty_typeENS0_5tupleIJNS9_16discard_iteratorINS9_11use_defaultEEESH_EEENSJ_IJSM_SI_EEENS0_18inequality_wrapperINS9_8equal_toIsEEEEPmJSH_EEE10hipError_tPvRmT3_T4_T5_T6_T7_T9_mT8_P12ihipStream_tbDpT10_ENKUlT_T0_E_clISt17integral_constantIbLb0EES1D_EEDaS18_S19_EUlS18_E_NS1_11comp_targetILNS1_3genE0ELNS1_11target_archE4294967295ELNS1_3gpuE0ELNS1_3repE0EEENS1_30default_config_static_selectorELNS0_4arch9wavefront6targetE0EEEvT1_: ; @_ZN7rocprim17ROCPRIM_400000_NS6detail17trampoline_kernelINS0_14default_configENS1_25partition_config_selectorILNS1_17partition_subalgoE9EsjbEEZZNS1_14partition_implILS5_9ELb0ES3_jN6thrust23THRUST_200600_302600_NS6detail15normal_iteratorINS9_10device_ptrIsEEEENSB_INSC_IjEEEEPNS0_10empty_typeENS0_5tupleIJNS9_16discard_iteratorINS9_11use_defaultEEESH_EEENSJ_IJSM_SI_EEENS0_18inequality_wrapperINS9_8equal_toIsEEEEPmJSH_EEE10hipError_tPvRmT3_T4_T5_T6_T7_T9_mT8_P12ihipStream_tbDpT10_ENKUlT_T0_E_clISt17integral_constantIbLb0EES1D_EEDaS18_S19_EUlS18_E_NS1_11comp_targetILNS1_3genE0ELNS1_11target_archE4294967295ELNS1_3gpuE0ELNS1_3repE0EEENS1_30default_config_static_selectorELNS0_4arch9wavefront6targetE0EEEvT1_
; %bb.0:
	.section	.rodata,"a",@progbits
	.p2align	6, 0x0
	.amdhsa_kernel _ZN7rocprim17ROCPRIM_400000_NS6detail17trampoline_kernelINS0_14default_configENS1_25partition_config_selectorILNS1_17partition_subalgoE9EsjbEEZZNS1_14partition_implILS5_9ELb0ES3_jN6thrust23THRUST_200600_302600_NS6detail15normal_iteratorINS9_10device_ptrIsEEEENSB_INSC_IjEEEEPNS0_10empty_typeENS0_5tupleIJNS9_16discard_iteratorINS9_11use_defaultEEESH_EEENSJ_IJSM_SI_EEENS0_18inequality_wrapperINS9_8equal_toIsEEEEPmJSH_EEE10hipError_tPvRmT3_T4_T5_T6_T7_T9_mT8_P12ihipStream_tbDpT10_ENKUlT_T0_E_clISt17integral_constantIbLb0EES1D_EEDaS18_S19_EUlS18_E_NS1_11comp_targetILNS1_3genE0ELNS1_11target_archE4294967295ELNS1_3gpuE0ELNS1_3repE0EEENS1_30default_config_static_selectorELNS0_4arch9wavefront6targetE0EEEvT1_
		.amdhsa_group_segment_fixed_size 0
		.amdhsa_private_segment_fixed_size 0
		.amdhsa_kernarg_size 128
		.amdhsa_user_sgpr_count 15
		.amdhsa_user_sgpr_dispatch_ptr 0
		.amdhsa_user_sgpr_queue_ptr 0
		.amdhsa_user_sgpr_kernarg_segment_ptr 1
		.amdhsa_user_sgpr_dispatch_id 0
		.amdhsa_user_sgpr_private_segment_size 0
		.amdhsa_wavefront_size32 1
		.amdhsa_uses_dynamic_stack 0
		.amdhsa_enable_private_segment 0
		.amdhsa_system_sgpr_workgroup_id_x 1
		.amdhsa_system_sgpr_workgroup_id_y 0
		.amdhsa_system_sgpr_workgroup_id_z 0
		.amdhsa_system_sgpr_workgroup_info 0
		.amdhsa_system_vgpr_workitem_id 0
		.amdhsa_next_free_vgpr 1
		.amdhsa_next_free_sgpr 1
		.amdhsa_reserve_vcc 0
		.amdhsa_float_round_mode_32 0
		.amdhsa_float_round_mode_16_64 0
		.amdhsa_float_denorm_mode_32 3
		.amdhsa_float_denorm_mode_16_64 3
		.amdhsa_dx10_clamp 1
		.amdhsa_ieee_mode 1
		.amdhsa_fp16_overflow 0
		.amdhsa_workgroup_processor_mode 1
		.amdhsa_memory_ordered 1
		.amdhsa_forward_progress 0
		.amdhsa_shared_vgpr_count 0
		.amdhsa_exception_fp_ieee_invalid_op 0
		.amdhsa_exception_fp_denorm_src 0
		.amdhsa_exception_fp_ieee_div_zero 0
		.amdhsa_exception_fp_ieee_overflow 0
		.amdhsa_exception_fp_ieee_underflow 0
		.amdhsa_exception_fp_ieee_inexact 0
		.amdhsa_exception_int_div_zero 0
	.end_amdhsa_kernel
	.section	.text._ZN7rocprim17ROCPRIM_400000_NS6detail17trampoline_kernelINS0_14default_configENS1_25partition_config_selectorILNS1_17partition_subalgoE9EsjbEEZZNS1_14partition_implILS5_9ELb0ES3_jN6thrust23THRUST_200600_302600_NS6detail15normal_iteratorINS9_10device_ptrIsEEEENSB_INSC_IjEEEEPNS0_10empty_typeENS0_5tupleIJNS9_16discard_iteratorINS9_11use_defaultEEESH_EEENSJ_IJSM_SI_EEENS0_18inequality_wrapperINS9_8equal_toIsEEEEPmJSH_EEE10hipError_tPvRmT3_T4_T5_T6_T7_T9_mT8_P12ihipStream_tbDpT10_ENKUlT_T0_E_clISt17integral_constantIbLb0EES1D_EEDaS18_S19_EUlS18_E_NS1_11comp_targetILNS1_3genE0ELNS1_11target_archE4294967295ELNS1_3gpuE0ELNS1_3repE0EEENS1_30default_config_static_selectorELNS0_4arch9wavefront6targetE0EEEvT1_,"axG",@progbits,_ZN7rocprim17ROCPRIM_400000_NS6detail17trampoline_kernelINS0_14default_configENS1_25partition_config_selectorILNS1_17partition_subalgoE9EsjbEEZZNS1_14partition_implILS5_9ELb0ES3_jN6thrust23THRUST_200600_302600_NS6detail15normal_iteratorINS9_10device_ptrIsEEEENSB_INSC_IjEEEEPNS0_10empty_typeENS0_5tupleIJNS9_16discard_iteratorINS9_11use_defaultEEESH_EEENSJ_IJSM_SI_EEENS0_18inequality_wrapperINS9_8equal_toIsEEEEPmJSH_EEE10hipError_tPvRmT3_T4_T5_T6_T7_T9_mT8_P12ihipStream_tbDpT10_ENKUlT_T0_E_clISt17integral_constantIbLb0EES1D_EEDaS18_S19_EUlS18_E_NS1_11comp_targetILNS1_3genE0ELNS1_11target_archE4294967295ELNS1_3gpuE0ELNS1_3repE0EEENS1_30default_config_static_selectorELNS0_4arch9wavefront6targetE0EEEvT1_,comdat
.Lfunc_end1173:
	.size	_ZN7rocprim17ROCPRIM_400000_NS6detail17trampoline_kernelINS0_14default_configENS1_25partition_config_selectorILNS1_17partition_subalgoE9EsjbEEZZNS1_14partition_implILS5_9ELb0ES3_jN6thrust23THRUST_200600_302600_NS6detail15normal_iteratorINS9_10device_ptrIsEEEENSB_INSC_IjEEEEPNS0_10empty_typeENS0_5tupleIJNS9_16discard_iteratorINS9_11use_defaultEEESH_EEENSJ_IJSM_SI_EEENS0_18inequality_wrapperINS9_8equal_toIsEEEEPmJSH_EEE10hipError_tPvRmT3_T4_T5_T6_T7_T9_mT8_P12ihipStream_tbDpT10_ENKUlT_T0_E_clISt17integral_constantIbLb0EES1D_EEDaS18_S19_EUlS18_E_NS1_11comp_targetILNS1_3genE0ELNS1_11target_archE4294967295ELNS1_3gpuE0ELNS1_3repE0EEENS1_30default_config_static_selectorELNS0_4arch9wavefront6targetE0EEEvT1_, .Lfunc_end1173-_ZN7rocprim17ROCPRIM_400000_NS6detail17trampoline_kernelINS0_14default_configENS1_25partition_config_selectorILNS1_17partition_subalgoE9EsjbEEZZNS1_14partition_implILS5_9ELb0ES3_jN6thrust23THRUST_200600_302600_NS6detail15normal_iteratorINS9_10device_ptrIsEEEENSB_INSC_IjEEEEPNS0_10empty_typeENS0_5tupleIJNS9_16discard_iteratorINS9_11use_defaultEEESH_EEENSJ_IJSM_SI_EEENS0_18inequality_wrapperINS9_8equal_toIsEEEEPmJSH_EEE10hipError_tPvRmT3_T4_T5_T6_T7_T9_mT8_P12ihipStream_tbDpT10_ENKUlT_T0_E_clISt17integral_constantIbLb0EES1D_EEDaS18_S19_EUlS18_E_NS1_11comp_targetILNS1_3genE0ELNS1_11target_archE4294967295ELNS1_3gpuE0ELNS1_3repE0EEENS1_30default_config_static_selectorELNS0_4arch9wavefront6targetE0EEEvT1_
                                        ; -- End function
	.section	.AMDGPU.csdata,"",@progbits
; Kernel info:
; codeLenInByte = 0
; NumSgprs: 0
; NumVgprs: 0
; ScratchSize: 0
; MemoryBound: 0
; FloatMode: 240
; IeeeMode: 1
; LDSByteSize: 0 bytes/workgroup (compile time only)
; SGPRBlocks: 0
; VGPRBlocks: 0
; NumSGPRsForWavesPerEU: 1
; NumVGPRsForWavesPerEU: 1
; Occupancy: 16
; WaveLimiterHint : 0
; COMPUTE_PGM_RSRC2:SCRATCH_EN: 0
; COMPUTE_PGM_RSRC2:USER_SGPR: 15
; COMPUTE_PGM_RSRC2:TRAP_HANDLER: 0
; COMPUTE_PGM_RSRC2:TGID_X_EN: 1
; COMPUTE_PGM_RSRC2:TGID_Y_EN: 0
; COMPUTE_PGM_RSRC2:TGID_Z_EN: 0
; COMPUTE_PGM_RSRC2:TIDIG_COMP_CNT: 0
	.section	.text._ZN7rocprim17ROCPRIM_400000_NS6detail17trampoline_kernelINS0_14default_configENS1_25partition_config_selectorILNS1_17partition_subalgoE9EsjbEEZZNS1_14partition_implILS5_9ELb0ES3_jN6thrust23THRUST_200600_302600_NS6detail15normal_iteratorINS9_10device_ptrIsEEEENSB_INSC_IjEEEEPNS0_10empty_typeENS0_5tupleIJNS9_16discard_iteratorINS9_11use_defaultEEESH_EEENSJ_IJSM_SI_EEENS0_18inequality_wrapperINS9_8equal_toIsEEEEPmJSH_EEE10hipError_tPvRmT3_T4_T5_T6_T7_T9_mT8_P12ihipStream_tbDpT10_ENKUlT_T0_E_clISt17integral_constantIbLb0EES1D_EEDaS18_S19_EUlS18_E_NS1_11comp_targetILNS1_3genE5ELNS1_11target_archE942ELNS1_3gpuE9ELNS1_3repE0EEENS1_30default_config_static_selectorELNS0_4arch9wavefront6targetE0EEEvT1_,"axG",@progbits,_ZN7rocprim17ROCPRIM_400000_NS6detail17trampoline_kernelINS0_14default_configENS1_25partition_config_selectorILNS1_17partition_subalgoE9EsjbEEZZNS1_14partition_implILS5_9ELb0ES3_jN6thrust23THRUST_200600_302600_NS6detail15normal_iteratorINS9_10device_ptrIsEEEENSB_INSC_IjEEEEPNS0_10empty_typeENS0_5tupleIJNS9_16discard_iteratorINS9_11use_defaultEEESH_EEENSJ_IJSM_SI_EEENS0_18inequality_wrapperINS9_8equal_toIsEEEEPmJSH_EEE10hipError_tPvRmT3_T4_T5_T6_T7_T9_mT8_P12ihipStream_tbDpT10_ENKUlT_T0_E_clISt17integral_constantIbLb0EES1D_EEDaS18_S19_EUlS18_E_NS1_11comp_targetILNS1_3genE5ELNS1_11target_archE942ELNS1_3gpuE9ELNS1_3repE0EEENS1_30default_config_static_selectorELNS0_4arch9wavefront6targetE0EEEvT1_,comdat
	.protected	_ZN7rocprim17ROCPRIM_400000_NS6detail17trampoline_kernelINS0_14default_configENS1_25partition_config_selectorILNS1_17partition_subalgoE9EsjbEEZZNS1_14partition_implILS5_9ELb0ES3_jN6thrust23THRUST_200600_302600_NS6detail15normal_iteratorINS9_10device_ptrIsEEEENSB_INSC_IjEEEEPNS0_10empty_typeENS0_5tupleIJNS9_16discard_iteratorINS9_11use_defaultEEESH_EEENSJ_IJSM_SI_EEENS0_18inequality_wrapperINS9_8equal_toIsEEEEPmJSH_EEE10hipError_tPvRmT3_T4_T5_T6_T7_T9_mT8_P12ihipStream_tbDpT10_ENKUlT_T0_E_clISt17integral_constantIbLb0EES1D_EEDaS18_S19_EUlS18_E_NS1_11comp_targetILNS1_3genE5ELNS1_11target_archE942ELNS1_3gpuE9ELNS1_3repE0EEENS1_30default_config_static_selectorELNS0_4arch9wavefront6targetE0EEEvT1_ ; -- Begin function _ZN7rocprim17ROCPRIM_400000_NS6detail17trampoline_kernelINS0_14default_configENS1_25partition_config_selectorILNS1_17partition_subalgoE9EsjbEEZZNS1_14partition_implILS5_9ELb0ES3_jN6thrust23THRUST_200600_302600_NS6detail15normal_iteratorINS9_10device_ptrIsEEEENSB_INSC_IjEEEEPNS0_10empty_typeENS0_5tupleIJNS9_16discard_iteratorINS9_11use_defaultEEESH_EEENSJ_IJSM_SI_EEENS0_18inequality_wrapperINS9_8equal_toIsEEEEPmJSH_EEE10hipError_tPvRmT3_T4_T5_T6_T7_T9_mT8_P12ihipStream_tbDpT10_ENKUlT_T0_E_clISt17integral_constantIbLb0EES1D_EEDaS18_S19_EUlS18_E_NS1_11comp_targetILNS1_3genE5ELNS1_11target_archE942ELNS1_3gpuE9ELNS1_3repE0EEENS1_30default_config_static_selectorELNS0_4arch9wavefront6targetE0EEEvT1_
	.globl	_ZN7rocprim17ROCPRIM_400000_NS6detail17trampoline_kernelINS0_14default_configENS1_25partition_config_selectorILNS1_17partition_subalgoE9EsjbEEZZNS1_14partition_implILS5_9ELb0ES3_jN6thrust23THRUST_200600_302600_NS6detail15normal_iteratorINS9_10device_ptrIsEEEENSB_INSC_IjEEEEPNS0_10empty_typeENS0_5tupleIJNS9_16discard_iteratorINS9_11use_defaultEEESH_EEENSJ_IJSM_SI_EEENS0_18inequality_wrapperINS9_8equal_toIsEEEEPmJSH_EEE10hipError_tPvRmT3_T4_T5_T6_T7_T9_mT8_P12ihipStream_tbDpT10_ENKUlT_T0_E_clISt17integral_constantIbLb0EES1D_EEDaS18_S19_EUlS18_E_NS1_11comp_targetILNS1_3genE5ELNS1_11target_archE942ELNS1_3gpuE9ELNS1_3repE0EEENS1_30default_config_static_selectorELNS0_4arch9wavefront6targetE0EEEvT1_
	.p2align	8
	.type	_ZN7rocprim17ROCPRIM_400000_NS6detail17trampoline_kernelINS0_14default_configENS1_25partition_config_selectorILNS1_17partition_subalgoE9EsjbEEZZNS1_14partition_implILS5_9ELb0ES3_jN6thrust23THRUST_200600_302600_NS6detail15normal_iteratorINS9_10device_ptrIsEEEENSB_INSC_IjEEEEPNS0_10empty_typeENS0_5tupleIJNS9_16discard_iteratorINS9_11use_defaultEEESH_EEENSJ_IJSM_SI_EEENS0_18inequality_wrapperINS9_8equal_toIsEEEEPmJSH_EEE10hipError_tPvRmT3_T4_T5_T6_T7_T9_mT8_P12ihipStream_tbDpT10_ENKUlT_T0_E_clISt17integral_constantIbLb0EES1D_EEDaS18_S19_EUlS18_E_NS1_11comp_targetILNS1_3genE5ELNS1_11target_archE942ELNS1_3gpuE9ELNS1_3repE0EEENS1_30default_config_static_selectorELNS0_4arch9wavefront6targetE0EEEvT1_,@function
_ZN7rocprim17ROCPRIM_400000_NS6detail17trampoline_kernelINS0_14default_configENS1_25partition_config_selectorILNS1_17partition_subalgoE9EsjbEEZZNS1_14partition_implILS5_9ELb0ES3_jN6thrust23THRUST_200600_302600_NS6detail15normal_iteratorINS9_10device_ptrIsEEEENSB_INSC_IjEEEEPNS0_10empty_typeENS0_5tupleIJNS9_16discard_iteratorINS9_11use_defaultEEESH_EEENSJ_IJSM_SI_EEENS0_18inequality_wrapperINS9_8equal_toIsEEEEPmJSH_EEE10hipError_tPvRmT3_T4_T5_T6_T7_T9_mT8_P12ihipStream_tbDpT10_ENKUlT_T0_E_clISt17integral_constantIbLb0EES1D_EEDaS18_S19_EUlS18_E_NS1_11comp_targetILNS1_3genE5ELNS1_11target_archE942ELNS1_3gpuE9ELNS1_3repE0EEENS1_30default_config_static_selectorELNS0_4arch9wavefront6targetE0EEEvT1_: ; @_ZN7rocprim17ROCPRIM_400000_NS6detail17trampoline_kernelINS0_14default_configENS1_25partition_config_selectorILNS1_17partition_subalgoE9EsjbEEZZNS1_14partition_implILS5_9ELb0ES3_jN6thrust23THRUST_200600_302600_NS6detail15normal_iteratorINS9_10device_ptrIsEEEENSB_INSC_IjEEEEPNS0_10empty_typeENS0_5tupleIJNS9_16discard_iteratorINS9_11use_defaultEEESH_EEENSJ_IJSM_SI_EEENS0_18inequality_wrapperINS9_8equal_toIsEEEEPmJSH_EEE10hipError_tPvRmT3_T4_T5_T6_T7_T9_mT8_P12ihipStream_tbDpT10_ENKUlT_T0_E_clISt17integral_constantIbLb0EES1D_EEDaS18_S19_EUlS18_E_NS1_11comp_targetILNS1_3genE5ELNS1_11target_archE942ELNS1_3gpuE9ELNS1_3repE0EEENS1_30default_config_static_selectorELNS0_4arch9wavefront6targetE0EEEvT1_
; %bb.0:
	.section	.rodata,"a",@progbits
	.p2align	6, 0x0
	.amdhsa_kernel _ZN7rocprim17ROCPRIM_400000_NS6detail17trampoline_kernelINS0_14default_configENS1_25partition_config_selectorILNS1_17partition_subalgoE9EsjbEEZZNS1_14partition_implILS5_9ELb0ES3_jN6thrust23THRUST_200600_302600_NS6detail15normal_iteratorINS9_10device_ptrIsEEEENSB_INSC_IjEEEEPNS0_10empty_typeENS0_5tupleIJNS9_16discard_iteratorINS9_11use_defaultEEESH_EEENSJ_IJSM_SI_EEENS0_18inequality_wrapperINS9_8equal_toIsEEEEPmJSH_EEE10hipError_tPvRmT3_T4_T5_T6_T7_T9_mT8_P12ihipStream_tbDpT10_ENKUlT_T0_E_clISt17integral_constantIbLb0EES1D_EEDaS18_S19_EUlS18_E_NS1_11comp_targetILNS1_3genE5ELNS1_11target_archE942ELNS1_3gpuE9ELNS1_3repE0EEENS1_30default_config_static_selectorELNS0_4arch9wavefront6targetE0EEEvT1_
		.amdhsa_group_segment_fixed_size 0
		.amdhsa_private_segment_fixed_size 0
		.amdhsa_kernarg_size 128
		.amdhsa_user_sgpr_count 15
		.amdhsa_user_sgpr_dispatch_ptr 0
		.amdhsa_user_sgpr_queue_ptr 0
		.amdhsa_user_sgpr_kernarg_segment_ptr 1
		.amdhsa_user_sgpr_dispatch_id 0
		.amdhsa_user_sgpr_private_segment_size 0
		.amdhsa_wavefront_size32 1
		.amdhsa_uses_dynamic_stack 0
		.amdhsa_enable_private_segment 0
		.amdhsa_system_sgpr_workgroup_id_x 1
		.amdhsa_system_sgpr_workgroup_id_y 0
		.amdhsa_system_sgpr_workgroup_id_z 0
		.amdhsa_system_sgpr_workgroup_info 0
		.amdhsa_system_vgpr_workitem_id 0
		.amdhsa_next_free_vgpr 1
		.amdhsa_next_free_sgpr 1
		.amdhsa_reserve_vcc 0
		.amdhsa_float_round_mode_32 0
		.amdhsa_float_round_mode_16_64 0
		.amdhsa_float_denorm_mode_32 3
		.amdhsa_float_denorm_mode_16_64 3
		.amdhsa_dx10_clamp 1
		.amdhsa_ieee_mode 1
		.amdhsa_fp16_overflow 0
		.amdhsa_workgroup_processor_mode 1
		.amdhsa_memory_ordered 1
		.amdhsa_forward_progress 0
		.amdhsa_shared_vgpr_count 0
		.amdhsa_exception_fp_ieee_invalid_op 0
		.amdhsa_exception_fp_denorm_src 0
		.amdhsa_exception_fp_ieee_div_zero 0
		.amdhsa_exception_fp_ieee_overflow 0
		.amdhsa_exception_fp_ieee_underflow 0
		.amdhsa_exception_fp_ieee_inexact 0
		.amdhsa_exception_int_div_zero 0
	.end_amdhsa_kernel
	.section	.text._ZN7rocprim17ROCPRIM_400000_NS6detail17trampoline_kernelINS0_14default_configENS1_25partition_config_selectorILNS1_17partition_subalgoE9EsjbEEZZNS1_14partition_implILS5_9ELb0ES3_jN6thrust23THRUST_200600_302600_NS6detail15normal_iteratorINS9_10device_ptrIsEEEENSB_INSC_IjEEEEPNS0_10empty_typeENS0_5tupleIJNS9_16discard_iteratorINS9_11use_defaultEEESH_EEENSJ_IJSM_SI_EEENS0_18inequality_wrapperINS9_8equal_toIsEEEEPmJSH_EEE10hipError_tPvRmT3_T4_T5_T6_T7_T9_mT8_P12ihipStream_tbDpT10_ENKUlT_T0_E_clISt17integral_constantIbLb0EES1D_EEDaS18_S19_EUlS18_E_NS1_11comp_targetILNS1_3genE5ELNS1_11target_archE942ELNS1_3gpuE9ELNS1_3repE0EEENS1_30default_config_static_selectorELNS0_4arch9wavefront6targetE0EEEvT1_,"axG",@progbits,_ZN7rocprim17ROCPRIM_400000_NS6detail17trampoline_kernelINS0_14default_configENS1_25partition_config_selectorILNS1_17partition_subalgoE9EsjbEEZZNS1_14partition_implILS5_9ELb0ES3_jN6thrust23THRUST_200600_302600_NS6detail15normal_iteratorINS9_10device_ptrIsEEEENSB_INSC_IjEEEEPNS0_10empty_typeENS0_5tupleIJNS9_16discard_iteratorINS9_11use_defaultEEESH_EEENSJ_IJSM_SI_EEENS0_18inequality_wrapperINS9_8equal_toIsEEEEPmJSH_EEE10hipError_tPvRmT3_T4_T5_T6_T7_T9_mT8_P12ihipStream_tbDpT10_ENKUlT_T0_E_clISt17integral_constantIbLb0EES1D_EEDaS18_S19_EUlS18_E_NS1_11comp_targetILNS1_3genE5ELNS1_11target_archE942ELNS1_3gpuE9ELNS1_3repE0EEENS1_30default_config_static_selectorELNS0_4arch9wavefront6targetE0EEEvT1_,comdat
.Lfunc_end1174:
	.size	_ZN7rocprim17ROCPRIM_400000_NS6detail17trampoline_kernelINS0_14default_configENS1_25partition_config_selectorILNS1_17partition_subalgoE9EsjbEEZZNS1_14partition_implILS5_9ELb0ES3_jN6thrust23THRUST_200600_302600_NS6detail15normal_iteratorINS9_10device_ptrIsEEEENSB_INSC_IjEEEEPNS0_10empty_typeENS0_5tupleIJNS9_16discard_iteratorINS9_11use_defaultEEESH_EEENSJ_IJSM_SI_EEENS0_18inequality_wrapperINS9_8equal_toIsEEEEPmJSH_EEE10hipError_tPvRmT3_T4_T5_T6_T7_T9_mT8_P12ihipStream_tbDpT10_ENKUlT_T0_E_clISt17integral_constantIbLb0EES1D_EEDaS18_S19_EUlS18_E_NS1_11comp_targetILNS1_3genE5ELNS1_11target_archE942ELNS1_3gpuE9ELNS1_3repE0EEENS1_30default_config_static_selectorELNS0_4arch9wavefront6targetE0EEEvT1_, .Lfunc_end1174-_ZN7rocprim17ROCPRIM_400000_NS6detail17trampoline_kernelINS0_14default_configENS1_25partition_config_selectorILNS1_17partition_subalgoE9EsjbEEZZNS1_14partition_implILS5_9ELb0ES3_jN6thrust23THRUST_200600_302600_NS6detail15normal_iteratorINS9_10device_ptrIsEEEENSB_INSC_IjEEEEPNS0_10empty_typeENS0_5tupleIJNS9_16discard_iteratorINS9_11use_defaultEEESH_EEENSJ_IJSM_SI_EEENS0_18inequality_wrapperINS9_8equal_toIsEEEEPmJSH_EEE10hipError_tPvRmT3_T4_T5_T6_T7_T9_mT8_P12ihipStream_tbDpT10_ENKUlT_T0_E_clISt17integral_constantIbLb0EES1D_EEDaS18_S19_EUlS18_E_NS1_11comp_targetILNS1_3genE5ELNS1_11target_archE942ELNS1_3gpuE9ELNS1_3repE0EEENS1_30default_config_static_selectorELNS0_4arch9wavefront6targetE0EEEvT1_
                                        ; -- End function
	.section	.AMDGPU.csdata,"",@progbits
; Kernel info:
; codeLenInByte = 0
; NumSgprs: 0
; NumVgprs: 0
; ScratchSize: 0
; MemoryBound: 0
; FloatMode: 240
; IeeeMode: 1
; LDSByteSize: 0 bytes/workgroup (compile time only)
; SGPRBlocks: 0
; VGPRBlocks: 0
; NumSGPRsForWavesPerEU: 1
; NumVGPRsForWavesPerEU: 1
; Occupancy: 16
; WaveLimiterHint : 0
; COMPUTE_PGM_RSRC2:SCRATCH_EN: 0
; COMPUTE_PGM_RSRC2:USER_SGPR: 15
; COMPUTE_PGM_RSRC2:TRAP_HANDLER: 0
; COMPUTE_PGM_RSRC2:TGID_X_EN: 1
; COMPUTE_PGM_RSRC2:TGID_Y_EN: 0
; COMPUTE_PGM_RSRC2:TGID_Z_EN: 0
; COMPUTE_PGM_RSRC2:TIDIG_COMP_CNT: 0
	.section	.text._ZN7rocprim17ROCPRIM_400000_NS6detail17trampoline_kernelINS0_14default_configENS1_25partition_config_selectorILNS1_17partition_subalgoE9EsjbEEZZNS1_14partition_implILS5_9ELb0ES3_jN6thrust23THRUST_200600_302600_NS6detail15normal_iteratorINS9_10device_ptrIsEEEENSB_INSC_IjEEEEPNS0_10empty_typeENS0_5tupleIJNS9_16discard_iteratorINS9_11use_defaultEEESH_EEENSJ_IJSM_SI_EEENS0_18inequality_wrapperINS9_8equal_toIsEEEEPmJSH_EEE10hipError_tPvRmT3_T4_T5_T6_T7_T9_mT8_P12ihipStream_tbDpT10_ENKUlT_T0_E_clISt17integral_constantIbLb0EES1D_EEDaS18_S19_EUlS18_E_NS1_11comp_targetILNS1_3genE4ELNS1_11target_archE910ELNS1_3gpuE8ELNS1_3repE0EEENS1_30default_config_static_selectorELNS0_4arch9wavefront6targetE0EEEvT1_,"axG",@progbits,_ZN7rocprim17ROCPRIM_400000_NS6detail17trampoline_kernelINS0_14default_configENS1_25partition_config_selectorILNS1_17partition_subalgoE9EsjbEEZZNS1_14partition_implILS5_9ELb0ES3_jN6thrust23THRUST_200600_302600_NS6detail15normal_iteratorINS9_10device_ptrIsEEEENSB_INSC_IjEEEEPNS0_10empty_typeENS0_5tupleIJNS9_16discard_iteratorINS9_11use_defaultEEESH_EEENSJ_IJSM_SI_EEENS0_18inequality_wrapperINS9_8equal_toIsEEEEPmJSH_EEE10hipError_tPvRmT3_T4_T5_T6_T7_T9_mT8_P12ihipStream_tbDpT10_ENKUlT_T0_E_clISt17integral_constantIbLb0EES1D_EEDaS18_S19_EUlS18_E_NS1_11comp_targetILNS1_3genE4ELNS1_11target_archE910ELNS1_3gpuE8ELNS1_3repE0EEENS1_30default_config_static_selectorELNS0_4arch9wavefront6targetE0EEEvT1_,comdat
	.protected	_ZN7rocprim17ROCPRIM_400000_NS6detail17trampoline_kernelINS0_14default_configENS1_25partition_config_selectorILNS1_17partition_subalgoE9EsjbEEZZNS1_14partition_implILS5_9ELb0ES3_jN6thrust23THRUST_200600_302600_NS6detail15normal_iteratorINS9_10device_ptrIsEEEENSB_INSC_IjEEEEPNS0_10empty_typeENS0_5tupleIJNS9_16discard_iteratorINS9_11use_defaultEEESH_EEENSJ_IJSM_SI_EEENS0_18inequality_wrapperINS9_8equal_toIsEEEEPmJSH_EEE10hipError_tPvRmT3_T4_T5_T6_T7_T9_mT8_P12ihipStream_tbDpT10_ENKUlT_T0_E_clISt17integral_constantIbLb0EES1D_EEDaS18_S19_EUlS18_E_NS1_11comp_targetILNS1_3genE4ELNS1_11target_archE910ELNS1_3gpuE8ELNS1_3repE0EEENS1_30default_config_static_selectorELNS0_4arch9wavefront6targetE0EEEvT1_ ; -- Begin function _ZN7rocprim17ROCPRIM_400000_NS6detail17trampoline_kernelINS0_14default_configENS1_25partition_config_selectorILNS1_17partition_subalgoE9EsjbEEZZNS1_14partition_implILS5_9ELb0ES3_jN6thrust23THRUST_200600_302600_NS6detail15normal_iteratorINS9_10device_ptrIsEEEENSB_INSC_IjEEEEPNS0_10empty_typeENS0_5tupleIJNS9_16discard_iteratorINS9_11use_defaultEEESH_EEENSJ_IJSM_SI_EEENS0_18inequality_wrapperINS9_8equal_toIsEEEEPmJSH_EEE10hipError_tPvRmT3_T4_T5_T6_T7_T9_mT8_P12ihipStream_tbDpT10_ENKUlT_T0_E_clISt17integral_constantIbLb0EES1D_EEDaS18_S19_EUlS18_E_NS1_11comp_targetILNS1_3genE4ELNS1_11target_archE910ELNS1_3gpuE8ELNS1_3repE0EEENS1_30default_config_static_selectorELNS0_4arch9wavefront6targetE0EEEvT1_
	.globl	_ZN7rocprim17ROCPRIM_400000_NS6detail17trampoline_kernelINS0_14default_configENS1_25partition_config_selectorILNS1_17partition_subalgoE9EsjbEEZZNS1_14partition_implILS5_9ELb0ES3_jN6thrust23THRUST_200600_302600_NS6detail15normal_iteratorINS9_10device_ptrIsEEEENSB_INSC_IjEEEEPNS0_10empty_typeENS0_5tupleIJNS9_16discard_iteratorINS9_11use_defaultEEESH_EEENSJ_IJSM_SI_EEENS0_18inequality_wrapperINS9_8equal_toIsEEEEPmJSH_EEE10hipError_tPvRmT3_T4_T5_T6_T7_T9_mT8_P12ihipStream_tbDpT10_ENKUlT_T0_E_clISt17integral_constantIbLb0EES1D_EEDaS18_S19_EUlS18_E_NS1_11comp_targetILNS1_3genE4ELNS1_11target_archE910ELNS1_3gpuE8ELNS1_3repE0EEENS1_30default_config_static_selectorELNS0_4arch9wavefront6targetE0EEEvT1_
	.p2align	8
	.type	_ZN7rocprim17ROCPRIM_400000_NS6detail17trampoline_kernelINS0_14default_configENS1_25partition_config_selectorILNS1_17partition_subalgoE9EsjbEEZZNS1_14partition_implILS5_9ELb0ES3_jN6thrust23THRUST_200600_302600_NS6detail15normal_iteratorINS9_10device_ptrIsEEEENSB_INSC_IjEEEEPNS0_10empty_typeENS0_5tupleIJNS9_16discard_iteratorINS9_11use_defaultEEESH_EEENSJ_IJSM_SI_EEENS0_18inequality_wrapperINS9_8equal_toIsEEEEPmJSH_EEE10hipError_tPvRmT3_T4_T5_T6_T7_T9_mT8_P12ihipStream_tbDpT10_ENKUlT_T0_E_clISt17integral_constantIbLb0EES1D_EEDaS18_S19_EUlS18_E_NS1_11comp_targetILNS1_3genE4ELNS1_11target_archE910ELNS1_3gpuE8ELNS1_3repE0EEENS1_30default_config_static_selectorELNS0_4arch9wavefront6targetE0EEEvT1_,@function
_ZN7rocprim17ROCPRIM_400000_NS6detail17trampoline_kernelINS0_14default_configENS1_25partition_config_selectorILNS1_17partition_subalgoE9EsjbEEZZNS1_14partition_implILS5_9ELb0ES3_jN6thrust23THRUST_200600_302600_NS6detail15normal_iteratorINS9_10device_ptrIsEEEENSB_INSC_IjEEEEPNS0_10empty_typeENS0_5tupleIJNS9_16discard_iteratorINS9_11use_defaultEEESH_EEENSJ_IJSM_SI_EEENS0_18inequality_wrapperINS9_8equal_toIsEEEEPmJSH_EEE10hipError_tPvRmT3_T4_T5_T6_T7_T9_mT8_P12ihipStream_tbDpT10_ENKUlT_T0_E_clISt17integral_constantIbLb0EES1D_EEDaS18_S19_EUlS18_E_NS1_11comp_targetILNS1_3genE4ELNS1_11target_archE910ELNS1_3gpuE8ELNS1_3repE0EEENS1_30default_config_static_selectorELNS0_4arch9wavefront6targetE0EEEvT1_: ; @_ZN7rocprim17ROCPRIM_400000_NS6detail17trampoline_kernelINS0_14default_configENS1_25partition_config_selectorILNS1_17partition_subalgoE9EsjbEEZZNS1_14partition_implILS5_9ELb0ES3_jN6thrust23THRUST_200600_302600_NS6detail15normal_iteratorINS9_10device_ptrIsEEEENSB_INSC_IjEEEEPNS0_10empty_typeENS0_5tupleIJNS9_16discard_iteratorINS9_11use_defaultEEESH_EEENSJ_IJSM_SI_EEENS0_18inequality_wrapperINS9_8equal_toIsEEEEPmJSH_EEE10hipError_tPvRmT3_T4_T5_T6_T7_T9_mT8_P12ihipStream_tbDpT10_ENKUlT_T0_E_clISt17integral_constantIbLb0EES1D_EEDaS18_S19_EUlS18_E_NS1_11comp_targetILNS1_3genE4ELNS1_11target_archE910ELNS1_3gpuE8ELNS1_3repE0EEENS1_30default_config_static_selectorELNS0_4arch9wavefront6targetE0EEEvT1_
; %bb.0:
	.section	.rodata,"a",@progbits
	.p2align	6, 0x0
	.amdhsa_kernel _ZN7rocprim17ROCPRIM_400000_NS6detail17trampoline_kernelINS0_14default_configENS1_25partition_config_selectorILNS1_17partition_subalgoE9EsjbEEZZNS1_14partition_implILS5_9ELb0ES3_jN6thrust23THRUST_200600_302600_NS6detail15normal_iteratorINS9_10device_ptrIsEEEENSB_INSC_IjEEEEPNS0_10empty_typeENS0_5tupleIJNS9_16discard_iteratorINS9_11use_defaultEEESH_EEENSJ_IJSM_SI_EEENS0_18inequality_wrapperINS9_8equal_toIsEEEEPmJSH_EEE10hipError_tPvRmT3_T4_T5_T6_T7_T9_mT8_P12ihipStream_tbDpT10_ENKUlT_T0_E_clISt17integral_constantIbLb0EES1D_EEDaS18_S19_EUlS18_E_NS1_11comp_targetILNS1_3genE4ELNS1_11target_archE910ELNS1_3gpuE8ELNS1_3repE0EEENS1_30default_config_static_selectorELNS0_4arch9wavefront6targetE0EEEvT1_
		.amdhsa_group_segment_fixed_size 0
		.amdhsa_private_segment_fixed_size 0
		.amdhsa_kernarg_size 128
		.amdhsa_user_sgpr_count 15
		.amdhsa_user_sgpr_dispatch_ptr 0
		.amdhsa_user_sgpr_queue_ptr 0
		.amdhsa_user_sgpr_kernarg_segment_ptr 1
		.amdhsa_user_sgpr_dispatch_id 0
		.amdhsa_user_sgpr_private_segment_size 0
		.amdhsa_wavefront_size32 1
		.amdhsa_uses_dynamic_stack 0
		.amdhsa_enable_private_segment 0
		.amdhsa_system_sgpr_workgroup_id_x 1
		.amdhsa_system_sgpr_workgroup_id_y 0
		.amdhsa_system_sgpr_workgroup_id_z 0
		.amdhsa_system_sgpr_workgroup_info 0
		.amdhsa_system_vgpr_workitem_id 0
		.amdhsa_next_free_vgpr 1
		.amdhsa_next_free_sgpr 1
		.amdhsa_reserve_vcc 0
		.amdhsa_float_round_mode_32 0
		.amdhsa_float_round_mode_16_64 0
		.amdhsa_float_denorm_mode_32 3
		.amdhsa_float_denorm_mode_16_64 3
		.amdhsa_dx10_clamp 1
		.amdhsa_ieee_mode 1
		.amdhsa_fp16_overflow 0
		.amdhsa_workgroup_processor_mode 1
		.amdhsa_memory_ordered 1
		.amdhsa_forward_progress 0
		.amdhsa_shared_vgpr_count 0
		.amdhsa_exception_fp_ieee_invalid_op 0
		.amdhsa_exception_fp_denorm_src 0
		.amdhsa_exception_fp_ieee_div_zero 0
		.amdhsa_exception_fp_ieee_overflow 0
		.amdhsa_exception_fp_ieee_underflow 0
		.amdhsa_exception_fp_ieee_inexact 0
		.amdhsa_exception_int_div_zero 0
	.end_amdhsa_kernel
	.section	.text._ZN7rocprim17ROCPRIM_400000_NS6detail17trampoline_kernelINS0_14default_configENS1_25partition_config_selectorILNS1_17partition_subalgoE9EsjbEEZZNS1_14partition_implILS5_9ELb0ES3_jN6thrust23THRUST_200600_302600_NS6detail15normal_iteratorINS9_10device_ptrIsEEEENSB_INSC_IjEEEEPNS0_10empty_typeENS0_5tupleIJNS9_16discard_iteratorINS9_11use_defaultEEESH_EEENSJ_IJSM_SI_EEENS0_18inequality_wrapperINS9_8equal_toIsEEEEPmJSH_EEE10hipError_tPvRmT3_T4_T5_T6_T7_T9_mT8_P12ihipStream_tbDpT10_ENKUlT_T0_E_clISt17integral_constantIbLb0EES1D_EEDaS18_S19_EUlS18_E_NS1_11comp_targetILNS1_3genE4ELNS1_11target_archE910ELNS1_3gpuE8ELNS1_3repE0EEENS1_30default_config_static_selectorELNS0_4arch9wavefront6targetE0EEEvT1_,"axG",@progbits,_ZN7rocprim17ROCPRIM_400000_NS6detail17trampoline_kernelINS0_14default_configENS1_25partition_config_selectorILNS1_17partition_subalgoE9EsjbEEZZNS1_14partition_implILS5_9ELb0ES3_jN6thrust23THRUST_200600_302600_NS6detail15normal_iteratorINS9_10device_ptrIsEEEENSB_INSC_IjEEEEPNS0_10empty_typeENS0_5tupleIJNS9_16discard_iteratorINS9_11use_defaultEEESH_EEENSJ_IJSM_SI_EEENS0_18inequality_wrapperINS9_8equal_toIsEEEEPmJSH_EEE10hipError_tPvRmT3_T4_T5_T6_T7_T9_mT8_P12ihipStream_tbDpT10_ENKUlT_T0_E_clISt17integral_constantIbLb0EES1D_EEDaS18_S19_EUlS18_E_NS1_11comp_targetILNS1_3genE4ELNS1_11target_archE910ELNS1_3gpuE8ELNS1_3repE0EEENS1_30default_config_static_selectorELNS0_4arch9wavefront6targetE0EEEvT1_,comdat
.Lfunc_end1175:
	.size	_ZN7rocprim17ROCPRIM_400000_NS6detail17trampoline_kernelINS0_14default_configENS1_25partition_config_selectorILNS1_17partition_subalgoE9EsjbEEZZNS1_14partition_implILS5_9ELb0ES3_jN6thrust23THRUST_200600_302600_NS6detail15normal_iteratorINS9_10device_ptrIsEEEENSB_INSC_IjEEEEPNS0_10empty_typeENS0_5tupleIJNS9_16discard_iteratorINS9_11use_defaultEEESH_EEENSJ_IJSM_SI_EEENS0_18inequality_wrapperINS9_8equal_toIsEEEEPmJSH_EEE10hipError_tPvRmT3_T4_T5_T6_T7_T9_mT8_P12ihipStream_tbDpT10_ENKUlT_T0_E_clISt17integral_constantIbLb0EES1D_EEDaS18_S19_EUlS18_E_NS1_11comp_targetILNS1_3genE4ELNS1_11target_archE910ELNS1_3gpuE8ELNS1_3repE0EEENS1_30default_config_static_selectorELNS0_4arch9wavefront6targetE0EEEvT1_, .Lfunc_end1175-_ZN7rocprim17ROCPRIM_400000_NS6detail17trampoline_kernelINS0_14default_configENS1_25partition_config_selectorILNS1_17partition_subalgoE9EsjbEEZZNS1_14partition_implILS5_9ELb0ES3_jN6thrust23THRUST_200600_302600_NS6detail15normal_iteratorINS9_10device_ptrIsEEEENSB_INSC_IjEEEEPNS0_10empty_typeENS0_5tupleIJNS9_16discard_iteratorINS9_11use_defaultEEESH_EEENSJ_IJSM_SI_EEENS0_18inequality_wrapperINS9_8equal_toIsEEEEPmJSH_EEE10hipError_tPvRmT3_T4_T5_T6_T7_T9_mT8_P12ihipStream_tbDpT10_ENKUlT_T0_E_clISt17integral_constantIbLb0EES1D_EEDaS18_S19_EUlS18_E_NS1_11comp_targetILNS1_3genE4ELNS1_11target_archE910ELNS1_3gpuE8ELNS1_3repE0EEENS1_30default_config_static_selectorELNS0_4arch9wavefront6targetE0EEEvT1_
                                        ; -- End function
	.section	.AMDGPU.csdata,"",@progbits
; Kernel info:
; codeLenInByte = 0
; NumSgprs: 0
; NumVgprs: 0
; ScratchSize: 0
; MemoryBound: 0
; FloatMode: 240
; IeeeMode: 1
; LDSByteSize: 0 bytes/workgroup (compile time only)
; SGPRBlocks: 0
; VGPRBlocks: 0
; NumSGPRsForWavesPerEU: 1
; NumVGPRsForWavesPerEU: 1
; Occupancy: 15
; WaveLimiterHint : 0
; COMPUTE_PGM_RSRC2:SCRATCH_EN: 0
; COMPUTE_PGM_RSRC2:USER_SGPR: 15
; COMPUTE_PGM_RSRC2:TRAP_HANDLER: 0
; COMPUTE_PGM_RSRC2:TGID_X_EN: 1
; COMPUTE_PGM_RSRC2:TGID_Y_EN: 0
; COMPUTE_PGM_RSRC2:TGID_Z_EN: 0
; COMPUTE_PGM_RSRC2:TIDIG_COMP_CNT: 0
	.section	.text._ZN7rocprim17ROCPRIM_400000_NS6detail17trampoline_kernelINS0_14default_configENS1_25partition_config_selectorILNS1_17partition_subalgoE9EsjbEEZZNS1_14partition_implILS5_9ELb0ES3_jN6thrust23THRUST_200600_302600_NS6detail15normal_iteratorINS9_10device_ptrIsEEEENSB_INSC_IjEEEEPNS0_10empty_typeENS0_5tupleIJNS9_16discard_iteratorINS9_11use_defaultEEESH_EEENSJ_IJSM_SI_EEENS0_18inequality_wrapperINS9_8equal_toIsEEEEPmJSH_EEE10hipError_tPvRmT3_T4_T5_T6_T7_T9_mT8_P12ihipStream_tbDpT10_ENKUlT_T0_E_clISt17integral_constantIbLb0EES1D_EEDaS18_S19_EUlS18_E_NS1_11comp_targetILNS1_3genE3ELNS1_11target_archE908ELNS1_3gpuE7ELNS1_3repE0EEENS1_30default_config_static_selectorELNS0_4arch9wavefront6targetE0EEEvT1_,"axG",@progbits,_ZN7rocprim17ROCPRIM_400000_NS6detail17trampoline_kernelINS0_14default_configENS1_25partition_config_selectorILNS1_17partition_subalgoE9EsjbEEZZNS1_14partition_implILS5_9ELb0ES3_jN6thrust23THRUST_200600_302600_NS6detail15normal_iteratorINS9_10device_ptrIsEEEENSB_INSC_IjEEEEPNS0_10empty_typeENS0_5tupleIJNS9_16discard_iteratorINS9_11use_defaultEEESH_EEENSJ_IJSM_SI_EEENS0_18inequality_wrapperINS9_8equal_toIsEEEEPmJSH_EEE10hipError_tPvRmT3_T4_T5_T6_T7_T9_mT8_P12ihipStream_tbDpT10_ENKUlT_T0_E_clISt17integral_constantIbLb0EES1D_EEDaS18_S19_EUlS18_E_NS1_11comp_targetILNS1_3genE3ELNS1_11target_archE908ELNS1_3gpuE7ELNS1_3repE0EEENS1_30default_config_static_selectorELNS0_4arch9wavefront6targetE0EEEvT1_,comdat
	.protected	_ZN7rocprim17ROCPRIM_400000_NS6detail17trampoline_kernelINS0_14default_configENS1_25partition_config_selectorILNS1_17partition_subalgoE9EsjbEEZZNS1_14partition_implILS5_9ELb0ES3_jN6thrust23THRUST_200600_302600_NS6detail15normal_iteratorINS9_10device_ptrIsEEEENSB_INSC_IjEEEEPNS0_10empty_typeENS0_5tupleIJNS9_16discard_iteratorINS9_11use_defaultEEESH_EEENSJ_IJSM_SI_EEENS0_18inequality_wrapperINS9_8equal_toIsEEEEPmJSH_EEE10hipError_tPvRmT3_T4_T5_T6_T7_T9_mT8_P12ihipStream_tbDpT10_ENKUlT_T0_E_clISt17integral_constantIbLb0EES1D_EEDaS18_S19_EUlS18_E_NS1_11comp_targetILNS1_3genE3ELNS1_11target_archE908ELNS1_3gpuE7ELNS1_3repE0EEENS1_30default_config_static_selectorELNS0_4arch9wavefront6targetE0EEEvT1_ ; -- Begin function _ZN7rocprim17ROCPRIM_400000_NS6detail17trampoline_kernelINS0_14default_configENS1_25partition_config_selectorILNS1_17partition_subalgoE9EsjbEEZZNS1_14partition_implILS5_9ELb0ES3_jN6thrust23THRUST_200600_302600_NS6detail15normal_iteratorINS9_10device_ptrIsEEEENSB_INSC_IjEEEEPNS0_10empty_typeENS0_5tupleIJNS9_16discard_iteratorINS9_11use_defaultEEESH_EEENSJ_IJSM_SI_EEENS0_18inequality_wrapperINS9_8equal_toIsEEEEPmJSH_EEE10hipError_tPvRmT3_T4_T5_T6_T7_T9_mT8_P12ihipStream_tbDpT10_ENKUlT_T0_E_clISt17integral_constantIbLb0EES1D_EEDaS18_S19_EUlS18_E_NS1_11comp_targetILNS1_3genE3ELNS1_11target_archE908ELNS1_3gpuE7ELNS1_3repE0EEENS1_30default_config_static_selectorELNS0_4arch9wavefront6targetE0EEEvT1_
	.globl	_ZN7rocprim17ROCPRIM_400000_NS6detail17trampoline_kernelINS0_14default_configENS1_25partition_config_selectorILNS1_17partition_subalgoE9EsjbEEZZNS1_14partition_implILS5_9ELb0ES3_jN6thrust23THRUST_200600_302600_NS6detail15normal_iteratorINS9_10device_ptrIsEEEENSB_INSC_IjEEEEPNS0_10empty_typeENS0_5tupleIJNS9_16discard_iteratorINS9_11use_defaultEEESH_EEENSJ_IJSM_SI_EEENS0_18inequality_wrapperINS9_8equal_toIsEEEEPmJSH_EEE10hipError_tPvRmT3_T4_T5_T6_T7_T9_mT8_P12ihipStream_tbDpT10_ENKUlT_T0_E_clISt17integral_constantIbLb0EES1D_EEDaS18_S19_EUlS18_E_NS1_11comp_targetILNS1_3genE3ELNS1_11target_archE908ELNS1_3gpuE7ELNS1_3repE0EEENS1_30default_config_static_selectorELNS0_4arch9wavefront6targetE0EEEvT1_
	.p2align	8
	.type	_ZN7rocprim17ROCPRIM_400000_NS6detail17trampoline_kernelINS0_14default_configENS1_25partition_config_selectorILNS1_17partition_subalgoE9EsjbEEZZNS1_14partition_implILS5_9ELb0ES3_jN6thrust23THRUST_200600_302600_NS6detail15normal_iteratorINS9_10device_ptrIsEEEENSB_INSC_IjEEEEPNS0_10empty_typeENS0_5tupleIJNS9_16discard_iteratorINS9_11use_defaultEEESH_EEENSJ_IJSM_SI_EEENS0_18inequality_wrapperINS9_8equal_toIsEEEEPmJSH_EEE10hipError_tPvRmT3_T4_T5_T6_T7_T9_mT8_P12ihipStream_tbDpT10_ENKUlT_T0_E_clISt17integral_constantIbLb0EES1D_EEDaS18_S19_EUlS18_E_NS1_11comp_targetILNS1_3genE3ELNS1_11target_archE908ELNS1_3gpuE7ELNS1_3repE0EEENS1_30default_config_static_selectorELNS0_4arch9wavefront6targetE0EEEvT1_,@function
_ZN7rocprim17ROCPRIM_400000_NS6detail17trampoline_kernelINS0_14default_configENS1_25partition_config_selectorILNS1_17partition_subalgoE9EsjbEEZZNS1_14partition_implILS5_9ELb0ES3_jN6thrust23THRUST_200600_302600_NS6detail15normal_iteratorINS9_10device_ptrIsEEEENSB_INSC_IjEEEEPNS0_10empty_typeENS0_5tupleIJNS9_16discard_iteratorINS9_11use_defaultEEESH_EEENSJ_IJSM_SI_EEENS0_18inequality_wrapperINS9_8equal_toIsEEEEPmJSH_EEE10hipError_tPvRmT3_T4_T5_T6_T7_T9_mT8_P12ihipStream_tbDpT10_ENKUlT_T0_E_clISt17integral_constantIbLb0EES1D_EEDaS18_S19_EUlS18_E_NS1_11comp_targetILNS1_3genE3ELNS1_11target_archE908ELNS1_3gpuE7ELNS1_3repE0EEENS1_30default_config_static_selectorELNS0_4arch9wavefront6targetE0EEEvT1_: ; @_ZN7rocprim17ROCPRIM_400000_NS6detail17trampoline_kernelINS0_14default_configENS1_25partition_config_selectorILNS1_17partition_subalgoE9EsjbEEZZNS1_14partition_implILS5_9ELb0ES3_jN6thrust23THRUST_200600_302600_NS6detail15normal_iteratorINS9_10device_ptrIsEEEENSB_INSC_IjEEEEPNS0_10empty_typeENS0_5tupleIJNS9_16discard_iteratorINS9_11use_defaultEEESH_EEENSJ_IJSM_SI_EEENS0_18inequality_wrapperINS9_8equal_toIsEEEEPmJSH_EEE10hipError_tPvRmT3_T4_T5_T6_T7_T9_mT8_P12ihipStream_tbDpT10_ENKUlT_T0_E_clISt17integral_constantIbLb0EES1D_EEDaS18_S19_EUlS18_E_NS1_11comp_targetILNS1_3genE3ELNS1_11target_archE908ELNS1_3gpuE7ELNS1_3repE0EEENS1_30default_config_static_selectorELNS0_4arch9wavefront6targetE0EEEvT1_
; %bb.0:
	.section	.rodata,"a",@progbits
	.p2align	6, 0x0
	.amdhsa_kernel _ZN7rocprim17ROCPRIM_400000_NS6detail17trampoline_kernelINS0_14default_configENS1_25partition_config_selectorILNS1_17partition_subalgoE9EsjbEEZZNS1_14partition_implILS5_9ELb0ES3_jN6thrust23THRUST_200600_302600_NS6detail15normal_iteratorINS9_10device_ptrIsEEEENSB_INSC_IjEEEEPNS0_10empty_typeENS0_5tupleIJNS9_16discard_iteratorINS9_11use_defaultEEESH_EEENSJ_IJSM_SI_EEENS0_18inequality_wrapperINS9_8equal_toIsEEEEPmJSH_EEE10hipError_tPvRmT3_T4_T5_T6_T7_T9_mT8_P12ihipStream_tbDpT10_ENKUlT_T0_E_clISt17integral_constantIbLb0EES1D_EEDaS18_S19_EUlS18_E_NS1_11comp_targetILNS1_3genE3ELNS1_11target_archE908ELNS1_3gpuE7ELNS1_3repE0EEENS1_30default_config_static_selectorELNS0_4arch9wavefront6targetE0EEEvT1_
		.amdhsa_group_segment_fixed_size 0
		.amdhsa_private_segment_fixed_size 0
		.amdhsa_kernarg_size 128
		.amdhsa_user_sgpr_count 15
		.amdhsa_user_sgpr_dispatch_ptr 0
		.amdhsa_user_sgpr_queue_ptr 0
		.amdhsa_user_sgpr_kernarg_segment_ptr 1
		.amdhsa_user_sgpr_dispatch_id 0
		.amdhsa_user_sgpr_private_segment_size 0
		.amdhsa_wavefront_size32 1
		.amdhsa_uses_dynamic_stack 0
		.amdhsa_enable_private_segment 0
		.amdhsa_system_sgpr_workgroup_id_x 1
		.amdhsa_system_sgpr_workgroup_id_y 0
		.amdhsa_system_sgpr_workgroup_id_z 0
		.amdhsa_system_sgpr_workgroup_info 0
		.amdhsa_system_vgpr_workitem_id 0
		.amdhsa_next_free_vgpr 1
		.amdhsa_next_free_sgpr 1
		.amdhsa_reserve_vcc 0
		.amdhsa_float_round_mode_32 0
		.amdhsa_float_round_mode_16_64 0
		.amdhsa_float_denorm_mode_32 3
		.amdhsa_float_denorm_mode_16_64 3
		.amdhsa_dx10_clamp 1
		.amdhsa_ieee_mode 1
		.amdhsa_fp16_overflow 0
		.amdhsa_workgroup_processor_mode 1
		.amdhsa_memory_ordered 1
		.amdhsa_forward_progress 0
		.amdhsa_shared_vgpr_count 0
		.amdhsa_exception_fp_ieee_invalid_op 0
		.amdhsa_exception_fp_denorm_src 0
		.amdhsa_exception_fp_ieee_div_zero 0
		.amdhsa_exception_fp_ieee_overflow 0
		.amdhsa_exception_fp_ieee_underflow 0
		.amdhsa_exception_fp_ieee_inexact 0
		.amdhsa_exception_int_div_zero 0
	.end_amdhsa_kernel
	.section	.text._ZN7rocprim17ROCPRIM_400000_NS6detail17trampoline_kernelINS0_14default_configENS1_25partition_config_selectorILNS1_17partition_subalgoE9EsjbEEZZNS1_14partition_implILS5_9ELb0ES3_jN6thrust23THRUST_200600_302600_NS6detail15normal_iteratorINS9_10device_ptrIsEEEENSB_INSC_IjEEEEPNS0_10empty_typeENS0_5tupleIJNS9_16discard_iteratorINS9_11use_defaultEEESH_EEENSJ_IJSM_SI_EEENS0_18inequality_wrapperINS9_8equal_toIsEEEEPmJSH_EEE10hipError_tPvRmT3_T4_T5_T6_T7_T9_mT8_P12ihipStream_tbDpT10_ENKUlT_T0_E_clISt17integral_constantIbLb0EES1D_EEDaS18_S19_EUlS18_E_NS1_11comp_targetILNS1_3genE3ELNS1_11target_archE908ELNS1_3gpuE7ELNS1_3repE0EEENS1_30default_config_static_selectorELNS0_4arch9wavefront6targetE0EEEvT1_,"axG",@progbits,_ZN7rocprim17ROCPRIM_400000_NS6detail17trampoline_kernelINS0_14default_configENS1_25partition_config_selectorILNS1_17partition_subalgoE9EsjbEEZZNS1_14partition_implILS5_9ELb0ES3_jN6thrust23THRUST_200600_302600_NS6detail15normal_iteratorINS9_10device_ptrIsEEEENSB_INSC_IjEEEEPNS0_10empty_typeENS0_5tupleIJNS9_16discard_iteratorINS9_11use_defaultEEESH_EEENSJ_IJSM_SI_EEENS0_18inequality_wrapperINS9_8equal_toIsEEEEPmJSH_EEE10hipError_tPvRmT3_T4_T5_T6_T7_T9_mT8_P12ihipStream_tbDpT10_ENKUlT_T0_E_clISt17integral_constantIbLb0EES1D_EEDaS18_S19_EUlS18_E_NS1_11comp_targetILNS1_3genE3ELNS1_11target_archE908ELNS1_3gpuE7ELNS1_3repE0EEENS1_30default_config_static_selectorELNS0_4arch9wavefront6targetE0EEEvT1_,comdat
.Lfunc_end1176:
	.size	_ZN7rocprim17ROCPRIM_400000_NS6detail17trampoline_kernelINS0_14default_configENS1_25partition_config_selectorILNS1_17partition_subalgoE9EsjbEEZZNS1_14partition_implILS5_9ELb0ES3_jN6thrust23THRUST_200600_302600_NS6detail15normal_iteratorINS9_10device_ptrIsEEEENSB_INSC_IjEEEEPNS0_10empty_typeENS0_5tupleIJNS9_16discard_iteratorINS9_11use_defaultEEESH_EEENSJ_IJSM_SI_EEENS0_18inequality_wrapperINS9_8equal_toIsEEEEPmJSH_EEE10hipError_tPvRmT3_T4_T5_T6_T7_T9_mT8_P12ihipStream_tbDpT10_ENKUlT_T0_E_clISt17integral_constantIbLb0EES1D_EEDaS18_S19_EUlS18_E_NS1_11comp_targetILNS1_3genE3ELNS1_11target_archE908ELNS1_3gpuE7ELNS1_3repE0EEENS1_30default_config_static_selectorELNS0_4arch9wavefront6targetE0EEEvT1_, .Lfunc_end1176-_ZN7rocprim17ROCPRIM_400000_NS6detail17trampoline_kernelINS0_14default_configENS1_25partition_config_selectorILNS1_17partition_subalgoE9EsjbEEZZNS1_14partition_implILS5_9ELb0ES3_jN6thrust23THRUST_200600_302600_NS6detail15normal_iteratorINS9_10device_ptrIsEEEENSB_INSC_IjEEEEPNS0_10empty_typeENS0_5tupleIJNS9_16discard_iteratorINS9_11use_defaultEEESH_EEENSJ_IJSM_SI_EEENS0_18inequality_wrapperINS9_8equal_toIsEEEEPmJSH_EEE10hipError_tPvRmT3_T4_T5_T6_T7_T9_mT8_P12ihipStream_tbDpT10_ENKUlT_T0_E_clISt17integral_constantIbLb0EES1D_EEDaS18_S19_EUlS18_E_NS1_11comp_targetILNS1_3genE3ELNS1_11target_archE908ELNS1_3gpuE7ELNS1_3repE0EEENS1_30default_config_static_selectorELNS0_4arch9wavefront6targetE0EEEvT1_
                                        ; -- End function
	.section	.AMDGPU.csdata,"",@progbits
; Kernel info:
; codeLenInByte = 0
; NumSgprs: 0
; NumVgprs: 0
; ScratchSize: 0
; MemoryBound: 0
; FloatMode: 240
; IeeeMode: 1
; LDSByteSize: 0 bytes/workgroup (compile time only)
; SGPRBlocks: 0
; VGPRBlocks: 0
; NumSGPRsForWavesPerEU: 1
; NumVGPRsForWavesPerEU: 1
; Occupancy: 16
; WaveLimiterHint : 0
; COMPUTE_PGM_RSRC2:SCRATCH_EN: 0
; COMPUTE_PGM_RSRC2:USER_SGPR: 15
; COMPUTE_PGM_RSRC2:TRAP_HANDLER: 0
; COMPUTE_PGM_RSRC2:TGID_X_EN: 1
; COMPUTE_PGM_RSRC2:TGID_Y_EN: 0
; COMPUTE_PGM_RSRC2:TGID_Z_EN: 0
; COMPUTE_PGM_RSRC2:TIDIG_COMP_CNT: 0
	.section	.text._ZN7rocprim17ROCPRIM_400000_NS6detail17trampoline_kernelINS0_14default_configENS1_25partition_config_selectorILNS1_17partition_subalgoE9EsjbEEZZNS1_14partition_implILS5_9ELb0ES3_jN6thrust23THRUST_200600_302600_NS6detail15normal_iteratorINS9_10device_ptrIsEEEENSB_INSC_IjEEEEPNS0_10empty_typeENS0_5tupleIJNS9_16discard_iteratorINS9_11use_defaultEEESH_EEENSJ_IJSM_SI_EEENS0_18inequality_wrapperINS9_8equal_toIsEEEEPmJSH_EEE10hipError_tPvRmT3_T4_T5_T6_T7_T9_mT8_P12ihipStream_tbDpT10_ENKUlT_T0_E_clISt17integral_constantIbLb0EES1D_EEDaS18_S19_EUlS18_E_NS1_11comp_targetILNS1_3genE2ELNS1_11target_archE906ELNS1_3gpuE6ELNS1_3repE0EEENS1_30default_config_static_selectorELNS0_4arch9wavefront6targetE0EEEvT1_,"axG",@progbits,_ZN7rocprim17ROCPRIM_400000_NS6detail17trampoline_kernelINS0_14default_configENS1_25partition_config_selectorILNS1_17partition_subalgoE9EsjbEEZZNS1_14partition_implILS5_9ELb0ES3_jN6thrust23THRUST_200600_302600_NS6detail15normal_iteratorINS9_10device_ptrIsEEEENSB_INSC_IjEEEEPNS0_10empty_typeENS0_5tupleIJNS9_16discard_iteratorINS9_11use_defaultEEESH_EEENSJ_IJSM_SI_EEENS0_18inequality_wrapperINS9_8equal_toIsEEEEPmJSH_EEE10hipError_tPvRmT3_T4_T5_T6_T7_T9_mT8_P12ihipStream_tbDpT10_ENKUlT_T0_E_clISt17integral_constantIbLb0EES1D_EEDaS18_S19_EUlS18_E_NS1_11comp_targetILNS1_3genE2ELNS1_11target_archE906ELNS1_3gpuE6ELNS1_3repE0EEENS1_30default_config_static_selectorELNS0_4arch9wavefront6targetE0EEEvT1_,comdat
	.protected	_ZN7rocprim17ROCPRIM_400000_NS6detail17trampoline_kernelINS0_14default_configENS1_25partition_config_selectorILNS1_17partition_subalgoE9EsjbEEZZNS1_14partition_implILS5_9ELb0ES3_jN6thrust23THRUST_200600_302600_NS6detail15normal_iteratorINS9_10device_ptrIsEEEENSB_INSC_IjEEEEPNS0_10empty_typeENS0_5tupleIJNS9_16discard_iteratorINS9_11use_defaultEEESH_EEENSJ_IJSM_SI_EEENS0_18inequality_wrapperINS9_8equal_toIsEEEEPmJSH_EEE10hipError_tPvRmT3_T4_T5_T6_T7_T9_mT8_P12ihipStream_tbDpT10_ENKUlT_T0_E_clISt17integral_constantIbLb0EES1D_EEDaS18_S19_EUlS18_E_NS1_11comp_targetILNS1_3genE2ELNS1_11target_archE906ELNS1_3gpuE6ELNS1_3repE0EEENS1_30default_config_static_selectorELNS0_4arch9wavefront6targetE0EEEvT1_ ; -- Begin function _ZN7rocprim17ROCPRIM_400000_NS6detail17trampoline_kernelINS0_14default_configENS1_25partition_config_selectorILNS1_17partition_subalgoE9EsjbEEZZNS1_14partition_implILS5_9ELb0ES3_jN6thrust23THRUST_200600_302600_NS6detail15normal_iteratorINS9_10device_ptrIsEEEENSB_INSC_IjEEEEPNS0_10empty_typeENS0_5tupleIJNS9_16discard_iteratorINS9_11use_defaultEEESH_EEENSJ_IJSM_SI_EEENS0_18inequality_wrapperINS9_8equal_toIsEEEEPmJSH_EEE10hipError_tPvRmT3_T4_T5_T6_T7_T9_mT8_P12ihipStream_tbDpT10_ENKUlT_T0_E_clISt17integral_constantIbLb0EES1D_EEDaS18_S19_EUlS18_E_NS1_11comp_targetILNS1_3genE2ELNS1_11target_archE906ELNS1_3gpuE6ELNS1_3repE0EEENS1_30default_config_static_selectorELNS0_4arch9wavefront6targetE0EEEvT1_
	.globl	_ZN7rocprim17ROCPRIM_400000_NS6detail17trampoline_kernelINS0_14default_configENS1_25partition_config_selectorILNS1_17partition_subalgoE9EsjbEEZZNS1_14partition_implILS5_9ELb0ES3_jN6thrust23THRUST_200600_302600_NS6detail15normal_iteratorINS9_10device_ptrIsEEEENSB_INSC_IjEEEEPNS0_10empty_typeENS0_5tupleIJNS9_16discard_iteratorINS9_11use_defaultEEESH_EEENSJ_IJSM_SI_EEENS0_18inequality_wrapperINS9_8equal_toIsEEEEPmJSH_EEE10hipError_tPvRmT3_T4_T5_T6_T7_T9_mT8_P12ihipStream_tbDpT10_ENKUlT_T0_E_clISt17integral_constantIbLb0EES1D_EEDaS18_S19_EUlS18_E_NS1_11comp_targetILNS1_3genE2ELNS1_11target_archE906ELNS1_3gpuE6ELNS1_3repE0EEENS1_30default_config_static_selectorELNS0_4arch9wavefront6targetE0EEEvT1_
	.p2align	8
	.type	_ZN7rocprim17ROCPRIM_400000_NS6detail17trampoline_kernelINS0_14default_configENS1_25partition_config_selectorILNS1_17partition_subalgoE9EsjbEEZZNS1_14partition_implILS5_9ELb0ES3_jN6thrust23THRUST_200600_302600_NS6detail15normal_iteratorINS9_10device_ptrIsEEEENSB_INSC_IjEEEEPNS0_10empty_typeENS0_5tupleIJNS9_16discard_iteratorINS9_11use_defaultEEESH_EEENSJ_IJSM_SI_EEENS0_18inequality_wrapperINS9_8equal_toIsEEEEPmJSH_EEE10hipError_tPvRmT3_T4_T5_T6_T7_T9_mT8_P12ihipStream_tbDpT10_ENKUlT_T0_E_clISt17integral_constantIbLb0EES1D_EEDaS18_S19_EUlS18_E_NS1_11comp_targetILNS1_3genE2ELNS1_11target_archE906ELNS1_3gpuE6ELNS1_3repE0EEENS1_30default_config_static_selectorELNS0_4arch9wavefront6targetE0EEEvT1_,@function
_ZN7rocprim17ROCPRIM_400000_NS6detail17trampoline_kernelINS0_14default_configENS1_25partition_config_selectorILNS1_17partition_subalgoE9EsjbEEZZNS1_14partition_implILS5_9ELb0ES3_jN6thrust23THRUST_200600_302600_NS6detail15normal_iteratorINS9_10device_ptrIsEEEENSB_INSC_IjEEEEPNS0_10empty_typeENS0_5tupleIJNS9_16discard_iteratorINS9_11use_defaultEEESH_EEENSJ_IJSM_SI_EEENS0_18inequality_wrapperINS9_8equal_toIsEEEEPmJSH_EEE10hipError_tPvRmT3_T4_T5_T6_T7_T9_mT8_P12ihipStream_tbDpT10_ENKUlT_T0_E_clISt17integral_constantIbLb0EES1D_EEDaS18_S19_EUlS18_E_NS1_11comp_targetILNS1_3genE2ELNS1_11target_archE906ELNS1_3gpuE6ELNS1_3repE0EEENS1_30default_config_static_selectorELNS0_4arch9wavefront6targetE0EEEvT1_: ; @_ZN7rocprim17ROCPRIM_400000_NS6detail17trampoline_kernelINS0_14default_configENS1_25partition_config_selectorILNS1_17partition_subalgoE9EsjbEEZZNS1_14partition_implILS5_9ELb0ES3_jN6thrust23THRUST_200600_302600_NS6detail15normal_iteratorINS9_10device_ptrIsEEEENSB_INSC_IjEEEEPNS0_10empty_typeENS0_5tupleIJNS9_16discard_iteratorINS9_11use_defaultEEESH_EEENSJ_IJSM_SI_EEENS0_18inequality_wrapperINS9_8equal_toIsEEEEPmJSH_EEE10hipError_tPvRmT3_T4_T5_T6_T7_T9_mT8_P12ihipStream_tbDpT10_ENKUlT_T0_E_clISt17integral_constantIbLb0EES1D_EEDaS18_S19_EUlS18_E_NS1_11comp_targetILNS1_3genE2ELNS1_11target_archE906ELNS1_3gpuE6ELNS1_3repE0EEENS1_30default_config_static_selectorELNS0_4arch9wavefront6targetE0EEEvT1_
; %bb.0:
	.section	.rodata,"a",@progbits
	.p2align	6, 0x0
	.amdhsa_kernel _ZN7rocprim17ROCPRIM_400000_NS6detail17trampoline_kernelINS0_14default_configENS1_25partition_config_selectorILNS1_17partition_subalgoE9EsjbEEZZNS1_14partition_implILS5_9ELb0ES3_jN6thrust23THRUST_200600_302600_NS6detail15normal_iteratorINS9_10device_ptrIsEEEENSB_INSC_IjEEEEPNS0_10empty_typeENS0_5tupleIJNS9_16discard_iteratorINS9_11use_defaultEEESH_EEENSJ_IJSM_SI_EEENS0_18inequality_wrapperINS9_8equal_toIsEEEEPmJSH_EEE10hipError_tPvRmT3_T4_T5_T6_T7_T9_mT8_P12ihipStream_tbDpT10_ENKUlT_T0_E_clISt17integral_constantIbLb0EES1D_EEDaS18_S19_EUlS18_E_NS1_11comp_targetILNS1_3genE2ELNS1_11target_archE906ELNS1_3gpuE6ELNS1_3repE0EEENS1_30default_config_static_selectorELNS0_4arch9wavefront6targetE0EEEvT1_
		.amdhsa_group_segment_fixed_size 0
		.amdhsa_private_segment_fixed_size 0
		.amdhsa_kernarg_size 128
		.amdhsa_user_sgpr_count 15
		.amdhsa_user_sgpr_dispatch_ptr 0
		.amdhsa_user_sgpr_queue_ptr 0
		.amdhsa_user_sgpr_kernarg_segment_ptr 1
		.amdhsa_user_sgpr_dispatch_id 0
		.amdhsa_user_sgpr_private_segment_size 0
		.amdhsa_wavefront_size32 1
		.amdhsa_uses_dynamic_stack 0
		.amdhsa_enable_private_segment 0
		.amdhsa_system_sgpr_workgroup_id_x 1
		.amdhsa_system_sgpr_workgroup_id_y 0
		.amdhsa_system_sgpr_workgroup_id_z 0
		.amdhsa_system_sgpr_workgroup_info 0
		.amdhsa_system_vgpr_workitem_id 0
		.amdhsa_next_free_vgpr 1
		.amdhsa_next_free_sgpr 1
		.amdhsa_reserve_vcc 0
		.amdhsa_float_round_mode_32 0
		.amdhsa_float_round_mode_16_64 0
		.amdhsa_float_denorm_mode_32 3
		.amdhsa_float_denorm_mode_16_64 3
		.amdhsa_dx10_clamp 1
		.amdhsa_ieee_mode 1
		.amdhsa_fp16_overflow 0
		.amdhsa_workgroup_processor_mode 1
		.amdhsa_memory_ordered 1
		.amdhsa_forward_progress 0
		.amdhsa_shared_vgpr_count 0
		.amdhsa_exception_fp_ieee_invalid_op 0
		.amdhsa_exception_fp_denorm_src 0
		.amdhsa_exception_fp_ieee_div_zero 0
		.amdhsa_exception_fp_ieee_overflow 0
		.amdhsa_exception_fp_ieee_underflow 0
		.amdhsa_exception_fp_ieee_inexact 0
		.amdhsa_exception_int_div_zero 0
	.end_amdhsa_kernel
	.section	.text._ZN7rocprim17ROCPRIM_400000_NS6detail17trampoline_kernelINS0_14default_configENS1_25partition_config_selectorILNS1_17partition_subalgoE9EsjbEEZZNS1_14partition_implILS5_9ELb0ES3_jN6thrust23THRUST_200600_302600_NS6detail15normal_iteratorINS9_10device_ptrIsEEEENSB_INSC_IjEEEEPNS0_10empty_typeENS0_5tupleIJNS9_16discard_iteratorINS9_11use_defaultEEESH_EEENSJ_IJSM_SI_EEENS0_18inequality_wrapperINS9_8equal_toIsEEEEPmJSH_EEE10hipError_tPvRmT3_T4_T5_T6_T7_T9_mT8_P12ihipStream_tbDpT10_ENKUlT_T0_E_clISt17integral_constantIbLb0EES1D_EEDaS18_S19_EUlS18_E_NS1_11comp_targetILNS1_3genE2ELNS1_11target_archE906ELNS1_3gpuE6ELNS1_3repE0EEENS1_30default_config_static_selectorELNS0_4arch9wavefront6targetE0EEEvT1_,"axG",@progbits,_ZN7rocprim17ROCPRIM_400000_NS6detail17trampoline_kernelINS0_14default_configENS1_25partition_config_selectorILNS1_17partition_subalgoE9EsjbEEZZNS1_14partition_implILS5_9ELb0ES3_jN6thrust23THRUST_200600_302600_NS6detail15normal_iteratorINS9_10device_ptrIsEEEENSB_INSC_IjEEEEPNS0_10empty_typeENS0_5tupleIJNS9_16discard_iteratorINS9_11use_defaultEEESH_EEENSJ_IJSM_SI_EEENS0_18inequality_wrapperINS9_8equal_toIsEEEEPmJSH_EEE10hipError_tPvRmT3_T4_T5_T6_T7_T9_mT8_P12ihipStream_tbDpT10_ENKUlT_T0_E_clISt17integral_constantIbLb0EES1D_EEDaS18_S19_EUlS18_E_NS1_11comp_targetILNS1_3genE2ELNS1_11target_archE906ELNS1_3gpuE6ELNS1_3repE0EEENS1_30default_config_static_selectorELNS0_4arch9wavefront6targetE0EEEvT1_,comdat
.Lfunc_end1177:
	.size	_ZN7rocprim17ROCPRIM_400000_NS6detail17trampoline_kernelINS0_14default_configENS1_25partition_config_selectorILNS1_17partition_subalgoE9EsjbEEZZNS1_14partition_implILS5_9ELb0ES3_jN6thrust23THRUST_200600_302600_NS6detail15normal_iteratorINS9_10device_ptrIsEEEENSB_INSC_IjEEEEPNS0_10empty_typeENS0_5tupleIJNS9_16discard_iteratorINS9_11use_defaultEEESH_EEENSJ_IJSM_SI_EEENS0_18inequality_wrapperINS9_8equal_toIsEEEEPmJSH_EEE10hipError_tPvRmT3_T4_T5_T6_T7_T9_mT8_P12ihipStream_tbDpT10_ENKUlT_T0_E_clISt17integral_constantIbLb0EES1D_EEDaS18_S19_EUlS18_E_NS1_11comp_targetILNS1_3genE2ELNS1_11target_archE906ELNS1_3gpuE6ELNS1_3repE0EEENS1_30default_config_static_selectorELNS0_4arch9wavefront6targetE0EEEvT1_, .Lfunc_end1177-_ZN7rocprim17ROCPRIM_400000_NS6detail17trampoline_kernelINS0_14default_configENS1_25partition_config_selectorILNS1_17partition_subalgoE9EsjbEEZZNS1_14partition_implILS5_9ELb0ES3_jN6thrust23THRUST_200600_302600_NS6detail15normal_iteratorINS9_10device_ptrIsEEEENSB_INSC_IjEEEEPNS0_10empty_typeENS0_5tupleIJNS9_16discard_iteratorINS9_11use_defaultEEESH_EEENSJ_IJSM_SI_EEENS0_18inequality_wrapperINS9_8equal_toIsEEEEPmJSH_EEE10hipError_tPvRmT3_T4_T5_T6_T7_T9_mT8_P12ihipStream_tbDpT10_ENKUlT_T0_E_clISt17integral_constantIbLb0EES1D_EEDaS18_S19_EUlS18_E_NS1_11comp_targetILNS1_3genE2ELNS1_11target_archE906ELNS1_3gpuE6ELNS1_3repE0EEENS1_30default_config_static_selectorELNS0_4arch9wavefront6targetE0EEEvT1_
                                        ; -- End function
	.section	.AMDGPU.csdata,"",@progbits
; Kernel info:
; codeLenInByte = 0
; NumSgprs: 0
; NumVgprs: 0
; ScratchSize: 0
; MemoryBound: 0
; FloatMode: 240
; IeeeMode: 1
; LDSByteSize: 0 bytes/workgroup (compile time only)
; SGPRBlocks: 0
; VGPRBlocks: 0
; NumSGPRsForWavesPerEU: 1
; NumVGPRsForWavesPerEU: 1
; Occupancy: 16
; WaveLimiterHint : 0
; COMPUTE_PGM_RSRC2:SCRATCH_EN: 0
; COMPUTE_PGM_RSRC2:USER_SGPR: 15
; COMPUTE_PGM_RSRC2:TRAP_HANDLER: 0
; COMPUTE_PGM_RSRC2:TGID_X_EN: 1
; COMPUTE_PGM_RSRC2:TGID_Y_EN: 0
; COMPUTE_PGM_RSRC2:TGID_Z_EN: 0
; COMPUTE_PGM_RSRC2:TIDIG_COMP_CNT: 0
	.section	.text._ZN7rocprim17ROCPRIM_400000_NS6detail17trampoline_kernelINS0_14default_configENS1_25partition_config_selectorILNS1_17partition_subalgoE9EsjbEEZZNS1_14partition_implILS5_9ELb0ES3_jN6thrust23THRUST_200600_302600_NS6detail15normal_iteratorINS9_10device_ptrIsEEEENSB_INSC_IjEEEEPNS0_10empty_typeENS0_5tupleIJNS9_16discard_iteratorINS9_11use_defaultEEESH_EEENSJ_IJSM_SI_EEENS0_18inequality_wrapperINS9_8equal_toIsEEEEPmJSH_EEE10hipError_tPvRmT3_T4_T5_T6_T7_T9_mT8_P12ihipStream_tbDpT10_ENKUlT_T0_E_clISt17integral_constantIbLb0EES1D_EEDaS18_S19_EUlS18_E_NS1_11comp_targetILNS1_3genE10ELNS1_11target_archE1200ELNS1_3gpuE4ELNS1_3repE0EEENS1_30default_config_static_selectorELNS0_4arch9wavefront6targetE0EEEvT1_,"axG",@progbits,_ZN7rocprim17ROCPRIM_400000_NS6detail17trampoline_kernelINS0_14default_configENS1_25partition_config_selectorILNS1_17partition_subalgoE9EsjbEEZZNS1_14partition_implILS5_9ELb0ES3_jN6thrust23THRUST_200600_302600_NS6detail15normal_iteratorINS9_10device_ptrIsEEEENSB_INSC_IjEEEEPNS0_10empty_typeENS0_5tupleIJNS9_16discard_iteratorINS9_11use_defaultEEESH_EEENSJ_IJSM_SI_EEENS0_18inequality_wrapperINS9_8equal_toIsEEEEPmJSH_EEE10hipError_tPvRmT3_T4_T5_T6_T7_T9_mT8_P12ihipStream_tbDpT10_ENKUlT_T0_E_clISt17integral_constantIbLb0EES1D_EEDaS18_S19_EUlS18_E_NS1_11comp_targetILNS1_3genE10ELNS1_11target_archE1200ELNS1_3gpuE4ELNS1_3repE0EEENS1_30default_config_static_selectorELNS0_4arch9wavefront6targetE0EEEvT1_,comdat
	.protected	_ZN7rocprim17ROCPRIM_400000_NS6detail17trampoline_kernelINS0_14default_configENS1_25partition_config_selectorILNS1_17partition_subalgoE9EsjbEEZZNS1_14partition_implILS5_9ELb0ES3_jN6thrust23THRUST_200600_302600_NS6detail15normal_iteratorINS9_10device_ptrIsEEEENSB_INSC_IjEEEEPNS0_10empty_typeENS0_5tupleIJNS9_16discard_iteratorINS9_11use_defaultEEESH_EEENSJ_IJSM_SI_EEENS0_18inequality_wrapperINS9_8equal_toIsEEEEPmJSH_EEE10hipError_tPvRmT3_T4_T5_T6_T7_T9_mT8_P12ihipStream_tbDpT10_ENKUlT_T0_E_clISt17integral_constantIbLb0EES1D_EEDaS18_S19_EUlS18_E_NS1_11comp_targetILNS1_3genE10ELNS1_11target_archE1200ELNS1_3gpuE4ELNS1_3repE0EEENS1_30default_config_static_selectorELNS0_4arch9wavefront6targetE0EEEvT1_ ; -- Begin function _ZN7rocprim17ROCPRIM_400000_NS6detail17trampoline_kernelINS0_14default_configENS1_25partition_config_selectorILNS1_17partition_subalgoE9EsjbEEZZNS1_14partition_implILS5_9ELb0ES3_jN6thrust23THRUST_200600_302600_NS6detail15normal_iteratorINS9_10device_ptrIsEEEENSB_INSC_IjEEEEPNS0_10empty_typeENS0_5tupleIJNS9_16discard_iteratorINS9_11use_defaultEEESH_EEENSJ_IJSM_SI_EEENS0_18inequality_wrapperINS9_8equal_toIsEEEEPmJSH_EEE10hipError_tPvRmT3_T4_T5_T6_T7_T9_mT8_P12ihipStream_tbDpT10_ENKUlT_T0_E_clISt17integral_constantIbLb0EES1D_EEDaS18_S19_EUlS18_E_NS1_11comp_targetILNS1_3genE10ELNS1_11target_archE1200ELNS1_3gpuE4ELNS1_3repE0EEENS1_30default_config_static_selectorELNS0_4arch9wavefront6targetE0EEEvT1_
	.globl	_ZN7rocprim17ROCPRIM_400000_NS6detail17trampoline_kernelINS0_14default_configENS1_25partition_config_selectorILNS1_17partition_subalgoE9EsjbEEZZNS1_14partition_implILS5_9ELb0ES3_jN6thrust23THRUST_200600_302600_NS6detail15normal_iteratorINS9_10device_ptrIsEEEENSB_INSC_IjEEEEPNS0_10empty_typeENS0_5tupleIJNS9_16discard_iteratorINS9_11use_defaultEEESH_EEENSJ_IJSM_SI_EEENS0_18inequality_wrapperINS9_8equal_toIsEEEEPmJSH_EEE10hipError_tPvRmT3_T4_T5_T6_T7_T9_mT8_P12ihipStream_tbDpT10_ENKUlT_T0_E_clISt17integral_constantIbLb0EES1D_EEDaS18_S19_EUlS18_E_NS1_11comp_targetILNS1_3genE10ELNS1_11target_archE1200ELNS1_3gpuE4ELNS1_3repE0EEENS1_30default_config_static_selectorELNS0_4arch9wavefront6targetE0EEEvT1_
	.p2align	8
	.type	_ZN7rocprim17ROCPRIM_400000_NS6detail17trampoline_kernelINS0_14default_configENS1_25partition_config_selectorILNS1_17partition_subalgoE9EsjbEEZZNS1_14partition_implILS5_9ELb0ES3_jN6thrust23THRUST_200600_302600_NS6detail15normal_iteratorINS9_10device_ptrIsEEEENSB_INSC_IjEEEEPNS0_10empty_typeENS0_5tupleIJNS9_16discard_iteratorINS9_11use_defaultEEESH_EEENSJ_IJSM_SI_EEENS0_18inequality_wrapperINS9_8equal_toIsEEEEPmJSH_EEE10hipError_tPvRmT3_T4_T5_T6_T7_T9_mT8_P12ihipStream_tbDpT10_ENKUlT_T0_E_clISt17integral_constantIbLb0EES1D_EEDaS18_S19_EUlS18_E_NS1_11comp_targetILNS1_3genE10ELNS1_11target_archE1200ELNS1_3gpuE4ELNS1_3repE0EEENS1_30default_config_static_selectorELNS0_4arch9wavefront6targetE0EEEvT1_,@function
_ZN7rocprim17ROCPRIM_400000_NS6detail17trampoline_kernelINS0_14default_configENS1_25partition_config_selectorILNS1_17partition_subalgoE9EsjbEEZZNS1_14partition_implILS5_9ELb0ES3_jN6thrust23THRUST_200600_302600_NS6detail15normal_iteratorINS9_10device_ptrIsEEEENSB_INSC_IjEEEEPNS0_10empty_typeENS0_5tupleIJNS9_16discard_iteratorINS9_11use_defaultEEESH_EEENSJ_IJSM_SI_EEENS0_18inequality_wrapperINS9_8equal_toIsEEEEPmJSH_EEE10hipError_tPvRmT3_T4_T5_T6_T7_T9_mT8_P12ihipStream_tbDpT10_ENKUlT_T0_E_clISt17integral_constantIbLb0EES1D_EEDaS18_S19_EUlS18_E_NS1_11comp_targetILNS1_3genE10ELNS1_11target_archE1200ELNS1_3gpuE4ELNS1_3repE0EEENS1_30default_config_static_selectorELNS0_4arch9wavefront6targetE0EEEvT1_: ; @_ZN7rocprim17ROCPRIM_400000_NS6detail17trampoline_kernelINS0_14default_configENS1_25partition_config_selectorILNS1_17partition_subalgoE9EsjbEEZZNS1_14partition_implILS5_9ELb0ES3_jN6thrust23THRUST_200600_302600_NS6detail15normal_iteratorINS9_10device_ptrIsEEEENSB_INSC_IjEEEEPNS0_10empty_typeENS0_5tupleIJNS9_16discard_iteratorINS9_11use_defaultEEESH_EEENSJ_IJSM_SI_EEENS0_18inequality_wrapperINS9_8equal_toIsEEEEPmJSH_EEE10hipError_tPvRmT3_T4_T5_T6_T7_T9_mT8_P12ihipStream_tbDpT10_ENKUlT_T0_E_clISt17integral_constantIbLb0EES1D_EEDaS18_S19_EUlS18_E_NS1_11comp_targetILNS1_3genE10ELNS1_11target_archE1200ELNS1_3gpuE4ELNS1_3repE0EEENS1_30default_config_static_selectorELNS0_4arch9wavefront6targetE0EEEvT1_
; %bb.0:
	.section	.rodata,"a",@progbits
	.p2align	6, 0x0
	.amdhsa_kernel _ZN7rocprim17ROCPRIM_400000_NS6detail17trampoline_kernelINS0_14default_configENS1_25partition_config_selectorILNS1_17partition_subalgoE9EsjbEEZZNS1_14partition_implILS5_9ELb0ES3_jN6thrust23THRUST_200600_302600_NS6detail15normal_iteratorINS9_10device_ptrIsEEEENSB_INSC_IjEEEEPNS0_10empty_typeENS0_5tupleIJNS9_16discard_iteratorINS9_11use_defaultEEESH_EEENSJ_IJSM_SI_EEENS0_18inequality_wrapperINS9_8equal_toIsEEEEPmJSH_EEE10hipError_tPvRmT3_T4_T5_T6_T7_T9_mT8_P12ihipStream_tbDpT10_ENKUlT_T0_E_clISt17integral_constantIbLb0EES1D_EEDaS18_S19_EUlS18_E_NS1_11comp_targetILNS1_3genE10ELNS1_11target_archE1200ELNS1_3gpuE4ELNS1_3repE0EEENS1_30default_config_static_selectorELNS0_4arch9wavefront6targetE0EEEvT1_
		.amdhsa_group_segment_fixed_size 0
		.amdhsa_private_segment_fixed_size 0
		.amdhsa_kernarg_size 128
		.amdhsa_user_sgpr_count 15
		.amdhsa_user_sgpr_dispatch_ptr 0
		.amdhsa_user_sgpr_queue_ptr 0
		.amdhsa_user_sgpr_kernarg_segment_ptr 1
		.amdhsa_user_sgpr_dispatch_id 0
		.amdhsa_user_sgpr_private_segment_size 0
		.amdhsa_wavefront_size32 1
		.amdhsa_uses_dynamic_stack 0
		.amdhsa_enable_private_segment 0
		.amdhsa_system_sgpr_workgroup_id_x 1
		.amdhsa_system_sgpr_workgroup_id_y 0
		.amdhsa_system_sgpr_workgroup_id_z 0
		.amdhsa_system_sgpr_workgroup_info 0
		.amdhsa_system_vgpr_workitem_id 0
		.amdhsa_next_free_vgpr 1
		.amdhsa_next_free_sgpr 1
		.amdhsa_reserve_vcc 0
		.amdhsa_float_round_mode_32 0
		.amdhsa_float_round_mode_16_64 0
		.amdhsa_float_denorm_mode_32 3
		.amdhsa_float_denorm_mode_16_64 3
		.amdhsa_dx10_clamp 1
		.amdhsa_ieee_mode 1
		.amdhsa_fp16_overflow 0
		.amdhsa_workgroup_processor_mode 1
		.amdhsa_memory_ordered 1
		.amdhsa_forward_progress 0
		.amdhsa_shared_vgpr_count 0
		.amdhsa_exception_fp_ieee_invalid_op 0
		.amdhsa_exception_fp_denorm_src 0
		.amdhsa_exception_fp_ieee_div_zero 0
		.amdhsa_exception_fp_ieee_overflow 0
		.amdhsa_exception_fp_ieee_underflow 0
		.amdhsa_exception_fp_ieee_inexact 0
		.amdhsa_exception_int_div_zero 0
	.end_amdhsa_kernel
	.section	.text._ZN7rocprim17ROCPRIM_400000_NS6detail17trampoline_kernelINS0_14default_configENS1_25partition_config_selectorILNS1_17partition_subalgoE9EsjbEEZZNS1_14partition_implILS5_9ELb0ES3_jN6thrust23THRUST_200600_302600_NS6detail15normal_iteratorINS9_10device_ptrIsEEEENSB_INSC_IjEEEEPNS0_10empty_typeENS0_5tupleIJNS9_16discard_iteratorINS9_11use_defaultEEESH_EEENSJ_IJSM_SI_EEENS0_18inequality_wrapperINS9_8equal_toIsEEEEPmJSH_EEE10hipError_tPvRmT3_T4_T5_T6_T7_T9_mT8_P12ihipStream_tbDpT10_ENKUlT_T0_E_clISt17integral_constantIbLb0EES1D_EEDaS18_S19_EUlS18_E_NS1_11comp_targetILNS1_3genE10ELNS1_11target_archE1200ELNS1_3gpuE4ELNS1_3repE0EEENS1_30default_config_static_selectorELNS0_4arch9wavefront6targetE0EEEvT1_,"axG",@progbits,_ZN7rocprim17ROCPRIM_400000_NS6detail17trampoline_kernelINS0_14default_configENS1_25partition_config_selectorILNS1_17partition_subalgoE9EsjbEEZZNS1_14partition_implILS5_9ELb0ES3_jN6thrust23THRUST_200600_302600_NS6detail15normal_iteratorINS9_10device_ptrIsEEEENSB_INSC_IjEEEEPNS0_10empty_typeENS0_5tupleIJNS9_16discard_iteratorINS9_11use_defaultEEESH_EEENSJ_IJSM_SI_EEENS0_18inequality_wrapperINS9_8equal_toIsEEEEPmJSH_EEE10hipError_tPvRmT3_T4_T5_T6_T7_T9_mT8_P12ihipStream_tbDpT10_ENKUlT_T0_E_clISt17integral_constantIbLb0EES1D_EEDaS18_S19_EUlS18_E_NS1_11comp_targetILNS1_3genE10ELNS1_11target_archE1200ELNS1_3gpuE4ELNS1_3repE0EEENS1_30default_config_static_selectorELNS0_4arch9wavefront6targetE0EEEvT1_,comdat
.Lfunc_end1178:
	.size	_ZN7rocprim17ROCPRIM_400000_NS6detail17trampoline_kernelINS0_14default_configENS1_25partition_config_selectorILNS1_17partition_subalgoE9EsjbEEZZNS1_14partition_implILS5_9ELb0ES3_jN6thrust23THRUST_200600_302600_NS6detail15normal_iteratorINS9_10device_ptrIsEEEENSB_INSC_IjEEEEPNS0_10empty_typeENS0_5tupleIJNS9_16discard_iteratorINS9_11use_defaultEEESH_EEENSJ_IJSM_SI_EEENS0_18inequality_wrapperINS9_8equal_toIsEEEEPmJSH_EEE10hipError_tPvRmT3_T4_T5_T6_T7_T9_mT8_P12ihipStream_tbDpT10_ENKUlT_T0_E_clISt17integral_constantIbLb0EES1D_EEDaS18_S19_EUlS18_E_NS1_11comp_targetILNS1_3genE10ELNS1_11target_archE1200ELNS1_3gpuE4ELNS1_3repE0EEENS1_30default_config_static_selectorELNS0_4arch9wavefront6targetE0EEEvT1_, .Lfunc_end1178-_ZN7rocprim17ROCPRIM_400000_NS6detail17trampoline_kernelINS0_14default_configENS1_25partition_config_selectorILNS1_17partition_subalgoE9EsjbEEZZNS1_14partition_implILS5_9ELb0ES3_jN6thrust23THRUST_200600_302600_NS6detail15normal_iteratorINS9_10device_ptrIsEEEENSB_INSC_IjEEEEPNS0_10empty_typeENS0_5tupleIJNS9_16discard_iteratorINS9_11use_defaultEEESH_EEENSJ_IJSM_SI_EEENS0_18inequality_wrapperINS9_8equal_toIsEEEEPmJSH_EEE10hipError_tPvRmT3_T4_T5_T6_T7_T9_mT8_P12ihipStream_tbDpT10_ENKUlT_T0_E_clISt17integral_constantIbLb0EES1D_EEDaS18_S19_EUlS18_E_NS1_11comp_targetILNS1_3genE10ELNS1_11target_archE1200ELNS1_3gpuE4ELNS1_3repE0EEENS1_30default_config_static_selectorELNS0_4arch9wavefront6targetE0EEEvT1_
                                        ; -- End function
	.section	.AMDGPU.csdata,"",@progbits
; Kernel info:
; codeLenInByte = 0
; NumSgprs: 0
; NumVgprs: 0
; ScratchSize: 0
; MemoryBound: 0
; FloatMode: 240
; IeeeMode: 1
; LDSByteSize: 0 bytes/workgroup (compile time only)
; SGPRBlocks: 0
; VGPRBlocks: 0
; NumSGPRsForWavesPerEU: 1
; NumVGPRsForWavesPerEU: 1
; Occupancy: 16
; WaveLimiterHint : 0
; COMPUTE_PGM_RSRC2:SCRATCH_EN: 0
; COMPUTE_PGM_RSRC2:USER_SGPR: 15
; COMPUTE_PGM_RSRC2:TRAP_HANDLER: 0
; COMPUTE_PGM_RSRC2:TGID_X_EN: 1
; COMPUTE_PGM_RSRC2:TGID_Y_EN: 0
; COMPUTE_PGM_RSRC2:TGID_Z_EN: 0
; COMPUTE_PGM_RSRC2:TIDIG_COMP_CNT: 0
	.section	.text._ZN7rocprim17ROCPRIM_400000_NS6detail17trampoline_kernelINS0_14default_configENS1_25partition_config_selectorILNS1_17partition_subalgoE9EsjbEEZZNS1_14partition_implILS5_9ELb0ES3_jN6thrust23THRUST_200600_302600_NS6detail15normal_iteratorINS9_10device_ptrIsEEEENSB_INSC_IjEEEEPNS0_10empty_typeENS0_5tupleIJNS9_16discard_iteratorINS9_11use_defaultEEESH_EEENSJ_IJSM_SI_EEENS0_18inequality_wrapperINS9_8equal_toIsEEEEPmJSH_EEE10hipError_tPvRmT3_T4_T5_T6_T7_T9_mT8_P12ihipStream_tbDpT10_ENKUlT_T0_E_clISt17integral_constantIbLb0EES1D_EEDaS18_S19_EUlS18_E_NS1_11comp_targetILNS1_3genE9ELNS1_11target_archE1100ELNS1_3gpuE3ELNS1_3repE0EEENS1_30default_config_static_selectorELNS0_4arch9wavefront6targetE0EEEvT1_,"axG",@progbits,_ZN7rocprim17ROCPRIM_400000_NS6detail17trampoline_kernelINS0_14default_configENS1_25partition_config_selectorILNS1_17partition_subalgoE9EsjbEEZZNS1_14partition_implILS5_9ELb0ES3_jN6thrust23THRUST_200600_302600_NS6detail15normal_iteratorINS9_10device_ptrIsEEEENSB_INSC_IjEEEEPNS0_10empty_typeENS0_5tupleIJNS9_16discard_iteratorINS9_11use_defaultEEESH_EEENSJ_IJSM_SI_EEENS0_18inequality_wrapperINS9_8equal_toIsEEEEPmJSH_EEE10hipError_tPvRmT3_T4_T5_T6_T7_T9_mT8_P12ihipStream_tbDpT10_ENKUlT_T0_E_clISt17integral_constantIbLb0EES1D_EEDaS18_S19_EUlS18_E_NS1_11comp_targetILNS1_3genE9ELNS1_11target_archE1100ELNS1_3gpuE3ELNS1_3repE0EEENS1_30default_config_static_selectorELNS0_4arch9wavefront6targetE0EEEvT1_,comdat
	.protected	_ZN7rocprim17ROCPRIM_400000_NS6detail17trampoline_kernelINS0_14default_configENS1_25partition_config_selectorILNS1_17partition_subalgoE9EsjbEEZZNS1_14partition_implILS5_9ELb0ES3_jN6thrust23THRUST_200600_302600_NS6detail15normal_iteratorINS9_10device_ptrIsEEEENSB_INSC_IjEEEEPNS0_10empty_typeENS0_5tupleIJNS9_16discard_iteratorINS9_11use_defaultEEESH_EEENSJ_IJSM_SI_EEENS0_18inequality_wrapperINS9_8equal_toIsEEEEPmJSH_EEE10hipError_tPvRmT3_T4_T5_T6_T7_T9_mT8_P12ihipStream_tbDpT10_ENKUlT_T0_E_clISt17integral_constantIbLb0EES1D_EEDaS18_S19_EUlS18_E_NS1_11comp_targetILNS1_3genE9ELNS1_11target_archE1100ELNS1_3gpuE3ELNS1_3repE0EEENS1_30default_config_static_selectorELNS0_4arch9wavefront6targetE0EEEvT1_ ; -- Begin function _ZN7rocprim17ROCPRIM_400000_NS6detail17trampoline_kernelINS0_14default_configENS1_25partition_config_selectorILNS1_17partition_subalgoE9EsjbEEZZNS1_14partition_implILS5_9ELb0ES3_jN6thrust23THRUST_200600_302600_NS6detail15normal_iteratorINS9_10device_ptrIsEEEENSB_INSC_IjEEEEPNS0_10empty_typeENS0_5tupleIJNS9_16discard_iteratorINS9_11use_defaultEEESH_EEENSJ_IJSM_SI_EEENS0_18inequality_wrapperINS9_8equal_toIsEEEEPmJSH_EEE10hipError_tPvRmT3_T4_T5_T6_T7_T9_mT8_P12ihipStream_tbDpT10_ENKUlT_T0_E_clISt17integral_constantIbLb0EES1D_EEDaS18_S19_EUlS18_E_NS1_11comp_targetILNS1_3genE9ELNS1_11target_archE1100ELNS1_3gpuE3ELNS1_3repE0EEENS1_30default_config_static_selectorELNS0_4arch9wavefront6targetE0EEEvT1_
	.globl	_ZN7rocprim17ROCPRIM_400000_NS6detail17trampoline_kernelINS0_14default_configENS1_25partition_config_selectorILNS1_17partition_subalgoE9EsjbEEZZNS1_14partition_implILS5_9ELb0ES3_jN6thrust23THRUST_200600_302600_NS6detail15normal_iteratorINS9_10device_ptrIsEEEENSB_INSC_IjEEEEPNS0_10empty_typeENS0_5tupleIJNS9_16discard_iteratorINS9_11use_defaultEEESH_EEENSJ_IJSM_SI_EEENS0_18inequality_wrapperINS9_8equal_toIsEEEEPmJSH_EEE10hipError_tPvRmT3_T4_T5_T6_T7_T9_mT8_P12ihipStream_tbDpT10_ENKUlT_T0_E_clISt17integral_constantIbLb0EES1D_EEDaS18_S19_EUlS18_E_NS1_11comp_targetILNS1_3genE9ELNS1_11target_archE1100ELNS1_3gpuE3ELNS1_3repE0EEENS1_30default_config_static_selectorELNS0_4arch9wavefront6targetE0EEEvT1_
	.p2align	8
	.type	_ZN7rocprim17ROCPRIM_400000_NS6detail17trampoline_kernelINS0_14default_configENS1_25partition_config_selectorILNS1_17partition_subalgoE9EsjbEEZZNS1_14partition_implILS5_9ELb0ES3_jN6thrust23THRUST_200600_302600_NS6detail15normal_iteratorINS9_10device_ptrIsEEEENSB_INSC_IjEEEEPNS0_10empty_typeENS0_5tupleIJNS9_16discard_iteratorINS9_11use_defaultEEESH_EEENSJ_IJSM_SI_EEENS0_18inequality_wrapperINS9_8equal_toIsEEEEPmJSH_EEE10hipError_tPvRmT3_T4_T5_T6_T7_T9_mT8_P12ihipStream_tbDpT10_ENKUlT_T0_E_clISt17integral_constantIbLb0EES1D_EEDaS18_S19_EUlS18_E_NS1_11comp_targetILNS1_3genE9ELNS1_11target_archE1100ELNS1_3gpuE3ELNS1_3repE0EEENS1_30default_config_static_selectorELNS0_4arch9wavefront6targetE0EEEvT1_,@function
_ZN7rocprim17ROCPRIM_400000_NS6detail17trampoline_kernelINS0_14default_configENS1_25partition_config_selectorILNS1_17partition_subalgoE9EsjbEEZZNS1_14partition_implILS5_9ELb0ES3_jN6thrust23THRUST_200600_302600_NS6detail15normal_iteratorINS9_10device_ptrIsEEEENSB_INSC_IjEEEEPNS0_10empty_typeENS0_5tupleIJNS9_16discard_iteratorINS9_11use_defaultEEESH_EEENSJ_IJSM_SI_EEENS0_18inequality_wrapperINS9_8equal_toIsEEEEPmJSH_EEE10hipError_tPvRmT3_T4_T5_T6_T7_T9_mT8_P12ihipStream_tbDpT10_ENKUlT_T0_E_clISt17integral_constantIbLb0EES1D_EEDaS18_S19_EUlS18_E_NS1_11comp_targetILNS1_3genE9ELNS1_11target_archE1100ELNS1_3gpuE3ELNS1_3repE0EEENS1_30default_config_static_selectorELNS0_4arch9wavefront6targetE0EEEvT1_: ; @_ZN7rocprim17ROCPRIM_400000_NS6detail17trampoline_kernelINS0_14default_configENS1_25partition_config_selectorILNS1_17partition_subalgoE9EsjbEEZZNS1_14partition_implILS5_9ELb0ES3_jN6thrust23THRUST_200600_302600_NS6detail15normal_iteratorINS9_10device_ptrIsEEEENSB_INSC_IjEEEEPNS0_10empty_typeENS0_5tupleIJNS9_16discard_iteratorINS9_11use_defaultEEESH_EEENSJ_IJSM_SI_EEENS0_18inequality_wrapperINS9_8equal_toIsEEEEPmJSH_EEE10hipError_tPvRmT3_T4_T5_T6_T7_T9_mT8_P12ihipStream_tbDpT10_ENKUlT_T0_E_clISt17integral_constantIbLb0EES1D_EEDaS18_S19_EUlS18_E_NS1_11comp_targetILNS1_3genE9ELNS1_11target_archE1100ELNS1_3gpuE3ELNS1_3repE0EEENS1_30default_config_static_selectorELNS0_4arch9wavefront6targetE0EEEvT1_
; %bb.0:
	s_clause 0x4
	s_load_b128 s[4:7], s[0:1], 0x8
	s_load_b32 s14, s[0:1], 0x78
	s_load_b128 s[16:19], s[0:1], 0x50
	s_load_b64 s[2:3], s[0:1], 0x60
	s_load_b64 s[8:9], s[0:1], 0x18
	v_lshlrev_b32_e32 v9, 1, v0
	s_waitcnt lgkmcnt(0)
	s_lshl_b64 s[10:11], s[6:7], 1
	s_mul_i32 s20, s14, 0x580
	s_add_u32 s21, s4, s10
	s_addc_u32 s22, s5, s11
	s_add_i32 s4, s20, s6
	s_load_b64 s[12:13], s[18:19], 0x0
	s_sub_i32 s18, s2, s4
	s_add_i32 s14, s14, -1
	s_addk_i32 s18, 0x580
	s_add_u32 s4, s6, s20
	s_addc_u32 s5, s7, 0
	s_cmp_eq_u32 s15, s14
	v_cmp_ge_u64_e64 s2, s[4:5], s[2:3]
	s_cselect_b32 s14, -1, 0
	s_mov_b32 s5, 0
	s_mul_i32 s4, s15, 0x580
	s_mov_b32 s20, -1
	s_delay_alu instid0(VALU_DEP_1)
	s_and_b32 s19, s14, s2
	s_lshl_b64 s[2:3], s[4:5], 1
	s_xor_b32 s10, s19, -1
	s_add_u32 s11, s21, s2
	s_addc_u32 s3, s22, s3
	s_and_b32 vcc_lo, exec_lo, s10
	s_cbranch_vccz .LBB1179_2
; %bb.1:
	v_add_co_u32 v1, s2, s11, v9
	s_delay_alu instid0(VALU_DEP_1)
	v_add_co_ci_u32_e64 v2, null, s3, 0, s2
	s_mov_b32 s20, s5
	s_clause 0xa
	flat_load_u16 v3, v[1:2]
	flat_load_u16 v4, v[1:2] offset:256
	flat_load_u16 v5, v[1:2] offset:512
	;; [unrolled: 1-line block ×10, first 2 shown]
	s_waitcnt vmcnt(10) lgkmcnt(0)
	ds_store_b16 v9, v3
	s_waitcnt vmcnt(9)
	ds_store_b16 v9, v4 offset:256
	s_waitcnt vmcnt(8)
	ds_store_b16 v9, v5 offset:512
	s_waitcnt vmcnt(7)
	ds_store_b16 v9, v6 offset:768
	s_waitcnt vmcnt(6)
	ds_store_b16 v9, v7 offset:1024
	s_waitcnt vmcnt(5)
	ds_store_b16 v9, v8 offset:1280
	s_waitcnt vmcnt(4)
	ds_store_b16 v9, v10 offset:1536
	s_waitcnt vmcnt(3)
	ds_store_b16 v9, v11 offset:1792
	s_waitcnt vmcnt(2)
	ds_store_b16 v9, v12 offset:2048
	s_waitcnt vmcnt(1)
	ds_store_b16 v9, v13 offset:2304
	s_waitcnt vmcnt(0)
	ds_store_b16 v9, v1 offset:2560
	s_waitcnt lgkmcnt(0)
	s_barrier
.LBB1179_2:
	v_cmp_gt_u32_e64 s2, s18, v0
	s_and_not1_b32 vcc_lo, exec_lo, s20
	s_cbranch_vccnz .LBB1179_26
; %bb.3:
                                        ; implicit-def: $vgpr1_vgpr2_vgpr3_vgpr4_vgpr5_vgpr6_vgpr7_vgpr8
	s_delay_alu instid0(VALU_DEP_1)
	s_and_saveexec_b32 s20, s2
	s_cbranch_execz .LBB1179_5
; %bb.4:
	v_add_co_u32 v1, s2, s11, v9
	s_delay_alu instid0(VALU_DEP_1)
	v_add_co_ci_u32_e64 v2, null, s3, 0, s2
	flat_load_d16_b16 v1, v[1:2]
.LBB1179_5:
	s_or_b32 exec_lo, exec_lo, s20
	v_or_b32_e32 v7, 0x80, v0
	s_mov_b32 s2, exec_lo
	s_delay_alu instid0(VALU_DEP_1)
	v_cmpx_gt_u32_e64 s18, v7
	s_cbranch_execz .LBB1179_7
; %bb.6:
	v_add_co_u32 v7, s20, s11, v9
	s_delay_alu instid0(VALU_DEP_1)
	v_add_co_ci_u32_e64 v8, null, s3, 0, s20
	s_waitcnt vmcnt(0) lgkmcnt(0)
	flat_load_d16_hi_b16 v1, v[7:8] offset:256
.LBB1179_7:
	s_or_b32 exec_lo, exec_lo, s2
	v_or_b32_e32 v7, 0x100, v0
	s_mov_b32 s2, exec_lo
	s_delay_alu instid0(VALU_DEP_1)
	v_cmpx_gt_u32_e64 s18, v7
	s_cbranch_execz .LBB1179_9
; %bb.8:
	v_add_co_u32 v7, s20, s11, v9
	s_delay_alu instid0(VALU_DEP_1)
	v_add_co_ci_u32_e64 v8, null, s3, 0, s20
	flat_load_d16_b16 v2, v[7:8] offset:512
.LBB1179_9:
	s_or_b32 exec_lo, exec_lo, s2
	v_or_b32_e32 v7, 0x180, v0
	s_mov_b32 s2, exec_lo
	s_delay_alu instid0(VALU_DEP_1)
	v_cmpx_gt_u32_e64 s18, v7
	s_cbranch_execz .LBB1179_11
; %bb.10:
	v_add_co_u32 v7, s20, s11, v9
	s_delay_alu instid0(VALU_DEP_1)
	v_add_co_ci_u32_e64 v8, null, s3, 0, s20
	s_waitcnt vmcnt(0) lgkmcnt(0)
	flat_load_d16_hi_b16 v2, v[7:8] offset:768
.LBB1179_11:
	s_or_b32 exec_lo, exec_lo, s2
	v_or_b32_e32 v7, 0x200, v0
	s_mov_b32 s2, exec_lo
	s_delay_alu instid0(VALU_DEP_1)
	v_cmpx_gt_u32_e64 s18, v7
	s_cbranch_execz .LBB1179_13
; %bb.12:
	v_add_co_u32 v7, s20, s11, v9
	s_delay_alu instid0(VALU_DEP_1)
	v_add_co_ci_u32_e64 v8, null, s3, 0, s20
	flat_load_d16_b16 v3, v[7:8] offset:1024
.LBB1179_13:
	;; [unrolled: 25-line block ×5, first 2 shown]
	s_or_b32 exec_lo, exec_lo, s2
	s_waitcnt vmcnt(0) lgkmcnt(0)
	ds_store_b16 v9, v1
	ds_store_b16_d16_hi v9, v1 offset:256
	ds_store_b16 v9, v2 offset:512
	ds_store_b16_d16_hi v9, v2 offset:768
	ds_store_b16 v9, v3 offset:1024
	;; [unrolled: 2-line block ×5, first 2 shown]
	s_waitcnt lgkmcnt(0)
	s_barrier
.LBB1179_26:
	v_mul_u32_u24_e32 v1, 11, v0
	s_waitcnt lgkmcnt(0)
	buffer_gl0_inv
	s_lshl_b64 s[20:21], s[6:7], 2
	s_delay_alu instid0(SALU_CYCLE_1)
	s_add_u32 s2, s8, s20
	v_lshlrev_b32_e32 v2, 1, v1
	s_addc_u32 s8, s9, s21
	s_lshl_b64 s[4:5], s[4:5], 2
	ds_load_b128 v[12:15], v2
	ds_load_u16 v35, v2 offset:16
	ds_load_u16 v34, v2 offset:18
	;; [unrolled: 1-line block ×3, first 2 shown]
	s_add_u32 s2, s2, s4
	s_addc_u32 s4, s8, s5
	s_and_b32 vcc_lo, exec_lo, s10
	s_mov_b32 s5, -1
	s_waitcnt lgkmcnt(0)
	s_barrier
	buffer_gl0_inv
	s_cbranch_vccz .LBB1179_28
; %bb.27:
	v_lshlrev_b32_e32 v7, 2, v0
	s_delay_alu instid0(VALU_DEP_1) | instskip(NEXT) | instid1(VALU_DEP_1)
	v_add_co_u32 v3, s5, s2, v7
	v_add_co_ci_u32_e64 v4, null, s4, 0, s5
	s_mov_b32 s5, 0
	s_delay_alu instid0(VALU_DEP_2) | instskip(NEXT) | instid1(VALU_DEP_2)
	v_add_co_u32 v5, vcc_lo, 0x1000, v3
	v_add_co_ci_u32_e32 v6, vcc_lo, 0, v4, vcc_lo
	s_clause 0xa
	flat_load_b32 v8, v[3:4]
	flat_load_b32 v10, v[3:4] offset:512
	flat_load_b32 v11, v[3:4] offset:1024
	;; [unrolled: 1-line block ×7, first 2 shown]
	flat_load_b32 v4, v[5:6]
	flat_load_b32 v20, v[5:6] offset:512
	flat_load_b32 v5, v[5:6] offset:1024
	s_waitcnt vmcnt(9) lgkmcnt(9)
	ds_store_2addr_stride64_b32 v7, v8, v10 offset1:2
	s_waitcnt vmcnt(7) lgkmcnt(8)
	ds_store_2addr_stride64_b32 v7, v11, v16 offset0:4 offset1:6
	s_waitcnt vmcnt(5) lgkmcnt(7)
	ds_store_2addr_stride64_b32 v7, v17, v18 offset0:8 offset1:10
	s_waitcnt vmcnt(3) lgkmcnt(6)
	ds_store_2addr_stride64_b32 v7, v19, v3 offset0:12 offset1:14
	s_waitcnt vmcnt(1) lgkmcnt(5)
	ds_store_2addr_stride64_b32 v7, v4, v20 offset0:16 offset1:18
	s_waitcnt vmcnt(0) lgkmcnt(5)
	ds_store_b32 v7, v5 offset:5120
	s_waitcnt lgkmcnt(0)
	s_barrier
.LBB1179_28:
	s_and_not1_b32 vcc_lo, exec_lo, s5
	s_cbranch_vccnz .LBB1179_52
; %bb.29:
	s_mov_b32 s5, exec_lo
                                        ; implicit-def: $vgpr3
	v_cmpx_gt_u32_e64 s18, v0
	s_cbranch_execz .LBB1179_31
; %bb.30:
	v_lshlrev_b32_e32 v3, 2, v0
	s_delay_alu instid0(VALU_DEP_1) | instskip(NEXT) | instid1(VALU_DEP_1)
	v_add_co_u32 v3, s8, s2, v3
	v_add_co_ci_u32_e64 v4, null, s4, 0, s8
	flat_load_b32 v3, v[3:4]
.LBB1179_31:
	s_or_b32 exec_lo, exec_lo, s5
	v_or_b32_e32 v4, 0x80, v0
	s_delay_alu instid0(VALU_DEP_1)
	v_cmp_gt_u32_e32 vcc_lo, s18, v4
                                        ; implicit-def: $vgpr4
	s_and_saveexec_b32 s5, vcc_lo
	s_cbranch_execz .LBB1179_33
; %bb.32:
	v_lshlrev_b32_e32 v4, 2, v0
	s_delay_alu instid0(VALU_DEP_1) | instskip(NEXT) | instid1(VALU_DEP_1)
	v_add_co_u32 v4, s8, s2, v4
	v_add_co_ci_u32_e64 v5, null, s4, 0, s8
	flat_load_b32 v4, v[4:5] offset:512
.LBB1179_33:
	s_or_b32 exec_lo, exec_lo, s5
	v_or_b32_e32 v5, 0x100, v0
	s_delay_alu instid0(VALU_DEP_1)
	v_cmp_gt_u32_e32 vcc_lo, s18, v5
                                        ; implicit-def: $vgpr5
	s_and_saveexec_b32 s5, vcc_lo
	s_cbranch_execz .LBB1179_35
; %bb.34:
	v_lshlrev_b32_e32 v5, 2, v0
	s_delay_alu instid0(VALU_DEP_1) | instskip(NEXT) | instid1(VALU_DEP_1)
	v_add_co_u32 v5, s8, s2, v5
	v_add_co_ci_u32_e64 v6, null, s4, 0, s8
	flat_load_b32 v5, v[5:6] offset:1024
.LBB1179_35:
	s_or_b32 exec_lo, exec_lo, s5
	v_or_b32_e32 v6, 0x180, v0
	s_delay_alu instid0(VALU_DEP_1)
	v_cmp_gt_u32_e32 vcc_lo, s18, v6
                                        ; implicit-def: $vgpr6
	s_and_saveexec_b32 s5, vcc_lo
	s_cbranch_execz .LBB1179_37
; %bb.36:
	v_lshlrev_b32_e32 v6, 2, v0
	s_delay_alu instid0(VALU_DEP_1) | instskip(NEXT) | instid1(VALU_DEP_1)
	v_add_co_u32 v6, s8, s2, v6
	v_add_co_ci_u32_e64 v7, null, s4, 0, s8
	flat_load_b32 v6, v[6:7] offset:1536
.LBB1179_37:
	s_or_b32 exec_lo, exec_lo, s5
	v_or_b32_e32 v7, 0x200, v0
	s_delay_alu instid0(VALU_DEP_1)
	v_cmp_gt_u32_e32 vcc_lo, s18, v7
                                        ; implicit-def: $vgpr7
	s_and_saveexec_b32 s5, vcc_lo
	s_cbranch_execz .LBB1179_39
; %bb.38:
	v_lshlrev_b32_e32 v7, 2, v0
	s_delay_alu instid0(VALU_DEP_1) | instskip(NEXT) | instid1(VALU_DEP_1)
	v_add_co_u32 v7, s8, s2, v7
	v_add_co_ci_u32_e64 v8, null, s4, 0, s8
	flat_load_b32 v7, v[7:8] offset:2048
.LBB1179_39:
	s_or_b32 exec_lo, exec_lo, s5
	v_or_b32_e32 v8, 0x280, v0
	s_delay_alu instid0(VALU_DEP_1)
	v_cmp_gt_u32_e32 vcc_lo, s18, v8
                                        ; implicit-def: $vgpr8
	s_and_saveexec_b32 s5, vcc_lo
	s_cbranch_execz .LBB1179_41
; %bb.40:
	v_lshlrev_b32_e32 v8, 2, v0
	s_delay_alu instid0(VALU_DEP_1) | instskip(NEXT) | instid1(VALU_DEP_1)
	v_add_co_u32 v10, s8, s2, v8
	v_add_co_ci_u32_e64 v11, null, s4, 0, s8
	flat_load_b32 v8, v[10:11] offset:2560
.LBB1179_41:
	s_or_b32 exec_lo, exec_lo, s5
	v_or_b32_e32 v10, 0x300, v0
	s_delay_alu instid0(VALU_DEP_1)
	v_cmp_gt_u32_e32 vcc_lo, s18, v10
                                        ; implicit-def: $vgpr10
	s_and_saveexec_b32 s5, vcc_lo
	s_cbranch_execz .LBB1179_43
; %bb.42:
	v_lshlrev_b32_e32 v10, 2, v0
	s_delay_alu instid0(VALU_DEP_1) | instskip(NEXT) | instid1(VALU_DEP_1)
	v_add_co_u32 v10, s8, s2, v10
	v_add_co_ci_u32_e64 v11, null, s4, 0, s8
	flat_load_b32 v10, v[10:11] offset:3072
.LBB1179_43:
	s_or_b32 exec_lo, exec_lo, s5
	v_or_b32_e32 v11, 0x380, v0
	s_delay_alu instid0(VALU_DEP_1)
	v_cmp_gt_u32_e32 vcc_lo, s18, v11
                                        ; implicit-def: $vgpr11
	s_and_saveexec_b32 s5, vcc_lo
	s_cbranch_execz .LBB1179_45
; %bb.44:
	v_lshlrev_b32_e32 v11, 2, v0
	s_delay_alu instid0(VALU_DEP_1) | instskip(NEXT) | instid1(VALU_DEP_1)
	v_add_co_u32 v16, s8, s2, v11
	v_add_co_ci_u32_e64 v17, null, s4, 0, s8
	flat_load_b32 v11, v[16:17] offset:3584
.LBB1179_45:
	s_or_b32 exec_lo, exec_lo, s5
	v_or_b32_e32 v17, 0x400, v0
	s_mov_b32 s5, exec_lo
                                        ; implicit-def: $vgpr16
	s_delay_alu instid0(VALU_DEP_1)
	v_cmpx_gt_u32_e64 s18, v17
	s_cbranch_execz .LBB1179_47
; %bb.46:
	v_lshlrev_b32_e32 v16, 2, v17
	s_delay_alu instid0(VALU_DEP_1) | instskip(NEXT) | instid1(VALU_DEP_1)
	v_add_co_u32 v16, s8, s2, v16
	v_add_co_ci_u32_e64 v17, null, s4, 0, s8
	flat_load_b32 v16, v[16:17]
.LBB1179_47:
	s_or_b32 exec_lo, exec_lo, s5
	v_or_b32_e32 v18, 0x480, v0
	s_mov_b32 s5, exec_lo
                                        ; implicit-def: $vgpr17
	s_delay_alu instid0(VALU_DEP_1)
	v_cmpx_gt_u32_e64 s18, v18
	s_cbranch_execz .LBB1179_49
; %bb.48:
	v_lshlrev_b32_e32 v17, 2, v18
	s_delay_alu instid0(VALU_DEP_1) | instskip(NEXT) | instid1(VALU_DEP_1)
	v_add_co_u32 v17, s8, s2, v17
	v_add_co_ci_u32_e64 v18, null, s4, 0, s8
	flat_load_b32 v17, v[17:18]
.LBB1179_49:
	s_or_b32 exec_lo, exec_lo, s5
	v_or_b32_e32 v19, 0x500, v0
	s_mov_b32 s5, exec_lo
                                        ; implicit-def: $vgpr18
	s_delay_alu instid0(VALU_DEP_1)
	v_cmpx_gt_u32_e64 s18, v19
	s_cbranch_execz .LBB1179_51
; %bb.50:
	v_lshlrev_b32_e32 v18, 2, v19
	s_delay_alu instid0(VALU_DEP_1) | instskip(NEXT) | instid1(VALU_DEP_1)
	v_add_co_u32 v18, s2, s2, v18
	v_add_co_ci_u32_e64 v19, null, s4, 0, s2
	flat_load_b32 v18, v[18:19]
.LBB1179_51:
	s_or_b32 exec_lo, exec_lo, s5
	v_mad_i32_i24 v2, 0xffffffee, v0, v2
	s_waitcnt vmcnt(0) lgkmcnt(0)
	ds_store_2addr_stride64_b32 v2, v3, v4 offset1:2
	ds_store_2addr_stride64_b32 v2, v5, v6 offset0:4 offset1:6
	ds_store_2addr_stride64_b32 v2, v7, v8 offset0:8 offset1:10
	;; [unrolled: 1-line block ×4, first 2 shown]
	ds_store_b32 v2, v18 offset:5120
	s_waitcnt lgkmcnt(0)
	s_barrier
.LBB1179_52:
	v_lshlrev_b32_e32 v41, 2, v1
	buffer_gl0_inv
	s_cmp_lg_u32 s15, 0
	v_lshrrev_b32_e32 v40, 16, v12
	s_cselect_b32 s20, -1, 0
	ds_load_2addr_b32 v[27:28], v41 offset1:1
	ds_load_2addr_b32 v[25:26], v41 offset0:2 offset1:3
	ds_load_2addr_b32 v[23:24], v41 offset0:4 offset1:5
	;; [unrolled: 1-line block ×4, first 2 shown]
	ds_load_b32 v36, v41 offset:40
	s_cmp_lg_u64 s[6:7], 0
	v_lshrrev_b32_e32 v39, 16, v13
	s_cselect_b32 s2, -1, 0
	v_lshrrev_b32_e32 v38, 16, v14
	v_lshrrev_b32_e32 v37, 16, v15
	v_add_nc_u32_e32 v5, 1, v1
	v_add_nc_u32_e32 v6, 2, v1
	;; [unrolled: 1-line block ×10, first 2 shown]
	s_or_b32 s2, s20, s2
	s_mov_b32 s21, 0
	s_and_b32 vcc_lo, exec_lo, s2
	s_waitcnt lgkmcnt(0)
	s_barrier
	buffer_gl0_inv
	s_cbranch_vccz .LBB1179_57
; %bb.53:
	v_add_co_u32 v16, s2, -2, s11
	s_delay_alu instid0(VALU_DEP_1)
	v_add_co_ci_u32_e64 v17, null, -1, s3, s2
	s_mov_b32 s3, -1
	s_and_b32 vcc_lo, exec_lo, s10
	flat_load_u16 v16, v[16:17]
	ds_store_b16 v9, v33
	s_cbranch_vccz .LBB1179_59
; %bb.54:
	s_waitcnt vmcnt(0) lgkmcnt(1)
	v_mov_b32_e32 v17, v16
	s_mov_b32 s3, 0
	s_mov_b32 s2, exec_lo
	s_waitcnt lgkmcnt(0)
	s_barrier
	buffer_gl0_inv
	v_cmpx_ne_u32_e32 0, v0
	s_cbranch_execz .LBB1179_56
; %bb.55:
	v_add_nc_u32_e32 v17, -2, v9
	ds_load_u16 v17, v17
.LBB1179_56:
	s_or_b32 exec_lo, exec_lo, s2
	v_cmp_ne_u16_e32 vcc_lo, v15, v37
	s_waitcnt lgkmcnt(0)
	v_cmp_ne_u16_e64 s2, v17, v12
	v_cndmask_b32_e64 v18, 0, 1, vcc_lo
	v_cmp_ne_u16_e32 vcc_lo, v38, v15
	s_delay_alu instid0(VALU_DEP_2) | instskip(SKIP_2) | instid1(VALU_DEP_2)
	v_lshlrev_b16 v18, 8, v18
	v_cndmask_b32_e64 v29, 0, 1, vcc_lo
	v_cmp_ne_u16_e32 vcc_lo, v14, v38
	v_or_b32_e32 v18, v29, v18
	v_cndmask_b32_e64 v30, 0, 1, vcc_lo
	v_cmp_ne_u16_e32 vcc_lo, v39, v14
	s_delay_alu instid0(VALU_DEP_3) | instskip(NEXT) | instid1(VALU_DEP_3)
	v_lshlrev_b32_e32 v18, 16, v18
	v_lshlrev_b16 v30, 8, v30
	v_cndmask_b32_e64 v32, 0, 1, vcc_lo
	v_cmp_ne_u16_e32 vcc_lo, v13, v39
	s_delay_alu instid0(VALU_DEP_2) | instskip(SKIP_2) | instid1(VALU_DEP_3)
	v_or_b32_e32 v30, v32, v30
	v_cndmask_b32_e64 v42, 0, 1, vcc_lo
	v_cmp_ne_u16_e32 vcc_lo, v40, v13
	v_and_b32_e32 v30, 0xffff, v30
	s_delay_alu instid0(VALU_DEP_3) | instskip(SKIP_2) | instid1(VALU_DEP_4)
	v_lshlrev_b16 v42, 8, v42
	v_cndmask_b32_e64 v44, 0, 1, vcc_lo
	v_cmp_ne_u16_e32 vcc_lo, v12, v40
	v_or_b32_e32 v30, v30, v18
	s_delay_alu instid0(VALU_DEP_3) | instskip(SKIP_2) | instid1(VALU_DEP_3)
	v_or_b32_e32 v42, v44, v42
	v_cndmask_b32_e64 v45, 0, 1, vcc_lo
	v_cmp_ne_u16_e32 vcc_lo, v34, v33
	v_lshlrev_b32_e32 v29, 16, v42
	s_delay_alu instid0(VALU_DEP_3) | instskip(SKIP_2) | instid1(VALU_DEP_3)
	v_lshlrev_b16 v44, 8, v45
	v_cndmask_b32_e64 v43, 0, 1, vcc_lo
	v_cmp_ne_u16_e32 vcc_lo, v35, v34
	v_and_b32_e32 v44, 0xffff, v44
	v_cndmask_b32_e64 v32, 0, 1, vcc_lo
	v_cmp_ne_u16_e32 vcc_lo, v37, v35
	s_delay_alu instid0(VALU_DEP_3)
	v_or_b32_e32 v29, v44, v29
	v_cndmask_b32_e64 v42, 0, 1, vcc_lo
	s_and_b32 vcc_lo, exec_lo, s3
	s_cbranch_vccnz .LBB1179_60
	s_branch .LBB1179_63
.LBB1179_57:
                                        ; implicit-def: $sgpr2
                                        ; implicit-def: $vgpr43
                                        ; implicit-def: $vgpr32
                                        ; implicit-def: $vgpr42
                                        ; implicit-def: $vgpr30
	s_branch .LBB1179_64
.LBB1179_58:
                                        ; implicit-def: $vgpr16_vgpr17_vgpr18
	s_and_saveexec_b32 s3, s21
	s_cbranch_execnz .LBB1179_72
	s_branch .LBB1179_73
.LBB1179_59:
                                        ; implicit-def: $sgpr2
                                        ; implicit-def: $vgpr43
                                        ; implicit-def: $vgpr32
                                        ; implicit-def: $vgpr42
                                        ; implicit-def: $vgpr30
	s_and_b32 vcc_lo, exec_lo, s3
	s_cbranch_vccz .LBB1179_63
.LBB1179_60:
	s_mov_b32 s2, exec_lo
	s_waitcnt vmcnt(0) lgkmcnt(0)
	s_barrier
	buffer_gl0_inv
	v_cmpx_ne_u32_e32 0, v0
	s_cbranch_execz .LBB1179_62
; %bb.61:
	v_add_nc_u32_e32 v9, -2, v9
	ds_load_u16 v16, v9
.LBB1179_62:
	s_or_b32 exec_lo, exec_lo, s2
	v_cmp_gt_u32_e32 vcc_lo, s18, v10
	v_cmp_ne_u16_e64 s2, v34, v33
	v_cmp_gt_u32_e64 s3, s18, v11
	v_cmp_ne_u16_e64 s4, v35, v34
	v_cmp_gt_u32_e64 s5, s18, v5
	v_cmp_ne_u16_e64 s6, v12, v40
	s_and_b32 s2, vcc_lo, s2
	v_cmp_gt_u32_e32 vcc_lo, s18, v2
	v_cndmask_b32_e64 v43, 0, 1, s2
	v_cmp_ne_u16_e64 s2, v15, v37
	s_and_b32 s3, s3, s4
	v_cmp_ne_u16_e64 s4, v38, v15
	v_cndmask_b32_e64 v32, 0, 1, s3
	v_cmp_gt_u32_e64 s3, s18, v4
	s_and_b32 s2, vcc_lo, s2
	v_cmp_gt_u32_e32 vcc_lo, s18, v7
	v_cndmask_b32_e64 v9, 0, 1, s2
	v_cmp_ne_u16_e64 s2, v14, v38
	s_and_b32 s3, s3, s4
	v_cmp_ne_u16_e64 s4, v13, v39
	v_cndmask_b32_e64 v17, 0, 1, s3
	v_cmp_gt_u32_e64 s3, s18, v3
	s_and_b32 s2, vcc_lo, s2
	v_cmp_gt_u32_e32 vcc_lo, s18, v8
	v_cndmask_b32_e64 v18, 0, 1, s2
	v_cmp_ne_u16_e64 s2, v39, v14
	s_and_b32 s3, s3, s4
	v_cmp_ne_u16_e64 s4, v40, v13
	v_cndmask_b32_e64 v29, 0, 1, s3
	v_cmp_gt_u32_e64 s3, s18, v6
	s_and_b32 s2, vcc_lo, s2
	v_lshlrev_b16 v18, 8, v18
	v_cndmask_b32_e64 v30, 0, 1, s2
	v_lshlrev_b16 v29, 8, v29
	s_and_b32 s2, s3, s4
	v_lshlrev_b16 v9, 8, v9
	v_cndmask_b32_e64 v42, 0, 1, s2
	s_and_b32 s2, s5, s6
	v_or_b32_e32 v18, v30, v18
	v_cndmask_b32_e64 v44, 0, 1, s2
	v_or_b32_e32 v9, v17, v9
	v_or_b32_e32 v29, v42, v29
	v_cmp_gt_u32_e32 vcc_lo, s18, v31
	v_cmp_ne_u16_e64 s2, v37, v35
	v_lshlrev_b16 v42, 8, v44
	v_and_b32_e32 v18, 0xffff, v18
	v_lshlrev_b32_e32 v17, 16, v29
	v_lshlrev_b32_e32 v9, 16, v9
	s_and_b32 s2, vcc_lo, s2
	v_and_b32_e32 v29, 0xffff, v42
	v_cndmask_b32_e64 v42, 0, 1, s2
	v_cmp_gt_u32_e32 vcc_lo, s18, v1
	s_waitcnt lgkmcnt(0)
	v_cmp_ne_u16_e64 s2, v16, v12
	v_or_b32_e32 v30, v18, v9
	v_or_b32_e32 v29, v29, v17
	s_delay_alu instid0(VALU_DEP_3)
	s_and_b32 s2, vcc_lo, s2
.LBB1179_63:
	s_mov_b32 s21, -1
	s_cbranch_execnz .LBB1179_58
.LBB1179_64:
	v_mad_i32_i24 v9, 0xffffffd6, v0, v41
	s_and_b32 vcc_lo, exec_lo, s10
	v_cmp_ne_u16_e64 s2, v34, v33
	v_cmp_ne_u16_e64 s9, v35, v34
	;; [unrolled: 1-line block ×10, first 2 shown]
	ds_store_b16 v9, v33
	s_cbranch_vccz .LBB1179_68
; %bb.65:
	s_waitcnt vmcnt(0) lgkmcnt(2)
	v_cndmask_b32_e64 v16, 0, 1, s11
	v_cndmask_b32_e64 v32, 0, 1, s9
	;; [unrolled: 1-line block ×5, first 2 shown]
	v_lshlrev_b16 v16, 8, v16
	v_cndmask_b32_e64 v44, 0, 1, s4
	v_cndmask_b32_e64 v42, 0, 1, s10
	v_cndmask_b32_e64 v18, 0, 1, s6
	v_cndmask_b32_e64 v43, 0, 1, s3
	v_lshlrev_b16 v17, 8, v17
	v_lshlrev_b16 v45, 8, v32
	v_or_b32_e32 v16, v29, v16
	v_lshlrev_b16 v29, 8, v30
	v_lshlrev_b16 v30, 8, v44
	v_or_b32_e32 v17, v18, v17
	v_or_b32_e32 v18, v42, v45
	v_and_b32_e32 v16, 0xffff, v16
	v_or_b32_e32 v29, v43, v29
	v_or_b32_e32 v30, 1, v30
	v_lshlrev_b32_e32 v17, 16, v17
	v_and_b32_e32 v18, 0xffff, v18
	v_cndmask_b32_e64 v43, 0, 1, s2
	v_lshlrev_b32_e32 v29, 16, v29
	v_and_b32_e32 v44, 0xffff, v30
	v_or_b32_e32 v30, v16, v17
	s_mov_b32 s3, 0
	v_lshl_or_b32 v18, v43, 16, v18
	s_mov_b32 s4, exec_lo
	v_or_b32_e32 v29, v44, v29
	s_waitcnt lgkmcnt(0)
	s_barrier
	buffer_gl0_inv
                                        ; implicit-def: $sgpr2
	v_cmpx_ne_u32_e32 0, v0
	s_xor_b32 s4, exec_lo, s4
	s_cbranch_execz .LBB1179_67
; %bb.66:
	v_add_nc_u32_e32 v16, -2, v9
	s_or_b32 s21, s21, exec_lo
	ds_load_u16 v16, v16
	s_waitcnt lgkmcnt(0)
	v_cmp_ne_u16_e32 vcc_lo, v16, v12
                                        ; implicit-def: $vgpr16_vgpr17_vgpr18
	s_and_b32 s2, vcc_lo, exec_lo
.LBB1179_67:
	s_or_b32 exec_lo, exec_lo, s4
	s_delay_alu instid0(SALU_CYCLE_1)
	s_and_b32 vcc_lo, exec_lo, s3
	s_cbranch_vccnz .LBB1179_69
	s_branch .LBB1179_71
.LBB1179_68:
                                        ; implicit-def: $sgpr2
                                        ; implicit-def: $vgpr43
                                        ; implicit-def: $vgpr32
                                        ; implicit-def: $vgpr42
                                        ; implicit-def: $vgpr30
                                        ; implicit-def: $vgpr16_vgpr17_vgpr18
	s_cbranch_execz .LBB1179_71
.LBB1179_69:
	v_cmp_gt_u32_e32 vcc_lo, s18, v11
	v_cmp_ne_u16_e64 s2, v35, v34
	v_cmp_gt_u32_e64 s5, s18, v31
	v_cmp_ne_u16_e64 s6, v37, v35
	v_cmp_gt_u32_e64 s3, s18, v10
	v_cmp_ne_u16_e64 s4, v34, v33
	s_and_b32 s2, vcc_lo, s2
	v_cmp_gt_u32_e32 vcc_lo, s18, v2
	v_cndmask_b32_e64 v32, 0, 1, s2
	v_cmp_ne_u16_e64 s2, v15, v37
	s_and_b32 s5, s5, s6
	v_cmp_ne_u16_e64 s6, v38, v15
	v_cndmask_b32_e64 v42, 0, 1, s5
	v_cmp_gt_u32_e64 s5, s18, v4
	s_and_b32 s2, vcc_lo, s2
	v_cmp_gt_u32_e32 vcc_lo, s18, v7
	s_waitcnt vmcnt(0) lgkmcnt(2)
	v_cndmask_b32_e64 v16, 0, 1, s2
	v_cmp_ne_u16_e64 s2, v14, v38
	s_and_b32 s5, s5, s6
	v_cmp_ne_u16_e64 s6, v39, v14
	v_cndmask_b32_e64 v17, 0, 1, s5
	v_cmp_gt_u32_e64 s5, s18, v8
	s_and_b32 s2, vcc_lo, s2
	v_cmp_gt_u32_e32 vcc_lo, s18, v3
	v_cndmask_b32_e64 v18, 0, 1, s2
	v_cmp_ne_u16_e64 s2, v13, v39
	s_and_b32 s5, s5, s6
	v_cmp_ne_u16_e64 s6, v40, v13
	v_cndmask_b32_e64 v29, 0, 1, s5
	v_cmp_gt_u32_e64 s5, s18, v6
	s_and_b32 s2, vcc_lo, s2
	v_cmp_gt_u32_e32 vcc_lo, s18, v5
	v_cndmask_b32_e64 v30, 0, 1, s2
	v_cmp_ne_u16_e64 s2, v12, v40
	v_lshlrev_b16 v18, 8, v18
	v_lshlrev_b16 v16, 8, v16
	s_and_b32 s5, s5, s6
	v_lshlrev_b16 v45, 8, v32
	s_and_b32 s2, vcc_lo, s2
	v_cndmask_b32_e64 v43, 0, 1, s5
	v_cndmask_b32_e64 v44, 0, 1, s2
	v_or_b32_e32 v18, v29, v18
	v_or_b32_e32 v16, v17, v16
	v_lshlrev_b16 v17, 8, v30
	v_or_b32_e32 v30, v42, v45
	v_lshlrev_b16 v29, 8, v44
	s_and_b32 s2, s3, s4
	v_and_b32_e32 v18, 0xffff, v18
	v_or_b32_e32 v17, v43, v17
	v_lshlrev_b32_e32 v16, 16, v16
	v_or_b32_e32 v29, 1, v29
	v_and_b32_e32 v44, 0xffff, v30
	v_cndmask_b32_e64 v43, 0, 1, s2
	v_lshlrev_b32_e32 v17, 16, v17
	v_or_b32_e32 v30, v18, v16
	v_and_b32_e32 v29, 0xffff, v29
	s_mov_b32 s3, exec_lo
	v_lshl_or_b32 v18, v43, 16, v44
	s_waitcnt lgkmcnt(0)
	s_barrier
	v_or_b32_e32 v29, v29, v17
	buffer_gl0_inv
                                        ; implicit-def: $sgpr2
	v_cmpx_ne_u32_e32 0, v0
	s_cbranch_execz .LBB1179_162
; %bb.70:
	v_add_nc_u32_e32 v9, -2, v9
	v_cmp_gt_u32_e32 vcc_lo, s18, v1
	s_or_b32 s21, s21, exec_lo
                                        ; implicit-def: $vgpr16_vgpr17_vgpr18
	ds_load_u16 v9, v9
	s_waitcnt lgkmcnt(0)
	v_cmp_ne_u16_e64 s2, v9, v12
	s_delay_alu instid0(VALU_DEP_1) | instskip(NEXT) | instid1(SALU_CYCLE_1)
	s_and_b32 s2, vcc_lo, s2
	s_and_b32 s2, s2, exec_lo
	s_or_b32 exec_lo, exec_lo, s3
.LBB1179_71:
	s_and_saveexec_b32 s3, s21
	s_cbranch_execz .LBB1179_73
.LBB1179_72:
	s_waitcnt vmcnt(0) lgkmcnt(1)
	v_lshrrev_b32_e32 v16, 24, v29
	v_lshrrev_b32_e32 v17, 16, v29
	;; [unrolled: 1-line block ×3, first 2 shown]
	v_cndmask_b32_e64 v9, 0, 1, s2
	v_lshlrev_b16 v29, 8, v32
	v_and_b32_e32 v32, 0xff, v42
	v_lshlrev_b16 v16, 8, v16
	v_and_b32_e32 v17, 0xff, v17
	;; [unrolled: 2-line block ×3, first 2 shown]
	v_or_b32_e32 v29, v32, v29
	s_delay_alu instid0(VALU_DEP_4) | instskip(NEXT) | instid1(VALU_DEP_4)
	v_or_b32_e32 v16, v17, v16
	v_or_b32_e32 v9, v9, v18
	s_delay_alu instid0(VALU_DEP_4) | instskip(NEXT) | instid1(VALU_DEP_4)
	v_lshlrev_b32_e32 v17, 16, v42
	v_and_b32_e32 v18, 0xffff, v29
	s_delay_alu instid0(VALU_DEP_4) | instskip(NEXT) | instid1(VALU_DEP_4)
	v_lshlrev_b32_e32 v16, 16, v16
	v_and_b32_e32 v9, 0xffff, v9
	s_delay_alu instid0(VALU_DEP_3) | instskip(NEXT) | instid1(VALU_DEP_2)
	v_or_b32_e32 v18, v18, v17
	v_or_b32_e32 v29, v9, v16
.LBB1179_73:
	s_or_b32 exec_lo, exec_lo, s3
	s_load_b64 s[8:9], s[0:1], 0x70
	s_and_not1_b32 vcc_lo, exec_lo, s19
	s_cbranch_vccnz .LBB1179_75
; %bb.74:
	v_cmp_gt_u32_e32 vcc_lo, s18, v1
	v_cmp_gt_u32_e64 s0, s18, v5
	v_and_b32_e32 v5, 0xffffff00, v30
	v_cmp_gt_u32_e64 s2, s18, v6
	v_cmp_gt_u32_e64 s4, s18, v3
	v_cndmask_b32_e32 v1, 0, v29, vcc_lo
	v_and_b32_e32 v9, 0xff000000, v18
	v_cmp_gt_u32_e32 vcc_lo, s18, v31
	v_cmp_gt_u32_e64 s1, s18, v11
	v_cmp_gt_u32_e64 s3, s18, v10
	v_and_b32_e32 v1, 0xff, v1
	s_delay_alu instid0(VALU_DEP_1) | instskip(SKIP_1) | instid1(VALU_DEP_2)
	v_cndmask_b32_e64 v1, v1, v29, s0
	v_cmp_gt_u32_e64 s0, s18, v8
	v_and_b32_e32 v1, 0xffff, v1
	s_delay_alu instid0(VALU_DEP_2) | instskip(NEXT) | instid1(VALU_DEP_2)
	v_cndmask_b32_e64 v5, v5, v30, s0
	v_cndmask_b32_e64 v1, v1, v29, s2
	s_delay_alu instid0(VALU_DEP_2) | instskip(SKIP_1) | instid1(VALU_DEP_3)
	v_and_b32_e32 v5, 0xffff00ff, v5
	v_cmp_gt_u32_e64 s2, s18, v7
	v_and_b32_e32 v1, 0xffffff, v1
	s_delay_alu instid0(VALU_DEP_2) | instskip(NEXT) | instid1(VALU_DEP_2)
	v_cndmask_b32_e64 v5, v5, v30, s2
	v_cndmask_b32_e64 v1, v1, v29, s4
	s_delay_alu instid0(VALU_DEP_2) | instskip(NEXT) | instid1(VALU_DEP_2)
	v_and_b32_e32 v3, 0xff00ffff, v5
	v_cndmask_b32_e64 v1, v1, v29, s0
	v_cmp_gt_u32_e64 s0, s18, v4
	s_delay_alu instid0(VALU_DEP_2) | instskip(NEXT) | instid1(VALU_DEP_2)
	v_cndmask_b32_e64 v1, v1, v29, s2
	v_cndmask_b32_e64 v3, v3, v30, s0
	v_cndmask_b32_e32 v9, v9, v18, vcc_lo
	v_cmp_gt_u32_e64 s2, s18, v2
	s_delay_alu instid0(VALU_DEP_4) | instskip(NEXT) | instid1(VALU_DEP_4)
	v_cndmask_b32_e64 v1, v1, v29, s0
	v_and_b32_e32 v2, 0xffffff, v3
	s_delay_alu instid0(VALU_DEP_4) | instskip(NEXT) | instid1(VALU_DEP_1)
	v_and_b32_e32 v9, 0xff0000ff, v9
	v_cndmask_b32_e64 v8, v9, v18, s1
	s_or_b32 s1, s3, s1
	s_delay_alu instid0(SALU_CYCLE_1) | instskip(NEXT) | instid1(VALU_DEP_1)
	s_or_b32 s0, s1, vcc_lo
	v_and_b32_e32 v6, 0xff00ffff, v8
	s_or_b32 vcc_lo, s0, s2
	v_dual_cndmask_b32 v30, v2, v30 :: v_dual_cndmask_b32 v1, v1, v29
	s_delay_alu instid0(VALU_DEP_2) | instskip(NEXT) | instid1(VALU_DEP_2)
	v_cndmask_b32_e64 v6, v6, v18, s3
	v_perm_b32 v29, v1, v1, 0x3020104
	s_delay_alu instid0(VALU_DEP_2) | instskip(SKIP_1) | instid1(VALU_DEP_2)
	v_lshrrev_b32_e32 v5, 8, v6
	v_and_b32_e32 v4, 0xff, v6
	v_lshlrev_b16 v5, 8, v5
	s_delay_alu instid0(VALU_DEP_1) | instskip(NEXT) | instid1(VALU_DEP_1)
	v_or_b32_e32 v3, v4, v5
	v_and_b32_e32 v2, 0xffff, v3
	s_delay_alu instid0(VALU_DEP_1)
	v_and_or_b32 v18, 0xff0000, v6, v2
.LBB1179_75:
	v_and_b32_e32 v43, 0xff, v29
	v_bfe_u32 v44, v29, 8, 8
	v_alignbit_b32 v1, v30, v29, 24
	v_bfe_u32 v45, v29, 16, 8
	v_and_b32_e32 v46, 0xff, v30
	v_bfe_u32 v48, v30, 8, 8
	v_bfe_u32 v49, v30, 16, 8
	v_and_b32_e32 v47, 0xff, v1
	v_add3_u32 v1, v44, v43, v45
	v_lshrrev_b32_e32 v42, 24, v30
	v_mbcnt_lo_u32_b32 v52, -1, 0
	v_and_b32_e32 v50, 0xff, v18
	v_bfe_u32 v51, v18, 8, 8
	v_add3_u32 v1, v1, v47, v46
	v_bfe_u32 v3, v18, 16, 8
	v_and_b32_e32 v2, 15, v52
	v_or_b32_e32 v4, 31, v0
	v_and_b32_e32 v5, 16, v52
	v_add3_u32 v1, v1, v48, v49
	v_lshrrev_b32_e32 v53, 5, v0
	v_cmp_eq_u32_e64 s5, 0, v2
	v_cmp_lt_u32_e64 s4, 1, v2
	v_cmp_lt_u32_e64 s3, 3, v2
	v_add3_u32 v1, v1, v42, v50
	v_cmp_lt_u32_e64 s2, 7, v2
	v_cmp_eq_u32_e64 s1, 0, v5
	v_cmp_eq_u32_e64 s0, v4, v0
	s_and_b32 vcc_lo, exec_lo, s20
	v_add3_u32 v54, v1, v51, v3
	s_mov_b32 s6, -1
	s_waitcnt vmcnt(0) lgkmcnt(0)
	s_barrier
	buffer_gl0_inv
	s_cbranch_vccz .LBB1179_101
; %bb.76:
	v_mov_b32_dpp v1, v54 row_shr:1 row_mask:0xf bank_mask:0xf
	s_delay_alu instid0(VALU_DEP_1) | instskip(NEXT) | instid1(VALU_DEP_1)
	v_cndmask_b32_e64 v1, v1, 0, s5
	v_add_nc_u32_e32 v1, v1, v54
	s_delay_alu instid0(VALU_DEP_1) | instskip(NEXT) | instid1(VALU_DEP_1)
	v_mov_b32_dpp v2, v1 row_shr:2 row_mask:0xf bank_mask:0xf
	v_cndmask_b32_e64 v2, 0, v2, s4
	s_delay_alu instid0(VALU_DEP_1) | instskip(NEXT) | instid1(VALU_DEP_1)
	v_add_nc_u32_e32 v1, v1, v2
	v_mov_b32_dpp v2, v1 row_shr:4 row_mask:0xf bank_mask:0xf
	s_delay_alu instid0(VALU_DEP_1) | instskip(NEXT) | instid1(VALU_DEP_1)
	v_cndmask_b32_e64 v2, 0, v2, s3
	v_add_nc_u32_e32 v1, v1, v2
	s_delay_alu instid0(VALU_DEP_1) | instskip(NEXT) | instid1(VALU_DEP_1)
	v_mov_b32_dpp v2, v1 row_shr:8 row_mask:0xf bank_mask:0xf
	v_cndmask_b32_e64 v2, 0, v2, s2
	s_delay_alu instid0(VALU_DEP_1) | instskip(SKIP_3) | instid1(VALU_DEP_1)
	v_add_nc_u32_e32 v1, v1, v2
	ds_swizzle_b32 v2, v1 offset:swizzle(BROADCAST,32,15)
	s_waitcnt lgkmcnt(0)
	v_cndmask_b32_e64 v2, v2, 0, s1
	v_add_nc_u32_e32 v1, v1, v2
	s_and_saveexec_b32 s6, s0
	s_cbranch_execz .LBB1179_78
; %bb.77:
	v_lshlrev_b32_e32 v2, 2, v53
	ds_store_b32 v2, v1
.LBB1179_78:
	s_or_b32 exec_lo, exec_lo, s6
	s_delay_alu instid0(SALU_CYCLE_1)
	s_mov_b32 s6, exec_lo
	s_waitcnt lgkmcnt(0)
	s_barrier
	buffer_gl0_inv
	v_cmpx_gt_u32_e32 4, v0
	s_cbranch_execz .LBB1179_80
; %bb.79:
	v_and_b32_e32 v4, 3, v52
	s_delay_alu instid0(VALU_DEP_1) | instskip(SKIP_4) | instid1(VALU_DEP_1)
	v_cmp_ne_u32_e32 vcc_lo, 0, v4
	v_lshlrev_b32_e32 v2, 2, v0
	ds_load_b32 v3, v2
	s_waitcnt lgkmcnt(0)
	v_mov_b32_dpp v5, v3 row_shr:1 row_mask:0xf bank_mask:0xf
	v_cndmask_b32_e32 v5, 0, v5, vcc_lo
	v_cmp_lt_u32_e32 vcc_lo, 1, v4
	s_delay_alu instid0(VALU_DEP_2) | instskip(NEXT) | instid1(VALU_DEP_1)
	v_add_nc_u32_e32 v3, v5, v3
	v_mov_b32_dpp v5, v3 row_shr:2 row_mask:0xf bank_mask:0xf
	s_delay_alu instid0(VALU_DEP_1) | instskip(NEXT) | instid1(VALU_DEP_1)
	v_cndmask_b32_e32 v4, 0, v5, vcc_lo
	v_add_nc_u32_e32 v3, v3, v4
	ds_store_b32 v2, v3
.LBB1179_80:
	s_or_b32 exec_lo, exec_lo, s6
	v_cmp_gt_u32_e32 vcc_lo, 32, v0
	s_mov_b32 s7, exec_lo
	s_waitcnt lgkmcnt(0)
	s_barrier
	buffer_gl0_inv
                                        ; implicit-def: $vgpr9
	v_cmpx_lt_u32_e32 31, v0
	s_cbranch_execz .LBB1179_82
; %bb.81:
	v_lshl_add_u32 v2, v53, 2, -4
	ds_load_b32 v9, v2
	s_waitcnt lgkmcnt(0)
	v_add_nc_u32_e32 v1, v9, v1
.LBB1179_82:
	s_or_b32 exec_lo, exec_lo, s7
	v_add_nc_u32_e32 v2, -1, v52
	s_delay_alu instid0(VALU_DEP_1) | instskip(NEXT) | instid1(VALU_DEP_1)
	v_cmp_gt_i32_e64 s6, 0, v2
	v_cndmask_b32_e64 v2, v2, v52, s6
	v_cmp_eq_u32_e64 s6, 0, v52
	s_delay_alu instid0(VALU_DEP_2)
	v_lshlrev_b32_e32 v2, 2, v2
	ds_bpermute_b32 v10, v2, v1
	s_and_saveexec_b32 s7, vcc_lo
	s_cbranch_execz .LBB1179_100
; %bb.83:
	v_mov_b32_e32 v5, 0
	ds_load_b32 v1, v5 offset:12
	s_and_saveexec_b32 s10, s6
	s_cbranch_execz .LBB1179_85
; %bb.84:
	s_add_i32 s18, s15, 32
	s_mov_b32 s19, 0
	v_mov_b32_e32 v2, 1
	s_lshl_b64 s[18:19], s[18:19], 3
	s_delay_alu instid0(SALU_CYCLE_1)
	s_add_u32 s18, s8, s18
	s_addc_u32 s19, s9, s19
	s_waitcnt lgkmcnt(0)
	global_store_b64 v5, v[1:2], s[18:19]
.LBB1179_85:
	s_or_b32 exec_lo, exec_lo, s10
	v_xad_u32 v3, v52, -1, s15
	s_mov_b32 s11, 0
	s_mov_b32 s10, exec_lo
	s_delay_alu instid0(VALU_DEP_1) | instskip(NEXT) | instid1(VALU_DEP_1)
	v_add_nc_u32_e32 v4, 32, v3
	v_lshlrev_b64 v[4:5], 3, v[4:5]
	s_delay_alu instid0(VALU_DEP_1) | instskip(NEXT) | instid1(VALU_DEP_2)
	v_add_co_u32 v7, vcc_lo, s8, v4
	v_add_co_ci_u32_e32 v8, vcc_lo, s9, v5, vcc_lo
	global_load_b64 v[5:6], v[7:8], off glc
	s_waitcnt vmcnt(0)
	v_and_b32_e32 v2, 0xff, v6
	s_delay_alu instid0(VALU_DEP_1)
	v_cmpx_eq_u16_e32 0, v2
	s_cbranch_execz .LBB1179_88
.LBB1179_86:                            ; =>This Inner Loop Header: Depth=1
	global_load_b64 v[5:6], v[7:8], off glc
	s_waitcnt vmcnt(0)
	v_and_b32_e32 v2, 0xff, v6
	s_delay_alu instid0(VALU_DEP_1) | instskip(SKIP_1) | instid1(SALU_CYCLE_1)
	v_cmp_ne_u16_e32 vcc_lo, 0, v2
	s_or_b32 s11, vcc_lo, s11
	s_and_not1_b32 exec_lo, exec_lo, s11
	s_cbranch_execnz .LBB1179_86
; %bb.87:
	s_or_b32 exec_lo, exec_lo, s11
.LBB1179_88:
	s_delay_alu instid0(SALU_CYCLE_1)
	s_or_b32 exec_lo, exec_lo, s10
	v_cmp_ne_u32_e32 vcc_lo, 31, v52
	v_lshlrev_b32_e64 v16, v52, -1
	v_add_nc_u32_e32 v31, 2, v52
	v_add_nc_u32_e32 v55, 4, v52
	;; [unrolled: 1-line block ×3, first 2 shown]
	v_add_co_ci_u32_e32 v2, vcc_lo, 0, v52, vcc_lo
	v_add_nc_u32_e32 v59, 16, v52
	s_delay_alu instid0(VALU_DEP_2)
	v_lshlrev_b32_e32 v11, 2, v2
	v_and_b32_e32 v2, 0xff, v6
	ds_bpermute_b32 v4, v11, v5
	v_cmp_eq_u16_e32 vcc_lo, 2, v2
	v_and_or_b32 v2, vcc_lo, v16, 0x80000000
	v_cmp_gt_u32_e32 vcc_lo, 30, v52
	s_delay_alu instid0(VALU_DEP_2) | instskip(SKIP_1) | instid1(VALU_DEP_2)
	v_ctz_i32_b32_e32 v2, v2
	v_cndmask_b32_e64 v7, 0, 1, vcc_lo
	v_cmp_lt_u32_e32 vcc_lo, v52, v2
	s_waitcnt lgkmcnt(0)
	s_delay_alu instid0(VALU_DEP_2) | instskip(NEXT) | instid1(VALU_DEP_1)
	v_dual_cndmask_b32 v4, 0, v4 :: v_dual_lshlrev_b32 v7, 1, v7
	v_add_lshl_u32 v17, v7, v52, 2
	v_cmp_gt_u32_e32 vcc_lo, 28, v52
	s_delay_alu instid0(VALU_DEP_3) | instskip(SKIP_4) | instid1(VALU_DEP_1)
	v_add_nc_u32_e32 v4, v4, v5
	v_cndmask_b32_e64 v7, 0, 1, vcc_lo
	v_cmp_le_u32_e32 vcc_lo, v31, v2
	ds_bpermute_b32 v5, v17, v4
	v_lshlrev_b32_e32 v7, 2, v7
	v_add_lshl_u32 v32, v7, v52, 2
	s_waitcnt lgkmcnt(0)
	v_cndmask_b32_e32 v5, 0, v5, vcc_lo
	v_cmp_gt_u32_e32 vcc_lo, 24, v52
	s_delay_alu instid0(VALU_DEP_2) | instskip(SKIP_4) | instid1(VALU_DEP_1)
	v_add_nc_u32_e32 v4, v4, v5
	v_cndmask_b32_e64 v7, 0, 1, vcc_lo
	v_cmp_le_u32_e32 vcc_lo, v55, v2
	ds_bpermute_b32 v5, v32, v4
	v_lshlrev_b32_e32 v7, 3, v7
	v_add_lshl_u32 v56, v7, v52, 2
	s_waitcnt lgkmcnt(0)
	v_cndmask_b32_e32 v5, 0, v5, vcc_lo
	v_cmp_gt_u32_e32 vcc_lo, 16, v52
	s_delay_alu instid0(VALU_DEP_2) | instskip(SKIP_4) | instid1(VALU_DEP_1)
	v_add_nc_u32_e32 v4, v4, v5
	v_cndmask_b32_e64 v7, 0, 1, vcc_lo
	v_cmp_le_u32_e32 vcc_lo, v57, v2
	ds_bpermute_b32 v5, v56, v4
	v_lshlrev_b32_e32 v7, 4, v7
	v_add_lshl_u32 v58, v7, v52, 2
	s_waitcnt lgkmcnt(0)
	v_cndmask_b32_e32 v5, 0, v5, vcc_lo
	v_cmp_le_u32_e32 vcc_lo, v59, v2
	s_delay_alu instid0(VALU_DEP_2) | instskip(SKIP_3) | instid1(VALU_DEP_1)
	v_add_nc_u32_e32 v4, v4, v5
	ds_bpermute_b32 v5, v58, v4
	s_waitcnt lgkmcnt(0)
	v_cndmask_b32_e32 v2, 0, v5, vcc_lo
	v_dual_mov_b32 v4, 0 :: v_dual_add_nc_u32 v5, v4, v2
	s_branch .LBB1179_90
.LBB1179_89:                            ;   in Loop: Header=BB1179_90 Depth=1
	s_or_b32 exec_lo, exec_lo, s10
	ds_bpermute_b32 v8, v11, v5
	v_and_b32_e32 v7, 0xff, v6
	v_subrev_nc_u32_e32 v3, 32, v3
	s_delay_alu instid0(VALU_DEP_2) | instskip(SKIP_1) | instid1(VALU_DEP_1)
	v_cmp_eq_u16_e32 vcc_lo, 2, v7
	v_and_or_b32 v7, vcc_lo, v16, 0x80000000
	v_ctz_i32_b32_e32 v7, v7
	s_delay_alu instid0(VALU_DEP_1) | instskip(SKIP_3) | instid1(VALU_DEP_2)
	v_cmp_lt_u32_e32 vcc_lo, v52, v7
	s_waitcnt lgkmcnt(0)
	v_cndmask_b32_e32 v8, 0, v8, vcc_lo
	v_cmp_le_u32_e32 vcc_lo, v31, v7
	v_add_nc_u32_e32 v5, v8, v5
	ds_bpermute_b32 v8, v17, v5
	s_waitcnt lgkmcnt(0)
	v_cndmask_b32_e32 v8, 0, v8, vcc_lo
	v_cmp_le_u32_e32 vcc_lo, v55, v7
	s_delay_alu instid0(VALU_DEP_2) | instskip(SKIP_4) | instid1(VALU_DEP_2)
	v_add_nc_u32_e32 v5, v5, v8
	ds_bpermute_b32 v8, v32, v5
	s_waitcnt lgkmcnt(0)
	v_cndmask_b32_e32 v8, 0, v8, vcc_lo
	v_cmp_le_u32_e32 vcc_lo, v57, v7
	v_add_nc_u32_e32 v5, v5, v8
	ds_bpermute_b32 v8, v56, v5
	s_waitcnt lgkmcnt(0)
	v_cndmask_b32_e32 v8, 0, v8, vcc_lo
	v_cmp_le_u32_e32 vcc_lo, v59, v7
	s_delay_alu instid0(VALU_DEP_2) | instskip(SKIP_3) | instid1(VALU_DEP_1)
	v_add_nc_u32_e32 v5, v5, v8
	ds_bpermute_b32 v8, v58, v5
	s_waitcnt lgkmcnt(0)
	v_cndmask_b32_e32 v7, 0, v8, vcc_lo
	v_add3_u32 v5, v7, v2, v5
.LBB1179_90:                            ; =>This Loop Header: Depth=1
                                        ;     Child Loop BB1179_93 Depth 2
	v_and_b32_e32 v2, 0xff, v6
	s_delay_alu instid0(VALU_DEP_1) | instskip(SKIP_2) | instid1(VALU_DEP_1)
	v_cmp_ne_u16_e32 vcc_lo, 2, v2
	v_cndmask_b32_e64 v2, 0, 1, vcc_lo
	;;#ASMSTART
	;;#ASMEND
	v_cmp_ne_u32_e32 vcc_lo, 0, v2
	v_mov_b32_e32 v2, v5
	s_cmp_lg_u32 vcc_lo, exec_lo
	s_cbranch_scc1 .LBB1179_95
; %bb.91:                               ;   in Loop: Header=BB1179_90 Depth=1
	v_lshlrev_b64 v[5:6], 3, v[3:4]
	s_mov_b32 s10, exec_lo
	s_delay_alu instid0(VALU_DEP_1) | instskip(NEXT) | instid1(VALU_DEP_2)
	v_add_co_u32 v7, vcc_lo, s8, v5
	v_add_co_ci_u32_e32 v8, vcc_lo, s9, v6, vcc_lo
	global_load_b64 v[5:6], v[7:8], off glc
	s_waitcnt vmcnt(0)
	v_and_b32_e32 v60, 0xff, v6
	s_delay_alu instid0(VALU_DEP_1)
	v_cmpx_eq_u16_e32 0, v60
	s_cbranch_execz .LBB1179_89
; %bb.92:                               ;   in Loop: Header=BB1179_90 Depth=1
	s_mov_b32 s11, 0
.LBB1179_93:                            ;   Parent Loop BB1179_90 Depth=1
                                        ; =>  This Inner Loop Header: Depth=2
	global_load_b64 v[5:6], v[7:8], off glc
	s_waitcnt vmcnt(0)
	v_and_b32_e32 v60, 0xff, v6
	s_delay_alu instid0(VALU_DEP_1) | instskip(SKIP_1) | instid1(SALU_CYCLE_1)
	v_cmp_ne_u16_e32 vcc_lo, 0, v60
	s_or_b32 s11, vcc_lo, s11
	s_and_not1_b32 exec_lo, exec_lo, s11
	s_cbranch_execnz .LBB1179_93
; %bb.94:                               ;   in Loop: Header=BB1179_90 Depth=1
	s_or_b32 exec_lo, exec_lo, s11
	s_branch .LBB1179_89
.LBB1179_95:                            ;   in Loop: Header=BB1179_90 Depth=1
                                        ; implicit-def: $vgpr5
                                        ; implicit-def: $vgpr6
	s_cbranch_execz .LBB1179_90
; %bb.96:
	s_and_saveexec_b32 s10, s6
	s_cbranch_execz .LBB1179_98
; %bb.97:
	s_add_i32 s18, s15, 32
	s_mov_b32 s19, 0
	v_dual_mov_b32 v4, 2 :: v_dual_add_nc_u32 v3, v2, v1
	s_lshl_b64 s[18:19], s[18:19], 3
	v_mov_b32_e32 v5, 0
	s_add_u32 s18, s8, s18
	s_addc_u32 s19, s9, s19
	global_store_b64 v5, v[3:4], s[18:19]
	ds_store_b64 v5, v[1:2] offset:5632
.LBB1179_98:
	s_or_b32 exec_lo, exec_lo, s10
	v_cmp_eq_u32_e32 vcc_lo, 0, v0
	s_and_b32 exec_lo, exec_lo, vcc_lo
	s_cbranch_execz .LBB1179_100
; %bb.99:
	v_mov_b32_e32 v1, 0
	ds_store_b32 v1, v2 offset:12
.LBB1179_100:
	s_or_b32 exec_lo, exec_lo, s7
	s_waitcnt lgkmcnt(0)
	v_cndmask_b32_e64 v2, v10, v9, s6
	v_cmp_ne_u32_e32 vcc_lo, 0, v0
	v_mov_b32_e32 v11, 0
	s_waitcnt_vscnt null, 0x0
	s_barrier
	buffer_gl0_inv
	v_cndmask_b32_e32 v2, 0, v2, vcc_lo
	ds_load_b32 v1, v11 offset:12
	s_waitcnt lgkmcnt(0)
	s_barrier
	buffer_gl0_inv
	ds_load_b64 v[16:17], v11 offset:5632
	v_add_nc_u32_e32 v1, v1, v2
	s_delay_alu instid0(VALU_DEP_1) | instskip(NEXT) | instid1(VALU_DEP_1)
	v_add_nc_u32_e32 v2, v1, v43
	v_add_nc_u32_e32 v3, v2, v44
	s_delay_alu instid0(VALU_DEP_1) | instskip(NEXT) | instid1(VALU_DEP_1)
	v_add_nc_u32_e32 v4, v3, v45
	v_add_nc_u32_e32 v5, v4, v47
	s_delay_alu instid0(VALU_DEP_1) | instskip(NEXT) | instid1(VALU_DEP_1)
	v_add_nc_u32_e32 v6, v5, v46
	v_add_nc_u32_e32 v7, v6, v48
	s_delay_alu instid0(VALU_DEP_1) | instskip(NEXT) | instid1(VALU_DEP_1)
	v_add_nc_u32_e32 v8, v7, v49
	v_add_nc_u32_e32 v9, v8, v42
	s_delay_alu instid0(VALU_DEP_1) | instskip(NEXT) | instid1(VALU_DEP_1)
	v_add_nc_u32_e32 v10, v9, v50
	v_add_nc_u32_e32 v11, v10, v51
	v_lshrrev_b64 v[31:32], 24, v[29:30]
	s_branch .LBB1179_111
.LBB1179_101:
                                        ; implicit-def: $vgpr17
                                        ; implicit-def: $vgpr1_vgpr2_vgpr3_vgpr4_vgpr5_vgpr6_vgpr7_vgpr8_vgpr9_vgpr10_vgpr11
	v_lshrrev_b64 v[31:32], 24, v[29:30]
	s_and_b32 vcc_lo, exec_lo, s6
	s_cbranch_vccz .LBB1179_111
; %bb.102:
	v_mov_b32_dpp v1, v54 row_shr:1 row_mask:0xf bank_mask:0xf
	s_delay_alu instid0(VALU_DEP_1) | instskip(NEXT) | instid1(VALU_DEP_1)
	v_cndmask_b32_e64 v1, v1, 0, s5
	v_add_nc_u32_e32 v1, v1, v54
	s_delay_alu instid0(VALU_DEP_1) | instskip(NEXT) | instid1(VALU_DEP_1)
	v_mov_b32_dpp v2, v1 row_shr:2 row_mask:0xf bank_mask:0xf
	v_cndmask_b32_e64 v2, 0, v2, s4
	s_delay_alu instid0(VALU_DEP_1) | instskip(NEXT) | instid1(VALU_DEP_1)
	v_add_nc_u32_e32 v1, v1, v2
	v_mov_b32_dpp v2, v1 row_shr:4 row_mask:0xf bank_mask:0xf
	s_delay_alu instid0(VALU_DEP_1) | instskip(NEXT) | instid1(VALU_DEP_1)
	v_cndmask_b32_e64 v2, 0, v2, s3
	v_add_nc_u32_e32 v1, v1, v2
	s_delay_alu instid0(VALU_DEP_1) | instskip(NEXT) | instid1(VALU_DEP_1)
	v_mov_b32_dpp v2, v1 row_shr:8 row_mask:0xf bank_mask:0xf
	v_cndmask_b32_e64 v2, 0, v2, s2
	s_delay_alu instid0(VALU_DEP_1) | instskip(SKIP_3) | instid1(VALU_DEP_1)
	v_add_nc_u32_e32 v1, v1, v2
	ds_swizzle_b32 v2, v1 offset:swizzle(BROADCAST,32,15)
	s_waitcnt lgkmcnt(0)
	v_cndmask_b32_e64 v2, v2, 0, s1
	v_add_nc_u32_e32 v1, v1, v2
	s_and_saveexec_b32 s1, s0
	s_cbranch_execz .LBB1179_104
; %bb.103:
	v_lshlrev_b32_e32 v2, 2, v53
	ds_store_b32 v2, v1
.LBB1179_104:
	s_or_b32 exec_lo, exec_lo, s1
	s_delay_alu instid0(SALU_CYCLE_1)
	s_mov_b32 s0, exec_lo
	s_waitcnt lgkmcnt(0)
	s_barrier
	buffer_gl0_inv
	v_cmpx_gt_u32_e32 4, v0
	s_cbranch_execz .LBB1179_106
; %bb.105:
	v_mad_i32_i24 v2, 0xffffffd8, v0, v41
	ds_load_b32 v3, v2
	s_waitcnt lgkmcnt(0)
	v_mov_b32_dpp v5, v3 row_shr:1 row_mask:0xf bank_mask:0xf
	v_and_b32_e32 v4, 3, v52
	s_delay_alu instid0(VALU_DEP_1) | instskip(NEXT) | instid1(VALU_DEP_3)
	v_cmp_ne_u32_e32 vcc_lo, 0, v4
	v_cndmask_b32_e32 v5, 0, v5, vcc_lo
	v_cmp_lt_u32_e32 vcc_lo, 1, v4
	s_delay_alu instid0(VALU_DEP_2) | instskip(NEXT) | instid1(VALU_DEP_1)
	v_add_nc_u32_e32 v3, v5, v3
	v_mov_b32_dpp v5, v3 row_shr:2 row_mask:0xf bank_mask:0xf
	s_delay_alu instid0(VALU_DEP_1) | instskip(NEXT) | instid1(VALU_DEP_1)
	v_cndmask_b32_e32 v4, 0, v5, vcc_lo
	v_add_nc_u32_e32 v3, v3, v4
	ds_store_b32 v2, v3
.LBB1179_106:
	s_or_b32 exec_lo, exec_lo, s0
	v_dual_mov_b32 v3, 0 :: v_dual_mov_b32 v2, 0
	s_mov_b32 s0, exec_lo
	s_waitcnt lgkmcnt(0)
	s_barrier
	buffer_gl0_inv
	v_cmpx_lt_u32_e32 31, v0
	s_cbranch_execz .LBB1179_108
; %bb.107:
	v_lshl_add_u32 v2, v53, 2, -4
	ds_load_b32 v2, v2
.LBB1179_108:
	s_or_b32 exec_lo, exec_lo, s0
	v_add_nc_u32_e32 v4, -1, v52
	ds_load_b32 v16, v3 offset:12
	s_waitcnt lgkmcnt(1)
	v_add_nc_u32_e32 v1, v2, v1
	v_cmp_gt_i32_e32 vcc_lo, 0, v4
	v_cndmask_b32_e32 v4, v4, v52, vcc_lo
	v_cmp_eq_u32_e32 vcc_lo, 0, v0
	s_delay_alu instid0(VALU_DEP_2)
	v_lshlrev_b32_e32 v4, 2, v4
	ds_bpermute_b32 v1, v4, v1
	s_and_saveexec_b32 s0, vcc_lo
	s_cbranch_execz .LBB1179_110
; %bb.109:
	v_mov_b32_e32 v3, 0
	v_mov_b32_e32 v17, 2
	s_waitcnt lgkmcnt(1)
	global_store_b64 v3, v[16:17], s[8:9] offset:256
.LBB1179_110:
	s_or_b32 exec_lo, exec_lo, s0
	v_cmp_eq_u32_e64 s0, 0, v52
	s_waitcnt lgkmcnt(0)
	s_waitcnt_vscnt null, 0x0
	s_barrier
	buffer_gl0_inv
	v_mov_b32_e32 v17, 0
	v_cndmask_b32_e64 v1, v1, v2, s0
	s_delay_alu instid0(VALU_DEP_1) | instskip(NEXT) | instid1(VALU_DEP_1)
	v_cndmask_b32_e64 v1, v1, 0, vcc_lo
	v_add_nc_u32_e32 v2, v1, v43
	s_delay_alu instid0(VALU_DEP_1) | instskip(NEXT) | instid1(VALU_DEP_1)
	v_add_nc_u32_e32 v3, v2, v44
	v_add_nc_u32_e32 v4, v3, v45
	s_delay_alu instid0(VALU_DEP_1) | instskip(NEXT) | instid1(VALU_DEP_1)
	v_add_nc_u32_e32 v5, v4, v47
	;; [unrolled: 3-line block ×4, first 2 shown]
	v_add_nc_u32_e32 v10, v9, v50
	s_delay_alu instid0(VALU_DEP_1)
	v_add_nc_u32_e32 v11, v10, v51
.LBB1179_111:
	v_lshrrev_b32_e32 v45, 16, v29
	v_lshrrev_b32_e32 v46, 8, v29
	v_and_b32_e32 v29, 1, v29
	s_waitcnt lgkmcnt(0)
	v_cmp_gt_u32_e32 vcc_lo, 0x81, v16
	v_lshrrev_b32_e32 v32, 16, v18
	v_lshrrev_b32_e32 v44, 8, v30
	;; [unrolled: 1-line block ×4, first 2 shown]
	v_cmp_lt_u32_e64 s0, 0x80, v16
	v_cmp_eq_u32_e64 s1, 1, v29
	s_cbranch_vccnz .LBB1179_135
; %bb.112:
	s_delay_alu instid0(VALU_DEP_1)
	s_and_saveexec_b32 s2, s1
	s_cbranch_execz .LBB1179_114
; %bb.113:
	v_sub_nc_u32_e32 v47, v1, v17
	s_delay_alu instid0(VALU_DEP_1)
	v_lshlrev_b32_e32 v47, 1, v47
	ds_store_b16 v47, v12
.LBB1179_114:
	s_or_b32 exec_lo, exec_lo, s2
	v_and_b32_e32 v12, 1, v46
	s_mov_b32 s1, exec_lo
	s_delay_alu instid0(VALU_DEP_1)
	v_cmpx_eq_u32_e32 1, v12
	s_cbranch_execz .LBB1179_116
; %bb.115:
	v_sub_nc_u32_e32 v12, v2, v17
	s_delay_alu instid0(VALU_DEP_1)
	v_lshlrev_b32_e32 v12, 1, v12
	ds_store_b16 v12, v40
.LBB1179_116:
	s_or_b32 exec_lo, exec_lo, s1
	v_and_b32_e32 v12, 1, v45
	s_mov_b32 s1, exec_lo
	s_delay_alu instid0(VALU_DEP_1)
	v_cmpx_eq_u32_e32 1, v12
	;; [unrolled: 12-line block ×10, first 2 shown]
	s_cbranch_execz .LBB1179_134
; %bb.133:
	v_sub_nc_u32_e32 v12, v11, v17
	s_delay_alu instid0(VALU_DEP_1)
	v_lshlrev_b32_e32 v12, 1, v12
	ds_store_b16 v12, v33
.LBB1179_134:
	s_or_b32 exec_lo, exec_lo, s1
	s_waitcnt lgkmcnt(0)
	s_barrier
	buffer_gl0_inv
.LBB1179_135:
	s_delay_alu instid0(VALU_DEP_2)
	s_and_not1_b32 vcc_lo, exec_lo, s0
	s_barrier
	buffer_gl0_inv
	s_cbranch_vccz .LBB1179_138
; %bb.136:
	v_cmp_eq_u32_e32 vcc_lo, 0, v0
	s_and_b32 s0, vcc_lo, s14
	s_delay_alu instid0(SALU_CYCLE_1)
	s_and_saveexec_b32 s1, s0
	s_cbranch_execnz .LBB1179_161
.LBB1179_137:
	s_endpgm
.LBB1179_138:
	s_mov_b32 s0, exec_lo
	v_cmpx_eq_u32_e32 1, v29
	s_cbranch_execz .LBB1179_140
; %bb.139:
	v_sub_nc_u32_e32 v1, v1, v17
	s_delay_alu instid0(VALU_DEP_1)
	v_lshlrev_b32_e32 v1, 2, v1
	ds_store_b32 v1, v27
.LBB1179_140:
	s_or_b32 exec_lo, exec_lo, s0
	v_and_b32_e32 v1, 1, v46
	s_mov_b32 s0, exec_lo
	s_delay_alu instid0(VALU_DEP_1)
	v_cmpx_eq_u32_e32 1, v1
	s_cbranch_execz .LBB1179_142
; %bb.141:
	v_sub_nc_u32_e32 v1, v2, v17
	s_delay_alu instid0(VALU_DEP_1)
	v_lshlrev_b32_e32 v1, 2, v1
	ds_store_b32 v1, v28
.LBB1179_142:
	s_or_b32 exec_lo, exec_lo, s0
	v_and_b32_e32 v1, 1, v45
	s_mov_b32 s0, exec_lo
	s_delay_alu instid0(VALU_DEP_1)
	;; [unrolled: 12-line block ×10, first 2 shown]
	v_cmpx_eq_u32_e32 1, v1
	s_cbranch_execz .LBB1179_160
; %bb.159:
	v_sub_nc_u32_e32 v1, v11, v17
	s_delay_alu instid0(VALU_DEP_1)
	v_lshlrev_b32_e32 v1, 2, v1
	ds_store_b32 v1, v36
.LBB1179_160:
	s_or_b32 exec_lo, exec_lo, s0
	s_waitcnt lgkmcnt(0)
	s_barrier
	buffer_gl0_inv
	v_cmp_eq_u32_e32 vcc_lo, 0, v0
	s_and_b32 s0, vcc_lo, s14
	s_delay_alu instid0(SALU_CYCLE_1)
	s_and_saveexec_b32 s1, s0
	s_cbranch_execz .LBB1179_137
.LBB1179_161:
	v_add_co_u32 v0, s0, s12, v16
	s_delay_alu instid0(VALU_DEP_1) | instskip(SKIP_1) | instid1(VALU_DEP_3)
	v_add_co_ci_u32_e64 v1, null, s13, 0, s0
	v_mov_b32_e32 v2, 0
	v_add_co_u32 v0, vcc_lo, v0, v17
	s_delay_alu instid0(VALU_DEP_3)
	v_add_co_ci_u32_e32 v1, vcc_lo, 0, v1, vcc_lo
	global_store_b64 v2, v[0:1], s[16:17]
	s_nop 0
	s_sendmsg sendmsg(MSG_DEALLOC_VGPRS)
	s_endpgm
.LBB1179_162:
	s_or_b32 exec_lo, exec_lo, s3
	s_and_saveexec_b32 s3, s21
	s_cbranch_execnz .LBB1179_72
	s_branch .LBB1179_73
	.section	.rodata,"a",@progbits
	.p2align	6, 0x0
	.amdhsa_kernel _ZN7rocprim17ROCPRIM_400000_NS6detail17trampoline_kernelINS0_14default_configENS1_25partition_config_selectorILNS1_17partition_subalgoE9EsjbEEZZNS1_14partition_implILS5_9ELb0ES3_jN6thrust23THRUST_200600_302600_NS6detail15normal_iteratorINS9_10device_ptrIsEEEENSB_INSC_IjEEEEPNS0_10empty_typeENS0_5tupleIJNS9_16discard_iteratorINS9_11use_defaultEEESH_EEENSJ_IJSM_SI_EEENS0_18inequality_wrapperINS9_8equal_toIsEEEEPmJSH_EEE10hipError_tPvRmT3_T4_T5_T6_T7_T9_mT8_P12ihipStream_tbDpT10_ENKUlT_T0_E_clISt17integral_constantIbLb0EES1D_EEDaS18_S19_EUlS18_E_NS1_11comp_targetILNS1_3genE9ELNS1_11target_archE1100ELNS1_3gpuE3ELNS1_3repE0EEENS1_30default_config_static_selectorELNS0_4arch9wavefront6targetE0EEEvT1_
		.amdhsa_group_segment_fixed_size 5640
		.amdhsa_private_segment_fixed_size 0
		.amdhsa_kernarg_size 128
		.amdhsa_user_sgpr_count 15
		.amdhsa_user_sgpr_dispatch_ptr 0
		.amdhsa_user_sgpr_queue_ptr 0
		.amdhsa_user_sgpr_kernarg_segment_ptr 1
		.amdhsa_user_sgpr_dispatch_id 0
		.amdhsa_user_sgpr_private_segment_size 0
		.amdhsa_wavefront_size32 1
		.amdhsa_uses_dynamic_stack 0
		.amdhsa_enable_private_segment 0
		.amdhsa_system_sgpr_workgroup_id_x 1
		.amdhsa_system_sgpr_workgroup_id_y 0
		.amdhsa_system_sgpr_workgroup_id_z 0
		.amdhsa_system_sgpr_workgroup_info 0
		.amdhsa_system_vgpr_workitem_id 0
		.amdhsa_next_free_vgpr 61
		.amdhsa_next_free_sgpr 23
		.amdhsa_reserve_vcc 1
		.amdhsa_float_round_mode_32 0
		.amdhsa_float_round_mode_16_64 0
		.amdhsa_float_denorm_mode_32 3
		.amdhsa_float_denorm_mode_16_64 3
		.amdhsa_dx10_clamp 1
		.amdhsa_ieee_mode 1
		.amdhsa_fp16_overflow 0
		.amdhsa_workgroup_processor_mode 1
		.amdhsa_memory_ordered 1
		.amdhsa_forward_progress 0
		.amdhsa_shared_vgpr_count 0
		.amdhsa_exception_fp_ieee_invalid_op 0
		.amdhsa_exception_fp_denorm_src 0
		.amdhsa_exception_fp_ieee_div_zero 0
		.amdhsa_exception_fp_ieee_overflow 0
		.amdhsa_exception_fp_ieee_underflow 0
		.amdhsa_exception_fp_ieee_inexact 0
		.amdhsa_exception_int_div_zero 0
	.end_amdhsa_kernel
	.section	.text._ZN7rocprim17ROCPRIM_400000_NS6detail17trampoline_kernelINS0_14default_configENS1_25partition_config_selectorILNS1_17partition_subalgoE9EsjbEEZZNS1_14partition_implILS5_9ELb0ES3_jN6thrust23THRUST_200600_302600_NS6detail15normal_iteratorINS9_10device_ptrIsEEEENSB_INSC_IjEEEEPNS0_10empty_typeENS0_5tupleIJNS9_16discard_iteratorINS9_11use_defaultEEESH_EEENSJ_IJSM_SI_EEENS0_18inequality_wrapperINS9_8equal_toIsEEEEPmJSH_EEE10hipError_tPvRmT3_T4_T5_T6_T7_T9_mT8_P12ihipStream_tbDpT10_ENKUlT_T0_E_clISt17integral_constantIbLb0EES1D_EEDaS18_S19_EUlS18_E_NS1_11comp_targetILNS1_3genE9ELNS1_11target_archE1100ELNS1_3gpuE3ELNS1_3repE0EEENS1_30default_config_static_selectorELNS0_4arch9wavefront6targetE0EEEvT1_,"axG",@progbits,_ZN7rocprim17ROCPRIM_400000_NS6detail17trampoline_kernelINS0_14default_configENS1_25partition_config_selectorILNS1_17partition_subalgoE9EsjbEEZZNS1_14partition_implILS5_9ELb0ES3_jN6thrust23THRUST_200600_302600_NS6detail15normal_iteratorINS9_10device_ptrIsEEEENSB_INSC_IjEEEEPNS0_10empty_typeENS0_5tupleIJNS9_16discard_iteratorINS9_11use_defaultEEESH_EEENSJ_IJSM_SI_EEENS0_18inequality_wrapperINS9_8equal_toIsEEEEPmJSH_EEE10hipError_tPvRmT3_T4_T5_T6_T7_T9_mT8_P12ihipStream_tbDpT10_ENKUlT_T0_E_clISt17integral_constantIbLb0EES1D_EEDaS18_S19_EUlS18_E_NS1_11comp_targetILNS1_3genE9ELNS1_11target_archE1100ELNS1_3gpuE3ELNS1_3repE0EEENS1_30default_config_static_selectorELNS0_4arch9wavefront6targetE0EEEvT1_,comdat
.Lfunc_end1179:
	.size	_ZN7rocprim17ROCPRIM_400000_NS6detail17trampoline_kernelINS0_14default_configENS1_25partition_config_selectorILNS1_17partition_subalgoE9EsjbEEZZNS1_14partition_implILS5_9ELb0ES3_jN6thrust23THRUST_200600_302600_NS6detail15normal_iteratorINS9_10device_ptrIsEEEENSB_INSC_IjEEEEPNS0_10empty_typeENS0_5tupleIJNS9_16discard_iteratorINS9_11use_defaultEEESH_EEENSJ_IJSM_SI_EEENS0_18inequality_wrapperINS9_8equal_toIsEEEEPmJSH_EEE10hipError_tPvRmT3_T4_T5_T6_T7_T9_mT8_P12ihipStream_tbDpT10_ENKUlT_T0_E_clISt17integral_constantIbLb0EES1D_EEDaS18_S19_EUlS18_E_NS1_11comp_targetILNS1_3genE9ELNS1_11target_archE1100ELNS1_3gpuE3ELNS1_3repE0EEENS1_30default_config_static_selectorELNS0_4arch9wavefront6targetE0EEEvT1_, .Lfunc_end1179-_ZN7rocprim17ROCPRIM_400000_NS6detail17trampoline_kernelINS0_14default_configENS1_25partition_config_selectorILNS1_17partition_subalgoE9EsjbEEZZNS1_14partition_implILS5_9ELb0ES3_jN6thrust23THRUST_200600_302600_NS6detail15normal_iteratorINS9_10device_ptrIsEEEENSB_INSC_IjEEEEPNS0_10empty_typeENS0_5tupleIJNS9_16discard_iteratorINS9_11use_defaultEEESH_EEENSJ_IJSM_SI_EEENS0_18inequality_wrapperINS9_8equal_toIsEEEEPmJSH_EEE10hipError_tPvRmT3_T4_T5_T6_T7_T9_mT8_P12ihipStream_tbDpT10_ENKUlT_T0_E_clISt17integral_constantIbLb0EES1D_EEDaS18_S19_EUlS18_E_NS1_11comp_targetILNS1_3genE9ELNS1_11target_archE1100ELNS1_3gpuE3ELNS1_3repE0EEENS1_30default_config_static_selectorELNS0_4arch9wavefront6targetE0EEEvT1_
                                        ; -- End function
	.section	.AMDGPU.csdata,"",@progbits
; Kernel info:
; codeLenInByte = 8036
; NumSgprs: 25
; NumVgprs: 61
; ScratchSize: 0
; MemoryBound: 0
; FloatMode: 240
; IeeeMode: 1
; LDSByteSize: 5640 bytes/workgroup (compile time only)
; SGPRBlocks: 3
; VGPRBlocks: 7
; NumSGPRsForWavesPerEU: 25
; NumVGPRsForWavesPerEU: 61
; Occupancy: 16
; WaveLimiterHint : 1
; COMPUTE_PGM_RSRC2:SCRATCH_EN: 0
; COMPUTE_PGM_RSRC2:USER_SGPR: 15
; COMPUTE_PGM_RSRC2:TRAP_HANDLER: 0
; COMPUTE_PGM_RSRC2:TGID_X_EN: 1
; COMPUTE_PGM_RSRC2:TGID_Y_EN: 0
; COMPUTE_PGM_RSRC2:TGID_Z_EN: 0
; COMPUTE_PGM_RSRC2:TIDIG_COMP_CNT: 0
	.section	.text._ZN7rocprim17ROCPRIM_400000_NS6detail17trampoline_kernelINS0_14default_configENS1_25partition_config_selectorILNS1_17partition_subalgoE9EsjbEEZZNS1_14partition_implILS5_9ELb0ES3_jN6thrust23THRUST_200600_302600_NS6detail15normal_iteratorINS9_10device_ptrIsEEEENSB_INSC_IjEEEEPNS0_10empty_typeENS0_5tupleIJNS9_16discard_iteratorINS9_11use_defaultEEESH_EEENSJ_IJSM_SI_EEENS0_18inequality_wrapperINS9_8equal_toIsEEEEPmJSH_EEE10hipError_tPvRmT3_T4_T5_T6_T7_T9_mT8_P12ihipStream_tbDpT10_ENKUlT_T0_E_clISt17integral_constantIbLb0EES1D_EEDaS18_S19_EUlS18_E_NS1_11comp_targetILNS1_3genE8ELNS1_11target_archE1030ELNS1_3gpuE2ELNS1_3repE0EEENS1_30default_config_static_selectorELNS0_4arch9wavefront6targetE0EEEvT1_,"axG",@progbits,_ZN7rocprim17ROCPRIM_400000_NS6detail17trampoline_kernelINS0_14default_configENS1_25partition_config_selectorILNS1_17partition_subalgoE9EsjbEEZZNS1_14partition_implILS5_9ELb0ES3_jN6thrust23THRUST_200600_302600_NS6detail15normal_iteratorINS9_10device_ptrIsEEEENSB_INSC_IjEEEEPNS0_10empty_typeENS0_5tupleIJNS9_16discard_iteratorINS9_11use_defaultEEESH_EEENSJ_IJSM_SI_EEENS0_18inequality_wrapperINS9_8equal_toIsEEEEPmJSH_EEE10hipError_tPvRmT3_T4_T5_T6_T7_T9_mT8_P12ihipStream_tbDpT10_ENKUlT_T0_E_clISt17integral_constantIbLb0EES1D_EEDaS18_S19_EUlS18_E_NS1_11comp_targetILNS1_3genE8ELNS1_11target_archE1030ELNS1_3gpuE2ELNS1_3repE0EEENS1_30default_config_static_selectorELNS0_4arch9wavefront6targetE0EEEvT1_,comdat
	.protected	_ZN7rocprim17ROCPRIM_400000_NS6detail17trampoline_kernelINS0_14default_configENS1_25partition_config_selectorILNS1_17partition_subalgoE9EsjbEEZZNS1_14partition_implILS5_9ELb0ES3_jN6thrust23THRUST_200600_302600_NS6detail15normal_iteratorINS9_10device_ptrIsEEEENSB_INSC_IjEEEEPNS0_10empty_typeENS0_5tupleIJNS9_16discard_iteratorINS9_11use_defaultEEESH_EEENSJ_IJSM_SI_EEENS0_18inequality_wrapperINS9_8equal_toIsEEEEPmJSH_EEE10hipError_tPvRmT3_T4_T5_T6_T7_T9_mT8_P12ihipStream_tbDpT10_ENKUlT_T0_E_clISt17integral_constantIbLb0EES1D_EEDaS18_S19_EUlS18_E_NS1_11comp_targetILNS1_3genE8ELNS1_11target_archE1030ELNS1_3gpuE2ELNS1_3repE0EEENS1_30default_config_static_selectorELNS0_4arch9wavefront6targetE0EEEvT1_ ; -- Begin function _ZN7rocprim17ROCPRIM_400000_NS6detail17trampoline_kernelINS0_14default_configENS1_25partition_config_selectorILNS1_17partition_subalgoE9EsjbEEZZNS1_14partition_implILS5_9ELb0ES3_jN6thrust23THRUST_200600_302600_NS6detail15normal_iteratorINS9_10device_ptrIsEEEENSB_INSC_IjEEEEPNS0_10empty_typeENS0_5tupleIJNS9_16discard_iteratorINS9_11use_defaultEEESH_EEENSJ_IJSM_SI_EEENS0_18inequality_wrapperINS9_8equal_toIsEEEEPmJSH_EEE10hipError_tPvRmT3_T4_T5_T6_T7_T9_mT8_P12ihipStream_tbDpT10_ENKUlT_T0_E_clISt17integral_constantIbLb0EES1D_EEDaS18_S19_EUlS18_E_NS1_11comp_targetILNS1_3genE8ELNS1_11target_archE1030ELNS1_3gpuE2ELNS1_3repE0EEENS1_30default_config_static_selectorELNS0_4arch9wavefront6targetE0EEEvT1_
	.globl	_ZN7rocprim17ROCPRIM_400000_NS6detail17trampoline_kernelINS0_14default_configENS1_25partition_config_selectorILNS1_17partition_subalgoE9EsjbEEZZNS1_14partition_implILS5_9ELb0ES3_jN6thrust23THRUST_200600_302600_NS6detail15normal_iteratorINS9_10device_ptrIsEEEENSB_INSC_IjEEEEPNS0_10empty_typeENS0_5tupleIJNS9_16discard_iteratorINS9_11use_defaultEEESH_EEENSJ_IJSM_SI_EEENS0_18inequality_wrapperINS9_8equal_toIsEEEEPmJSH_EEE10hipError_tPvRmT3_T4_T5_T6_T7_T9_mT8_P12ihipStream_tbDpT10_ENKUlT_T0_E_clISt17integral_constantIbLb0EES1D_EEDaS18_S19_EUlS18_E_NS1_11comp_targetILNS1_3genE8ELNS1_11target_archE1030ELNS1_3gpuE2ELNS1_3repE0EEENS1_30default_config_static_selectorELNS0_4arch9wavefront6targetE0EEEvT1_
	.p2align	8
	.type	_ZN7rocprim17ROCPRIM_400000_NS6detail17trampoline_kernelINS0_14default_configENS1_25partition_config_selectorILNS1_17partition_subalgoE9EsjbEEZZNS1_14partition_implILS5_9ELb0ES3_jN6thrust23THRUST_200600_302600_NS6detail15normal_iteratorINS9_10device_ptrIsEEEENSB_INSC_IjEEEEPNS0_10empty_typeENS0_5tupleIJNS9_16discard_iteratorINS9_11use_defaultEEESH_EEENSJ_IJSM_SI_EEENS0_18inequality_wrapperINS9_8equal_toIsEEEEPmJSH_EEE10hipError_tPvRmT3_T4_T5_T6_T7_T9_mT8_P12ihipStream_tbDpT10_ENKUlT_T0_E_clISt17integral_constantIbLb0EES1D_EEDaS18_S19_EUlS18_E_NS1_11comp_targetILNS1_3genE8ELNS1_11target_archE1030ELNS1_3gpuE2ELNS1_3repE0EEENS1_30default_config_static_selectorELNS0_4arch9wavefront6targetE0EEEvT1_,@function
_ZN7rocprim17ROCPRIM_400000_NS6detail17trampoline_kernelINS0_14default_configENS1_25partition_config_selectorILNS1_17partition_subalgoE9EsjbEEZZNS1_14partition_implILS5_9ELb0ES3_jN6thrust23THRUST_200600_302600_NS6detail15normal_iteratorINS9_10device_ptrIsEEEENSB_INSC_IjEEEEPNS0_10empty_typeENS0_5tupleIJNS9_16discard_iteratorINS9_11use_defaultEEESH_EEENSJ_IJSM_SI_EEENS0_18inequality_wrapperINS9_8equal_toIsEEEEPmJSH_EEE10hipError_tPvRmT3_T4_T5_T6_T7_T9_mT8_P12ihipStream_tbDpT10_ENKUlT_T0_E_clISt17integral_constantIbLb0EES1D_EEDaS18_S19_EUlS18_E_NS1_11comp_targetILNS1_3genE8ELNS1_11target_archE1030ELNS1_3gpuE2ELNS1_3repE0EEENS1_30default_config_static_selectorELNS0_4arch9wavefront6targetE0EEEvT1_: ; @_ZN7rocprim17ROCPRIM_400000_NS6detail17trampoline_kernelINS0_14default_configENS1_25partition_config_selectorILNS1_17partition_subalgoE9EsjbEEZZNS1_14partition_implILS5_9ELb0ES3_jN6thrust23THRUST_200600_302600_NS6detail15normal_iteratorINS9_10device_ptrIsEEEENSB_INSC_IjEEEEPNS0_10empty_typeENS0_5tupleIJNS9_16discard_iteratorINS9_11use_defaultEEESH_EEENSJ_IJSM_SI_EEENS0_18inequality_wrapperINS9_8equal_toIsEEEEPmJSH_EEE10hipError_tPvRmT3_T4_T5_T6_T7_T9_mT8_P12ihipStream_tbDpT10_ENKUlT_T0_E_clISt17integral_constantIbLb0EES1D_EEDaS18_S19_EUlS18_E_NS1_11comp_targetILNS1_3genE8ELNS1_11target_archE1030ELNS1_3gpuE2ELNS1_3repE0EEENS1_30default_config_static_selectorELNS0_4arch9wavefront6targetE0EEEvT1_
; %bb.0:
	.section	.rodata,"a",@progbits
	.p2align	6, 0x0
	.amdhsa_kernel _ZN7rocprim17ROCPRIM_400000_NS6detail17trampoline_kernelINS0_14default_configENS1_25partition_config_selectorILNS1_17partition_subalgoE9EsjbEEZZNS1_14partition_implILS5_9ELb0ES3_jN6thrust23THRUST_200600_302600_NS6detail15normal_iteratorINS9_10device_ptrIsEEEENSB_INSC_IjEEEEPNS0_10empty_typeENS0_5tupleIJNS9_16discard_iteratorINS9_11use_defaultEEESH_EEENSJ_IJSM_SI_EEENS0_18inequality_wrapperINS9_8equal_toIsEEEEPmJSH_EEE10hipError_tPvRmT3_T4_T5_T6_T7_T9_mT8_P12ihipStream_tbDpT10_ENKUlT_T0_E_clISt17integral_constantIbLb0EES1D_EEDaS18_S19_EUlS18_E_NS1_11comp_targetILNS1_3genE8ELNS1_11target_archE1030ELNS1_3gpuE2ELNS1_3repE0EEENS1_30default_config_static_selectorELNS0_4arch9wavefront6targetE0EEEvT1_
		.amdhsa_group_segment_fixed_size 0
		.amdhsa_private_segment_fixed_size 0
		.amdhsa_kernarg_size 128
		.amdhsa_user_sgpr_count 15
		.amdhsa_user_sgpr_dispatch_ptr 0
		.amdhsa_user_sgpr_queue_ptr 0
		.amdhsa_user_sgpr_kernarg_segment_ptr 1
		.amdhsa_user_sgpr_dispatch_id 0
		.amdhsa_user_sgpr_private_segment_size 0
		.amdhsa_wavefront_size32 1
		.amdhsa_uses_dynamic_stack 0
		.amdhsa_enable_private_segment 0
		.amdhsa_system_sgpr_workgroup_id_x 1
		.amdhsa_system_sgpr_workgroup_id_y 0
		.amdhsa_system_sgpr_workgroup_id_z 0
		.amdhsa_system_sgpr_workgroup_info 0
		.amdhsa_system_vgpr_workitem_id 0
		.amdhsa_next_free_vgpr 1
		.amdhsa_next_free_sgpr 1
		.amdhsa_reserve_vcc 0
		.amdhsa_float_round_mode_32 0
		.amdhsa_float_round_mode_16_64 0
		.amdhsa_float_denorm_mode_32 3
		.amdhsa_float_denorm_mode_16_64 3
		.amdhsa_dx10_clamp 1
		.amdhsa_ieee_mode 1
		.amdhsa_fp16_overflow 0
		.amdhsa_workgroup_processor_mode 1
		.amdhsa_memory_ordered 1
		.amdhsa_forward_progress 0
		.amdhsa_shared_vgpr_count 0
		.amdhsa_exception_fp_ieee_invalid_op 0
		.amdhsa_exception_fp_denorm_src 0
		.amdhsa_exception_fp_ieee_div_zero 0
		.amdhsa_exception_fp_ieee_overflow 0
		.amdhsa_exception_fp_ieee_underflow 0
		.amdhsa_exception_fp_ieee_inexact 0
		.amdhsa_exception_int_div_zero 0
	.end_amdhsa_kernel
	.section	.text._ZN7rocprim17ROCPRIM_400000_NS6detail17trampoline_kernelINS0_14default_configENS1_25partition_config_selectorILNS1_17partition_subalgoE9EsjbEEZZNS1_14partition_implILS5_9ELb0ES3_jN6thrust23THRUST_200600_302600_NS6detail15normal_iteratorINS9_10device_ptrIsEEEENSB_INSC_IjEEEEPNS0_10empty_typeENS0_5tupleIJNS9_16discard_iteratorINS9_11use_defaultEEESH_EEENSJ_IJSM_SI_EEENS0_18inequality_wrapperINS9_8equal_toIsEEEEPmJSH_EEE10hipError_tPvRmT3_T4_T5_T6_T7_T9_mT8_P12ihipStream_tbDpT10_ENKUlT_T0_E_clISt17integral_constantIbLb0EES1D_EEDaS18_S19_EUlS18_E_NS1_11comp_targetILNS1_3genE8ELNS1_11target_archE1030ELNS1_3gpuE2ELNS1_3repE0EEENS1_30default_config_static_selectorELNS0_4arch9wavefront6targetE0EEEvT1_,"axG",@progbits,_ZN7rocprim17ROCPRIM_400000_NS6detail17trampoline_kernelINS0_14default_configENS1_25partition_config_selectorILNS1_17partition_subalgoE9EsjbEEZZNS1_14partition_implILS5_9ELb0ES3_jN6thrust23THRUST_200600_302600_NS6detail15normal_iteratorINS9_10device_ptrIsEEEENSB_INSC_IjEEEEPNS0_10empty_typeENS0_5tupleIJNS9_16discard_iteratorINS9_11use_defaultEEESH_EEENSJ_IJSM_SI_EEENS0_18inequality_wrapperINS9_8equal_toIsEEEEPmJSH_EEE10hipError_tPvRmT3_T4_T5_T6_T7_T9_mT8_P12ihipStream_tbDpT10_ENKUlT_T0_E_clISt17integral_constantIbLb0EES1D_EEDaS18_S19_EUlS18_E_NS1_11comp_targetILNS1_3genE8ELNS1_11target_archE1030ELNS1_3gpuE2ELNS1_3repE0EEENS1_30default_config_static_selectorELNS0_4arch9wavefront6targetE0EEEvT1_,comdat
.Lfunc_end1180:
	.size	_ZN7rocprim17ROCPRIM_400000_NS6detail17trampoline_kernelINS0_14default_configENS1_25partition_config_selectorILNS1_17partition_subalgoE9EsjbEEZZNS1_14partition_implILS5_9ELb0ES3_jN6thrust23THRUST_200600_302600_NS6detail15normal_iteratorINS9_10device_ptrIsEEEENSB_INSC_IjEEEEPNS0_10empty_typeENS0_5tupleIJNS9_16discard_iteratorINS9_11use_defaultEEESH_EEENSJ_IJSM_SI_EEENS0_18inequality_wrapperINS9_8equal_toIsEEEEPmJSH_EEE10hipError_tPvRmT3_T4_T5_T6_T7_T9_mT8_P12ihipStream_tbDpT10_ENKUlT_T0_E_clISt17integral_constantIbLb0EES1D_EEDaS18_S19_EUlS18_E_NS1_11comp_targetILNS1_3genE8ELNS1_11target_archE1030ELNS1_3gpuE2ELNS1_3repE0EEENS1_30default_config_static_selectorELNS0_4arch9wavefront6targetE0EEEvT1_, .Lfunc_end1180-_ZN7rocprim17ROCPRIM_400000_NS6detail17trampoline_kernelINS0_14default_configENS1_25partition_config_selectorILNS1_17partition_subalgoE9EsjbEEZZNS1_14partition_implILS5_9ELb0ES3_jN6thrust23THRUST_200600_302600_NS6detail15normal_iteratorINS9_10device_ptrIsEEEENSB_INSC_IjEEEEPNS0_10empty_typeENS0_5tupleIJNS9_16discard_iteratorINS9_11use_defaultEEESH_EEENSJ_IJSM_SI_EEENS0_18inequality_wrapperINS9_8equal_toIsEEEEPmJSH_EEE10hipError_tPvRmT3_T4_T5_T6_T7_T9_mT8_P12ihipStream_tbDpT10_ENKUlT_T0_E_clISt17integral_constantIbLb0EES1D_EEDaS18_S19_EUlS18_E_NS1_11comp_targetILNS1_3genE8ELNS1_11target_archE1030ELNS1_3gpuE2ELNS1_3repE0EEENS1_30default_config_static_selectorELNS0_4arch9wavefront6targetE0EEEvT1_
                                        ; -- End function
	.section	.AMDGPU.csdata,"",@progbits
; Kernel info:
; codeLenInByte = 0
; NumSgprs: 0
; NumVgprs: 0
; ScratchSize: 0
; MemoryBound: 0
; FloatMode: 240
; IeeeMode: 1
; LDSByteSize: 0 bytes/workgroup (compile time only)
; SGPRBlocks: 0
; VGPRBlocks: 0
; NumSGPRsForWavesPerEU: 1
; NumVGPRsForWavesPerEU: 1
; Occupancy: 16
; WaveLimiterHint : 0
; COMPUTE_PGM_RSRC2:SCRATCH_EN: 0
; COMPUTE_PGM_RSRC2:USER_SGPR: 15
; COMPUTE_PGM_RSRC2:TRAP_HANDLER: 0
; COMPUTE_PGM_RSRC2:TGID_X_EN: 1
; COMPUTE_PGM_RSRC2:TGID_Y_EN: 0
; COMPUTE_PGM_RSRC2:TGID_Z_EN: 0
; COMPUTE_PGM_RSRC2:TIDIG_COMP_CNT: 0
	.section	.text._ZN7rocprim17ROCPRIM_400000_NS6detail17trampoline_kernelINS0_14default_configENS1_25partition_config_selectorILNS1_17partition_subalgoE9EsjbEEZZNS1_14partition_implILS5_9ELb0ES3_jN6thrust23THRUST_200600_302600_NS6detail15normal_iteratorINS9_10device_ptrIsEEEENSB_INSC_IjEEEEPNS0_10empty_typeENS0_5tupleIJNS9_16discard_iteratorINS9_11use_defaultEEESH_EEENSJ_IJSM_SI_EEENS0_18inequality_wrapperINS9_8equal_toIsEEEEPmJSH_EEE10hipError_tPvRmT3_T4_T5_T6_T7_T9_mT8_P12ihipStream_tbDpT10_ENKUlT_T0_E_clISt17integral_constantIbLb1EES1D_EEDaS18_S19_EUlS18_E_NS1_11comp_targetILNS1_3genE0ELNS1_11target_archE4294967295ELNS1_3gpuE0ELNS1_3repE0EEENS1_30default_config_static_selectorELNS0_4arch9wavefront6targetE0EEEvT1_,"axG",@progbits,_ZN7rocprim17ROCPRIM_400000_NS6detail17trampoline_kernelINS0_14default_configENS1_25partition_config_selectorILNS1_17partition_subalgoE9EsjbEEZZNS1_14partition_implILS5_9ELb0ES3_jN6thrust23THRUST_200600_302600_NS6detail15normal_iteratorINS9_10device_ptrIsEEEENSB_INSC_IjEEEEPNS0_10empty_typeENS0_5tupleIJNS9_16discard_iteratorINS9_11use_defaultEEESH_EEENSJ_IJSM_SI_EEENS0_18inequality_wrapperINS9_8equal_toIsEEEEPmJSH_EEE10hipError_tPvRmT3_T4_T5_T6_T7_T9_mT8_P12ihipStream_tbDpT10_ENKUlT_T0_E_clISt17integral_constantIbLb1EES1D_EEDaS18_S19_EUlS18_E_NS1_11comp_targetILNS1_3genE0ELNS1_11target_archE4294967295ELNS1_3gpuE0ELNS1_3repE0EEENS1_30default_config_static_selectorELNS0_4arch9wavefront6targetE0EEEvT1_,comdat
	.protected	_ZN7rocprim17ROCPRIM_400000_NS6detail17trampoline_kernelINS0_14default_configENS1_25partition_config_selectorILNS1_17partition_subalgoE9EsjbEEZZNS1_14partition_implILS5_9ELb0ES3_jN6thrust23THRUST_200600_302600_NS6detail15normal_iteratorINS9_10device_ptrIsEEEENSB_INSC_IjEEEEPNS0_10empty_typeENS0_5tupleIJNS9_16discard_iteratorINS9_11use_defaultEEESH_EEENSJ_IJSM_SI_EEENS0_18inequality_wrapperINS9_8equal_toIsEEEEPmJSH_EEE10hipError_tPvRmT3_T4_T5_T6_T7_T9_mT8_P12ihipStream_tbDpT10_ENKUlT_T0_E_clISt17integral_constantIbLb1EES1D_EEDaS18_S19_EUlS18_E_NS1_11comp_targetILNS1_3genE0ELNS1_11target_archE4294967295ELNS1_3gpuE0ELNS1_3repE0EEENS1_30default_config_static_selectorELNS0_4arch9wavefront6targetE0EEEvT1_ ; -- Begin function _ZN7rocprim17ROCPRIM_400000_NS6detail17trampoline_kernelINS0_14default_configENS1_25partition_config_selectorILNS1_17partition_subalgoE9EsjbEEZZNS1_14partition_implILS5_9ELb0ES3_jN6thrust23THRUST_200600_302600_NS6detail15normal_iteratorINS9_10device_ptrIsEEEENSB_INSC_IjEEEEPNS0_10empty_typeENS0_5tupleIJNS9_16discard_iteratorINS9_11use_defaultEEESH_EEENSJ_IJSM_SI_EEENS0_18inequality_wrapperINS9_8equal_toIsEEEEPmJSH_EEE10hipError_tPvRmT3_T4_T5_T6_T7_T9_mT8_P12ihipStream_tbDpT10_ENKUlT_T0_E_clISt17integral_constantIbLb1EES1D_EEDaS18_S19_EUlS18_E_NS1_11comp_targetILNS1_3genE0ELNS1_11target_archE4294967295ELNS1_3gpuE0ELNS1_3repE0EEENS1_30default_config_static_selectorELNS0_4arch9wavefront6targetE0EEEvT1_
	.globl	_ZN7rocprim17ROCPRIM_400000_NS6detail17trampoline_kernelINS0_14default_configENS1_25partition_config_selectorILNS1_17partition_subalgoE9EsjbEEZZNS1_14partition_implILS5_9ELb0ES3_jN6thrust23THRUST_200600_302600_NS6detail15normal_iteratorINS9_10device_ptrIsEEEENSB_INSC_IjEEEEPNS0_10empty_typeENS0_5tupleIJNS9_16discard_iteratorINS9_11use_defaultEEESH_EEENSJ_IJSM_SI_EEENS0_18inequality_wrapperINS9_8equal_toIsEEEEPmJSH_EEE10hipError_tPvRmT3_T4_T5_T6_T7_T9_mT8_P12ihipStream_tbDpT10_ENKUlT_T0_E_clISt17integral_constantIbLb1EES1D_EEDaS18_S19_EUlS18_E_NS1_11comp_targetILNS1_3genE0ELNS1_11target_archE4294967295ELNS1_3gpuE0ELNS1_3repE0EEENS1_30default_config_static_selectorELNS0_4arch9wavefront6targetE0EEEvT1_
	.p2align	8
	.type	_ZN7rocprim17ROCPRIM_400000_NS6detail17trampoline_kernelINS0_14default_configENS1_25partition_config_selectorILNS1_17partition_subalgoE9EsjbEEZZNS1_14partition_implILS5_9ELb0ES3_jN6thrust23THRUST_200600_302600_NS6detail15normal_iteratorINS9_10device_ptrIsEEEENSB_INSC_IjEEEEPNS0_10empty_typeENS0_5tupleIJNS9_16discard_iteratorINS9_11use_defaultEEESH_EEENSJ_IJSM_SI_EEENS0_18inequality_wrapperINS9_8equal_toIsEEEEPmJSH_EEE10hipError_tPvRmT3_T4_T5_T6_T7_T9_mT8_P12ihipStream_tbDpT10_ENKUlT_T0_E_clISt17integral_constantIbLb1EES1D_EEDaS18_S19_EUlS18_E_NS1_11comp_targetILNS1_3genE0ELNS1_11target_archE4294967295ELNS1_3gpuE0ELNS1_3repE0EEENS1_30default_config_static_selectorELNS0_4arch9wavefront6targetE0EEEvT1_,@function
_ZN7rocprim17ROCPRIM_400000_NS6detail17trampoline_kernelINS0_14default_configENS1_25partition_config_selectorILNS1_17partition_subalgoE9EsjbEEZZNS1_14partition_implILS5_9ELb0ES3_jN6thrust23THRUST_200600_302600_NS6detail15normal_iteratorINS9_10device_ptrIsEEEENSB_INSC_IjEEEEPNS0_10empty_typeENS0_5tupleIJNS9_16discard_iteratorINS9_11use_defaultEEESH_EEENSJ_IJSM_SI_EEENS0_18inequality_wrapperINS9_8equal_toIsEEEEPmJSH_EEE10hipError_tPvRmT3_T4_T5_T6_T7_T9_mT8_P12ihipStream_tbDpT10_ENKUlT_T0_E_clISt17integral_constantIbLb1EES1D_EEDaS18_S19_EUlS18_E_NS1_11comp_targetILNS1_3genE0ELNS1_11target_archE4294967295ELNS1_3gpuE0ELNS1_3repE0EEENS1_30default_config_static_selectorELNS0_4arch9wavefront6targetE0EEEvT1_: ; @_ZN7rocprim17ROCPRIM_400000_NS6detail17trampoline_kernelINS0_14default_configENS1_25partition_config_selectorILNS1_17partition_subalgoE9EsjbEEZZNS1_14partition_implILS5_9ELb0ES3_jN6thrust23THRUST_200600_302600_NS6detail15normal_iteratorINS9_10device_ptrIsEEEENSB_INSC_IjEEEEPNS0_10empty_typeENS0_5tupleIJNS9_16discard_iteratorINS9_11use_defaultEEESH_EEENSJ_IJSM_SI_EEENS0_18inequality_wrapperINS9_8equal_toIsEEEEPmJSH_EEE10hipError_tPvRmT3_T4_T5_T6_T7_T9_mT8_P12ihipStream_tbDpT10_ENKUlT_T0_E_clISt17integral_constantIbLb1EES1D_EEDaS18_S19_EUlS18_E_NS1_11comp_targetILNS1_3genE0ELNS1_11target_archE4294967295ELNS1_3gpuE0ELNS1_3repE0EEENS1_30default_config_static_selectorELNS0_4arch9wavefront6targetE0EEEvT1_
; %bb.0:
	.section	.rodata,"a",@progbits
	.p2align	6, 0x0
	.amdhsa_kernel _ZN7rocprim17ROCPRIM_400000_NS6detail17trampoline_kernelINS0_14default_configENS1_25partition_config_selectorILNS1_17partition_subalgoE9EsjbEEZZNS1_14partition_implILS5_9ELb0ES3_jN6thrust23THRUST_200600_302600_NS6detail15normal_iteratorINS9_10device_ptrIsEEEENSB_INSC_IjEEEEPNS0_10empty_typeENS0_5tupleIJNS9_16discard_iteratorINS9_11use_defaultEEESH_EEENSJ_IJSM_SI_EEENS0_18inequality_wrapperINS9_8equal_toIsEEEEPmJSH_EEE10hipError_tPvRmT3_T4_T5_T6_T7_T9_mT8_P12ihipStream_tbDpT10_ENKUlT_T0_E_clISt17integral_constantIbLb1EES1D_EEDaS18_S19_EUlS18_E_NS1_11comp_targetILNS1_3genE0ELNS1_11target_archE4294967295ELNS1_3gpuE0ELNS1_3repE0EEENS1_30default_config_static_selectorELNS0_4arch9wavefront6targetE0EEEvT1_
		.amdhsa_group_segment_fixed_size 0
		.amdhsa_private_segment_fixed_size 0
		.amdhsa_kernarg_size 144
		.amdhsa_user_sgpr_count 15
		.amdhsa_user_sgpr_dispatch_ptr 0
		.amdhsa_user_sgpr_queue_ptr 0
		.amdhsa_user_sgpr_kernarg_segment_ptr 1
		.amdhsa_user_sgpr_dispatch_id 0
		.amdhsa_user_sgpr_private_segment_size 0
		.amdhsa_wavefront_size32 1
		.amdhsa_uses_dynamic_stack 0
		.amdhsa_enable_private_segment 0
		.amdhsa_system_sgpr_workgroup_id_x 1
		.amdhsa_system_sgpr_workgroup_id_y 0
		.amdhsa_system_sgpr_workgroup_id_z 0
		.amdhsa_system_sgpr_workgroup_info 0
		.amdhsa_system_vgpr_workitem_id 0
		.amdhsa_next_free_vgpr 1
		.amdhsa_next_free_sgpr 1
		.amdhsa_reserve_vcc 0
		.amdhsa_float_round_mode_32 0
		.amdhsa_float_round_mode_16_64 0
		.amdhsa_float_denorm_mode_32 3
		.amdhsa_float_denorm_mode_16_64 3
		.amdhsa_dx10_clamp 1
		.amdhsa_ieee_mode 1
		.amdhsa_fp16_overflow 0
		.amdhsa_workgroup_processor_mode 1
		.amdhsa_memory_ordered 1
		.amdhsa_forward_progress 0
		.amdhsa_shared_vgpr_count 0
		.amdhsa_exception_fp_ieee_invalid_op 0
		.amdhsa_exception_fp_denorm_src 0
		.amdhsa_exception_fp_ieee_div_zero 0
		.amdhsa_exception_fp_ieee_overflow 0
		.amdhsa_exception_fp_ieee_underflow 0
		.amdhsa_exception_fp_ieee_inexact 0
		.amdhsa_exception_int_div_zero 0
	.end_amdhsa_kernel
	.section	.text._ZN7rocprim17ROCPRIM_400000_NS6detail17trampoline_kernelINS0_14default_configENS1_25partition_config_selectorILNS1_17partition_subalgoE9EsjbEEZZNS1_14partition_implILS5_9ELb0ES3_jN6thrust23THRUST_200600_302600_NS6detail15normal_iteratorINS9_10device_ptrIsEEEENSB_INSC_IjEEEEPNS0_10empty_typeENS0_5tupleIJNS9_16discard_iteratorINS9_11use_defaultEEESH_EEENSJ_IJSM_SI_EEENS0_18inequality_wrapperINS9_8equal_toIsEEEEPmJSH_EEE10hipError_tPvRmT3_T4_T5_T6_T7_T9_mT8_P12ihipStream_tbDpT10_ENKUlT_T0_E_clISt17integral_constantIbLb1EES1D_EEDaS18_S19_EUlS18_E_NS1_11comp_targetILNS1_3genE0ELNS1_11target_archE4294967295ELNS1_3gpuE0ELNS1_3repE0EEENS1_30default_config_static_selectorELNS0_4arch9wavefront6targetE0EEEvT1_,"axG",@progbits,_ZN7rocprim17ROCPRIM_400000_NS6detail17trampoline_kernelINS0_14default_configENS1_25partition_config_selectorILNS1_17partition_subalgoE9EsjbEEZZNS1_14partition_implILS5_9ELb0ES3_jN6thrust23THRUST_200600_302600_NS6detail15normal_iteratorINS9_10device_ptrIsEEEENSB_INSC_IjEEEEPNS0_10empty_typeENS0_5tupleIJNS9_16discard_iteratorINS9_11use_defaultEEESH_EEENSJ_IJSM_SI_EEENS0_18inequality_wrapperINS9_8equal_toIsEEEEPmJSH_EEE10hipError_tPvRmT3_T4_T5_T6_T7_T9_mT8_P12ihipStream_tbDpT10_ENKUlT_T0_E_clISt17integral_constantIbLb1EES1D_EEDaS18_S19_EUlS18_E_NS1_11comp_targetILNS1_3genE0ELNS1_11target_archE4294967295ELNS1_3gpuE0ELNS1_3repE0EEENS1_30default_config_static_selectorELNS0_4arch9wavefront6targetE0EEEvT1_,comdat
.Lfunc_end1181:
	.size	_ZN7rocprim17ROCPRIM_400000_NS6detail17trampoline_kernelINS0_14default_configENS1_25partition_config_selectorILNS1_17partition_subalgoE9EsjbEEZZNS1_14partition_implILS5_9ELb0ES3_jN6thrust23THRUST_200600_302600_NS6detail15normal_iteratorINS9_10device_ptrIsEEEENSB_INSC_IjEEEEPNS0_10empty_typeENS0_5tupleIJNS9_16discard_iteratorINS9_11use_defaultEEESH_EEENSJ_IJSM_SI_EEENS0_18inequality_wrapperINS9_8equal_toIsEEEEPmJSH_EEE10hipError_tPvRmT3_T4_T5_T6_T7_T9_mT8_P12ihipStream_tbDpT10_ENKUlT_T0_E_clISt17integral_constantIbLb1EES1D_EEDaS18_S19_EUlS18_E_NS1_11comp_targetILNS1_3genE0ELNS1_11target_archE4294967295ELNS1_3gpuE0ELNS1_3repE0EEENS1_30default_config_static_selectorELNS0_4arch9wavefront6targetE0EEEvT1_, .Lfunc_end1181-_ZN7rocprim17ROCPRIM_400000_NS6detail17trampoline_kernelINS0_14default_configENS1_25partition_config_selectorILNS1_17partition_subalgoE9EsjbEEZZNS1_14partition_implILS5_9ELb0ES3_jN6thrust23THRUST_200600_302600_NS6detail15normal_iteratorINS9_10device_ptrIsEEEENSB_INSC_IjEEEEPNS0_10empty_typeENS0_5tupleIJNS9_16discard_iteratorINS9_11use_defaultEEESH_EEENSJ_IJSM_SI_EEENS0_18inequality_wrapperINS9_8equal_toIsEEEEPmJSH_EEE10hipError_tPvRmT3_T4_T5_T6_T7_T9_mT8_P12ihipStream_tbDpT10_ENKUlT_T0_E_clISt17integral_constantIbLb1EES1D_EEDaS18_S19_EUlS18_E_NS1_11comp_targetILNS1_3genE0ELNS1_11target_archE4294967295ELNS1_3gpuE0ELNS1_3repE0EEENS1_30default_config_static_selectorELNS0_4arch9wavefront6targetE0EEEvT1_
                                        ; -- End function
	.section	.AMDGPU.csdata,"",@progbits
; Kernel info:
; codeLenInByte = 0
; NumSgprs: 0
; NumVgprs: 0
; ScratchSize: 0
; MemoryBound: 0
; FloatMode: 240
; IeeeMode: 1
; LDSByteSize: 0 bytes/workgroup (compile time only)
; SGPRBlocks: 0
; VGPRBlocks: 0
; NumSGPRsForWavesPerEU: 1
; NumVGPRsForWavesPerEU: 1
; Occupancy: 16
; WaveLimiterHint : 0
; COMPUTE_PGM_RSRC2:SCRATCH_EN: 0
; COMPUTE_PGM_RSRC2:USER_SGPR: 15
; COMPUTE_PGM_RSRC2:TRAP_HANDLER: 0
; COMPUTE_PGM_RSRC2:TGID_X_EN: 1
; COMPUTE_PGM_RSRC2:TGID_Y_EN: 0
; COMPUTE_PGM_RSRC2:TGID_Z_EN: 0
; COMPUTE_PGM_RSRC2:TIDIG_COMP_CNT: 0
	.section	.text._ZN7rocprim17ROCPRIM_400000_NS6detail17trampoline_kernelINS0_14default_configENS1_25partition_config_selectorILNS1_17partition_subalgoE9EsjbEEZZNS1_14partition_implILS5_9ELb0ES3_jN6thrust23THRUST_200600_302600_NS6detail15normal_iteratorINS9_10device_ptrIsEEEENSB_INSC_IjEEEEPNS0_10empty_typeENS0_5tupleIJNS9_16discard_iteratorINS9_11use_defaultEEESH_EEENSJ_IJSM_SI_EEENS0_18inequality_wrapperINS9_8equal_toIsEEEEPmJSH_EEE10hipError_tPvRmT3_T4_T5_T6_T7_T9_mT8_P12ihipStream_tbDpT10_ENKUlT_T0_E_clISt17integral_constantIbLb1EES1D_EEDaS18_S19_EUlS18_E_NS1_11comp_targetILNS1_3genE5ELNS1_11target_archE942ELNS1_3gpuE9ELNS1_3repE0EEENS1_30default_config_static_selectorELNS0_4arch9wavefront6targetE0EEEvT1_,"axG",@progbits,_ZN7rocprim17ROCPRIM_400000_NS6detail17trampoline_kernelINS0_14default_configENS1_25partition_config_selectorILNS1_17partition_subalgoE9EsjbEEZZNS1_14partition_implILS5_9ELb0ES3_jN6thrust23THRUST_200600_302600_NS6detail15normal_iteratorINS9_10device_ptrIsEEEENSB_INSC_IjEEEEPNS0_10empty_typeENS0_5tupleIJNS9_16discard_iteratorINS9_11use_defaultEEESH_EEENSJ_IJSM_SI_EEENS0_18inequality_wrapperINS9_8equal_toIsEEEEPmJSH_EEE10hipError_tPvRmT3_T4_T5_T6_T7_T9_mT8_P12ihipStream_tbDpT10_ENKUlT_T0_E_clISt17integral_constantIbLb1EES1D_EEDaS18_S19_EUlS18_E_NS1_11comp_targetILNS1_3genE5ELNS1_11target_archE942ELNS1_3gpuE9ELNS1_3repE0EEENS1_30default_config_static_selectorELNS0_4arch9wavefront6targetE0EEEvT1_,comdat
	.protected	_ZN7rocprim17ROCPRIM_400000_NS6detail17trampoline_kernelINS0_14default_configENS1_25partition_config_selectorILNS1_17partition_subalgoE9EsjbEEZZNS1_14partition_implILS5_9ELb0ES3_jN6thrust23THRUST_200600_302600_NS6detail15normal_iteratorINS9_10device_ptrIsEEEENSB_INSC_IjEEEEPNS0_10empty_typeENS0_5tupleIJNS9_16discard_iteratorINS9_11use_defaultEEESH_EEENSJ_IJSM_SI_EEENS0_18inequality_wrapperINS9_8equal_toIsEEEEPmJSH_EEE10hipError_tPvRmT3_T4_T5_T6_T7_T9_mT8_P12ihipStream_tbDpT10_ENKUlT_T0_E_clISt17integral_constantIbLb1EES1D_EEDaS18_S19_EUlS18_E_NS1_11comp_targetILNS1_3genE5ELNS1_11target_archE942ELNS1_3gpuE9ELNS1_3repE0EEENS1_30default_config_static_selectorELNS0_4arch9wavefront6targetE0EEEvT1_ ; -- Begin function _ZN7rocprim17ROCPRIM_400000_NS6detail17trampoline_kernelINS0_14default_configENS1_25partition_config_selectorILNS1_17partition_subalgoE9EsjbEEZZNS1_14partition_implILS5_9ELb0ES3_jN6thrust23THRUST_200600_302600_NS6detail15normal_iteratorINS9_10device_ptrIsEEEENSB_INSC_IjEEEEPNS0_10empty_typeENS0_5tupleIJNS9_16discard_iteratorINS9_11use_defaultEEESH_EEENSJ_IJSM_SI_EEENS0_18inequality_wrapperINS9_8equal_toIsEEEEPmJSH_EEE10hipError_tPvRmT3_T4_T5_T6_T7_T9_mT8_P12ihipStream_tbDpT10_ENKUlT_T0_E_clISt17integral_constantIbLb1EES1D_EEDaS18_S19_EUlS18_E_NS1_11comp_targetILNS1_3genE5ELNS1_11target_archE942ELNS1_3gpuE9ELNS1_3repE0EEENS1_30default_config_static_selectorELNS0_4arch9wavefront6targetE0EEEvT1_
	.globl	_ZN7rocprim17ROCPRIM_400000_NS6detail17trampoline_kernelINS0_14default_configENS1_25partition_config_selectorILNS1_17partition_subalgoE9EsjbEEZZNS1_14partition_implILS5_9ELb0ES3_jN6thrust23THRUST_200600_302600_NS6detail15normal_iteratorINS9_10device_ptrIsEEEENSB_INSC_IjEEEEPNS0_10empty_typeENS0_5tupleIJNS9_16discard_iteratorINS9_11use_defaultEEESH_EEENSJ_IJSM_SI_EEENS0_18inequality_wrapperINS9_8equal_toIsEEEEPmJSH_EEE10hipError_tPvRmT3_T4_T5_T6_T7_T9_mT8_P12ihipStream_tbDpT10_ENKUlT_T0_E_clISt17integral_constantIbLb1EES1D_EEDaS18_S19_EUlS18_E_NS1_11comp_targetILNS1_3genE5ELNS1_11target_archE942ELNS1_3gpuE9ELNS1_3repE0EEENS1_30default_config_static_selectorELNS0_4arch9wavefront6targetE0EEEvT1_
	.p2align	8
	.type	_ZN7rocprim17ROCPRIM_400000_NS6detail17trampoline_kernelINS0_14default_configENS1_25partition_config_selectorILNS1_17partition_subalgoE9EsjbEEZZNS1_14partition_implILS5_9ELb0ES3_jN6thrust23THRUST_200600_302600_NS6detail15normal_iteratorINS9_10device_ptrIsEEEENSB_INSC_IjEEEEPNS0_10empty_typeENS0_5tupleIJNS9_16discard_iteratorINS9_11use_defaultEEESH_EEENSJ_IJSM_SI_EEENS0_18inequality_wrapperINS9_8equal_toIsEEEEPmJSH_EEE10hipError_tPvRmT3_T4_T5_T6_T7_T9_mT8_P12ihipStream_tbDpT10_ENKUlT_T0_E_clISt17integral_constantIbLb1EES1D_EEDaS18_S19_EUlS18_E_NS1_11comp_targetILNS1_3genE5ELNS1_11target_archE942ELNS1_3gpuE9ELNS1_3repE0EEENS1_30default_config_static_selectorELNS0_4arch9wavefront6targetE0EEEvT1_,@function
_ZN7rocprim17ROCPRIM_400000_NS6detail17trampoline_kernelINS0_14default_configENS1_25partition_config_selectorILNS1_17partition_subalgoE9EsjbEEZZNS1_14partition_implILS5_9ELb0ES3_jN6thrust23THRUST_200600_302600_NS6detail15normal_iteratorINS9_10device_ptrIsEEEENSB_INSC_IjEEEEPNS0_10empty_typeENS0_5tupleIJNS9_16discard_iteratorINS9_11use_defaultEEESH_EEENSJ_IJSM_SI_EEENS0_18inequality_wrapperINS9_8equal_toIsEEEEPmJSH_EEE10hipError_tPvRmT3_T4_T5_T6_T7_T9_mT8_P12ihipStream_tbDpT10_ENKUlT_T0_E_clISt17integral_constantIbLb1EES1D_EEDaS18_S19_EUlS18_E_NS1_11comp_targetILNS1_3genE5ELNS1_11target_archE942ELNS1_3gpuE9ELNS1_3repE0EEENS1_30default_config_static_selectorELNS0_4arch9wavefront6targetE0EEEvT1_: ; @_ZN7rocprim17ROCPRIM_400000_NS6detail17trampoline_kernelINS0_14default_configENS1_25partition_config_selectorILNS1_17partition_subalgoE9EsjbEEZZNS1_14partition_implILS5_9ELb0ES3_jN6thrust23THRUST_200600_302600_NS6detail15normal_iteratorINS9_10device_ptrIsEEEENSB_INSC_IjEEEEPNS0_10empty_typeENS0_5tupleIJNS9_16discard_iteratorINS9_11use_defaultEEESH_EEENSJ_IJSM_SI_EEENS0_18inequality_wrapperINS9_8equal_toIsEEEEPmJSH_EEE10hipError_tPvRmT3_T4_T5_T6_T7_T9_mT8_P12ihipStream_tbDpT10_ENKUlT_T0_E_clISt17integral_constantIbLb1EES1D_EEDaS18_S19_EUlS18_E_NS1_11comp_targetILNS1_3genE5ELNS1_11target_archE942ELNS1_3gpuE9ELNS1_3repE0EEENS1_30default_config_static_selectorELNS0_4arch9wavefront6targetE0EEEvT1_
; %bb.0:
	.section	.rodata,"a",@progbits
	.p2align	6, 0x0
	.amdhsa_kernel _ZN7rocprim17ROCPRIM_400000_NS6detail17trampoline_kernelINS0_14default_configENS1_25partition_config_selectorILNS1_17partition_subalgoE9EsjbEEZZNS1_14partition_implILS5_9ELb0ES3_jN6thrust23THRUST_200600_302600_NS6detail15normal_iteratorINS9_10device_ptrIsEEEENSB_INSC_IjEEEEPNS0_10empty_typeENS0_5tupleIJNS9_16discard_iteratorINS9_11use_defaultEEESH_EEENSJ_IJSM_SI_EEENS0_18inequality_wrapperINS9_8equal_toIsEEEEPmJSH_EEE10hipError_tPvRmT3_T4_T5_T6_T7_T9_mT8_P12ihipStream_tbDpT10_ENKUlT_T0_E_clISt17integral_constantIbLb1EES1D_EEDaS18_S19_EUlS18_E_NS1_11comp_targetILNS1_3genE5ELNS1_11target_archE942ELNS1_3gpuE9ELNS1_3repE0EEENS1_30default_config_static_selectorELNS0_4arch9wavefront6targetE0EEEvT1_
		.amdhsa_group_segment_fixed_size 0
		.amdhsa_private_segment_fixed_size 0
		.amdhsa_kernarg_size 144
		.amdhsa_user_sgpr_count 15
		.amdhsa_user_sgpr_dispatch_ptr 0
		.amdhsa_user_sgpr_queue_ptr 0
		.amdhsa_user_sgpr_kernarg_segment_ptr 1
		.amdhsa_user_sgpr_dispatch_id 0
		.amdhsa_user_sgpr_private_segment_size 0
		.amdhsa_wavefront_size32 1
		.amdhsa_uses_dynamic_stack 0
		.amdhsa_enable_private_segment 0
		.amdhsa_system_sgpr_workgroup_id_x 1
		.amdhsa_system_sgpr_workgroup_id_y 0
		.amdhsa_system_sgpr_workgroup_id_z 0
		.amdhsa_system_sgpr_workgroup_info 0
		.amdhsa_system_vgpr_workitem_id 0
		.amdhsa_next_free_vgpr 1
		.amdhsa_next_free_sgpr 1
		.amdhsa_reserve_vcc 0
		.amdhsa_float_round_mode_32 0
		.amdhsa_float_round_mode_16_64 0
		.amdhsa_float_denorm_mode_32 3
		.amdhsa_float_denorm_mode_16_64 3
		.amdhsa_dx10_clamp 1
		.amdhsa_ieee_mode 1
		.amdhsa_fp16_overflow 0
		.amdhsa_workgroup_processor_mode 1
		.amdhsa_memory_ordered 1
		.amdhsa_forward_progress 0
		.amdhsa_shared_vgpr_count 0
		.amdhsa_exception_fp_ieee_invalid_op 0
		.amdhsa_exception_fp_denorm_src 0
		.amdhsa_exception_fp_ieee_div_zero 0
		.amdhsa_exception_fp_ieee_overflow 0
		.amdhsa_exception_fp_ieee_underflow 0
		.amdhsa_exception_fp_ieee_inexact 0
		.amdhsa_exception_int_div_zero 0
	.end_amdhsa_kernel
	.section	.text._ZN7rocprim17ROCPRIM_400000_NS6detail17trampoline_kernelINS0_14default_configENS1_25partition_config_selectorILNS1_17partition_subalgoE9EsjbEEZZNS1_14partition_implILS5_9ELb0ES3_jN6thrust23THRUST_200600_302600_NS6detail15normal_iteratorINS9_10device_ptrIsEEEENSB_INSC_IjEEEEPNS0_10empty_typeENS0_5tupleIJNS9_16discard_iteratorINS9_11use_defaultEEESH_EEENSJ_IJSM_SI_EEENS0_18inequality_wrapperINS9_8equal_toIsEEEEPmJSH_EEE10hipError_tPvRmT3_T4_T5_T6_T7_T9_mT8_P12ihipStream_tbDpT10_ENKUlT_T0_E_clISt17integral_constantIbLb1EES1D_EEDaS18_S19_EUlS18_E_NS1_11comp_targetILNS1_3genE5ELNS1_11target_archE942ELNS1_3gpuE9ELNS1_3repE0EEENS1_30default_config_static_selectorELNS0_4arch9wavefront6targetE0EEEvT1_,"axG",@progbits,_ZN7rocprim17ROCPRIM_400000_NS6detail17trampoline_kernelINS0_14default_configENS1_25partition_config_selectorILNS1_17partition_subalgoE9EsjbEEZZNS1_14partition_implILS5_9ELb0ES3_jN6thrust23THRUST_200600_302600_NS6detail15normal_iteratorINS9_10device_ptrIsEEEENSB_INSC_IjEEEEPNS0_10empty_typeENS0_5tupleIJNS9_16discard_iteratorINS9_11use_defaultEEESH_EEENSJ_IJSM_SI_EEENS0_18inequality_wrapperINS9_8equal_toIsEEEEPmJSH_EEE10hipError_tPvRmT3_T4_T5_T6_T7_T9_mT8_P12ihipStream_tbDpT10_ENKUlT_T0_E_clISt17integral_constantIbLb1EES1D_EEDaS18_S19_EUlS18_E_NS1_11comp_targetILNS1_3genE5ELNS1_11target_archE942ELNS1_3gpuE9ELNS1_3repE0EEENS1_30default_config_static_selectorELNS0_4arch9wavefront6targetE0EEEvT1_,comdat
.Lfunc_end1182:
	.size	_ZN7rocprim17ROCPRIM_400000_NS6detail17trampoline_kernelINS0_14default_configENS1_25partition_config_selectorILNS1_17partition_subalgoE9EsjbEEZZNS1_14partition_implILS5_9ELb0ES3_jN6thrust23THRUST_200600_302600_NS6detail15normal_iteratorINS9_10device_ptrIsEEEENSB_INSC_IjEEEEPNS0_10empty_typeENS0_5tupleIJNS9_16discard_iteratorINS9_11use_defaultEEESH_EEENSJ_IJSM_SI_EEENS0_18inequality_wrapperINS9_8equal_toIsEEEEPmJSH_EEE10hipError_tPvRmT3_T4_T5_T6_T7_T9_mT8_P12ihipStream_tbDpT10_ENKUlT_T0_E_clISt17integral_constantIbLb1EES1D_EEDaS18_S19_EUlS18_E_NS1_11comp_targetILNS1_3genE5ELNS1_11target_archE942ELNS1_3gpuE9ELNS1_3repE0EEENS1_30default_config_static_selectorELNS0_4arch9wavefront6targetE0EEEvT1_, .Lfunc_end1182-_ZN7rocprim17ROCPRIM_400000_NS6detail17trampoline_kernelINS0_14default_configENS1_25partition_config_selectorILNS1_17partition_subalgoE9EsjbEEZZNS1_14partition_implILS5_9ELb0ES3_jN6thrust23THRUST_200600_302600_NS6detail15normal_iteratorINS9_10device_ptrIsEEEENSB_INSC_IjEEEEPNS0_10empty_typeENS0_5tupleIJNS9_16discard_iteratorINS9_11use_defaultEEESH_EEENSJ_IJSM_SI_EEENS0_18inequality_wrapperINS9_8equal_toIsEEEEPmJSH_EEE10hipError_tPvRmT3_T4_T5_T6_T7_T9_mT8_P12ihipStream_tbDpT10_ENKUlT_T0_E_clISt17integral_constantIbLb1EES1D_EEDaS18_S19_EUlS18_E_NS1_11comp_targetILNS1_3genE5ELNS1_11target_archE942ELNS1_3gpuE9ELNS1_3repE0EEENS1_30default_config_static_selectorELNS0_4arch9wavefront6targetE0EEEvT1_
                                        ; -- End function
	.section	.AMDGPU.csdata,"",@progbits
; Kernel info:
; codeLenInByte = 0
; NumSgprs: 0
; NumVgprs: 0
; ScratchSize: 0
; MemoryBound: 0
; FloatMode: 240
; IeeeMode: 1
; LDSByteSize: 0 bytes/workgroup (compile time only)
; SGPRBlocks: 0
; VGPRBlocks: 0
; NumSGPRsForWavesPerEU: 1
; NumVGPRsForWavesPerEU: 1
; Occupancy: 16
; WaveLimiterHint : 0
; COMPUTE_PGM_RSRC2:SCRATCH_EN: 0
; COMPUTE_PGM_RSRC2:USER_SGPR: 15
; COMPUTE_PGM_RSRC2:TRAP_HANDLER: 0
; COMPUTE_PGM_RSRC2:TGID_X_EN: 1
; COMPUTE_PGM_RSRC2:TGID_Y_EN: 0
; COMPUTE_PGM_RSRC2:TGID_Z_EN: 0
; COMPUTE_PGM_RSRC2:TIDIG_COMP_CNT: 0
	.section	.text._ZN7rocprim17ROCPRIM_400000_NS6detail17trampoline_kernelINS0_14default_configENS1_25partition_config_selectorILNS1_17partition_subalgoE9EsjbEEZZNS1_14partition_implILS5_9ELb0ES3_jN6thrust23THRUST_200600_302600_NS6detail15normal_iteratorINS9_10device_ptrIsEEEENSB_INSC_IjEEEEPNS0_10empty_typeENS0_5tupleIJNS9_16discard_iteratorINS9_11use_defaultEEESH_EEENSJ_IJSM_SI_EEENS0_18inequality_wrapperINS9_8equal_toIsEEEEPmJSH_EEE10hipError_tPvRmT3_T4_T5_T6_T7_T9_mT8_P12ihipStream_tbDpT10_ENKUlT_T0_E_clISt17integral_constantIbLb1EES1D_EEDaS18_S19_EUlS18_E_NS1_11comp_targetILNS1_3genE4ELNS1_11target_archE910ELNS1_3gpuE8ELNS1_3repE0EEENS1_30default_config_static_selectorELNS0_4arch9wavefront6targetE0EEEvT1_,"axG",@progbits,_ZN7rocprim17ROCPRIM_400000_NS6detail17trampoline_kernelINS0_14default_configENS1_25partition_config_selectorILNS1_17partition_subalgoE9EsjbEEZZNS1_14partition_implILS5_9ELb0ES3_jN6thrust23THRUST_200600_302600_NS6detail15normal_iteratorINS9_10device_ptrIsEEEENSB_INSC_IjEEEEPNS0_10empty_typeENS0_5tupleIJNS9_16discard_iteratorINS9_11use_defaultEEESH_EEENSJ_IJSM_SI_EEENS0_18inequality_wrapperINS9_8equal_toIsEEEEPmJSH_EEE10hipError_tPvRmT3_T4_T5_T6_T7_T9_mT8_P12ihipStream_tbDpT10_ENKUlT_T0_E_clISt17integral_constantIbLb1EES1D_EEDaS18_S19_EUlS18_E_NS1_11comp_targetILNS1_3genE4ELNS1_11target_archE910ELNS1_3gpuE8ELNS1_3repE0EEENS1_30default_config_static_selectorELNS0_4arch9wavefront6targetE0EEEvT1_,comdat
	.protected	_ZN7rocprim17ROCPRIM_400000_NS6detail17trampoline_kernelINS0_14default_configENS1_25partition_config_selectorILNS1_17partition_subalgoE9EsjbEEZZNS1_14partition_implILS5_9ELb0ES3_jN6thrust23THRUST_200600_302600_NS6detail15normal_iteratorINS9_10device_ptrIsEEEENSB_INSC_IjEEEEPNS0_10empty_typeENS0_5tupleIJNS9_16discard_iteratorINS9_11use_defaultEEESH_EEENSJ_IJSM_SI_EEENS0_18inequality_wrapperINS9_8equal_toIsEEEEPmJSH_EEE10hipError_tPvRmT3_T4_T5_T6_T7_T9_mT8_P12ihipStream_tbDpT10_ENKUlT_T0_E_clISt17integral_constantIbLb1EES1D_EEDaS18_S19_EUlS18_E_NS1_11comp_targetILNS1_3genE4ELNS1_11target_archE910ELNS1_3gpuE8ELNS1_3repE0EEENS1_30default_config_static_selectorELNS0_4arch9wavefront6targetE0EEEvT1_ ; -- Begin function _ZN7rocprim17ROCPRIM_400000_NS6detail17trampoline_kernelINS0_14default_configENS1_25partition_config_selectorILNS1_17partition_subalgoE9EsjbEEZZNS1_14partition_implILS5_9ELb0ES3_jN6thrust23THRUST_200600_302600_NS6detail15normal_iteratorINS9_10device_ptrIsEEEENSB_INSC_IjEEEEPNS0_10empty_typeENS0_5tupleIJNS9_16discard_iteratorINS9_11use_defaultEEESH_EEENSJ_IJSM_SI_EEENS0_18inequality_wrapperINS9_8equal_toIsEEEEPmJSH_EEE10hipError_tPvRmT3_T4_T5_T6_T7_T9_mT8_P12ihipStream_tbDpT10_ENKUlT_T0_E_clISt17integral_constantIbLb1EES1D_EEDaS18_S19_EUlS18_E_NS1_11comp_targetILNS1_3genE4ELNS1_11target_archE910ELNS1_3gpuE8ELNS1_3repE0EEENS1_30default_config_static_selectorELNS0_4arch9wavefront6targetE0EEEvT1_
	.globl	_ZN7rocprim17ROCPRIM_400000_NS6detail17trampoline_kernelINS0_14default_configENS1_25partition_config_selectorILNS1_17partition_subalgoE9EsjbEEZZNS1_14partition_implILS5_9ELb0ES3_jN6thrust23THRUST_200600_302600_NS6detail15normal_iteratorINS9_10device_ptrIsEEEENSB_INSC_IjEEEEPNS0_10empty_typeENS0_5tupleIJNS9_16discard_iteratorINS9_11use_defaultEEESH_EEENSJ_IJSM_SI_EEENS0_18inequality_wrapperINS9_8equal_toIsEEEEPmJSH_EEE10hipError_tPvRmT3_T4_T5_T6_T7_T9_mT8_P12ihipStream_tbDpT10_ENKUlT_T0_E_clISt17integral_constantIbLb1EES1D_EEDaS18_S19_EUlS18_E_NS1_11comp_targetILNS1_3genE4ELNS1_11target_archE910ELNS1_3gpuE8ELNS1_3repE0EEENS1_30default_config_static_selectorELNS0_4arch9wavefront6targetE0EEEvT1_
	.p2align	8
	.type	_ZN7rocprim17ROCPRIM_400000_NS6detail17trampoline_kernelINS0_14default_configENS1_25partition_config_selectorILNS1_17partition_subalgoE9EsjbEEZZNS1_14partition_implILS5_9ELb0ES3_jN6thrust23THRUST_200600_302600_NS6detail15normal_iteratorINS9_10device_ptrIsEEEENSB_INSC_IjEEEEPNS0_10empty_typeENS0_5tupleIJNS9_16discard_iteratorINS9_11use_defaultEEESH_EEENSJ_IJSM_SI_EEENS0_18inequality_wrapperINS9_8equal_toIsEEEEPmJSH_EEE10hipError_tPvRmT3_T4_T5_T6_T7_T9_mT8_P12ihipStream_tbDpT10_ENKUlT_T0_E_clISt17integral_constantIbLb1EES1D_EEDaS18_S19_EUlS18_E_NS1_11comp_targetILNS1_3genE4ELNS1_11target_archE910ELNS1_3gpuE8ELNS1_3repE0EEENS1_30default_config_static_selectorELNS0_4arch9wavefront6targetE0EEEvT1_,@function
_ZN7rocprim17ROCPRIM_400000_NS6detail17trampoline_kernelINS0_14default_configENS1_25partition_config_selectorILNS1_17partition_subalgoE9EsjbEEZZNS1_14partition_implILS5_9ELb0ES3_jN6thrust23THRUST_200600_302600_NS6detail15normal_iteratorINS9_10device_ptrIsEEEENSB_INSC_IjEEEEPNS0_10empty_typeENS0_5tupleIJNS9_16discard_iteratorINS9_11use_defaultEEESH_EEENSJ_IJSM_SI_EEENS0_18inequality_wrapperINS9_8equal_toIsEEEEPmJSH_EEE10hipError_tPvRmT3_T4_T5_T6_T7_T9_mT8_P12ihipStream_tbDpT10_ENKUlT_T0_E_clISt17integral_constantIbLb1EES1D_EEDaS18_S19_EUlS18_E_NS1_11comp_targetILNS1_3genE4ELNS1_11target_archE910ELNS1_3gpuE8ELNS1_3repE0EEENS1_30default_config_static_selectorELNS0_4arch9wavefront6targetE0EEEvT1_: ; @_ZN7rocprim17ROCPRIM_400000_NS6detail17trampoline_kernelINS0_14default_configENS1_25partition_config_selectorILNS1_17partition_subalgoE9EsjbEEZZNS1_14partition_implILS5_9ELb0ES3_jN6thrust23THRUST_200600_302600_NS6detail15normal_iteratorINS9_10device_ptrIsEEEENSB_INSC_IjEEEEPNS0_10empty_typeENS0_5tupleIJNS9_16discard_iteratorINS9_11use_defaultEEESH_EEENSJ_IJSM_SI_EEENS0_18inequality_wrapperINS9_8equal_toIsEEEEPmJSH_EEE10hipError_tPvRmT3_T4_T5_T6_T7_T9_mT8_P12ihipStream_tbDpT10_ENKUlT_T0_E_clISt17integral_constantIbLb1EES1D_EEDaS18_S19_EUlS18_E_NS1_11comp_targetILNS1_3genE4ELNS1_11target_archE910ELNS1_3gpuE8ELNS1_3repE0EEENS1_30default_config_static_selectorELNS0_4arch9wavefront6targetE0EEEvT1_
; %bb.0:
	.section	.rodata,"a",@progbits
	.p2align	6, 0x0
	.amdhsa_kernel _ZN7rocprim17ROCPRIM_400000_NS6detail17trampoline_kernelINS0_14default_configENS1_25partition_config_selectorILNS1_17partition_subalgoE9EsjbEEZZNS1_14partition_implILS5_9ELb0ES3_jN6thrust23THRUST_200600_302600_NS6detail15normal_iteratorINS9_10device_ptrIsEEEENSB_INSC_IjEEEEPNS0_10empty_typeENS0_5tupleIJNS9_16discard_iteratorINS9_11use_defaultEEESH_EEENSJ_IJSM_SI_EEENS0_18inequality_wrapperINS9_8equal_toIsEEEEPmJSH_EEE10hipError_tPvRmT3_T4_T5_T6_T7_T9_mT8_P12ihipStream_tbDpT10_ENKUlT_T0_E_clISt17integral_constantIbLb1EES1D_EEDaS18_S19_EUlS18_E_NS1_11comp_targetILNS1_3genE4ELNS1_11target_archE910ELNS1_3gpuE8ELNS1_3repE0EEENS1_30default_config_static_selectorELNS0_4arch9wavefront6targetE0EEEvT1_
		.amdhsa_group_segment_fixed_size 0
		.amdhsa_private_segment_fixed_size 0
		.amdhsa_kernarg_size 144
		.amdhsa_user_sgpr_count 15
		.amdhsa_user_sgpr_dispatch_ptr 0
		.amdhsa_user_sgpr_queue_ptr 0
		.amdhsa_user_sgpr_kernarg_segment_ptr 1
		.amdhsa_user_sgpr_dispatch_id 0
		.amdhsa_user_sgpr_private_segment_size 0
		.amdhsa_wavefront_size32 1
		.amdhsa_uses_dynamic_stack 0
		.amdhsa_enable_private_segment 0
		.amdhsa_system_sgpr_workgroup_id_x 1
		.amdhsa_system_sgpr_workgroup_id_y 0
		.amdhsa_system_sgpr_workgroup_id_z 0
		.amdhsa_system_sgpr_workgroup_info 0
		.amdhsa_system_vgpr_workitem_id 0
		.amdhsa_next_free_vgpr 1
		.amdhsa_next_free_sgpr 1
		.amdhsa_reserve_vcc 0
		.amdhsa_float_round_mode_32 0
		.amdhsa_float_round_mode_16_64 0
		.amdhsa_float_denorm_mode_32 3
		.amdhsa_float_denorm_mode_16_64 3
		.amdhsa_dx10_clamp 1
		.amdhsa_ieee_mode 1
		.amdhsa_fp16_overflow 0
		.amdhsa_workgroup_processor_mode 1
		.amdhsa_memory_ordered 1
		.amdhsa_forward_progress 0
		.amdhsa_shared_vgpr_count 0
		.amdhsa_exception_fp_ieee_invalid_op 0
		.amdhsa_exception_fp_denorm_src 0
		.amdhsa_exception_fp_ieee_div_zero 0
		.amdhsa_exception_fp_ieee_overflow 0
		.amdhsa_exception_fp_ieee_underflow 0
		.amdhsa_exception_fp_ieee_inexact 0
		.amdhsa_exception_int_div_zero 0
	.end_amdhsa_kernel
	.section	.text._ZN7rocprim17ROCPRIM_400000_NS6detail17trampoline_kernelINS0_14default_configENS1_25partition_config_selectorILNS1_17partition_subalgoE9EsjbEEZZNS1_14partition_implILS5_9ELb0ES3_jN6thrust23THRUST_200600_302600_NS6detail15normal_iteratorINS9_10device_ptrIsEEEENSB_INSC_IjEEEEPNS0_10empty_typeENS0_5tupleIJNS9_16discard_iteratorINS9_11use_defaultEEESH_EEENSJ_IJSM_SI_EEENS0_18inequality_wrapperINS9_8equal_toIsEEEEPmJSH_EEE10hipError_tPvRmT3_T4_T5_T6_T7_T9_mT8_P12ihipStream_tbDpT10_ENKUlT_T0_E_clISt17integral_constantIbLb1EES1D_EEDaS18_S19_EUlS18_E_NS1_11comp_targetILNS1_3genE4ELNS1_11target_archE910ELNS1_3gpuE8ELNS1_3repE0EEENS1_30default_config_static_selectorELNS0_4arch9wavefront6targetE0EEEvT1_,"axG",@progbits,_ZN7rocprim17ROCPRIM_400000_NS6detail17trampoline_kernelINS0_14default_configENS1_25partition_config_selectorILNS1_17partition_subalgoE9EsjbEEZZNS1_14partition_implILS5_9ELb0ES3_jN6thrust23THRUST_200600_302600_NS6detail15normal_iteratorINS9_10device_ptrIsEEEENSB_INSC_IjEEEEPNS0_10empty_typeENS0_5tupleIJNS9_16discard_iteratorINS9_11use_defaultEEESH_EEENSJ_IJSM_SI_EEENS0_18inequality_wrapperINS9_8equal_toIsEEEEPmJSH_EEE10hipError_tPvRmT3_T4_T5_T6_T7_T9_mT8_P12ihipStream_tbDpT10_ENKUlT_T0_E_clISt17integral_constantIbLb1EES1D_EEDaS18_S19_EUlS18_E_NS1_11comp_targetILNS1_3genE4ELNS1_11target_archE910ELNS1_3gpuE8ELNS1_3repE0EEENS1_30default_config_static_selectorELNS0_4arch9wavefront6targetE0EEEvT1_,comdat
.Lfunc_end1183:
	.size	_ZN7rocprim17ROCPRIM_400000_NS6detail17trampoline_kernelINS0_14default_configENS1_25partition_config_selectorILNS1_17partition_subalgoE9EsjbEEZZNS1_14partition_implILS5_9ELb0ES3_jN6thrust23THRUST_200600_302600_NS6detail15normal_iteratorINS9_10device_ptrIsEEEENSB_INSC_IjEEEEPNS0_10empty_typeENS0_5tupleIJNS9_16discard_iteratorINS9_11use_defaultEEESH_EEENSJ_IJSM_SI_EEENS0_18inequality_wrapperINS9_8equal_toIsEEEEPmJSH_EEE10hipError_tPvRmT3_T4_T5_T6_T7_T9_mT8_P12ihipStream_tbDpT10_ENKUlT_T0_E_clISt17integral_constantIbLb1EES1D_EEDaS18_S19_EUlS18_E_NS1_11comp_targetILNS1_3genE4ELNS1_11target_archE910ELNS1_3gpuE8ELNS1_3repE0EEENS1_30default_config_static_selectorELNS0_4arch9wavefront6targetE0EEEvT1_, .Lfunc_end1183-_ZN7rocprim17ROCPRIM_400000_NS6detail17trampoline_kernelINS0_14default_configENS1_25partition_config_selectorILNS1_17partition_subalgoE9EsjbEEZZNS1_14partition_implILS5_9ELb0ES3_jN6thrust23THRUST_200600_302600_NS6detail15normal_iteratorINS9_10device_ptrIsEEEENSB_INSC_IjEEEEPNS0_10empty_typeENS0_5tupleIJNS9_16discard_iteratorINS9_11use_defaultEEESH_EEENSJ_IJSM_SI_EEENS0_18inequality_wrapperINS9_8equal_toIsEEEEPmJSH_EEE10hipError_tPvRmT3_T4_T5_T6_T7_T9_mT8_P12ihipStream_tbDpT10_ENKUlT_T0_E_clISt17integral_constantIbLb1EES1D_EEDaS18_S19_EUlS18_E_NS1_11comp_targetILNS1_3genE4ELNS1_11target_archE910ELNS1_3gpuE8ELNS1_3repE0EEENS1_30default_config_static_selectorELNS0_4arch9wavefront6targetE0EEEvT1_
                                        ; -- End function
	.section	.AMDGPU.csdata,"",@progbits
; Kernel info:
; codeLenInByte = 0
; NumSgprs: 0
; NumVgprs: 0
; ScratchSize: 0
; MemoryBound: 0
; FloatMode: 240
; IeeeMode: 1
; LDSByteSize: 0 bytes/workgroup (compile time only)
; SGPRBlocks: 0
; VGPRBlocks: 0
; NumSGPRsForWavesPerEU: 1
; NumVGPRsForWavesPerEU: 1
; Occupancy: 15
; WaveLimiterHint : 0
; COMPUTE_PGM_RSRC2:SCRATCH_EN: 0
; COMPUTE_PGM_RSRC2:USER_SGPR: 15
; COMPUTE_PGM_RSRC2:TRAP_HANDLER: 0
; COMPUTE_PGM_RSRC2:TGID_X_EN: 1
; COMPUTE_PGM_RSRC2:TGID_Y_EN: 0
; COMPUTE_PGM_RSRC2:TGID_Z_EN: 0
; COMPUTE_PGM_RSRC2:TIDIG_COMP_CNT: 0
	.section	.text._ZN7rocprim17ROCPRIM_400000_NS6detail17trampoline_kernelINS0_14default_configENS1_25partition_config_selectorILNS1_17partition_subalgoE9EsjbEEZZNS1_14partition_implILS5_9ELb0ES3_jN6thrust23THRUST_200600_302600_NS6detail15normal_iteratorINS9_10device_ptrIsEEEENSB_INSC_IjEEEEPNS0_10empty_typeENS0_5tupleIJNS9_16discard_iteratorINS9_11use_defaultEEESH_EEENSJ_IJSM_SI_EEENS0_18inequality_wrapperINS9_8equal_toIsEEEEPmJSH_EEE10hipError_tPvRmT3_T4_T5_T6_T7_T9_mT8_P12ihipStream_tbDpT10_ENKUlT_T0_E_clISt17integral_constantIbLb1EES1D_EEDaS18_S19_EUlS18_E_NS1_11comp_targetILNS1_3genE3ELNS1_11target_archE908ELNS1_3gpuE7ELNS1_3repE0EEENS1_30default_config_static_selectorELNS0_4arch9wavefront6targetE0EEEvT1_,"axG",@progbits,_ZN7rocprim17ROCPRIM_400000_NS6detail17trampoline_kernelINS0_14default_configENS1_25partition_config_selectorILNS1_17partition_subalgoE9EsjbEEZZNS1_14partition_implILS5_9ELb0ES3_jN6thrust23THRUST_200600_302600_NS6detail15normal_iteratorINS9_10device_ptrIsEEEENSB_INSC_IjEEEEPNS0_10empty_typeENS0_5tupleIJNS9_16discard_iteratorINS9_11use_defaultEEESH_EEENSJ_IJSM_SI_EEENS0_18inequality_wrapperINS9_8equal_toIsEEEEPmJSH_EEE10hipError_tPvRmT3_T4_T5_T6_T7_T9_mT8_P12ihipStream_tbDpT10_ENKUlT_T0_E_clISt17integral_constantIbLb1EES1D_EEDaS18_S19_EUlS18_E_NS1_11comp_targetILNS1_3genE3ELNS1_11target_archE908ELNS1_3gpuE7ELNS1_3repE0EEENS1_30default_config_static_selectorELNS0_4arch9wavefront6targetE0EEEvT1_,comdat
	.protected	_ZN7rocprim17ROCPRIM_400000_NS6detail17trampoline_kernelINS0_14default_configENS1_25partition_config_selectorILNS1_17partition_subalgoE9EsjbEEZZNS1_14partition_implILS5_9ELb0ES3_jN6thrust23THRUST_200600_302600_NS6detail15normal_iteratorINS9_10device_ptrIsEEEENSB_INSC_IjEEEEPNS0_10empty_typeENS0_5tupleIJNS9_16discard_iteratorINS9_11use_defaultEEESH_EEENSJ_IJSM_SI_EEENS0_18inequality_wrapperINS9_8equal_toIsEEEEPmJSH_EEE10hipError_tPvRmT3_T4_T5_T6_T7_T9_mT8_P12ihipStream_tbDpT10_ENKUlT_T0_E_clISt17integral_constantIbLb1EES1D_EEDaS18_S19_EUlS18_E_NS1_11comp_targetILNS1_3genE3ELNS1_11target_archE908ELNS1_3gpuE7ELNS1_3repE0EEENS1_30default_config_static_selectorELNS0_4arch9wavefront6targetE0EEEvT1_ ; -- Begin function _ZN7rocprim17ROCPRIM_400000_NS6detail17trampoline_kernelINS0_14default_configENS1_25partition_config_selectorILNS1_17partition_subalgoE9EsjbEEZZNS1_14partition_implILS5_9ELb0ES3_jN6thrust23THRUST_200600_302600_NS6detail15normal_iteratorINS9_10device_ptrIsEEEENSB_INSC_IjEEEEPNS0_10empty_typeENS0_5tupleIJNS9_16discard_iteratorINS9_11use_defaultEEESH_EEENSJ_IJSM_SI_EEENS0_18inequality_wrapperINS9_8equal_toIsEEEEPmJSH_EEE10hipError_tPvRmT3_T4_T5_T6_T7_T9_mT8_P12ihipStream_tbDpT10_ENKUlT_T0_E_clISt17integral_constantIbLb1EES1D_EEDaS18_S19_EUlS18_E_NS1_11comp_targetILNS1_3genE3ELNS1_11target_archE908ELNS1_3gpuE7ELNS1_3repE0EEENS1_30default_config_static_selectorELNS0_4arch9wavefront6targetE0EEEvT1_
	.globl	_ZN7rocprim17ROCPRIM_400000_NS6detail17trampoline_kernelINS0_14default_configENS1_25partition_config_selectorILNS1_17partition_subalgoE9EsjbEEZZNS1_14partition_implILS5_9ELb0ES3_jN6thrust23THRUST_200600_302600_NS6detail15normal_iteratorINS9_10device_ptrIsEEEENSB_INSC_IjEEEEPNS0_10empty_typeENS0_5tupleIJNS9_16discard_iteratorINS9_11use_defaultEEESH_EEENSJ_IJSM_SI_EEENS0_18inequality_wrapperINS9_8equal_toIsEEEEPmJSH_EEE10hipError_tPvRmT3_T4_T5_T6_T7_T9_mT8_P12ihipStream_tbDpT10_ENKUlT_T0_E_clISt17integral_constantIbLb1EES1D_EEDaS18_S19_EUlS18_E_NS1_11comp_targetILNS1_3genE3ELNS1_11target_archE908ELNS1_3gpuE7ELNS1_3repE0EEENS1_30default_config_static_selectorELNS0_4arch9wavefront6targetE0EEEvT1_
	.p2align	8
	.type	_ZN7rocprim17ROCPRIM_400000_NS6detail17trampoline_kernelINS0_14default_configENS1_25partition_config_selectorILNS1_17partition_subalgoE9EsjbEEZZNS1_14partition_implILS5_9ELb0ES3_jN6thrust23THRUST_200600_302600_NS6detail15normal_iteratorINS9_10device_ptrIsEEEENSB_INSC_IjEEEEPNS0_10empty_typeENS0_5tupleIJNS9_16discard_iteratorINS9_11use_defaultEEESH_EEENSJ_IJSM_SI_EEENS0_18inequality_wrapperINS9_8equal_toIsEEEEPmJSH_EEE10hipError_tPvRmT3_T4_T5_T6_T7_T9_mT8_P12ihipStream_tbDpT10_ENKUlT_T0_E_clISt17integral_constantIbLb1EES1D_EEDaS18_S19_EUlS18_E_NS1_11comp_targetILNS1_3genE3ELNS1_11target_archE908ELNS1_3gpuE7ELNS1_3repE0EEENS1_30default_config_static_selectorELNS0_4arch9wavefront6targetE0EEEvT1_,@function
_ZN7rocprim17ROCPRIM_400000_NS6detail17trampoline_kernelINS0_14default_configENS1_25partition_config_selectorILNS1_17partition_subalgoE9EsjbEEZZNS1_14partition_implILS5_9ELb0ES3_jN6thrust23THRUST_200600_302600_NS6detail15normal_iteratorINS9_10device_ptrIsEEEENSB_INSC_IjEEEEPNS0_10empty_typeENS0_5tupleIJNS9_16discard_iteratorINS9_11use_defaultEEESH_EEENSJ_IJSM_SI_EEENS0_18inequality_wrapperINS9_8equal_toIsEEEEPmJSH_EEE10hipError_tPvRmT3_T4_T5_T6_T7_T9_mT8_P12ihipStream_tbDpT10_ENKUlT_T0_E_clISt17integral_constantIbLb1EES1D_EEDaS18_S19_EUlS18_E_NS1_11comp_targetILNS1_3genE3ELNS1_11target_archE908ELNS1_3gpuE7ELNS1_3repE0EEENS1_30default_config_static_selectorELNS0_4arch9wavefront6targetE0EEEvT1_: ; @_ZN7rocprim17ROCPRIM_400000_NS6detail17trampoline_kernelINS0_14default_configENS1_25partition_config_selectorILNS1_17partition_subalgoE9EsjbEEZZNS1_14partition_implILS5_9ELb0ES3_jN6thrust23THRUST_200600_302600_NS6detail15normal_iteratorINS9_10device_ptrIsEEEENSB_INSC_IjEEEEPNS0_10empty_typeENS0_5tupleIJNS9_16discard_iteratorINS9_11use_defaultEEESH_EEENSJ_IJSM_SI_EEENS0_18inequality_wrapperINS9_8equal_toIsEEEEPmJSH_EEE10hipError_tPvRmT3_T4_T5_T6_T7_T9_mT8_P12ihipStream_tbDpT10_ENKUlT_T0_E_clISt17integral_constantIbLb1EES1D_EEDaS18_S19_EUlS18_E_NS1_11comp_targetILNS1_3genE3ELNS1_11target_archE908ELNS1_3gpuE7ELNS1_3repE0EEENS1_30default_config_static_selectorELNS0_4arch9wavefront6targetE0EEEvT1_
; %bb.0:
	.section	.rodata,"a",@progbits
	.p2align	6, 0x0
	.amdhsa_kernel _ZN7rocprim17ROCPRIM_400000_NS6detail17trampoline_kernelINS0_14default_configENS1_25partition_config_selectorILNS1_17partition_subalgoE9EsjbEEZZNS1_14partition_implILS5_9ELb0ES3_jN6thrust23THRUST_200600_302600_NS6detail15normal_iteratorINS9_10device_ptrIsEEEENSB_INSC_IjEEEEPNS0_10empty_typeENS0_5tupleIJNS9_16discard_iteratorINS9_11use_defaultEEESH_EEENSJ_IJSM_SI_EEENS0_18inequality_wrapperINS9_8equal_toIsEEEEPmJSH_EEE10hipError_tPvRmT3_T4_T5_T6_T7_T9_mT8_P12ihipStream_tbDpT10_ENKUlT_T0_E_clISt17integral_constantIbLb1EES1D_EEDaS18_S19_EUlS18_E_NS1_11comp_targetILNS1_3genE3ELNS1_11target_archE908ELNS1_3gpuE7ELNS1_3repE0EEENS1_30default_config_static_selectorELNS0_4arch9wavefront6targetE0EEEvT1_
		.amdhsa_group_segment_fixed_size 0
		.amdhsa_private_segment_fixed_size 0
		.amdhsa_kernarg_size 144
		.amdhsa_user_sgpr_count 15
		.amdhsa_user_sgpr_dispatch_ptr 0
		.amdhsa_user_sgpr_queue_ptr 0
		.amdhsa_user_sgpr_kernarg_segment_ptr 1
		.amdhsa_user_sgpr_dispatch_id 0
		.amdhsa_user_sgpr_private_segment_size 0
		.amdhsa_wavefront_size32 1
		.amdhsa_uses_dynamic_stack 0
		.amdhsa_enable_private_segment 0
		.amdhsa_system_sgpr_workgroup_id_x 1
		.amdhsa_system_sgpr_workgroup_id_y 0
		.amdhsa_system_sgpr_workgroup_id_z 0
		.amdhsa_system_sgpr_workgroup_info 0
		.amdhsa_system_vgpr_workitem_id 0
		.amdhsa_next_free_vgpr 1
		.amdhsa_next_free_sgpr 1
		.amdhsa_reserve_vcc 0
		.amdhsa_float_round_mode_32 0
		.amdhsa_float_round_mode_16_64 0
		.amdhsa_float_denorm_mode_32 3
		.amdhsa_float_denorm_mode_16_64 3
		.amdhsa_dx10_clamp 1
		.amdhsa_ieee_mode 1
		.amdhsa_fp16_overflow 0
		.amdhsa_workgroup_processor_mode 1
		.amdhsa_memory_ordered 1
		.amdhsa_forward_progress 0
		.amdhsa_shared_vgpr_count 0
		.amdhsa_exception_fp_ieee_invalid_op 0
		.amdhsa_exception_fp_denorm_src 0
		.amdhsa_exception_fp_ieee_div_zero 0
		.amdhsa_exception_fp_ieee_overflow 0
		.amdhsa_exception_fp_ieee_underflow 0
		.amdhsa_exception_fp_ieee_inexact 0
		.amdhsa_exception_int_div_zero 0
	.end_amdhsa_kernel
	.section	.text._ZN7rocprim17ROCPRIM_400000_NS6detail17trampoline_kernelINS0_14default_configENS1_25partition_config_selectorILNS1_17partition_subalgoE9EsjbEEZZNS1_14partition_implILS5_9ELb0ES3_jN6thrust23THRUST_200600_302600_NS6detail15normal_iteratorINS9_10device_ptrIsEEEENSB_INSC_IjEEEEPNS0_10empty_typeENS0_5tupleIJNS9_16discard_iteratorINS9_11use_defaultEEESH_EEENSJ_IJSM_SI_EEENS0_18inequality_wrapperINS9_8equal_toIsEEEEPmJSH_EEE10hipError_tPvRmT3_T4_T5_T6_T7_T9_mT8_P12ihipStream_tbDpT10_ENKUlT_T0_E_clISt17integral_constantIbLb1EES1D_EEDaS18_S19_EUlS18_E_NS1_11comp_targetILNS1_3genE3ELNS1_11target_archE908ELNS1_3gpuE7ELNS1_3repE0EEENS1_30default_config_static_selectorELNS0_4arch9wavefront6targetE0EEEvT1_,"axG",@progbits,_ZN7rocprim17ROCPRIM_400000_NS6detail17trampoline_kernelINS0_14default_configENS1_25partition_config_selectorILNS1_17partition_subalgoE9EsjbEEZZNS1_14partition_implILS5_9ELb0ES3_jN6thrust23THRUST_200600_302600_NS6detail15normal_iteratorINS9_10device_ptrIsEEEENSB_INSC_IjEEEEPNS0_10empty_typeENS0_5tupleIJNS9_16discard_iteratorINS9_11use_defaultEEESH_EEENSJ_IJSM_SI_EEENS0_18inequality_wrapperINS9_8equal_toIsEEEEPmJSH_EEE10hipError_tPvRmT3_T4_T5_T6_T7_T9_mT8_P12ihipStream_tbDpT10_ENKUlT_T0_E_clISt17integral_constantIbLb1EES1D_EEDaS18_S19_EUlS18_E_NS1_11comp_targetILNS1_3genE3ELNS1_11target_archE908ELNS1_3gpuE7ELNS1_3repE0EEENS1_30default_config_static_selectorELNS0_4arch9wavefront6targetE0EEEvT1_,comdat
.Lfunc_end1184:
	.size	_ZN7rocprim17ROCPRIM_400000_NS6detail17trampoline_kernelINS0_14default_configENS1_25partition_config_selectorILNS1_17partition_subalgoE9EsjbEEZZNS1_14partition_implILS5_9ELb0ES3_jN6thrust23THRUST_200600_302600_NS6detail15normal_iteratorINS9_10device_ptrIsEEEENSB_INSC_IjEEEEPNS0_10empty_typeENS0_5tupleIJNS9_16discard_iteratorINS9_11use_defaultEEESH_EEENSJ_IJSM_SI_EEENS0_18inequality_wrapperINS9_8equal_toIsEEEEPmJSH_EEE10hipError_tPvRmT3_T4_T5_T6_T7_T9_mT8_P12ihipStream_tbDpT10_ENKUlT_T0_E_clISt17integral_constantIbLb1EES1D_EEDaS18_S19_EUlS18_E_NS1_11comp_targetILNS1_3genE3ELNS1_11target_archE908ELNS1_3gpuE7ELNS1_3repE0EEENS1_30default_config_static_selectorELNS0_4arch9wavefront6targetE0EEEvT1_, .Lfunc_end1184-_ZN7rocprim17ROCPRIM_400000_NS6detail17trampoline_kernelINS0_14default_configENS1_25partition_config_selectorILNS1_17partition_subalgoE9EsjbEEZZNS1_14partition_implILS5_9ELb0ES3_jN6thrust23THRUST_200600_302600_NS6detail15normal_iteratorINS9_10device_ptrIsEEEENSB_INSC_IjEEEEPNS0_10empty_typeENS0_5tupleIJNS9_16discard_iteratorINS9_11use_defaultEEESH_EEENSJ_IJSM_SI_EEENS0_18inequality_wrapperINS9_8equal_toIsEEEEPmJSH_EEE10hipError_tPvRmT3_T4_T5_T6_T7_T9_mT8_P12ihipStream_tbDpT10_ENKUlT_T0_E_clISt17integral_constantIbLb1EES1D_EEDaS18_S19_EUlS18_E_NS1_11comp_targetILNS1_3genE3ELNS1_11target_archE908ELNS1_3gpuE7ELNS1_3repE0EEENS1_30default_config_static_selectorELNS0_4arch9wavefront6targetE0EEEvT1_
                                        ; -- End function
	.section	.AMDGPU.csdata,"",@progbits
; Kernel info:
; codeLenInByte = 0
; NumSgprs: 0
; NumVgprs: 0
; ScratchSize: 0
; MemoryBound: 0
; FloatMode: 240
; IeeeMode: 1
; LDSByteSize: 0 bytes/workgroup (compile time only)
; SGPRBlocks: 0
; VGPRBlocks: 0
; NumSGPRsForWavesPerEU: 1
; NumVGPRsForWavesPerEU: 1
; Occupancy: 16
; WaveLimiterHint : 0
; COMPUTE_PGM_RSRC2:SCRATCH_EN: 0
; COMPUTE_PGM_RSRC2:USER_SGPR: 15
; COMPUTE_PGM_RSRC2:TRAP_HANDLER: 0
; COMPUTE_PGM_RSRC2:TGID_X_EN: 1
; COMPUTE_PGM_RSRC2:TGID_Y_EN: 0
; COMPUTE_PGM_RSRC2:TGID_Z_EN: 0
; COMPUTE_PGM_RSRC2:TIDIG_COMP_CNT: 0
	.section	.text._ZN7rocprim17ROCPRIM_400000_NS6detail17trampoline_kernelINS0_14default_configENS1_25partition_config_selectorILNS1_17partition_subalgoE9EsjbEEZZNS1_14partition_implILS5_9ELb0ES3_jN6thrust23THRUST_200600_302600_NS6detail15normal_iteratorINS9_10device_ptrIsEEEENSB_INSC_IjEEEEPNS0_10empty_typeENS0_5tupleIJNS9_16discard_iteratorINS9_11use_defaultEEESH_EEENSJ_IJSM_SI_EEENS0_18inequality_wrapperINS9_8equal_toIsEEEEPmJSH_EEE10hipError_tPvRmT3_T4_T5_T6_T7_T9_mT8_P12ihipStream_tbDpT10_ENKUlT_T0_E_clISt17integral_constantIbLb1EES1D_EEDaS18_S19_EUlS18_E_NS1_11comp_targetILNS1_3genE2ELNS1_11target_archE906ELNS1_3gpuE6ELNS1_3repE0EEENS1_30default_config_static_selectorELNS0_4arch9wavefront6targetE0EEEvT1_,"axG",@progbits,_ZN7rocprim17ROCPRIM_400000_NS6detail17trampoline_kernelINS0_14default_configENS1_25partition_config_selectorILNS1_17partition_subalgoE9EsjbEEZZNS1_14partition_implILS5_9ELb0ES3_jN6thrust23THRUST_200600_302600_NS6detail15normal_iteratorINS9_10device_ptrIsEEEENSB_INSC_IjEEEEPNS0_10empty_typeENS0_5tupleIJNS9_16discard_iteratorINS9_11use_defaultEEESH_EEENSJ_IJSM_SI_EEENS0_18inequality_wrapperINS9_8equal_toIsEEEEPmJSH_EEE10hipError_tPvRmT3_T4_T5_T6_T7_T9_mT8_P12ihipStream_tbDpT10_ENKUlT_T0_E_clISt17integral_constantIbLb1EES1D_EEDaS18_S19_EUlS18_E_NS1_11comp_targetILNS1_3genE2ELNS1_11target_archE906ELNS1_3gpuE6ELNS1_3repE0EEENS1_30default_config_static_selectorELNS0_4arch9wavefront6targetE0EEEvT1_,comdat
	.protected	_ZN7rocprim17ROCPRIM_400000_NS6detail17trampoline_kernelINS0_14default_configENS1_25partition_config_selectorILNS1_17partition_subalgoE9EsjbEEZZNS1_14partition_implILS5_9ELb0ES3_jN6thrust23THRUST_200600_302600_NS6detail15normal_iteratorINS9_10device_ptrIsEEEENSB_INSC_IjEEEEPNS0_10empty_typeENS0_5tupleIJNS9_16discard_iteratorINS9_11use_defaultEEESH_EEENSJ_IJSM_SI_EEENS0_18inequality_wrapperINS9_8equal_toIsEEEEPmJSH_EEE10hipError_tPvRmT3_T4_T5_T6_T7_T9_mT8_P12ihipStream_tbDpT10_ENKUlT_T0_E_clISt17integral_constantIbLb1EES1D_EEDaS18_S19_EUlS18_E_NS1_11comp_targetILNS1_3genE2ELNS1_11target_archE906ELNS1_3gpuE6ELNS1_3repE0EEENS1_30default_config_static_selectorELNS0_4arch9wavefront6targetE0EEEvT1_ ; -- Begin function _ZN7rocprim17ROCPRIM_400000_NS6detail17trampoline_kernelINS0_14default_configENS1_25partition_config_selectorILNS1_17partition_subalgoE9EsjbEEZZNS1_14partition_implILS5_9ELb0ES3_jN6thrust23THRUST_200600_302600_NS6detail15normal_iteratorINS9_10device_ptrIsEEEENSB_INSC_IjEEEEPNS0_10empty_typeENS0_5tupleIJNS9_16discard_iteratorINS9_11use_defaultEEESH_EEENSJ_IJSM_SI_EEENS0_18inequality_wrapperINS9_8equal_toIsEEEEPmJSH_EEE10hipError_tPvRmT3_T4_T5_T6_T7_T9_mT8_P12ihipStream_tbDpT10_ENKUlT_T0_E_clISt17integral_constantIbLb1EES1D_EEDaS18_S19_EUlS18_E_NS1_11comp_targetILNS1_3genE2ELNS1_11target_archE906ELNS1_3gpuE6ELNS1_3repE0EEENS1_30default_config_static_selectorELNS0_4arch9wavefront6targetE0EEEvT1_
	.globl	_ZN7rocprim17ROCPRIM_400000_NS6detail17trampoline_kernelINS0_14default_configENS1_25partition_config_selectorILNS1_17partition_subalgoE9EsjbEEZZNS1_14partition_implILS5_9ELb0ES3_jN6thrust23THRUST_200600_302600_NS6detail15normal_iteratorINS9_10device_ptrIsEEEENSB_INSC_IjEEEEPNS0_10empty_typeENS0_5tupleIJNS9_16discard_iteratorINS9_11use_defaultEEESH_EEENSJ_IJSM_SI_EEENS0_18inequality_wrapperINS9_8equal_toIsEEEEPmJSH_EEE10hipError_tPvRmT3_T4_T5_T6_T7_T9_mT8_P12ihipStream_tbDpT10_ENKUlT_T0_E_clISt17integral_constantIbLb1EES1D_EEDaS18_S19_EUlS18_E_NS1_11comp_targetILNS1_3genE2ELNS1_11target_archE906ELNS1_3gpuE6ELNS1_3repE0EEENS1_30default_config_static_selectorELNS0_4arch9wavefront6targetE0EEEvT1_
	.p2align	8
	.type	_ZN7rocprim17ROCPRIM_400000_NS6detail17trampoline_kernelINS0_14default_configENS1_25partition_config_selectorILNS1_17partition_subalgoE9EsjbEEZZNS1_14partition_implILS5_9ELb0ES3_jN6thrust23THRUST_200600_302600_NS6detail15normal_iteratorINS9_10device_ptrIsEEEENSB_INSC_IjEEEEPNS0_10empty_typeENS0_5tupleIJNS9_16discard_iteratorINS9_11use_defaultEEESH_EEENSJ_IJSM_SI_EEENS0_18inequality_wrapperINS9_8equal_toIsEEEEPmJSH_EEE10hipError_tPvRmT3_T4_T5_T6_T7_T9_mT8_P12ihipStream_tbDpT10_ENKUlT_T0_E_clISt17integral_constantIbLb1EES1D_EEDaS18_S19_EUlS18_E_NS1_11comp_targetILNS1_3genE2ELNS1_11target_archE906ELNS1_3gpuE6ELNS1_3repE0EEENS1_30default_config_static_selectorELNS0_4arch9wavefront6targetE0EEEvT1_,@function
_ZN7rocprim17ROCPRIM_400000_NS6detail17trampoline_kernelINS0_14default_configENS1_25partition_config_selectorILNS1_17partition_subalgoE9EsjbEEZZNS1_14partition_implILS5_9ELb0ES3_jN6thrust23THRUST_200600_302600_NS6detail15normal_iteratorINS9_10device_ptrIsEEEENSB_INSC_IjEEEEPNS0_10empty_typeENS0_5tupleIJNS9_16discard_iteratorINS9_11use_defaultEEESH_EEENSJ_IJSM_SI_EEENS0_18inequality_wrapperINS9_8equal_toIsEEEEPmJSH_EEE10hipError_tPvRmT3_T4_T5_T6_T7_T9_mT8_P12ihipStream_tbDpT10_ENKUlT_T0_E_clISt17integral_constantIbLb1EES1D_EEDaS18_S19_EUlS18_E_NS1_11comp_targetILNS1_3genE2ELNS1_11target_archE906ELNS1_3gpuE6ELNS1_3repE0EEENS1_30default_config_static_selectorELNS0_4arch9wavefront6targetE0EEEvT1_: ; @_ZN7rocprim17ROCPRIM_400000_NS6detail17trampoline_kernelINS0_14default_configENS1_25partition_config_selectorILNS1_17partition_subalgoE9EsjbEEZZNS1_14partition_implILS5_9ELb0ES3_jN6thrust23THRUST_200600_302600_NS6detail15normal_iteratorINS9_10device_ptrIsEEEENSB_INSC_IjEEEEPNS0_10empty_typeENS0_5tupleIJNS9_16discard_iteratorINS9_11use_defaultEEESH_EEENSJ_IJSM_SI_EEENS0_18inequality_wrapperINS9_8equal_toIsEEEEPmJSH_EEE10hipError_tPvRmT3_T4_T5_T6_T7_T9_mT8_P12ihipStream_tbDpT10_ENKUlT_T0_E_clISt17integral_constantIbLb1EES1D_EEDaS18_S19_EUlS18_E_NS1_11comp_targetILNS1_3genE2ELNS1_11target_archE906ELNS1_3gpuE6ELNS1_3repE0EEENS1_30default_config_static_selectorELNS0_4arch9wavefront6targetE0EEEvT1_
; %bb.0:
	.section	.rodata,"a",@progbits
	.p2align	6, 0x0
	.amdhsa_kernel _ZN7rocprim17ROCPRIM_400000_NS6detail17trampoline_kernelINS0_14default_configENS1_25partition_config_selectorILNS1_17partition_subalgoE9EsjbEEZZNS1_14partition_implILS5_9ELb0ES3_jN6thrust23THRUST_200600_302600_NS6detail15normal_iteratorINS9_10device_ptrIsEEEENSB_INSC_IjEEEEPNS0_10empty_typeENS0_5tupleIJNS9_16discard_iteratorINS9_11use_defaultEEESH_EEENSJ_IJSM_SI_EEENS0_18inequality_wrapperINS9_8equal_toIsEEEEPmJSH_EEE10hipError_tPvRmT3_T4_T5_T6_T7_T9_mT8_P12ihipStream_tbDpT10_ENKUlT_T0_E_clISt17integral_constantIbLb1EES1D_EEDaS18_S19_EUlS18_E_NS1_11comp_targetILNS1_3genE2ELNS1_11target_archE906ELNS1_3gpuE6ELNS1_3repE0EEENS1_30default_config_static_selectorELNS0_4arch9wavefront6targetE0EEEvT1_
		.amdhsa_group_segment_fixed_size 0
		.amdhsa_private_segment_fixed_size 0
		.amdhsa_kernarg_size 144
		.amdhsa_user_sgpr_count 15
		.amdhsa_user_sgpr_dispatch_ptr 0
		.amdhsa_user_sgpr_queue_ptr 0
		.amdhsa_user_sgpr_kernarg_segment_ptr 1
		.amdhsa_user_sgpr_dispatch_id 0
		.amdhsa_user_sgpr_private_segment_size 0
		.amdhsa_wavefront_size32 1
		.amdhsa_uses_dynamic_stack 0
		.amdhsa_enable_private_segment 0
		.amdhsa_system_sgpr_workgroup_id_x 1
		.amdhsa_system_sgpr_workgroup_id_y 0
		.amdhsa_system_sgpr_workgroup_id_z 0
		.amdhsa_system_sgpr_workgroup_info 0
		.amdhsa_system_vgpr_workitem_id 0
		.amdhsa_next_free_vgpr 1
		.amdhsa_next_free_sgpr 1
		.amdhsa_reserve_vcc 0
		.amdhsa_float_round_mode_32 0
		.amdhsa_float_round_mode_16_64 0
		.amdhsa_float_denorm_mode_32 3
		.amdhsa_float_denorm_mode_16_64 3
		.amdhsa_dx10_clamp 1
		.amdhsa_ieee_mode 1
		.amdhsa_fp16_overflow 0
		.amdhsa_workgroup_processor_mode 1
		.amdhsa_memory_ordered 1
		.amdhsa_forward_progress 0
		.amdhsa_shared_vgpr_count 0
		.amdhsa_exception_fp_ieee_invalid_op 0
		.amdhsa_exception_fp_denorm_src 0
		.amdhsa_exception_fp_ieee_div_zero 0
		.amdhsa_exception_fp_ieee_overflow 0
		.amdhsa_exception_fp_ieee_underflow 0
		.amdhsa_exception_fp_ieee_inexact 0
		.amdhsa_exception_int_div_zero 0
	.end_amdhsa_kernel
	.section	.text._ZN7rocprim17ROCPRIM_400000_NS6detail17trampoline_kernelINS0_14default_configENS1_25partition_config_selectorILNS1_17partition_subalgoE9EsjbEEZZNS1_14partition_implILS5_9ELb0ES3_jN6thrust23THRUST_200600_302600_NS6detail15normal_iteratorINS9_10device_ptrIsEEEENSB_INSC_IjEEEEPNS0_10empty_typeENS0_5tupleIJNS9_16discard_iteratorINS9_11use_defaultEEESH_EEENSJ_IJSM_SI_EEENS0_18inequality_wrapperINS9_8equal_toIsEEEEPmJSH_EEE10hipError_tPvRmT3_T4_T5_T6_T7_T9_mT8_P12ihipStream_tbDpT10_ENKUlT_T0_E_clISt17integral_constantIbLb1EES1D_EEDaS18_S19_EUlS18_E_NS1_11comp_targetILNS1_3genE2ELNS1_11target_archE906ELNS1_3gpuE6ELNS1_3repE0EEENS1_30default_config_static_selectorELNS0_4arch9wavefront6targetE0EEEvT1_,"axG",@progbits,_ZN7rocprim17ROCPRIM_400000_NS6detail17trampoline_kernelINS0_14default_configENS1_25partition_config_selectorILNS1_17partition_subalgoE9EsjbEEZZNS1_14partition_implILS5_9ELb0ES3_jN6thrust23THRUST_200600_302600_NS6detail15normal_iteratorINS9_10device_ptrIsEEEENSB_INSC_IjEEEEPNS0_10empty_typeENS0_5tupleIJNS9_16discard_iteratorINS9_11use_defaultEEESH_EEENSJ_IJSM_SI_EEENS0_18inequality_wrapperINS9_8equal_toIsEEEEPmJSH_EEE10hipError_tPvRmT3_T4_T5_T6_T7_T9_mT8_P12ihipStream_tbDpT10_ENKUlT_T0_E_clISt17integral_constantIbLb1EES1D_EEDaS18_S19_EUlS18_E_NS1_11comp_targetILNS1_3genE2ELNS1_11target_archE906ELNS1_3gpuE6ELNS1_3repE0EEENS1_30default_config_static_selectorELNS0_4arch9wavefront6targetE0EEEvT1_,comdat
.Lfunc_end1185:
	.size	_ZN7rocprim17ROCPRIM_400000_NS6detail17trampoline_kernelINS0_14default_configENS1_25partition_config_selectorILNS1_17partition_subalgoE9EsjbEEZZNS1_14partition_implILS5_9ELb0ES3_jN6thrust23THRUST_200600_302600_NS6detail15normal_iteratorINS9_10device_ptrIsEEEENSB_INSC_IjEEEEPNS0_10empty_typeENS0_5tupleIJNS9_16discard_iteratorINS9_11use_defaultEEESH_EEENSJ_IJSM_SI_EEENS0_18inequality_wrapperINS9_8equal_toIsEEEEPmJSH_EEE10hipError_tPvRmT3_T4_T5_T6_T7_T9_mT8_P12ihipStream_tbDpT10_ENKUlT_T0_E_clISt17integral_constantIbLb1EES1D_EEDaS18_S19_EUlS18_E_NS1_11comp_targetILNS1_3genE2ELNS1_11target_archE906ELNS1_3gpuE6ELNS1_3repE0EEENS1_30default_config_static_selectorELNS0_4arch9wavefront6targetE0EEEvT1_, .Lfunc_end1185-_ZN7rocprim17ROCPRIM_400000_NS6detail17trampoline_kernelINS0_14default_configENS1_25partition_config_selectorILNS1_17partition_subalgoE9EsjbEEZZNS1_14partition_implILS5_9ELb0ES3_jN6thrust23THRUST_200600_302600_NS6detail15normal_iteratorINS9_10device_ptrIsEEEENSB_INSC_IjEEEEPNS0_10empty_typeENS0_5tupleIJNS9_16discard_iteratorINS9_11use_defaultEEESH_EEENSJ_IJSM_SI_EEENS0_18inequality_wrapperINS9_8equal_toIsEEEEPmJSH_EEE10hipError_tPvRmT3_T4_T5_T6_T7_T9_mT8_P12ihipStream_tbDpT10_ENKUlT_T0_E_clISt17integral_constantIbLb1EES1D_EEDaS18_S19_EUlS18_E_NS1_11comp_targetILNS1_3genE2ELNS1_11target_archE906ELNS1_3gpuE6ELNS1_3repE0EEENS1_30default_config_static_selectorELNS0_4arch9wavefront6targetE0EEEvT1_
                                        ; -- End function
	.section	.AMDGPU.csdata,"",@progbits
; Kernel info:
; codeLenInByte = 0
; NumSgprs: 0
; NumVgprs: 0
; ScratchSize: 0
; MemoryBound: 0
; FloatMode: 240
; IeeeMode: 1
; LDSByteSize: 0 bytes/workgroup (compile time only)
; SGPRBlocks: 0
; VGPRBlocks: 0
; NumSGPRsForWavesPerEU: 1
; NumVGPRsForWavesPerEU: 1
; Occupancy: 16
; WaveLimiterHint : 0
; COMPUTE_PGM_RSRC2:SCRATCH_EN: 0
; COMPUTE_PGM_RSRC2:USER_SGPR: 15
; COMPUTE_PGM_RSRC2:TRAP_HANDLER: 0
; COMPUTE_PGM_RSRC2:TGID_X_EN: 1
; COMPUTE_PGM_RSRC2:TGID_Y_EN: 0
; COMPUTE_PGM_RSRC2:TGID_Z_EN: 0
; COMPUTE_PGM_RSRC2:TIDIG_COMP_CNT: 0
	.section	.text._ZN7rocprim17ROCPRIM_400000_NS6detail17trampoline_kernelINS0_14default_configENS1_25partition_config_selectorILNS1_17partition_subalgoE9EsjbEEZZNS1_14partition_implILS5_9ELb0ES3_jN6thrust23THRUST_200600_302600_NS6detail15normal_iteratorINS9_10device_ptrIsEEEENSB_INSC_IjEEEEPNS0_10empty_typeENS0_5tupleIJNS9_16discard_iteratorINS9_11use_defaultEEESH_EEENSJ_IJSM_SI_EEENS0_18inequality_wrapperINS9_8equal_toIsEEEEPmJSH_EEE10hipError_tPvRmT3_T4_T5_T6_T7_T9_mT8_P12ihipStream_tbDpT10_ENKUlT_T0_E_clISt17integral_constantIbLb1EES1D_EEDaS18_S19_EUlS18_E_NS1_11comp_targetILNS1_3genE10ELNS1_11target_archE1200ELNS1_3gpuE4ELNS1_3repE0EEENS1_30default_config_static_selectorELNS0_4arch9wavefront6targetE0EEEvT1_,"axG",@progbits,_ZN7rocprim17ROCPRIM_400000_NS6detail17trampoline_kernelINS0_14default_configENS1_25partition_config_selectorILNS1_17partition_subalgoE9EsjbEEZZNS1_14partition_implILS5_9ELb0ES3_jN6thrust23THRUST_200600_302600_NS6detail15normal_iteratorINS9_10device_ptrIsEEEENSB_INSC_IjEEEEPNS0_10empty_typeENS0_5tupleIJNS9_16discard_iteratorINS9_11use_defaultEEESH_EEENSJ_IJSM_SI_EEENS0_18inequality_wrapperINS9_8equal_toIsEEEEPmJSH_EEE10hipError_tPvRmT3_T4_T5_T6_T7_T9_mT8_P12ihipStream_tbDpT10_ENKUlT_T0_E_clISt17integral_constantIbLb1EES1D_EEDaS18_S19_EUlS18_E_NS1_11comp_targetILNS1_3genE10ELNS1_11target_archE1200ELNS1_3gpuE4ELNS1_3repE0EEENS1_30default_config_static_selectorELNS0_4arch9wavefront6targetE0EEEvT1_,comdat
	.protected	_ZN7rocprim17ROCPRIM_400000_NS6detail17trampoline_kernelINS0_14default_configENS1_25partition_config_selectorILNS1_17partition_subalgoE9EsjbEEZZNS1_14partition_implILS5_9ELb0ES3_jN6thrust23THRUST_200600_302600_NS6detail15normal_iteratorINS9_10device_ptrIsEEEENSB_INSC_IjEEEEPNS0_10empty_typeENS0_5tupleIJNS9_16discard_iteratorINS9_11use_defaultEEESH_EEENSJ_IJSM_SI_EEENS0_18inequality_wrapperINS9_8equal_toIsEEEEPmJSH_EEE10hipError_tPvRmT3_T4_T5_T6_T7_T9_mT8_P12ihipStream_tbDpT10_ENKUlT_T0_E_clISt17integral_constantIbLb1EES1D_EEDaS18_S19_EUlS18_E_NS1_11comp_targetILNS1_3genE10ELNS1_11target_archE1200ELNS1_3gpuE4ELNS1_3repE0EEENS1_30default_config_static_selectorELNS0_4arch9wavefront6targetE0EEEvT1_ ; -- Begin function _ZN7rocprim17ROCPRIM_400000_NS6detail17trampoline_kernelINS0_14default_configENS1_25partition_config_selectorILNS1_17partition_subalgoE9EsjbEEZZNS1_14partition_implILS5_9ELb0ES3_jN6thrust23THRUST_200600_302600_NS6detail15normal_iteratorINS9_10device_ptrIsEEEENSB_INSC_IjEEEEPNS0_10empty_typeENS0_5tupleIJNS9_16discard_iteratorINS9_11use_defaultEEESH_EEENSJ_IJSM_SI_EEENS0_18inequality_wrapperINS9_8equal_toIsEEEEPmJSH_EEE10hipError_tPvRmT3_T4_T5_T6_T7_T9_mT8_P12ihipStream_tbDpT10_ENKUlT_T0_E_clISt17integral_constantIbLb1EES1D_EEDaS18_S19_EUlS18_E_NS1_11comp_targetILNS1_3genE10ELNS1_11target_archE1200ELNS1_3gpuE4ELNS1_3repE0EEENS1_30default_config_static_selectorELNS0_4arch9wavefront6targetE0EEEvT1_
	.globl	_ZN7rocprim17ROCPRIM_400000_NS6detail17trampoline_kernelINS0_14default_configENS1_25partition_config_selectorILNS1_17partition_subalgoE9EsjbEEZZNS1_14partition_implILS5_9ELb0ES3_jN6thrust23THRUST_200600_302600_NS6detail15normal_iteratorINS9_10device_ptrIsEEEENSB_INSC_IjEEEEPNS0_10empty_typeENS0_5tupleIJNS9_16discard_iteratorINS9_11use_defaultEEESH_EEENSJ_IJSM_SI_EEENS0_18inequality_wrapperINS9_8equal_toIsEEEEPmJSH_EEE10hipError_tPvRmT3_T4_T5_T6_T7_T9_mT8_P12ihipStream_tbDpT10_ENKUlT_T0_E_clISt17integral_constantIbLb1EES1D_EEDaS18_S19_EUlS18_E_NS1_11comp_targetILNS1_3genE10ELNS1_11target_archE1200ELNS1_3gpuE4ELNS1_3repE0EEENS1_30default_config_static_selectorELNS0_4arch9wavefront6targetE0EEEvT1_
	.p2align	8
	.type	_ZN7rocprim17ROCPRIM_400000_NS6detail17trampoline_kernelINS0_14default_configENS1_25partition_config_selectorILNS1_17partition_subalgoE9EsjbEEZZNS1_14partition_implILS5_9ELb0ES3_jN6thrust23THRUST_200600_302600_NS6detail15normal_iteratorINS9_10device_ptrIsEEEENSB_INSC_IjEEEEPNS0_10empty_typeENS0_5tupleIJNS9_16discard_iteratorINS9_11use_defaultEEESH_EEENSJ_IJSM_SI_EEENS0_18inequality_wrapperINS9_8equal_toIsEEEEPmJSH_EEE10hipError_tPvRmT3_T4_T5_T6_T7_T9_mT8_P12ihipStream_tbDpT10_ENKUlT_T0_E_clISt17integral_constantIbLb1EES1D_EEDaS18_S19_EUlS18_E_NS1_11comp_targetILNS1_3genE10ELNS1_11target_archE1200ELNS1_3gpuE4ELNS1_3repE0EEENS1_30default_config_static_selectorELNS0_4arch9wavefront6targetE0EEEvT1_,@function
_ZN7rocprim17ROCPRIM_400000_NS6detail17trampoline_kernelINS0_14default_configENS1_25partition_config_selectorILNS1_17partition_subalgoE9EsjbEEZZNS1_14partition_implILS5_9ELb0ES3_jN6thrust23THRUST_200600_302600_NS6detail15normal_iteratorINS9_10device_ptrIsEEEENSB_INSC_IjEEEEPNS0_10empty_typeENS0_5tupleIJNS9_16discard_iteratorINS9_11use_defaultEEESH_EEENSJ_IJSM_SI_EEENS0_18inequality_wrapperINS9_8equal_toIsEEEEPmJSH_EEE10hipError_tPvRmT3_T4_T5_T6_T7_T9_mT8_P12ihipStream_tbDpT10_ENKUlT_T0_E_clISt17integral_constantIbLb1EES1D_EEDaS18_S19_EUlS18_E_NS1_11comp_targetILNS1_3genE10ELNS1_11target_archE1200ELNS1_3gpuE4ELNS1_3repE0EEENS1_30default_config_static_selectorELNS0_4arch9wavefront6targetE0EEEvT1_: ; @_ZN7rocprim17ROCPRIM_400000_NS6detail17trampoline_kernelINS0_14default_configENS1_25partition_config_selectorILNS1_17partition_subalgoE9EsjbEEZZNS1_14partition_implILS5_9ELb0ES3_jN6thrust23THRUST_200600_302600_NS6detail15normal_iteratorINS9_10device_ptrIsEEEENSB_INSC_IjEEEEPNS0_10empty_typeENS0_5tupleIJNS9_16discard_iteratorINS9_11use_defaultEEESH_EEENSJ_IJSM_SI_EEENS0_18inequality_wrapperINS9_8equal_toIsEEEEPmJSH_EEE10hipError_tPvRmT3_T4_T5_T6_T7_T9_mT8_P12ihipStream_tbDpT10_ENKUlT_T0_E_clISt17integral_constantIbLb1EES1D_EEDaS18_S19_EUlS18_E_NS1_11comp_targetILNS1_3genE10ELNS1_11target_archE1200ELNS1_3gpuE4ELNS1_3repE0EEENS1_30default_config_static_selectorELNS0_4arch9wavefront6targetE0EEEvT1_
; %bb.0:
	.section	.rodata,"a",@progbits
	.p2align	6, 0x0
	.amdhsa_kernel _ZN7rocprim17ROCPRIM_400000_NS6detail17trampoline_kernelINS0_14default_configENS1_25partition_config_selectorILNS1_17partition_subalgoE9EsjbEEZZNS1_14partition_implILS5_9ELb0ES3_jN6thrust23THRUST_200600_302600_NS6detail15normal_iteratorINS9_10device_ptrIsEEEENSB_INSC_IjEEEEPNS0_10empty_typeENS0_5tupleIJNS9_16discard_iteratorINS9_11use_defaultEEESH_EEENSJ_IJSM_SI_EEENS0_18inequality_wrapperINS9_8equal_toIsEEEEPmJSH_EEE10hipError_tPvRmT3_T4_T5_T6_T7_T9_mT8_P12ihipStream_tbDpT10_ENKUlT_T0_E_clISt17integral_constantIbLb1EES1D_EEDaS18_S19_EUlS18_E_NS1_11comp_targetILNS1_3genE10ELNS1_11target_archE1200ELNS1_3gpuE4ELNS1_3repE0EEENS1_30default_config_static_selectorELNS0_4arch9wavefront6targetE0EEEvT1_
		.amdhsa_group_segment_fixed_size 0
		.amdhsa_private_segment_fixed_size 0
		.amdhsa_kernarg_size 144
		.amdhsa_user_sgpr_count 15
		.amdhsa_user_sgpr_dispatch_ptr 0
		.amdhsa_user_sgpr_queue_ptr 0
		.amdhsa_user_sgpr_kernarg_segment_ptr 1
		.amdhsa_user_sgpr_dispatch_id 0
		.amdhsa_user_sgpr_private_segment_size 0
		.amdhsa_wavefront_size32 1
		.amdhsa_uses_dynamic_stack 0
		.amdhsa_enable_private_segment 0
		.amdhsa_system_sgpr_workgroup_id_x 1
		.amdhsa_system_sgpr_workgroup_id_y 0
		.amdhsa_system_sgpr_workgroup_id_z 0
		.amdhsa_system_sgpr_workgroup_info 0
		.amdhsa_system_vgpr_workitem_id 0
		.amdhsa_next_free_vgpr 1
		.amdhsa_next_free_sgpr 1
		.amdhsa_reserve_vcc 0
		.amdhsa_float_round_mode_32 0
		.amdhsa_float_round_mode_16_64 0
		.amdhsa_float_denorm_mode_32 3
		.amdhsa_float_denorm_mode_16_64 3
		.amdhsa_dx10_clamp 1
		.amdhsa_ieee_mode 1
		.amdhsa_fp16_overflow 0
		.amdhsa_workgroup_processor_mode 1
		.amdhsa_memory_ordered 1
		.amdhsa_forward_progress 0
		.amdhsa_shared_vgpr_count 0
		.amdhsa_exception_fp_ieee_invalid_op 0
		.amdhsa_exception_fp_denorm_src 0
		.amdhsa_exception_fp_ieee_div_zero 0
		.amdhsa_exception_fp_ieee_overflow 0
		.amdhsa_exception_fp_ieee_underflow 0
		.amdhsa_exception_fp_ieee_inexact 0
		.amdhsa_exception_int_div_zero 0
	.end_amdhsa_kernel
	.section	.text._ZN7rocprim17ROCPRIM_400000_NS6detail17trampoline_kernelINS0_14default_configENS1_25partition_config_selectorILNS1_17partition_subalgoE9EsjbEEZZNS1_14partition_implILS5_9ELb0ES3_jN6thrust23THRUST_200600_302600_NS6detail15normal_iteratorINS9_10device_ptrIsEEEENSB_INSC_IjEEEEPNS0_10empty_typeENS0_5tupleIJNS9_16discard_iteratorINS9_11use_defaultEEESH_EEENSJ_IJSM_SI_EEENS0_18inequality_wrapperINS9_8equal_toIsEEEEPmJSH_EEE10hipError_tPvRmT3_T4_T5_T6_T7_T9_mT8_P12ihipStream_tbDpT10_ENKUlT_T0_E_clISt17integral_constantIbLb1EES1D_EEDaS18_S19_EUlS18_E_NS1_11comp_targetILNS1_3genE10ELNS1_11target_archE1200ELNS1_3gpuE4ELNS1_3repE0EEENS1_30default_config_static_selectorELNS0_4arch9wavefront6targetE0EEEvT1_,"axG",@progbits,_ZN7rocprim17ROCPRIM_400000_NS6detail17trampoline_kernelINS0_14default_configENS1_25partition_config_selectorILNS1_17partition_subalgoE9EsjbEEZZNS1_14partition_implILS5_9ELb0ES3_jN6thrust23THRUST_200600_302600_NS6detail15normal_iteratorINS9_10device_ptrIsEEEENSB_INSC_IjEEEEPNS0_10empty_typeENS0_5tupleIJNS9_16discard_iteratorINS9_11use_defaultEEESH_EEENSJ_IJSM_SI_EEENS0_18inequality_wrapperINS9_8equal_toIsEEEEPmJSH_EEE10hipError_tPvRmT3_T4_T5_T6_T7_T9_mT8_P12ihipStream_tbDpT10_ENKUlT_T0_E_clISt17integral_constantIbLb1EES1D_EEDaS18_S19_EUlS18_E_NS1_11comp_targetILNS1_3genE10ELNS1_11target_archE1200ELNS1_3gpuE4ELNS1_3repE0EEENS1_30default_config_static_selectorELNS0_4arch9wavefront6targetE0EEEvT1_,comdat
.Lfunc_end1186:
	.size	_ZN7rocprim17ROCPRIM_400000_NS6detail17trampoline_kernelINS0_14default_configENS1_25partition_config_selectorILNS1_17partition_subalgoE9EsjbEEZZNS1_14partition_implILS5_9ELb0ES3_jN6thrust23THRUST_200600_302600_NS6detail15normal_iteratorINS9_10device_ptrIsEEEENSB_INSC_IjEEEEPNS0_10empty_typeENS0_5tupleIJNS9_16discard_iteratorINS9_11use_defaultEEESH_EEENSJ_IJSM_SI_EEENS0_18inequality_wrapperINS9_8equal_toIsEEEEPmJSH_EEE10hipError_tPvRmT3_T4_T5_T6_T7_T9_mT8_P12ihipStream_tbDpT10_ENKUlT_T0_E_clISt17integral_constantIbLb1EES1D_EEDaS18_S19_EUlS18_E_NS1_11comp_targetILNS1_3genE10ELNS1_11target_archE1200ELNS1_3gpuE4ELNS1_3repE0EEENS1_30default_config_static_selectorELNS0_4arch9wavefront6targetE0EEEvT1_, .Lfunc_end1186-_ZN7rocprim17ROCPRIM_400000_NS6detail17trampoline_kernelINS0_14default_configENS1_25partition_config_selectorILNS1_17partition_subalgoE9EsjbEEZZNS1_14partition_implILS5_9ELb0ES3_jN6thrust23THRUST_200600_302600_NS6detail15normal_iteratorINS9_10device_ptrIsEEEENSB_INSC_IjEEEEPNS0_10empty_typeENS0_5tupleIJNS9_16discard_iteratorINS9_11use_defaultEEESH_EEENSJ_IJSM_SI_EEENS0_18inequality_wrapperINS9_8equal_toIsEEEEPmJSH_EEE10hipError_tPvRmT3_T4_T5_T6_T7_T9_mT8_P12ihipStream_tbDpT10_ENKUlT_T0_E_clISt17integral_constantIbLb1EES1D_EEDaS18_S19_EUlS18_E_NS1_11comp_targetILNS1_3genE10ELNS1_11target_archE1200ELNS1_3gpuE4ELNS1_3repE0EEENS1_30default_config_static_selectorELNS0_4arch9wavefront6targetE0EEEvT1_
                                        ; -- End function
	.section	.AMDGPU.csdata,"",@progbits
; Kernel info:
; codeLenInByte = 0
; NumSgprs: 0
; NumVgprs: 0
; ScratchSize: 0
; MemoryBound: 0
; FloatMode: 240
; IeeeMode: 1
; LDSByteSize: 0 bytes/workgroup (compile time only)
; SGPRBlocks: 0
; VGPRBlocks: 0
; NumSGPRsForWavesPerEU: 1
; NumVGPRsForWavesPerEU: 1
; Occupancy: 16
; WaveLimiterHint : 0
; COMPUTE_PGM_RSRC2:SCRATCH_EN: 0
; COMPUTE_PGM_RSRC2:USER_SGPR: 15
; COMPUTE_PGM_RSRC2:TRAP_HANDLER: 0
; COMPUTE_PGM_RSRC2:TGID_X_EN: 1
; COMPUTE_PGM_RSRC2:TGID_Y_EN: 0
; COMPUTE_PGM_RSRC2:TGID_Z_EN: 0
; COMPUTE_PGM_RSRC2:TIDIG_COMP_CNT: 0
	.section	.text._ZN7rocprim17ROCPRIM_400000_NS6detail17trampoline_kernelINS0_14default_configENS1_25partition_config_selectorILNS1_17partition_subalgoE9EsjbEEZZNS1_14partition_implILS5_9ELb0ES3_jN6thrust23THRUST_200600_302600_NS6detail15normal_iteratorINS9_10device_ptrIsEEEENSB_INSC_IjEEEEPNS0_10empty_typeENS0_5tupleIJNS9_16discard_iteratorINS9_11use_defaultEEESH_EEENSJ_IJSM_SI_EEENS0_18inequality_wrapperINS9_8equal_toIsEEEEPmJSH_EEE10hipError_tPvRmT3_T4_T5_T6_T7_T9_mT8_P12ihipStream_tbDpT10_ENKUlT_T0_E_clISt17integral_constantIbLb1EES1D_EEDaS18_S19_EUlS18_E_NS1_11comp_targetILNS1_3genE9ELNS1_11target_archE1100ELNS1_3gpuE3ELNS1_3repE0EEENS1_30default_config_static_selectorELNS0_4arch9wavefront6targetE0EEEvT1_,"axG",@progbits,_ZN7rocprim17ROCPRIM_400000_NS6detail17trampoline_kernelINS0_14default_configENS1_25partition_config_selectorILNS1_17partition_subalgoE9EsjbEEZZNS1_14partition_implILS5_9ELb0ES3_jN6thrust23THRUST_200600_302600_NS6detail15normal_iteratorINS9_10device_ptrIsEEEENSB_INSC_IjEEEEPNS0_10empty_typeENS0_5tupleIJNS9_16discard_iteratorINS9_11use_defaultEEESH_EEENSJ_IJSM_SI_EEENS0_18inequality_wrapperINS9_8equal_toIsEEEEPmJSH_EEE10hipError_tPvRmT3_T4_T5_T6_T7_T9_mT8_P12ihipStream_tbDpT10_ENKUlT_T0_E_clISt17integral_constantIbLb1EES1D_EEDaS18_S19_EUlS18_E_NS1_11comp_targetILNS1_3genE9ELNS1_11target_archE1100ELNS1_3gpuE3ELNS1_3repE0EEENS1_30default_config_static_selectorELNS0_4arch9wavefront6targetE0EEEvT1_,comdat
	.protected	_ZN7rocprim17ROCPRIM_400000_NS6detail17trampoline_kernelINS0_14default_configENS1_25partition_config_selectorILNS1_17partition_subalgoE9EsjbEEZZNS1_14partition_implILS5_9ELb0ES3_jN6thrust23THRUST_200600_302600_NS6detail15normal_iteratorINS9_10device_ptrIsEEEENSB_INSC_IjEEEEPNS0_10empty_typeENS0_5tupleIJNS9_16discard_iteratorINS9_11use_defaultEEESH_EEENSJ_IJSM_SI_EEENS0_18inequality_wrapperINS9_8equal_toIsEEEEPmJSH_EEE10hipError_tPvRmT3_T4_T5_T6_T7_T9_mT8_P12ihipStream_tbDpT10_ENKUlT_T0_E_clISt17integral_constantIbLb1EES1D_EEDaS18_S19_EUlS18_E_NS1_11comp_targetILNS1_3genE9ELNS1_11target_archE1100ELNS1_3gpuE3ELNS1_3repE0EEENS1_30default_config_static_selectorELNS0_4arch9wavefront6targetE0EEEvT1_ ; -- Begin function _ZN7rocprim17ROCPRIM_400000_NS6detail17trampoline_kernelINS0_14default_configENS1_25partition_config_selectorILNS1_17partition_subalgoE9EsjbEEZZNS1_14partition_implILS5_9ELb0ES3_jN6thrust23THRUST_200600_302600_NS6detail15normal_iteratorINS9_10device_ptrIsEEEENSB_INSC_IjEEEEPNS0_10empty_typeENS0_5tupleIJNS9_16discard_iteratorINS9_11use_defaultEEESH_EEENSJ_IJSM_SI_EEENS0_18inequality_wrapperINS9_8equal_toIsEEEEPmJSH_EEE10hipError_tPvRmT3_T4_T5_T6_T7_T9_mT8_P12ihipStream_tbDpT10_ENKUlT_T0_E_clISt17integral_constantIbLb1EES1D_EEDaS18_S19_EUlS18_E_NS1_11comp_targetILNS1_3genE9ELNS1_11target_archE1100ELNS1_3gpuE3ELNS1_3repE0EEENS1_30default_config_static_selectorELNS0_4arch9wavefront6targetE0EEEvT1_
	.globl	_ZN7rocprim17ROCPRIM_400000_NS6detail17trampoline_kernelINS0_14default_configENS1_25partition_config_selectorILNS1_17partition_subalgoE9EsjbEEZZNS1_14partition_implILS5_9ELb0ES3_jN6thrust23THRUST_200600_302600_NS6detail15normal_iteratorINS9_10device_ptrIsEEEENSB_INSC_IjEEEEPNS0_10empty_typeENS0_5tupleIJNS9_16discard_iteratorINS9_11use_defaultEEESH_EEENSJ_IJSM_SI_EEENS0_18inequality_wrapperINS9_8equal_toIsEEEEPmJSH_EEE10hipError_tPvRmT3_T4_T5_T6_T7_T9_mT8_P12ihipStream_tbDpT10_ENKUlT_T0_E_clISt17integral_constantIbLb1EES1D_EEDaS18_S19_EUlS18_E_NS1_11comp_targetILNS1_3genE9ELNS1_11target_archE1100ELNS1_3gpuE3ELNS1_3repE0EEENS1_30default_config_static_selectorELNS0_4arch9wavefront6targetE0EEEvT1_
	.p2align	8
	.type	_ZN7rocprim17ROCPRIM_400000_NS6detail17trampoline_kernelINS0_14default_configENS1_25partition_config_selectorILNS1_17partition_subalgoE9EsjbEEZZNS1_14partition_implILS5_9ELb0ES3_jN6thrust23THRUST_200600_302600_NS6detail15normal_iteratorINS9_10device_ptrIsEEEENSB_INSC_IjEEEEPNS0_10empty_typeENS0_5tupleIJNS9_16discard_iteratorINS9_11use_defaultEEESH_EEENSJ_IJSM_SI_EEENS0_18inequality_wrapperINS9_8equal_toIsEEEEPmJSH_EEE10hipError_tPvRmT3_T4_T5_T6_T7_T9_mT8_P12ihipStream_tbDpT10_ENKUlT_T0_E_clISt17integral_constantIbLb1EES1D_EEDaS18_S19_EUlS18_E_NS1_11comp_targetILNS1_3genE9ELNS1_11target_archE1100ELNS1_3gpuE3ELNS1_3repE0EEENS1_30default_config_static_selectorELNS0_4arch9wavefront6targetE0EEEvT1_,@function
_ZN7rocprim17ROCPRIM_400000_NS6detail17trampoline_kernelINS0_14default_configENS1_25partition_config_selectorILNS1_17partition_subalgoE9EsjbEEZZNS1_14partition_implILS5_9ELb0ES3_jN6thrust23THRUST_200600_302600_NS6detail15normal_iteratorINS9_10device_ptrIsEEEENSB_INSC_IjEEEEPNS0_10empty_typeENS0_5tupleIJNS9_16discard_iteratorINS9_11use_defaultEEESH_EEENSJ_IJSM_SI_EEENS0_18inequality_wrapperINS9_8equal_toIsEEEEPmJSH_EEE10hipError_tPvRmT3_T4_T5_T6_T7_T9_mT8_P12ihipStream_tbDpT10_ENKUlT_T0_E_clISt17integral_constantIbLb1EES1D_EEDaS18_S19_EUlS18_E_NS1_11comp_targetILNS1_3genE9ELNS1_11target_archE1100ELNS1_3gpuE3ELNS1_3repE0EEENS1_30default_config_static_selectorELNS0_4arch9wavefront6targetE0EEEvT1_: ; @_ZN7rocprim17ROCPRIM_400000_NS6detail17trampoline_kernelINS0_14default_configENS1_25partition_config_selectorILNS1_17partition_subalgoE9EsjbEEZZNS1_14partition_implILS5_9ELb0ES3_jN6thrust23THRUST_200600_302600_NS6detail15normal_iteratorINS9_10device_ptrIsEEEENSB_INSC_IjEEEEPNS0_10empty_typeENS0_5tupleIJNS9_16discard_iteratorINS9_11use_defaultEEESH_EEENSJ_IJSM_SI_EEENS0_18inequality_wrapperINS9_8equal_toIsEEEEPmJSH_EEE10hipError_tPvRmT3_T4_T5_T6_T7_T9_mT8_P12ihipStream_tbDpT10_ENKUlT_T0_E_clISt17integral_constantIbLb1EES1D_EEDaS18_S19_EUlS18_E_NS1_11comp_targetILNS1_3genE9ELNS1_11target_archE1100ELNS1_3gpuE3ELNS1_3repE0EEENS1_30default_config_static_selectorELNS0_4arch9wavefront6targetE0EEEvT1_
; %bb.0:
	s_clause 0x4
	s_load_b128 s[4:7], s[0:1], 0x8
	s_load_b64 s[8:9], s[0:1], 0x18
	s_load_b64 s[10:11], s[0:1], 0x60
	s_load_b128 s[12:15], s[0:1], 0x50
	s_load_b64 s[16:17], s[0:1], 0x70
	v_cmp_ne_u32_e64 s3, 0, v0
	v_cmp_eq_u32_e64 s2, 0, v0
	s_delay_alu instid0(VALU_DEP_1)
	s_and_saveexec_b32 s18, s2
	s_cbranch_execz .LBB1187_4
; %bb.1:
	s_mov_b32 s20, exec_lo
	s_mov_b32 s19, exec_lo
	v_mbcnt_lo_u32_b32 v1, s20, 0
                                        ; implicit-def: $vgpr2
	s_delay_alu instid0(VALU_DEP_1)
	v_cmpx_eq_u32_e32 0, v1
	s_cbranch_execz .LBB1187_3
; %bb.2:
	s_load_b64 s[22:23], s[0:1], 0x80
	s_bcnt1_i32_b32 s20, s20
	s_delay_alu instid0(SALU_CYCLE_1)
	v_dual_mov_b32 v2, 0 :: v_dual_mov_b32 v3, s20
	s_waitcnt lgkmcnt(0)
	global_atomic_add_u32 v2, v2, v3, s[22:23] glc
.LBB1187_3:
	s_or_b32 exec_lo, exec_lo, s19
	s_waitcnt vmcnt(0)
	v_readfirstlane_b32 s19, v2
	s_delay_alu instid0(VALU_DEP_1)
	v_dual_mov_b32 v2, 0 :: v_dual_add_nc_u32 v1, s19, v1
	ds_store_b32 v2, v1
.LBB1187_4:
	s_or_b32 exec_lo, exec_lo, s18
	v_mov_b32_e32 v1, 0
	s_waitcnt lgkmcnt(0)
	s_barrier
	buffer_gl0_inv
	s_load_b32 s0, s[0:1], 0x78
	ds_load_b32 v2, v1
	s_waitcnt lgkmcnt(0)
	s_barrier
	buffer_gl0_inv
	global_load_b64 v[19:20], v1, s[14:15]
	s_lshl_b64 s[14:15], s[6:7], 1
	v_lshlrev_b32_e32 v9, 1, v0
	s_add_u32 s20, s4, s14
	s_addc_u32 s21, s5, s15
	s_mov_b32 s5, 0
	s_mul_i32 s1, s0, 0x580
	v_readfirstlane_b32 s15, v2
	s_add_i32 s4, s1, s6
	s_delay_alu instid0(SALU_CYCLE_1)
	s_sub_i32 s18, s10, s4
	s_add_i32 s4, s0, -1
	s_addk_i32 s18, 0x580
	s_add_u32 s0, s6, s1
	s_addc_u32 s1, s7, 0
	s_cmp_eq_u32 s15, s4
	v_cmp_ge_u64_e64 s0, s[0:1], s[10:11]
	s_cselect_b32 s14, -1, 0
	s_mul_i32 s4, s15, 0x580
	s_delay_alu instid0(VALU_DEP_1)
	s_and_b32 s19, s0, s14
	s_lshl_b64 s[0:1], s[4:5], 1
	s_xor_b32 s10, s19, -1
	s_add_u32 s11, s20, s0
	s_addc_u32 s1, s21, s1
	s_and_b32 vcc_lo, exec_lo, s10
	s_mov_b32 s20, -1
	s_cbranch_vccz .LBB1187_6
; %bb.5:
	v_add_co_u32 v1, s0, s11, v9
	s_delay_alu instid0(VALU_DEP_1)
	v_add_co_ci_u32_e64 v2, null, s1, 0, s0
	s_mov_b32 s20, s5
	s_clause 0xa
	flat_load_u16 v3, v[1:2]
	flat_load_u16 v4, v[1:2] offset:256
	flat_load_u16 v5, v[1:2] offset:512
	;; [unrolled: 1-line block ×10, first 2 shown]
	s_waitcnt vmcnt(10) lgkmcnt(10)
	ds_store_b16 v9, v3
	s_waitcnt vmcnt(9) lgkmcnt(10)
	ds_store_b16 v9, v4 offset:256
	s_waitcnt vmcnt(8) lgkmcnt(10)
	ds_store_b16 v9, v5 offset:512
	;; [unrolled: 2-line block ×10, first 2 shown]
	s_waitcnt lgkmcnt(0)
	s_barrier
.LBB1187_6:
	v_cmp_gt_u32_e64 s0, s18, v0
	s_and_not1_b32 vcc_lo, exec_lo, s20
	s_cbranch_vccnz .LBB1187_30
; %bb.7:
                                        ; implicit-def: $vgpr1_vgpr2_vgpr3_vgpr4_vgpr5_vgpr6_vgpr7_vgpr8
	s_delay_alu instid0(VALU_DEP_1)
	s_and_saveexec_b32 s20, s0
	s_cbranch_execz .LBB1187_9
; %bb.8:
	v_add_co_u32 v1, s0, s11, v9
	s_delay_alu instid0(VALU_DEP_1)
	v_add_co_ci_u32_e64 v2, null, s1, 0, s0
	flat_load_d16_b16 v1, v[1:2]
.LBB1187_9:
	s_or_b32 exec_lo, exec_lo, s20
	v_or_b32_e32 v7, 0x80, v0
	s_mov_b32 s0, exec_lo
	s_delay_alu instid0(VALU_DEP_1)
	v_cmpx_gt_u32_e64 s18, v7
	s_cbranch_execz .LBB1187_11
; %bb.10:
	v_add_co_u32 v7, s20, s11, v9
	s_delay_alu instid0(VALU_DEP_1)
	v_add_co_ci_u32_e64 v8, null, s1, 0, s20
	s_waitcnt vmcnt(0) lgkmcnt(0)
	flat_load_d16_hi_b16 v1, v[7:8] offset:256
.LBB1187_11:
	s_or_b32 exec_lo, exec_lo, s0
	v_or_b32_e32 v7, 0x100, v0
	s_mov_b32 s0, exec_lo
	s_delay_alu instid0(VALU_DEP_1)
	v_cmpx_gt_u32_e64 s18, v7
	s_cbranch_execz .LBB1187_13
; %bb.12:
	v_add_co_u32 v7, s20, s11, v9
	s_delay_alu instid0(VALU_DEP_1)
	v_add_co_ci_u32_e64 v8, null, s1, 0, s20
	flat_load_d16_b16 v2, v[7:8] offset:512
.LBB1187_13:
	s_or_b32 exec_lo, exec_lo, s0
	v_or_b32_e32 v7, 0x180, v0
	s_mov_b32 s0, exec_lo
	s_delay_alu instid0(VALU_DEP_1)
	v_cmpx_gt_u32_e64 s18, v7
	s_cbranch_execz .LBB1187_15
; %bb.14:
	v_add_co_u32 v7, s20, s11, v9
	s_delay_alu instid0(VALU_DEP_1)
	v_add_co_ci_u32_e64 v8, null, s1, 0, s20
	s_waitcnt vmcnt(0) lgkmcnt(0)
	flat_load_d16_hi_b16 v2, v[7:8] offset:768
.LBB1187_15:
	s_or_b32 exec_lo, exec_lo, s0
	v_or_b32_e32 v7, 0x200, v0
	s_mov_b32 s0, exec_lo
	s_delay_alu instid0(VALU_DEP_1)
	v_cmpx_gt_u32_e64 s18, v7
	s_cbranch_execz .LBB1187_17
; %bb.16:
	v_add_co_u32 v7, s20, s11, v9
	s_delay_alu instid0(VALU_DEP_1)
	v_add_co_ci_u32_e64 v8, null, s1, 0, s20
	flat_load_d16_b16 v3, v[7:8] offset:1024
.LBB1187_17:
	;; [unrolled: 25-line block ×5, first 2 shown]
	s_or_b32 exec_lo, exec_lo, s0
	s_waitcnt vmcnt(0) lgkmcnt(0)
	ds_store_b16 v9, v1
	ds_store_b16_d16_hi v9, v1 offset:256
	ds_store_b16 v9, v2 offset:512
	ds_store_b16_d16_hi v9, v2 offset:768
	ds_store_b16 v9, v3 offset:1024
	;; [unrolled: 2-line block ×5, first 2 shown]
	s_waitcnt lgkmcnt(0)
	s_barrier
.LBB1187_30:
	v_mul_u32_u24_e32 v1, 11, v0
	s_waitcnt vmcnt(0)
	buffer_gl0_inv
	s_lshl_b64 s[20:21], s[6:7], 2
	s_delay_alu instid0(SALU_CYCLE_1)
	s_add_u32 s0, s8, s20
	v_lshlrev_b32_e32 v2, 1, v1
	s_addc_u32 s8, s9, s21
	s_lshl_b64 s[4:5], s[4:5], 2
	ds_load_b128 v[12:15], v2
	ds_load_u16 v37, v2 offset:16
	ds_load_u16 v36, v2 offset:18
	;; [unrolled: 1-line block ×3, first 2 shown]
	s_add_u32 s0, s0, s4
	s_addc_u32 s4, s8, s5
	s_and_b32 vcc_lo, exec_lo, s10
	s_mov_b32 s5, -1
	s_waitcnt lgkmcnt(0)
	s_barrier
	buffer_gl0_inv
	s_cbranch_vccz .LBB1187_32
; %bb.31:
	v_lshlrev_b32_e32 v7, 2, v0
	s_delay_alu instid0(VALU_DEP_1) | instskip(NEXT) | instid1(VALU_DEP_1)
	v_add_co_u32 v3, s5, s0, v7
	v_add_co_ci_u32_e64 v4, null, s4, 0, s5
	s_mov_b32 s5, 0
	s_delay_alu instid0(VALU_DEP_2) | instskip(NEXT) | instid1(VALU_DEP_2)
	v_add_co_u32 v5, vcc_lo, 0x1000, v3
	v_add_co_ci_u32_e32 v6, vcc_lo, 0, v4, vcc_lo
	s_clause 0xa
	flat_load_b32 v8, v[3:4]
	flat_load_b32 v10, v[3:4] offset:512
	flat_load_b32 v11, v[3:4] offset:1024
	;; [unrolled: 1-line block ×7, first 2 shown]
	flat_load_b32 v4, v[5:6]
	flat_load_b32 v22, v[5:6] offset:512
	flat_load_b32 v5, v[5:6] offset:1024
	s_waitcnt vmcnt(9) lgkmcnt(9)
	ds_store_2addr_stride64_b32 v7, v8, v10 offset1:2
	s_waitcnt vmcnt(7) lgkmcnt(8)
	ds_store_2addr_stride64_b32 v7, v11, v16 offset0:4 offset1:6
	s_waitcnt vmcnt(5) lgkmcnt(7)
	ds_store_2addr_stride64_b32 v7, v17, v18 offset0:8 offset1:10
	;; [unrolled: 2-line block ×4, first 2 shown]
	s_waitcnt vmcnt(0) lgkmcnt(5)
	ds_store_b32 v7, v5 offset:5120
	s_waitcnt lgkmcnt(0)
	s_barrier
.LBB1187_32:
	s_and_not1_b32 vcc_lo, exec_lo, s5
	s_cbranch_vccnz .LBB1187_56
; %bb.33:
	s_mov_b32 s5, exec_lo
                                        ; implicit-def: $vgpr3
	v_cmpx_gt_u32_e64 s18, v0
	s_cbranch_execz .LBB1187_35
; %bb.34:
	v_lshlrev_b32_e32 v3, 2, v0
	s_delay_alu instid0(VALU_DEP_1) | instskip(NEXT) | instid1(VALU_DEP_1)
	v_add_co_u32 v3, s8, s0, v3
	v_add_co_ci_u32_e64 v4, null, s4, 0, s8
	flat_load_b32 v3, v[3:4]
.LBB1187_35:
	s_or_b32 exec_lo, exec_lo, s5
	v_or_b32_e32 v4, 0x80, v0
	s_delay_alu instid0(VALU_DEP_1)
	v_cmp_gt_u32_e32 vcc_lo, s18, v4
                                        ; implicit-def: $vgpr4
	s_and_saveexec_b32 s5, vcc_lo
	s_cbranch_execz .LBB1187_37
; %bb.36:
	v_lshlrev_b32_e32 v4, 2, v0
	s_delay_alu instid0(VALU_DEP_1) | instskip(NEXT) | instid1(VALU_DEP_1)
	v_add_co_u32 v4, s8, s0, v4
	v_add_co_ci_u32_e64 v5, null, s4, 0, s8
	flat_load_b32 v4, v[4:5] offset:512
.LBB1187_37:
	s_or_b32 exec_lo, exec_lo, s5
	v_or_b32_e32 v5, 0x100, v0
	s_delay_alu instid0(VALU_DEP_1)
	v_cmp_gt_u32_e32 vcc_lo, s18, v5
                                        ; implicit-def: $vgpr5
	s_and_saveexec_b32 s5, vcc_lo
	s_cbranch_execz .LBB1187_39
; %bb.38:
	v_lshlrev_b32_e32 v5, 2, v0
	s_delay_alu instid0(VALU_DEP_1) | instskip(NEXT) | instid1(VALU_DEP_1)
	v_add_co_u32 v5, s8, s0, v5
	v_add_co_ci_u32_e64 v6, null, s4, 0, s8
	flat_load_b32 v5, v[5:6] offset:1024
.LBB1187_39:
	s_or_b32 exec_lo, exec_lo, s5
	v_or_b32_e32 v6, 0x180, v0
	s_delay_alu instid0(VALU_DEP_1)
	v_cmp_gt_u32_e32 vcc_lo, s18, v6
                                        ; implicit-def: $vgpr6
	s_and_saveexec_b32 s5, vcc_lo
	s_cbranch_execz .LBB1187_41
; %bb.40:
	v_lshlrev_b32_e32 v6, 2, v0
	s_delay_alu instid0(VALU_DEP_1) | instskip(NEXT) | instid1(VALU_DEP_1)
	v_add_co_u32 v6, s8, s0, v6
	v_add_co_ci_u32_e64 v7, null, s4, 0, s8
	flat_load_b32 v6, v[6:7] offset:1536
.LBB1187_41:
	s_or_b32 exec_lo, exec_lo, s5
	v_or_b32_e32 v7, 0x200, v0
	s_delay_alu instid0(VALU_DEP_1)
	v_cmp_gt_u32_e32 vcc_lo, s18, v7
                                        ; implicit-def: $vgpr7
	s_and_saveexec_b32 s5, vcc_lo
	s_cbranch_execz .LBB1187_43
; %bb.42:
	v_lshlrev_b32_e32 v7, 2, v0
	s_delay_alu instid0(VALU_DEP_1) | instskip(NEXT) | instid1(VALU_DEP_1)
	v_add_co_u32 v7, s8, s0, v7
	v_add_co_ci_u32_e64 v8, null, s4, 0, s8
	flat_load_b32 v7, v[7:8] offset:2048
.LBB1187_43:
	s_or_b32 exec_lo, exec_lo, s5
	v_or_b32_e32 v8, 0x280, v0
	s_delay_alu instid0(VALU_DEP_1)
	v_cmp_gt_u32_e32 vcc_lo, s18, v8
                                        ; implicit-def: $vgpr8
	s_and_saveexec_b32 s5, vcc_lo
	s_cbranch_execz .LBB1187_45
; %bb.44:
	v_lshlrev_b32_e32 v8, 2, v0
	s_delay_alu instid0(VALU_DEP_1) | instskip(NEXT) | instid1(VALU_DEP_1)
	v_add_co_u32 v10, s8, s0, v8
	v_add_co_ci_u32_e64 v11, null, s4, 0, s8
	flat_load_b32 v8, v[10:11] offset:2560
.LBB1187_45:
	s_or_b32 exec_lo, exec_lo, s5
	v_or_b32_e32 v10, 0x300, v0
	s_delay_alu instid0(VALU_DEP_1)
	v_cmp_gt_u32_e32 vcc_lo, s18, v10
                                        ; implicit-def: $vgpr10
	s_and_saveexec_b32 s5, vcc_lo
	s_cbranch_execz .LBB1187_47
; %bb.46:
	v_lshlrev_b32_e32 v10, 2, v0
	s_delay_alu instid0(VALU_DEP_1) | instskip(NEXT) | instid1(VALU_DEP_1)
	v_add_co_u32 v10, s8, s0, v10
	v_add_co_ci_u32_e64 v11, null, s4, 0, s8
	flat_load_b32 v10, v[10:11] offset:3072
.LBB1187_47:
	s_or_b32 exec_lo, exec_lo, s5
	v_or_b32_e32 v11, 0x380, v0
	s_delay_alu instid0(VALU_DEP_1)
	v_cmp_gt_u32_e32 vcc_lo, s18, v11
                                        ; implicit-def: $vgpr11
	s_and_saveexec_b32 s5, vcc_lo
	s_cbranch_execz .LBB1187_49
; %bb.48:
	v_lshlrev_b32_e32 v11, 2, v0
	s_delay_alu instid0(VALU_DEP_1) | instskip(NEXT) | instid1(VALU_DEP_1)
	v_add_co_u32 v16, s8, s0, v11
	v_add_co_ci_u32_e64 v17, null, s4, 0, s8
	flat_load_b32 v11, v[16:17] offset:3584
.LBB1187_49:
	s_or_b32 exec_lo, exec_lo, s5
	v_or_b32_e32 v17, 0x400, v0
	s_mov_b32 s5, exec_lo
                                        ; implicit-def: $vgpr16
	s_delay_alu instid0(VALU_DEP_1)
	v_cmpx_gt_u32_e64 s18, v17
	s_cbranch_execz .LBB1187_51
; %bb.50:
	v_lshlrev_b32_e32 v16, 2, v17
	s_delay_alu instid0(VALU_DEP_1) | instskip(NEXT) | instid1(VALU_DEP_1)
	v_add_co_u32 v16, s8, s0, v16
	v_add_co_ci_u32_e64 v17, null, s4, 0, s8
	flat_load_b32 v16, v[16:17]
.LBB1187_51:
	s_or_b32 exec_lo, exec_lo, s5
	v_or_b32_e32 v18, 0x480, v0
	s_mov_b32 s5, exec_lo
                                        ; implicit-def: $vgpr17
	s_delay_alu instid0(VALU_DEP_1)
	v_cmpx_gt_u32_e64 s18, v18
	s_cbranch_execz .LBB1187_53
; %bb.52:
	v_lshlrev_b32_e32 v17, 2, v18
	s_delay_alu instid0(VALU_DEP_1) | instskip(NEXT) | instid1(VALU_DEP_1)
	v_add_co_u32 v17, s8, s0, v17
	v_add_co_ci_u32_e64 v18, null, s4, 0, s8
	flat_load_b32 v17, v[17:18]
.LBB1187_53:
	s_or_b32 exec_lo, exec_lo, s5
	v_or_b32_e32 v21, 0x500, v0
	s_mov_b32 s5, exec_lo
                                        ; implicit-def: $vgpr18
	s_delay_alu instid0(VALU_DEP_1)
	v_cmpx_gt_u32_e64 s18, v21
	s_cbranch_execz .LBB1187_55
; %bb.54:
	v_lshlrev_b32_e32 v18, 2, v21
	s_delay_alu instid0(VALU_DEP_1) | instskip(NEXT) | instid1(VALU_DEP_1)
	v_add_co_u32 v21, s0, s0, v18
	v_add_co_ci_u32_e64 v22, null, s4, 0, s0
	flat_load_b32 v18, v[21:22]
.LBB1187_55:
	s_or_b32 exec_lo, exec_lo, s5
	v_mad_i32_i24 v2, 0xffffffee, v0, v2
	s_waitcnt vmcnt(0) lgkmcnt(0)
	ds_store_2addr_stride64_b32 v2, v3, v4 offset1:2
	ds_store_2addr_stride64_b32 v2, v5, v6 offset0:4 offset1:6
	ds_store_2addr_stride64_b32 v2, v7, v8 offset0:8 offset1:10
	;; [unrolled: 1-line block ×4, first 2 shown]
	ds_store_b32 v2, v18 offset:5120
	s_waitcnt lgkmcnt(0)
	s_barrier
.LBB1187_56:
	v_lshlrev_b32_e32 v43, 2, v1
	buffer_gl0_inv
	s_cmp_lg_u32 s15, 0
	v_lshrrev_b32_e32 v42, 16, v12
	s_cselect_b32 s20, -1, 0
	ds_load_2addr_b32 v[29:30], v43 offset1:1
	ds_load_2addr_b32 v[27:28], v43 offset0:2 offset1:3
	ds_load_2addr_b32 v[25:26], v43 offset0:4 offset1:5
	;; [unrolled: 1-line block ×4, first 2 shown]
	ds_load_b32 v38, v43 offset:40
	s_cmp_lg_u64 s[6:7], 0
	v_lshrrev_b32_e32 v41, 16, v13
	s_cselect_b32 s0, -1, 0
	v_lshrrev_b32_e32 v40, 16, v14
	v_lshrrev_b32_e32 v39, 16, v15
	v_add_nc_u32_e32 v5, 1, v1
	v_add_nc_u32_e32 v6, 2, v1
	;; [unrolled: 1-line block ×10, first 2 shown]
	s_or_b32 s0, s0, s20
	s_mov_b32 s21, 0
	s_and_b32 vcc_lo, exec_lo, s0
	s_waitcnt lgkmcnt(0)
	s_barrier
	buffer_gl0_inv
	s_cbranch_vccz .LBB1187_61
; %bb.57:
	v_add_co_u32 v16, s0, -2, s11
	s_delay_alu instid0(VALU_DEP_1)
	v_add_co_ci_u32_e64 v17, null, -1, s1, s0
	s_mov_b32 s1, -1
	s_and_b32 vcc_lo, exec_lo, s10
	flat_load_u16 v16, v[16:17]
	ds_store_b16 v9, v35
	s_cbranch_vccz .LBB1187_63
; %bb.58:
	s_waitcnt vmcnt(0) lgkmcnt(1)
	v_mov_b32_e32 v17, v16
	s_waitcnt lgkmcnt(0)
	s_barrier
	buffer_gl0_inv
	s_and_saveexec_b32 s0, s3
	s_cbranch_execz .LBB1187_60
; %bb.59:
	v_add_nc_u32_e32 v17, -2, v9
	ds_load_u16 v17, v17
.LBB1187_60:
	s_or_b32 exec_lo, exec_lo, s0
	v_cmp_ne_u16_e32 vcc_lo, v15, v39
	s_waitcnt lgkmcnt(0)
	v_cmp_ne_u16_e64 s0, v17, v12
	v_cndmask_b32_e64 v18, 0, 1, vcc_lo
	v_cmp_ne_u16_e32 vcc_lo, v40, v15
	s_delay_alu instid0(VALU_DEP_2) | instskip(SKIP_2) | instid1(VALU_DEP_2)
	v_lshlrev_b16 v18, 8, v18
	v_cndmask_b32_e64 v31, 0, 1, vcc_lo
	v_cmp_ne_u16_e32 vcc_lo, v14, v40
	v_or_b32_e32 v18, v31, v18
	v_cndmask_b32_e64 v32, 0, 1, vcc_lo
	v_cmp_ne_u16_e32 vcc_lo, v41, v14
	s_delay_alu instid0(VALU_DEP_3) | instskip(NEXT) | instid1(VALU_DEP_3)
	v_lshlrev_b32_e32 v18, 16, v18
	v_lshlrev_b16 v32, 8, v32
	v_cndmask_b32_e64 v34, 0, 1, vcc_lo
	v_cmp_ne_u16_e32 vcc_lo, v13, v41
	s_delay_alu instid0(VALU_DEP_2) | instskip(SKIP_2) | instid1(VALU_DEP_3)
	v_or_b32_e32 v32, v34, v32
	v_cndmask_b32_e64 v44, 0, 1, vcc_lo
	v_cmp_ne_u16_e32 vcc_lo, v42, v13
	v_and_b32_e32 v32, 0xffff, v32
	s_delay_alu instid0(VALU_DEP_3) | instskip(SKIP_2) | instid1(VALU_DEP_4)
	v_lshlrev_b16 v44, 8, v44
	v_cndmask_b32_e64 v46, 0, 1, vcc_lo
	v_cmp_ne_u16_e32 vcc_lo, v12, v42
	v_or_b32_e32 v32, v32, v18
	s_delay_alu instid0(VALU_DEP_3) | instskip(SKIP_2) | instid1(VALU_DEP_3)
	v_or_b32_e32 v44, v46, v44
	v_cndmask_b32_e64 v47, 0, 1, vcc_lo
	v_cmp_ne_u16_e32 vcc_lo, v36, v35
	v_lshlrev_b32_e32 v31, 16, v44
	s_delay_alu instid0(VALU_DEP_3) | instskip(SKIP_2) | instid1(VALU_DEP_3)
	v_lshlrev_b16 v46, 8, v47
	v_cndmask_b32_e64 v45, 0, 1, vcc_lo
	v_cmp_ne_u16_e32 vcc_lo, v37, v36
	v_and_b32_e32 v46, 0xffff, v46
	v_cndmask_b32_e64 v34, 0, 1, vcc_lo
	v_cmp_ne_u16_e32 vcc_lo, v39, v37
	s_delay_alu instid0(VALU_DEP_3)
	v_or_b32_e32 v31, v46, v31
	v_cndmask_b32_e64 v44, 0, 1, vcc_lo
	s_branch .LBB1187_67
.LBB1187_61:
                                        ; implicit-def: $sgpr0
                                        ; implicit-def: $vgpr45
                                        ; implicit-def: $vgpr34
                                        ; implicit-def: $vgpr44
                                        ; implicit-def: $vgpr32
	s_branch .LBB1187_68
.LBB1187_62:
                                        ; implicit-def: $vgpr16_vgpr17_vgpr18
	s_and_saveexec_b32 s1, s21
	s_cbranch_execnz .LBB1187_76
	s_branch .LBB1187_77
.LBB1187_63:
                                        ; implicit-def: $sgpr0
                                        ; implicit-def: $vgpr45
                                        ; implicit-def: $vgpr34
                                        ; implicit-def: $vgpr44
                                        ; implicit-def: $vgpr32
	s_and_b32 vcc_lo, exec_lo, s1
	s_cbranch_vccz .LBB1187_67
; %bb.64:
	s_waitcnt vmcnt(0) lgkmcnt(0)
	s_barrier
	buffer_gl0_inv
	s_and_saveexec_b32 s0, s3
	s_cbranch_execz .LBB1187_66
; %bb.65:
	v_add_nc_u32_e32 v9, -2, v9
	ds_load_u16 v16, v9
.LBB1187_66:
	s_or_b32 exec_lo, exec_lo, s0
	v_cmp_gt_u32_e32 vcc_lo, s18, v10
	v_cmp_ne_u16_e64 s0, v36, v35
	v_cmp_gt_u32_e64 s1, s18, v11
	v_cmp_ne_u16_e64 s4, v37, v36
	v_cmp_gt_u32_e64 s5, s18, v5
	v_cmp_ne_u16_e64 s6, v12, v42
	s_and_b32 s0, vcc_lo, s0
	v_cmp_gt_u32_e32 vcc_lo, s18, v2
	v_cndmask_b32_e64 v45, 0, 1, s0
	v_cmp_ne_u16_e64 s0, v15, v39
	s_and_b32 s1, s1, s4
	v_cmp_ne_u16_e64 s4, v40, v15
	v_cndmask_b32_e64 v34, 0, 1, s1
	v_cmp_gt_u32_e64 s1, s18, v4
	s_and_b32 s0, vcc_lo, s0
	v_cmp_gt_u32_e32 vcc_lo, s18, v7
	v_cndmask_b32_e64 v9, 0, 1, s0
	v_cmp_ne_u16_e64 s0, v14, v40
	s_and_b32 s1, s1, s4
	v_cmp_ne_u16_e64 s4, v13, v41
	v_cndmask_b32_e64 v17, 0, 1, s1
	v_cmp_gt_u32_e64 s1, s18, v3
	;; [unrolled: 8-line block ×3, first 2 shown]
	s_and_b32 s0, vcc_lo, s0
	v_lshlrev_b16 v18, 8, v18
	v_cndmask_b32_e64 v32, 0, 1, s0
	v_lshlrev_b16 v31, 8, v31
	s_and_b32 s0, s1, s4
	v_lshlrev_b16 v9, 8, v9
	v_cndmask_b32_e64 v44, 0, 1, s0
	s_and_b32 s0, s5, s6
	v_or_b32_e32 v18, v32, v18
	v_cndmask_b32_e64 v46, 0, 1, s0
	v_or_b32_e32 v9, v17, v9
	v_or_b32_e32 v31, v44, v31
	v_cmp_gt_u32_e32 vcc_lo, s18, v33
	v_cmp_ne_u16_e64 s0, v39, v37
	v_lshlrev_b16 v44, 8, v46
	v_and_b32_e32 v18, 0xffff, v18
	v_lshlrev_b32_e32 v17, 16, v31
	v_lshlrev_b32_e32 v9, 16, v9
	s_and_b32 s0, vcc_lo, s0
	v_and_b32_e32 v31, 0xffff, v44
	v_cndmask_b32_e64 v44, 0, 1, s0
	v_cmp_gt_u32_e32 vcc_lo, s18, v1
	s_waitcnt lgkmcnt(0)
	v_cmp_ne_u16_e64 s0, v16, v12
	v_or_b32_e32 v32, v18, v9
	v_or_b32_e32 v31, v31, v17
	s_delay_alu instid0(VALU_DEP_3)
	s_and_b32 s0, vcc_lo, s0
.LBB1187_67:
	s_mov_b32 s21, -1
	s_cbranch_execnz .LBB1187_62
.LBB1187_68:
	v_mad_i32_i24 v9, 0xffffffd6, v0, v43
	s_and_b32 vcc_lo, exec_lo, s10
	v_cmp_ne_u16_e64 s0, v36, v35
	v_cmp_ne_u16_e64 s9, v37, v36
	;; [unrolled: 1-line block ×10, first 2 shown]
	ds_store_b16 v9, v35
	s_cbranch_vccz .LBB1187_72
; %bb.69:
	s_waitcnt vmcnt(0) lgkmcnt(2)
	v_cndmask_b32_e64 v16, 0, 1, s11
	v_cndmask_b32_e64 v34, 0, 1, s9
	;; [unrolled: 1-line block ×5, first 2 shown]
	v_lshlrev_b16 v16, 8, v16
	v_cndmask_b32_e64 v46, 0, 1, s4
	v_cndmask_b32_e64 v44, 0, 1, s10
	;; [unrolled: 1-line block ×4, first 2 shown]
	v_lshlrev_b16 v17, 8, v17
	v_lshlrev_b16 v47, 8, v34
	v_or_b32_e32 v16, v31, v16
	v_lshlrev_b16 v31, 8, v32
	v_lshlrev_b16 v32, 8, v46
	v_or_b32_e32 v17, v18, v17
	v_or_b32_e32 v18, v44, v47
	v_and_b32_e32 v16, 0xffff, v16
	v_or_b32_e32 v31, v45, v31
	v_or_b32_e32 v32, 1, v32
	v_lshlrev_b32_e32 v17, 16, v17
	v_and_b32_e32 v18, 0xffff, v18
	v_cndmask_b32_e64 v45, 0, 1, s0
	v_lshlrev_b32_e32 v31, 16, v31
	v_and_b32_e32 v46, 0xffff, v32
	v_or_b32_e32 v32, v16, v17
	s_waitcnt lgkmcnt(0)
	v_lshl_or_b32 v18, v45, 16, v18
	s_barrier
	v_or_b32_e32 v31, v46, v31
	buffer_gl0_inv
                                        ; implicit-def: $sgpr0
	s_and_saveexec_b32 s1, s3
	s_delay_alu instid0(SALU_CYCLE_1)
	s_xor_b32 s1, exec_lo, s1
	s_cbranch_execz .LBB1187_71
; %bb.70:
	v_add_nc_u32_e32 v16, -2, v9
	s_or_b32 s21, s21, exec_lo
	ds_load_u16 v16, v16
	s_waitcnt lgkmcnt(0)
	v_cmp_ne_u16_e32 vcc_lo, v16, v12
                                        ; implicit-def: $vgpr16_vgpr17_vgpr18
	s_and_b32 s0, vcc_lo, exec_lo
.LBB1187_71:
	s_or_b32 exec_lo, exec_lo, s1
	s_branch .LBB1187_75
.LBB1187_72:
                                        ; implicit-def: $sgpr0
                                        ; implicit-def: $vgpr45
                                        ; implicit-def: $vgpr34
                                        ; implicit-def: $vgpr44
                                        ; implicit-def: $vgpr32
                                        ; implicit-def: $vgpr16_vgpr17_vgpr18
	s_cbranch_execz .LBB1187_75
; %bb.73:
	v_cmp_gt_u32_e32 vcc_lo, s18, v11
	v_cmp_ne_u16_e64 s0, v37, v36
	v_cmp_gt_u32_e64 s5, s18, v33
	v_cmp_ne_u16_e64 s6, v39, v37
	v_cmp_gt_u32_e64 s1, s18, v10
	v_cmp_ne_u16_e64 s4, v36, v35
	s_and_b32 s0, vcc_lo, s0
	v_cmp_gt_u32_e32 vcc_lo, s18, v2
	v_cndmask_b32_e64 v34, 0, 1, s0
	v_cmp_ne_u16_e64 s0, v15, v39
	s_and_b32 s5, s5, s6
	v_cmp_ne_u16_e64 s6, v40, v15
	v_cndmask_b32_e64 v44, 0, 1, s5
	v_cmp_gt_u32_e64 s5, s18, v4
	s_and_b32 s0, vcc_lo, s0
	v_cmp_gt_u32_e32 vcc_lo, s18, v7
	s_waitcnt vmcnt(0) lgkmcnt(2)
	v_cndmask_b32_e64 v16, 0, 1, s0
	v_cmp_ne_u16_e64 s0, v14, v40
	s_and_b32 s5, s5, s6
	v_cmp_ne_u16_e64 s6, v41, v14
	v_cndmask_b32_e64 v17, 0, 1, s5
	v_cmp_gt_u32_e64 s5, s18, v8
	s_and_b32 s0, vcc_lo, s0
	v_cmp_gt_u32_e32 vcc_lo, s18, v3
	v_cndmask_b32_e64 v18, 0, 1, s0
	v_cmp_ne_u16_e64 s0, v13, v41
	s_and_b32 s5, s5, s6
	v_cmp_ne_u16_e64 s6, v42, v13
	v_cndmask_b32_e64 v31, 0, 1, s5
	v_cmp_gt_u32_e64 s5, s18, v6
	s_and_b32 s0, vcc_lo, s0
	v_cmp_gt_u32_e32 vcc_lo, s18, v5
	v_cndmask_b32_e64 v32, 0, 1, s0
	v_cmp_ne_u16_e64 s0, v12, v42
	v_lshlrev_b16 v18, 8, v18
	v_lshlrev_b16 v16, 8, v16
	s_and_b32 s5, s5, s6
	v_lshlrev_b16 v47, 8, v34
	s_and_b32 s0, vcc_lo, s0
	v_cndmask_b32_e64 v45, 0, 1, s5
	v_cndmask_b32_e64 v46, 0, 1, s0
	v_or_b32_e32 v18, v31, v18
	v_or_b32_e32 v16, v17, v16
	v_lshlrev_b16 v17, 8, v32
	v_or_b32_e32 v32, v44, v47
	v_lshlrev_b16 v31, 8, v46
	s_and_b32 s0, s1, s4
	v_and_b32_e32 v18, 0xffff, v18
	v_or_b32_e32 v17, v45, v17
	v_lshlrev_b32_e32 v16, 16, v16
	v_or_b32_e32 v31, 1, v31
	v_and_b32_e32 v46, 0xffff, v32
	v_cndmask_b32_e64 v45, 0, 1, s0
	v_lshlrev_b32_e32 v17, 16, v17
	v_or_b32_e32 v32, v18, v16
	v_and_b32_e32 v31, 0xffff, v31
	s_waitcnt lgkmcnt(0)
	v_lshl_or_b32 v18, v45, 16, v46
	s_barrier
	buffer_gl0_inv
	v_or_b32_e32 v31, v31, v17
                                        ; implicit-def: $sgpr0
	s_and_saveexec_b32 s1, s3
	s_cbranch_execz .LBB1187_171
; %bb.74:
	v_add_nc_u32_e32 v9, -2, v9
	v_cmp_gt_u32_e32 vcc_lo, s18, v1
	s_or_b32 s21, s21, exec_lo
                                        ; implicit-def: $vgpr16_vgpr17_vgpr18
	ds_load_u16 v9, v9
	s_waitcnt lgkmcnt(0)
	v_cmp_ne_u16_e64 s0, v9, v12
	s_delay_alu instid0(VALU_DEP_1) | instskip(NEXT) | instid1(SALU_CYCLE_1)
	s_and_b32 s0, vcc_lo, s0
	s_and_b32 s0, s0, exec_lo
	s_or_b32 exec_lo, exec_lo, s1
.LBB1187_75:
	s_and_saveexec_b32 s1, s21
	s_cbranch_execz .LBB1187_77
.LBB1187_76:
	s_waitcnt vmcnt(0) lgkmcnt(1)
	v_lshrrev_b32_e32 v16, 24, v31
	v_lshrrev_b32_e32 v17, 16, v31
	v_lshrrev_b32_e32 v18, 8, v31
	v_cndmask_b32_e64 v9, 0, 1, s0
	v_lshlrev_b16 v31, 8, v34
	v_and_b32_e32 v34, 0xff, v44
	v_lshlrev_b16 v16, 8, v16
	v_and_b32_e32 v17, 0xff, v17
	;; [unrolled: 2-line block ×3, first 2 shown]
	v_or_b32_e32 v31, v34, v31
	s_delay_alu instid0(VALU_DEP_4) | instskip(NEXT) | instid1(VALU_DEP_4)
	v_or_b32_e32 v16, v17, v16
	v_or_b32_e32 v9, v9, v18
	s_delay_alu instid0(VALU_DEP_4) | instskip(NEXT) | instid1(VALU_DEP_4)
	v_lshlrev_b32_e32 v17, 16, v44
	v_and_b32_e32 v18, 0xffff, v31
	s_delay_alu instid0(VALU_DEP_4) | instskip(NEXT) | instid1(VALU_DEP_4)
	v_lshlrev_b32_e32 v16, 16, v16
	v_and_b32_e32 v9, 0xffff, v9
	s_delay_alu instid0(VALU_DEP_3) | instskip(NEXT) | instid1(VALU_DEP_2)
	v_or_b32_e32 v18, v18, v17
	v_or_b32_e32 v31, v9, v16
.LBB1187_77:
	s_or_b32 exec_lo, exec_lo, s1
	s_delay_alu instid0(SALU_CYCLE_1)
	s_and_not1_b32 vcc_lo, exec_lo, s19
	s_cbranch_vccnz .LBB1187_79
; %bb.78:
	v_cmp_gt_u32_e32 vcc_lo, s18, v1
	v_cmp_gt_u32_e64 s0, s18, v5
	v_and_b32_e32 v5, 0xffffff00, v32
	v_cmp_gt_u32_e64 s3, s18, v6
	v_cmp_gt_u32_e64 s5, s18, v3
	v_cndmask_b32_e32 v1, 0, v31, vcc_lo
	v_cmp_gt_u32_e32 vcc_lo, s18, v33
	v_cmp_gt_u32_e64 s1, s18, v11
	v_cmp_gt_u32_e64 s4, s18, v10
	s_delay_alu instid0(VALU_DEP_4) | instskip(NEXT) | instid1(VALU_DEP_1)
	v_and_b32_e32 v1, 0xff, v1
	v_cndmask_b32_e64 v1, v1, v31, s0
	v_cmp_gt_u32_e64 s0, s18, v8
	s_delay_alu instid0(VALU_DEP_2) | instskip(NEXT) | instid1(VALU_DEP_2)
	v_and_b32_e32 v1, 0xffff, v1
	v_cndmask_b32_e64 v5, v5, v32, s0
	s_delay_alu instid0(VALU_DEP_2) | instskip(NEXT) | instid1(VALU_DEP_2)
	v_cndmask_b32_e64 v1, v1, v31, s3
	v_and_b32_e32 v5, 0xffff00ff, v5
	v_cmp_gt_u32_e64 s3, s18, v7
	s_delay_alu instid0(VALU_DEP_3) | instskip(NEXT) | instid1(VALU_DEP_2)
	v_and_b32_e32 v1, 0xffffff, v1
	v_cndmask_b32_e64 v5, v5, v32, s3
	s_delay_alu instid0(VALU_DEP_2) | instskip(NEXT) | instid1(VALU_DEP_2)
	v_cndmask_b32_e64 v1, v1, v31, s5
	v_and_b32_e32 v3, 0xff00ffff, v5
	s_delay_alu instid0(VALU_DEP_2) | instskip(SKIP_1) | instid1(VALU_DEP_2)
	v_cndmask_b32_e64 v1, v1, v31, s0
	v_cmp_gt_u32_e64 s0, s18, v4
	v_cndmask_b32_e64 v1, v1, v31, s3
	s_delay_alu instid0(VALU_DEP_2) | instskip(SKIP_1) | instid1(VALU_DEP_3)
	v_cndmask_b32_e64 v3, v3, v32, s0
	v_cmp_gt_u32_e64 s3, s18, v2
	v_cndmask_b32_e64 v1, v1, v31, s0
	s_delay_alu instid0(VALU_DEP_3) | instskip(SKIP_1) | instid1(VALU_DEP_1)
	v_and_b32_e32 v2, 0xffffff, v3
	v_and_b32_e32 v9, 0xff000000, v18
	v_cndmask_b32_e32 v9, v9, v18, vcc_lo
	s_delay_alu instid0(VALU_DEP_1) | instskip(NEXT) | instid1(VALU_DEP_1)
	v_and_b32_e32 v9, 0xff0000ff, v9
	v_cndmask_b32_e64 v8, v9, v18, s1
	s_or_b32 s1, s4, s1
	s_delay_alu instid0(SALU_CYCLE_1) | instskip(NEXT) | instid1(VALU_DEP_1)
	s_or_b32 s0, s1, vcc_lo
	v_and_b32_e32 v6, 0xff00ffff, v8
	s_or_b32 vcc_lo, s0, s3
	v_dual_cndmask_b32 v32, v2, v32 :: v_dual_cndmask_b32 v1, v1, v31
	s_delay_alu instid0(VALU_DEP_2) | instskip(NEXT) | instid1(VALU_DEP_2)
	v_cndmask_b32_e64 v6, v6, v18, s4
	v_perm_b32 v31, v1, v1, 0x3020104
	s_delay_alu instid0(VALU_DEP_2) | instskip(SKIP_1) | instid1(VALU_DEP_2)
	v_lshrrev_b32_e32 v5, 8, v6
	v_and_b32_e32 v4, 0xff, v6
	v_lshlrev_b16 v5, 8, v5
	s_delay_alu instid0(VALU_DEP_1) | instskip(NEXT) | instid1(VALU_DEP_1)
	v_or_b32_e32 v3, v4, v5
	v_and_b32_e32 v2, 0xffff, v3
	s_delay_alu instid0(VALU_DEP_1)
	v_and_or_b32 v18, 0xff0000, v6, v2
.LBB1187_79:
	s_delay_alu instid0(VALU_DEP_1)
	v_and_b32_e32 v45, 0xff, v31
	v_bfe_u32 v46, v31, 8, 8
	v_alignbit_b32 v1, v32, v31, 24
	v_bfe_u32 v47, v31, 16, 8
	v_and_b32_e32 v48, 0xff, v32
	v_bfe_u32 v50, v32, 8, 8
	v_bfe_u32 v51, v32, 16, 8
	v_and_b32_e32 v49, 0xff, v1
	v_add3_u32 v1, v46, v45, v47
	v_lshrrev_b32_e32 v44, 24, v32
	v_mbcnt_lo_u32_b32 v54, -1, 0
	v_and_b32_e32 v52, 0xff, v18
	v_bfe_u32 v53, v18, 8, 8
	v_add3_u32 v1, v1, v49, v48
	v_bfe_u32 v3, v18, 16, 8
	v_and_b32_e32 v2, 15, v54
	v_or_b32_e32 v4, 31, v0
	v_and_b32_e32 v5, 16, v54
	v_add3_u32 v1, v1, v50, v51
	v_lshrrev_b32_e32 v55, 5, v0
	v_cmp_eq_u32_e64 s6, 0, v2
	v_cmp_lt_u32_e64 s5, 1, v2
	v_cmp_lt_u32_e64 s4, 3, v2
	v_add3_u32 v1, v1, v44, v52
	v_cmp_lt_u32_e64 s3, 7, v2
	v_cmp_eq_u32_e64 s1, 0, v5
	v_cmp_eq_u32_e64 s0, v4, v0
	s_and_b32 vcc_lo, exec_lo, s20
	v_add3_u32 v56, v1, v53, v3
	s_mov_b32 s7, -1
	s_waitcnt vmcnt(0) lgkmcnt(0)
	s_barrier
	buffer_gl0_inv
	s_cbranch_vccz .LBB1187_110
; %bb.80:
	v_mov_b32_dpp v1, v56 row_shr:1 row_mask:0xf bank_mask:0xf
	s_delay_alu instid0(VALU_DEP_1) | instskip(NEXT) | instid1(VALU_DEP_1)
	v_cndmask_b32_e64 v1, v1, 0, s6
	v_add_nc_u32_e32 v1, v1, v56
	s_delay_alu instid0(VALU_DEP_1) | instskip(NEXT) | instid1(VALU_DEP_1)
	v_mov_b32_dpp v2, v1 row_shr:2 row_mask:0xf bank_mask:0xf
	v_cndmask_b32_e64 v2, 0, v2, s5
	s_delay_alu instid0(VALU_DEP_1) | instskip(NEXT) | instid1(VALU_DEP_1)
	v_add_nc_u32_e32 v1, v1, v2
	v_mov_b32_dpp v2, v1 row_shr:4 row_mask:0xf bank_mask:0xf
	s_delay_alu instid0(VALU_DEP_1) | instskip(NEXT) | instid1(VALU_DEP_1)
	v_cndmask_b32_e64 v2, 0, v2, s4
	v_add_nc_u32_e32 v1, v1, v2
	s_delay_alu instid0(VALU_DEP_1) | instskip(NEXT) | instid1(VALU_DEP_1)
	v_mov_b32_dpp v2, v1 row_shr:8 row_mask:0xf bank_mask:0xf
	v_cndmask_b32_e64 v2, 0, v2, s3
	s_delay_alu instid0(VALU_DEP_1) | instskip(SKIP_3) | instid1(VALU_DEP_1)
	v_add_nc_u32_e32 v1, v1, v2
	ds_swizzle_b32 v2, v1 offset:swizzle(BROADCAST,32,15)
	s_waitcnt lgkmcnt(0)
	v_cndmask_b32_e64 v2, v2, 0, s1
	v_add_nc_u32_e32 v1, v1, v2
	s_and_saveexec_b32 s7, s0
	s_cbranch_execz .LBB1187_82
; %bb.81:
	v_lshlrev_b32_e32 v2, 2, v55
	ds_store_b32 v2, v1
.LBB1187_82:
	s_or_b32 exec_lo, exec_lo, s7
	s_delay_alu instid0(SALU_CYCLE_1)
	s_mov_b32 s7, exec_lo
	s_waitcnt lgkmcnt(0)
	s_barrier
	buffer_gl0_inv
	v_cmpx_gt_u32_e32 4, v0
	s_cbranch_execz .LBB1187_84
; %bb.83:
	v_and_b32_e32 v4, 3, v54
	s_delay_alu instid0(VALU_DEP_1) | instskip(SKIP_4) | instid1(VALU_DEP_1)
	v_cmp_ne_u32_e32 vcc_lo, 0, v4
	v_lshlrev_b32_e32 v2, 2, v0
	ds_load_b32 v3, v2
	s_waitcnt lgkmcnt(0)
	v_mov_b32_dpp v5, v3 row_shr:1 row_mask:0xf bank_mask:0xf
	v_cndmask_b32_e32 v5, 0, v5, vcc_lo
	v_cmp_lt_u32_e32 vcc_lo, 1, v4
	s_delay_alu instid0(VALU_DEP_2) | instskip(NEXT) | instid1(VALU_DEP_1)
	v_add_nc_u32_e32 v3, v5, v3
	v_mov_b32_dpp v5, v3 row_shr:2 row_mask:0xf bank_mask:0xf
	s_delay_alu instid0(VALU_DEP_1) | instskip(NEXT) | instid1(VALU_DEP_1)
	v_cndmask_b32_e32 v4, 0, v5, vcc_lo
	v_add_nc_u32_e32 v3, v3, v4
	ds_store_b32 v2, v3
.LBB1187_84:
	s_or_b32 exec_lo, exec_lo, s7
	v_cmp_gt_u32_e32 vcc_lo, 32, v0
	s_mov_b32 s8, exec_lo
	s_waitcnt lgkmcnt(0)
	s_barrier
	buffer_gl0_inv
                                        ; implicit-def: $vgpr9
	v_cmpx_lt_u32_e32 31, v0
	s_cbranch_execz .LBB1187_86
; %bb.85:
	v_lshl_add_u32 v2, v55, 2, -4
	ds_load_b32 v9, v2
	s_waitcnt lgkmcnt(0)
	v_add_nc_u32_e32 v1, v9, v1
.LBB1187_86:
	s_or_b32 exec_lo, exec_lo, s8
	v_add_nc_u32_e32 v2, -1, v54
	s_delay_alu instid0(VALU_DEP_1) | instskip(NEXT) | instid1(VALU_DEP_1)
	v_cmp_gt_i32_e64 s7, 0, v2
	v_cndmask_b32_e64 v2, v2, v54, s7
	v_cmp_eq_u32_e64 s7, 0, v54
	s_delay_alu instid0(VALU_DEP_2)
	v_lshlrev_b32_e32 v2, 2, v2
	ds_bpermute_b32 v10, v2, v1
	s_and_saveexec_b32 s8, vcc_lo
	s_cbranch_execz .LBB1187_109
; %bb.87:
	v_mov_b32_e32 v5, 0
	ds_load_b32 v1, v5 offset:12
	s_and_saveexec_b32 s9, s7
	s_cbranch_execz .LBB1187_89
; %bb.88:
	s_add_i32 s10, s15, 32
	s_mov_b32 s11, 0
	v_mov_b32_e32 v2, 1
	s_lshl_b64 s[10:11], s[10:11], 3
	s_delay_alu instid0(SALU_CYCLE_1)
	s_add_u32 s10, s16, s10
	s_addc_u32 s11, s17, s11
	s_waitcnt lgkmcnt(0)
	global_store_b64 v5, v[1:2], s[10:11]
.LBB1187_89:
	s_or_b32 exec_lo, exec_lo, s9
	v_xad_u32 v3, v54, -1, s15
	s_mov_b32 s10, 0
	s_mov_b32 s9, exec_lo
	s_delay_alu instid0(VALU_DEP_1) | instskip(NEXT) | instid1(VALU_DEP_1)
	v_add_nc_u32_e32 v4, 32, v3
	v_lshlrev_b64 v[4:5], 3, v[4:5]
	s_delay_alu instid0(VALU_DEP_1) | instskip(NEXT) | instid1(VALU_DEP_2)
	v_add_co_u32 v7, vcc_lo, s16, v4
	v_add_co_ci_u32_e32 v8, vcc_lo, s17, v5, vcc_lo
	global_load_b64 v[5:6], v[7:8], off glc
	s_waitcnt vmcnt(0)
	v_and_b32_e32 v2, 0xff, v6
	s_delay_alu instid0(VALU_DEP_1)
	v_cmpx_eq_u16_e32 0, v2
	s_cbranch_execz .LBB1187_95
; %bb.90:
	s_mov_b32 s11, 1
	.p2align	6
.LBB1187_91:                            ; =>This Loop Header: Depth=1
                                        ;     Child Loop BB1187_92 Depth 2
	s_delay_alu instid0(SALU_CYCLE_1)
	s_max_u32 s18, s11, 1
.LBB1187_92:                            ;   Parent Loop BB1187_91 Depth=1
                                        ; =>  This Inner Loop Header: Depth=2
	s_delay_alu instid0(SALU_CYCLE_1)
	s_add_i32 s18, s18, -1
	s_sleep 1
	s_cmp_eq_u32 s18, 0
	s_cbranch_scc0 .LBB1187_92
; %bb.93:                               ;   in Loop: Header=BB1187_91 Depth=1
	global_load_b64 v[5:6], v[7:8], off glc
	s_cmp_lt_u32 s11, 32
	s_cselect_b32 s18, -1, 0
	s_delay_alu instid0(SALU_CYCLE_1) | instskip(SKIP_3) | instid1(VALU_DEP_1)
	s_cmp_lg_u32 s18, 0
	s_addc_u32 s11, s11, 0
	s_waitcnt vmcnt(0)
	v_and_b32_e32 v2, 0xff, v6
	v_cmp_ne_u16_e32 vcc_lo, 0, v2
	s_or_b32 s10, vcc_lo, s10
	s_delay_alu instid0(SALU_CYCLE_1)
	s_and_not1_b32 exec_lo, exec_lo, s10
	s_cbranch_execnz .LBB1187_91
; %bb.94:
	s_or_b32 exec_lo, exec_lo, s10
.LBB1187_95:
	s_delay_alu instid0(SALU_CYCLE_1)
	s_or_b32 exec_lo, exec_lo, s9
	v_cmp_ne_u32_e32 vcc_lo, 31, v54
	v_lshlrev_b32_e64 v16, v54, -1
	v_add_nc_u32_e32 v33, 2, v54
	v_add_nc_u32_e32 v57, 4, v54
	;; [unrolled: 1-line block ×3, first 2 shown]
	v_add_co_ci_u32_e32 v2, vcc_lo, 0, v54, vcc_lo
	v_add_nc_u32_e32 v61, 16, v54
	s_delay_alu instid0(VALU_DEP_2)
	v_lshlrev_b32_e32 v11, 2, v2
	v_and_b32_e32 v2, 0xff, v6
	ds_bpermute_b32 v4, v11, v5
	v_cmp_eq_u16_e32 vcc_lo, 2, v2
	v_and_or_b32 v2, vcc_lo, v16, 0x80000000
	v_cmp_gt_u32_e32 vcc_lo, 30, v54
	s_delay_alu instid0(VALU_DEP_2) | instskip(SKIP_1) | instid1(VALU_DEP_2)
	v_ctz_i32_b32_e32 v2, v2
	v_cndmask_b32_e64 v7, 0, 1, vcc_lo
	v_cmp_lt_u32_e32 vcc_lo, v54, v2
	s_waitcnt lgkmcnt(0)
	s_delay_alu instid0(VALU_DEP_2) | instskip(NEXT) | instid1(VALU_DEP_1)
	v_dual_cndmask_b32 v4, 0, v4 :: v_dual_lshlrev_b32 v7, 1, v7
	v_add_lshl_u32 v17, v7, v54, 2
	v_cmp_gt_u32_e32 vcc_lo, 28, v54
	s_delay_alu instid0(VALU_DEP_3) | instskip(SKIP_4) | instid1(VALU_DEP_1)
	v_add_nc_u32_e32 v4, v4, v5
	v_cndmask_b32_e64 v7, 0, 1, vcc_lo
	v_cmp_le_u32_e32 vcc_lo, v33, v2
	ds_bpermute_b32 v5, v17, v4
	v_lshlrev_b32_e32 v7, 2, v7
	v_add_lshl_u32 v34, v7, v54, 2
	s_waitcnt lgkmcnt(0)
	v_cndmask_b32_e32 v5, 0, v5, vcc_lo
	v_cmp_gt_u32_e32 vcc_lo, 24, v54
	s_delay_alu instid0(VALU_DEP_2) | instskip(SKIP_4) | instid1(VALU_DEP_1)
	v_add_nc_u32_e32 v4, v4, v5
	v_cndmask_b32_e64 v7, 0, 1, vcc_lo
	v_cmp_le_u32_e32 vcc_lo, v57, v2
	ds_bpermute_b32 v5, v34, v4
	v_lshlrev_b32_e32 v7, 3, v7
	v_add_lshl_u32 v58, v7, v54, 2
	s_waitcnt lgkmcnt(0)
	v_cndmask_b32_e32 v5, 0, v5, vcc_lo
	v_cmp_gt_u32_e32 vcc_lo, 16, v54
	s_delay_alu instid0(VALU_DEP_2) | instskip(SKIP_4) | instid1(VALU_DEP_1)
	v_add_nc_u32_e32 v4, v4, v5
	v_cndmask_b32_e64 v7, 0, 1, vcc_lo
	v_cmp_le_u32_e32 vcc_lo, v59, v2
	ds_bpermute_b32 v5, v58, v4
	v_lshlrev_b32_e32 v7, 4, v7
	v_add_lshl_u32 v60, v7, v54, 2
	s_waitcnt lgkmcnt(0)
	v_cndmask_b32_e32 v5, 0, v5, vcc_lo
	v_cmp_le_u32_e32 vcc_lo, v61, v2
	s_delay_alu instid0(VALU_DEP_2) | instskip(SKIP_3) | instid1(VALU_DEP_1)
	v_add_nc_u32_e32 v4, v4, v5
	ds_bpermute_b32 v5, v60, v4
	s_waitcnt lgkmcnt(0)
	v_cndmask_b32_e32 v2, 0, v5, vcc_lo
	v_dual_mov_b32 v4, 0 :: v_dual_add_nc_u32 v5, v4, v2
	s_branch .LBB1187_97
.LBB1187_96:                            ;   in Loop: Header=BB1187_97 Depth=1
	s_or_b32 exec_lo, exec_lo, s9
	ds_bpermute_b32 v8, v11, v5
	v_and_b32_e32 v7, 0xff, v6
	v_subrev_nc_u32_e32 v3, 32, v3
	s_delay_alu instid0(VALU_DEP_2) | instskip(SKIP_1) | instid1(VALU_DEP_1)
	v_cmp_eq_u16_e32 vcc_lo, 2, v7
	v_and_or_b32 v7, vcc_lo, v16, 0x80000000
	v_ctz_i32_b32_e32 v7, v7
	s_delay_alu instid0(VALU_DEP_1) | instskip(SKIP_3) | instid1(VALU_DEP_2)
	v_cmp_lt_u32_e32 vcc_lo, v54, v7
	s_waitcnt lgkmcnt(0)
	v_cndmask_b32_e32 v8, 0, v8, vcc_lo
	v_cmp_le_u32_e32 vcc_lo, v33, v7
	v_add_nc_u32_e32 v5, v8, v5
	ds_bpermute_b32 v8, v17, v5
	s_waitcnt lgkmcnt(0)
	v_cndmask_b32_e32 v8, 0, v8, vcc_lo
	v_cmp_le_u32_e32 vcc_lo, v57, v7
	s_delay_alu instid0(VALU_DEP_2) | instskip(SKIP_4) | instid1(VALU_DEP_2)
	v_add_nc_u32_e32 v5, v5, v8
	ds_bpermute_b32 v8, v34, v5
	s_waitcnt lgkmcnt(0)
	v_cndmask_b32_e32 v8, 0, v8, vcc_lo
	v_cmp_le_u32_e32 vcc_lo, v59, v7
	v_add_nc_u32_e32 v5, v5, v8
	ds_bpermute_b32 v8, v58, v5
	s_waitcnt lgkmcnt(0)
	v_cndmask_b32_e32 v8, 0, v8, vcc_lo
	v_cmp_le_u32_e32 vcc_lo, v61, v7
	s_delay_alu instid0(VALU_DEP_2) | instskip(SKIP_3) | instid1(VALU_DEP_1)
	v_add_nc_u32_e32 v5, v5, v8
	ds_bpermute_b32 v8, v60, v5
	s_waitcnt lgkmcnt(0)
	v_cndmask_b32_e32 v7, 0, v8, vcc_lo
	v_add3_u32 v5, v7, v2, v5
.LBB1187_97:                            ; =>This Loop Header: Depth=1
                                        ;     Child Loop BB1187_100 Depth 2
                                        ;       Child Loop BB1187_101 Depth 3
	v_and_b32_e32 v2, 0xff, v6
	s_delay_alu instid0(VALU_DEP_1) | instskip(SKIP_2) | instid1(VALU_DEP_1)
	v_cmp_ne_u16_e32 vcc_lo, 2, v2
	v_cndmask_b32_e64 v2, 0, 1, vcc_lo
	;;#ASMSTART
	;;#ASMEND
	v_cmp_ne_u32_e32 vcc_lo, 0, v2
	v_mov_b32_e32 v2, v5
	s_cmp_lg_u32 vcc_lo, exec_lo
	s_cbranch_scc1 .LBB1187_104
; %bb.98:                               ;   in Loop: Header=BB1187_97 Depth=1
	v_lshlrev_b64 v[5:6], 3, v[3:4]
	s_mov_b32 s9, exec_lo
	s_delay_alu instid0(VALU_DEP_1) | instskip(NEXT) | instid1(VALU_DEP_2)
	v_add_co_u32 v7, vcc_lo, s16, v5
	v_add_co_ci_u32_e32 v8, vcc_lo, s17, v6, vcc_lo
	global_load_b64 v[5:6], v[7:8], off glc
	s_waitcnt vmcnt(0)
	v_and_b32_e32 v62, 0xff, v6
	s_delay_alu instid0(VALU_DEP_1)
	v_cmpx_eq_u16_e32 0, v62
	s_cbranch_execz .LBB1187_96
; %bb.99:                               ;   in Loop: Header=BB1187_97 Depth=1
	s_mov_b32 s11, 1
	s_mov_b32 s10, 0
	.p2align	6
.LBB1187_100:                           ;   Parent Loop BB1187_97 Depth=1
                                        ; =>  This Loop Header: Depth=2
                                        ;       Child Loop BB1187_101 Depth 3
	s_max_u32 s18, s11, 1
.LBB1187_101:                           ;   Parent Loop BB1187_97 Depth=1
                                        ;     Parent Loop BB1187_100 Depth=2
                                        ; =>    This Inner Loop Header: Depth=3
	s_delay_alu instid0(SALU_CYCLE_1)
	s_add_i32 s18, s18, -1
	s_sleep 1
	s_cmp_eq_u32 s18, 0
	s_cbranch_scc0 .LBB1187_101
; %bb.102:                              ;   in Loop: Header=BB1187_100 Depth=2
	global_load_b64 v[5:6], v[7:8], off glc
	s_cmp_lt_u32 s11, 32
	s_cselect_b32 s18, -1, 0
	s_delay_alu instid0(SALU_CYCLE_1) | instskip(SKIP_3) | instid1(VALU_DEP_1)
	s_cmp_lg_u32 s18, 0
	s_addc_u32 s11, s11, 0
	s_waitcnt vmcnt(0)
	v_and_b32_e32 v62, 0xff, v6
	v_cmp_ne_u16_e32 vcc_lo, 0, v62
	s_or_b32 s10, vcc_lo, s10
	s_delay_alu instid0(SALU_CYCLE_1)
	s_and_not1_b32 exec_lo, exec_lo, s10
	s_cbranch_execnz .LBB1187_100
; %bb.103:                              ;   in Loop: Header=BB1187_97 Depth=1
	s_or_b32 exec_lo, exec_lo, s10
	s_branch .LBB1187_96
.LBB1187_104:                           ;   in Loop: Header=BB1187_97 Depth=1
                                        ; implicit-def: $vgpr5
                                        ; implicit-def: $vgpr6
	s_cbranch_execz .LBB1187_97
; %bb.105:
	s_and_saveexec_b32 s9, s7
	s_cbranch_execz .LBB1187_107
; %bb.106:
	s_add_i32 s10, s15, 32
	s_mov_b32 s11, 0
	v_dual_mov_b32 v4, 2 :: v_dual_add_nc_u32 v3, v2, v1
	s_lshl_b64 s[10:11], s[10:11], 3
	v_mov_b32_e32 v5, 0
	s_add_u32 s10, s16, s10
	s_addc_u32 s11, s17, s11
	global_store_b64 v5, v[3:4], s[10:11]
	ds_store_b64 v5, v[1:2] offset:5632
.LBB1187_107:
	s_or_b32 exec_lo, exec_lo, s9
	s_delay_alu instid0(SALU_CYCLE_1)
	s_and_b32 exec_lo, exec_lo, s2
	s_cbranch_execz .LBB1187_109
; %bb.108:
	v_mov_b32_e32 v1, 0
	ds_store_b32 v1, v2 offset:12
.LBB1187_109:
	s_or_b32 exec_lo, exec_lo, s8
	v_mov_b32_e32 v11, 0
	s_waitcnt lgkmcnt(0)
	s_waitcnt_vscnt null, 0x0
	s_barrier
	buffer_gl0_inv
	v_cndmask_b32_e64 v2, v10, v9, s7
	ds_load_b32 v1, v11 offset:12
	s_waitcnt lgkmcnt(0)
	s_barrier
	buffer_gl0_inv
	v_cndmask_b32_e64 v2, v2, 0, s2
	s_delay_alu instid0(VALU_DEP_1) | instskip(NEXT) | instid1(VALU_DEP_1)
	v_add_nc_u32_e32 v1, v1, v2
	v_add_nc_u32_e32 v2, v1, v45
	ds_load_b64 v[16:17], v11 offset:5632
	v_add_nc_u32_e32 v3, v2, v46
	s_delay_alu instid0(VALU_DEP_1) | instskip(NEXT) | instid1(VALU_DEP_1)
	v_add_nc_u32_e32 v4, v3, v47
	v_add_nc_u32_e32 v5, v4, v49
	s_delay_alu instid0(VALU_DEP_1) | instskip(NEXT) | instid1(VALU_DEP_1)
	v_add_nc_u32_e32 v6, v5, v48
	;; [unrolled: 3-line block ×4, first 2 shown]
	v_add_nc_u32_e32 v11, v10, v53
	v_lshrrev_b64 v[33:34], 24, v[31:32]
	s_branch .LBB1187_120
.LBB1187_110:
                                        ; implicit-def: $vgpr17
                                        ; implicit-def: $vgpr1_vgpr2_vgpr3_vgpr4_vgpr5_vgpr6_vgpr7_vgpr8_vgpr9_vgpr10_vgpr11
	v_lshrrev_b64 v[33:34], 24, v[31:32]
	s_and_b32 vcc_lo, exec_lo, s7
	s_cbranch_vccz .LBB1187_120
; %bb.111:
	v_mov_b32_dpp v1, v56 row_shr:1 row_mask:0xf bank_mask:0xf
	s_delay_alu instid0(VALU_DEP_1) | instskip(NEXT) | instid1(VALU_DEP_1)
	v_cndmask_b32_e64 v1, v1, 0, s6
	v_add_nc_u32_e32 v1, v1, v56
	s_delay_alu instid0(VALU_DEP_1) | instskip(NEXT) | instid1(VALU_DEP_1)
	v_mov_b32_dpp v2, v1 row_shr:2 row_mask:0xf bank_mask:0xf
	v_cndmask_b32_e64 v2, 0, v2, s5
	s_delay_alu instid0(VALU_DEP_1) | instskip(NEXT) | instid1(VALU_DEP_1)
	v_add_nc_u32_e32 v1, v1, v2
	v_mov_b32_dpp v2, v1 row_shr:4 row_mask:0xf bank_mask:0xf
	s_delay_alu instid0(VALU_DEP_1) | instskip(NEXT) | instid1(VALU_DEP_1)
	v_cndmask_b32_e64 v2, 0, v2, s4
	v_add_nc_u32_e32 v1, v1, v2
	s_delay_alu instid0(VALU_DEP_1) | instskip(NEXT) | instid1(VALU_DEP_1)
	v_mov_b32_dpp v2, v1 row_shr:8 row_mask:0xf bank_mask:0xf
	v_cndmask_b32_e64 v2, 0, v2, s3
	s_delay_alu instid0(VALU_DEP_1) | instskip(SKIP_3) | instid1(VALU_DEP_1)
	v_add_nc_u32_e32 v1, v1, v2
	ds_swizzle_b32 v2, v1 offset:swizzle(BROADCAST,32,15)
	s_waitcnt lgkmcnt(0)
	v_cndmask_b32_e64 v2, v2, 0, s1
	v_add_nc_u32_e32 v1, v1, v2
	s_and_saveexec_b32 s1, s0
	s_cbranch_execz .LBB1187_113
; %bb.112:
	v_lshlrev_b32_e32 v2, 2, v55
	ds_store_b32 v2, v1
.LBB1187_113:
	s_or_b32 exec_lo, exec_lo, s1
	s_delay_alu instid0(SALU_CYCLE_1)
	s_mov_b32 s0, exec_lo
	s_waitcnt lgkmcnt(0)
	s_barrier
	buffer_gl0_inv
	v_cmpx_gt_u32_e32 4, v0
	s_cbranch_execz .LBB1187_115
; %bb.114:
	v_mad_i32_i24 v2, 0xffffffd8, v0, v43
	ds_load_b32 v3, v2
	s_waitcnt lgkmcnt(0)
	v_mov_b32_dpp v5, v3 row_shr:1 row_mask:0xf bank_mask:0xf
	v_and_b32_e32 v4, 3, v54
	s_delay_alu instid0(VALU_DEP_1) | instskip(NEXT) | instid1(VALU_DEP_3)
	v_cmp_ne_u32_e32 vcc_lo, 0, v4
	v_cndmask_b32_e32 v5, 0, v5, vcc_lo
	v_cmp_lt_u32_e32 vcc_lo, 1, v4
	s_delay_alu instid0(VALU_DEP_2) | instskip(NEXT) | instid1(VALU_DEP_1)
	v_add_nc_u32_e32 v3, v5, v3
	v_mov_b32_dpp v5, v3 row_shr:2 row_mask:0xf bank_mask:0xf
	s_delay_alu instid0(VALU_DEP_1) | instskip(NEXT) | instid1(VALU_DEP_1)
	v_cndmask_b32_e32 v4, 0, v5, vcc_lo
	v_add_nc_u32_e32 v3, v3, v4
	ds_store_b32 v2, v3
.LBB1187_115:
	s_or_b32 exec_lo, exec_lo, s0
	v_cmp_lt_u32_e32 vcc_lo, 31, v0
	v_mov_b32_e32 v2, 0
	v_mov_b32_e32 v0, 0
	s_waitcnt lgkmcnt(0)
	s_barrier
	buffer_gl0_inv
	s_and_saveexec_b32 s0, vcc_lo
	s_cbranch_execz .LBB1187_117
; %bb.116:
	v_lshl_add_u32 v0, v55, 2, -4
	ds_load_b32 v0, v0
.LBB1187_117:
	s_or_b32 exec_lo, exec_lo, s0
	v_add_nc_u32_e32 v3, -1, v54
	s_waitcnt lgkmcnt(0)
	v_add_nc_u32_e32 v1, v0, v1
	ds_load_b32 v16, v2 offset:12
	v_cmp_gt_i32_e32 vcc_lo, 0, v3
	v_cndmask_b32_e32 v3, v3, v54, vcc_lo
	s_delay_alu instid0(VALU_DEP_1)
	v_lshlrev_b32_e32 v3, 2, v3
	ds_bpermute_b32 v1, v3, v1
	s_and_saveexec_b32 s0, s2
	s_cbranch_execz .LBB1187_119
; %bb.118:
	v_dual_mov_b32 v2, 0 :: v_dual_mov_b32 v17, 2
	s_waitcnt lgkmcnt(1)
	global_store_b64 v2, v[16:17], s[16:17] offset:256
.LBB1187_119:
	s_or_b32 exec_lo, exec_lo, s0
	v_cmp_eq_u32_e32 vcc_lo, 0, v54
	s_waitcnt lgkmcnt(0)
	s_waitcnt_vscnt null, 0x0
	s_barrier
	buffer_gl0_inv
	v_dual_mov_b32 v17, 0 :: v_dual_cndmask_b32 v0, v1, v0
	s_delay_alu instid0(VALU_DEP_1) | instskip(NEXT) | instid1(VALU_DEP_1)
	v_cndmask_b32_e64 v1, v0, 0, s2
	v_add_nc_u32_e32 v2, v1, v45
	s_delay_alu instid0(VALU_DEP_1) | instskip(NEXT) | instid1(VALU_DEP_1)
	v_add_nc_u32_e32 v3, v2, v46
	v_add_nc_u32_e32 v4, v3, v47
	s_delay_alu instid0(VALU_DEP_1) | instskip(NEXT) | instid1(VALU_DEP_1)
	v_add_nc_u32_e32 v5, v4, v49
	;; [unrolled: 3-line block ×4, first 2 shown]
	v_add_nc_u32_e32 v10, v9, v52
	s_delay_alu instid0(VALU_DEP_1)
	v_add_nc_u32_e32 v11, v10, v53
.LBB1187_120:
	v_lshrrev_b32_e32 v46, 16, v31
	v_lshrrev_b32_e32 v47, 8, v31
	v_and_b32_e32 v31, 1, v31
	s_waitcnt lgkmcnt(0)
	v_cmp_gt_u32_e32 vcc_lo, 0x81, v16
	v_lshrrev_b32_e32 v0, 16, v18
	v_lshrrev_b32_e32 v45, 8, v32
	;; [unrolled: 1-line block ×4, first 2 shown]
	v_cmp_lt_u32_e64 s0, 0x80, v16
	v_cmp_eq_u32_e64 s1, 1, v31
	s_cbranch_vccnz .LBB1187_144
; %bb.121:
	s_delay_alu instid0(VALU_DEP_1)
	s_and_saveexec_b32 s3, s1
	s_cbranch_execz .LBB1187_123
; %bb.122:
	v_sub_nc_u32_e32 v48, v1, v17
	s_delay_alu instid0(VALU_DEP_1)
	v_lshlrev_b32_e32 v48, 1, v48
	ds_store_b16 v48, v12
.LBB1187_123:
	s_or_b32 exec_lo, exec_lo, s3
	v_and_b32_e32 v12, 1, v47
	s_mov_b32 s1, exec_lo
	s_delay_alu instid0(VALU_DEP_1)
	v_cmpx_eq_u32_e32 1, v12
	s_cbranch_execz .LBB1187_125
; %bb.124:
	v_sub_nc_u32_e32 v12, v2, v17
	s_delay_alu instid0(VALU_DEP_1)
	v_lshlrev_b32_e32 v12, 1, v12
	ds_store_b16 v12, v42
.LBB1187_125:
	s_or_b32 exec_lo, exec_lo, s1
	v_and_b32_e32 v12, 1, v46
	s_mov_b32 s1, exec_lo
	s_delay_alu instid0(VALU_DEP_1)
	v_cmpx_eq_u32_e32 1, v12
	;; [unrolled: 12-line block ×10, first 2 shown]
	s_cbranch_execz .LBB1187_143
; %bb.142:
	v_sub_nc_u32_e32 v12, v11, v17
	s_delay_alu instid0(VALU_DEP_1)
	v_lshlrev_b32_e32 v12, 1, v12
	ds_store_b16 v12, v35
.LBB1187_143:
	s_or_b32 exec_lo, exec_lo, s1
	s_waitcnt lgkmcnt(0)
	s_barrier
	buffer_gl0_inv
.LBB1187_144:
	s_delay_alu instid0(VALU_DEP_2)
	s_and_not1_b32 vcc_lo, exec_lo, s0
	s_barrier
	buffer_gl0_inv
	s_cbranch_vccz .LBB1187_147
; %bb.145:
	s_and_b32 s0, s2, s14
	s_delay_alu instid0(SALU_CYCLE_1)
	s_and_saveexec_b32 s1, s0
	s_cbranch_execnz .LBB1187_170
.LBB1187_146:
	s_endpgm
.LBB1187_147:
	s_mov_b32 s0, exec_lo
	v_cmpx_eq_u32_e32 1, v31
	s_cbranch_execz .LBB1187_149
; %bb.148:
	v_sub_nc_u32_e32 v1, v1, v17
	s_delay_alu instid0(VALU_DEP_1)
	v_lshlrev_b32_e32 v1, 2, v1
	ds_store_b32 v1, v29
.LBB1187_149:
	s_or_b32 exec_lo, exec_lo, s0
	v_and_b32_e32 v1, 1, v47
	s_mov_b32 s0, exec_lo
	s_delay_alu instid0(VALU_DEP_1)
	v_cmpx_eq_u32_e32 1, v1
	s_cbranch_execz .LBB1187_151
; %bb.150:
	v_sub_nc_u32_e32 v1, v2, v17
	s_delay_alu instid0(VALU_DEP_1)
	v_lshlrev_b32_e32 v1, 2, v1
	ds_store_b32 v1, v30
.LBB1187_151:
	s_or_b32 exec_lo, exec_lo, s0
	v_and_b32_e32 v1, 1, v46
	s_mov_b32 s0, exec_lo
	s_delay_alu instid0(VALU_DEP_1)
	v_cmpx_eq_u32_e32 1, v1
	s_cbranch_execz .LBB1187_153
; %bb.152:
	v_sub_nc_u32_e32 v1, v3, v17
	s_delay_alu instid0(VALU_DEP_1)
	v_lshlrev_b32_e32 v1, 2, v1
	ds_store_b32 v1, v27
.LBB1187_153:
	s_or_b32 exec_lo, exec_lo, s0
	v_and_b32_e32 v1, 1, v33
	s_mov_b32 s0, exec_lo
	s_delay_alu instid0(VALU_DEP_1)
	v_cmpx_eq_u32_e32 1, v1
	s_cbranch_execz .LBB1187_155
; %bb.154:
	v_sub_nc_u32_e32 v1, v4, v17
	s_delay_alu instid0(VALU_DEP_1)
	v_lshlrev_b32_e32 v1, 2, v1
	ds_store_b32 v1, v28
.LBB1187_155:
	s_or_b32 exec_lo, exec_lo, s0
	v_and_b32_e32 v1, 1, v32
	s_mov_b32 s0, exec_lo
	s_delay_alu instid0(VALU_DEP_1)
	v_cmpx_eq_u32_e32 1, v1
	s_cbranch_execz .LBB1187_157
; %bb.156:
	v_sub_nc_u32_e32 v1, v5, v17
	s_delay_alu instid0(VALU_DEP_1)
	v_lshlrev_b32_e32 v1, 2, v1
	ds_store_b32 v1, v25
.LBB1187_157:
	s_or_b32 exec_lo, exec_lo, s0
	v_and_b32_e32 v1, 1, v45
	s_mov_b32 s0, exec_lo
	s_delay_alu instid0(VALU_DEP_1)
	v_cmpx_eq_u32_e32 1, v1
	s_cbranch_execz .LBB1187_159
; %bb.158:
	v_sub_nc_u32_e32 v1, v6, v17
	s_delay_alu instid0(VALU_DEP_1)
	v_lshlrev_b32_e32 v1, 2, v1
	ds_store_b32 v1, v26
.LBB1187_159:
	s_or_b32 exec_lo, exec_lo, s0
	v_and_b32_e32 v1, 1, v43
	s_mov_b32 s0, exec_lo
	s_delay_alu instid0(VALU_DEP_1)
	v_cmpx_eq_u32_e32 1, v1
	s_cbranch_execz .LBB1187_161
; %bb.160:
	v_sub_nc_u32_e32 v1, v7, v17
	s_delay_alu instid0(VALU_DEP_1)
	v_lshlrev_b32_e32 v1, 2, v1
	ds_store_b32 v1, v23
.LBB1187_161:
	s_or_b32 exec_lo, exec_lo, s0
	v_and_b32_e32 v1, 1, v44
	s_mov_b32 s0, exec_lo
	s_delay_alu instid0(VALU_DEP_1)
	v_cmpx_eq_u32_e32 1, v1
	s_cbranch_execz .LBB1187_163
; %bb.162:
	v_sub_nc_u32_e32 v1, v8, v17
	s_delay_alu instid0(VALU_DEP_1)
	v_lshlrev_b32_e32 v1, 2, v1
	ds_store_b32 v1, v24
.LBB1187_163:
	s_or_b32 exec_lo, exec_lo, s0
	v_and_b32_e32 v1, 1, v18
	s_mov_b32 s0, exec_lo
	s_delay_alu instid0(VALU_DEP_1)
	v_cmpx_eq_u32_e32 1, v1
	s_cbranch_execz .LBB1187_165
; %bb.164:
	v_sub_nc_u32_e32 v1, v9, v17
	s_delay_alu instid0(VALU_DEP_1)
	v_lshlrev_b32_e32 v1, 2, v1
	ds_store_b32 v1, v21
.LBB1187_165:
	s_or_b32 exec_lo, exec_lo, s0
	v_and_b32_e32 v1, 1, v34
	s_mov_b32 s0, exec_lo
	s_delay_alu instid0(VALU_DEP_1)
	v_cmpx_eq_u32_e32 1, v1
	s_cbranch_execz .LBB1187_167
; %bb.166:
	v_sub_nc_u32_e32 v1, v10, v17
	s_delay_alu instid0(VALU_DEP_1)
	v_lshlrev_b32_e32 v1, 2, v1
	ds_store_b32 v1, v22
.LBB1187_167:
	s_or_b32 exec_lo, exec_lo, s0
	v_and_b32_e32 v0, 1, v0
	s_mov_b32 s0, exec_lo
	s_delay_alu instid0(VALU_DEP_1)
	v_cmpx_eq_u32_e32 1, v0
	s_cbranch_execz .LBB1187_169
; %bb.168:
	v_sub_nc_u32_e32 v0, v11, v17
	s_delay_alu instid0(VALU_DEP_1)
	v_lshlrev_b32_e32 v0, 2, v0
	ds_store_b32 v0, v38
.LBB1187_169:
	s_or_b32 exec_lo, exec_lo, s0
	s_waitcnt lgkmcnt(0)
	s_barrier
	buffer_gl0_inv
	s_and_b32 s0, s2, s14
	s_delay_alu instid0(SALU_CYCLE_1)
	s_and_saveexec_b32 s1, s0
	s_cbranch_execz .LBB1187_146
.LBB1187_170:
	v_add_co_u32 v0, vcc_lo, v19, v16
	v_add_co_ci_u32_e32 v1, vcc_lo, 0, v20, vcc_lo
	v_mov_b32_e32 v2, 0
	s_delay_alu instid0(VALU_DEP_3) | instskip(NEXT) | instid1(VALU_DEP_3)
	v_add_co_u32 v0, vcc_lo, v0, v17
	v_add_co_ci_u32_e32 v1, vcc_lo, 0, v1, vcc_lo
	global_store_b64 v2, v[0:1], s[12:13]
	s_nop 0
	s_sendmsg sendmsg(MSG_DEALLOC_VGPRS)
	s_endpgm
.LBB1187_171:
	s_or_b32 exec_lo, exec_lo, s1
	s_and_saveexec_b32 s1, s21
	s_cbranch_execnz .LBB1187_76
	s_branch .LBB1187_77
	.section	.rodata,"a",@progbits
	.p2align	6, 0x0
	.amdhsa_kernel _ZN7rocprim17ROCPRIM_400000_NS6detail17trampoline_kernelINS0_14default_configENS1_25partition_config_selectorILNS1_17partition_subalgoE9EsjbEEZZNS1_14partition_implILS5_9ELb0ES3_jN6thrust23THRUST_200600_302600_NS6detail15normal_iteratorINS9_10device_ptrIsEEEENSB_INSC_IjEEEEPNS0_10empty_typeENS0_5tupleIJNS9_16discard_iteratorINS9_11use_defaultEEESH_EEENSJ_IJSM_SI_EEENS0_18inequality_wrapperINS9_8equal_toIsEEEEPmJSH_EEE10hipError_tPvRmT3_T4_T5_T6_T7_T9_mT8_P12ihipStream_tbDpT10_ENKUlT_T0_E_clISt17integral_constantIbLb1EES1D_EEDaS18_S19_EUlS18_E_NS1_11comp_targetILNS1_3genE9ELNS1_11target_archE1100ELNS1_3gpuE3ELNS1_3repE0EEENS1_30default_config_static_selectorELNS0_4arch9wavefront6targetE0EEEvT1_
		.amdhsa_group_segment_fixed_size 5640
		.amdhsa_private_segment_fixed_size 0
		.amdhsa_kernarg_size 144
		.amdhsa_user_sgpr_count 15
		.amdhsa_user_sgpr_dispatch_ptr 0
		.amdhsa_user_sgpr_queue_ptr 0
		.amdhsa_user_sgpr_kernarg_segment_ptr 1
		.amdhsa_user_sgpr_dispatch_id 0
		.amdhsa_user_sgpr_private_segment_size 0
		.amdhsa_wavefront_size32 1
		.amdhsa_uses_dynamic_stack 0
		.amdhsa_enable_private_segment 0
		.amdhsa_system_sgpr_workgroup_id_x 1
		.amdhsa_system_sgpr_workgroup_id_y 0
		.amdhsa_system_sgpr_workgroup_id_z 0
		.amdhsa_system_sgpr_workgroup_info 0
		.amdhsa_system_vgpr_workitem_id 0
		.amdhsa_next_free_vgpr 63
		.amdhsa_next_free_sgpr 24
		.amdhsa_reserve_vcc 1
		.amdhsa_float_round_mode_32 0
		.amdhsa_float_round_mode_16_64 0
		.amdhsa_float_denorm_mode_32 3
		.amdhsa_float_denorm_mode_16_64 3
		.amdhsa_dx10_clamp 1
		.amdhsa_ieee_mode 1
		.amdhsa_fp16_overflow 0
		.amdhsa_workgroup_processor_mode 1
		.amdhsa_memory_ordered 1
		.amdhsa_forward_progress 0
		.amdhsa_shared_vgpr_count 0
		.amdhsa_exception_fp_ieee_invalid_op 0
		.amdhsa_exception_fp_denorm_src 0
		.amdhsa_exception_fp_ieee_div_zero 0
		.amdhsa_exception_fp_ieee_overflow 0
		.amdhsa_exception_fp_ieee_underflow 0
		.amdhsa_exception_fp_ieee_inexact 0
		.amdhsa_exception_int_div_zero 0
	.end_amdhsa_kernel
	.section	.text._ZN7rocprim17ROCPRIM_400000_NS6detail17trampoline_kernelINS0_14default_configENS1_25partition_config_selectorILNS1_17partition_subalgoE9EsjbEEZZNS1_14partition_implILS5_9ELb0ES3_jN6thrust23THRUST_200600_302600_NS6detail15normal_iteratorINS9_10device_ptrIsEEEENSB_INSC_IjEEEEPNS0_10empty_typeENS0_5tupleIJNS9_16discard_iteratorINS9_11use_defaultEEESH_EEENSJ_IJSM_SI_EEENS0_18inequality_wrapperINS9_8equal_toIsEEEEPmJSH_EEE10hipError_tPvRmT3_T4_T5_T6_T7_T9_mT8_P12ihipStream_tbDpT10_ENKUlT_T0_E_clISt17integral_constantIbLb1EES1D_EEDaS18_S19_EUlS18_E_NS1_11comp_targetILNS1_3genE9ELNS1_11target_archE1100ELNS1_3gpuE3ELNS1_3repE0EEENS1_30default_config_static_selectorELNS0_4arch9wavefront6targetE0EEEvT1_,"axG",@progbits,_ZN7rocprim17ROCPRIM_400000_NS6detail17trampoline_kernelINS0_14default_configENS1_25partition_config_selectorILNS1_17partition_subalgoE9EsjbEEZZNS1_14partition_implILS5_9ELb0ES3_jN6thrust23THRUST_200600_302600_NS6detail15normal_iteratorINS9_10device_ptrIsEEEENSB_INSC_IjEEEEPNS0_10empty_typeENS0_5tupleIJNS9_16discard_iteratorINS9_11use_defaultEEESH_EEENSJ_IJSM_SI_EEENS0_18inequality_wrapperINS9_8equal_toIsEEEEPmJSH_EEE10hipError_tPvRmT3_T4_T5_T6_T7_T9_mT8_P12ihipStream_tbDpT10_ENKUlT_T0_E_clISt17integral_constantIbLb1EES1D_EEDaS18_S19_EUlS18_E_NS1_11comp_targetILNS1_3genE9ELNS1_11target_archE1100ELNS1_3gpuE3ELNS1_3repE0EEENS1_30default_config_static_selectorELNS0_4arch9wavefront6targetE0EEEvT1_,comdat
.Lfunc_end1187:
	.size	_ZN7rocprim17ROCPRIM_400000_NS6detail17trampoline_kernelINS0_14default_configENS1_25partition_config_selectorILNS1_17partition_subalgoE9EsjbEEZZNS1_14partition_implILS5_9ELb0ES3_jN6thrust23THRUST_200600_302600_NS6detail15normal_iteratorINS9_10device_ptrIsEEEENSB_INSC_IjEEEEPNS0_10empty_typeENS0_5tupleIJNS9_16discard_iteratorINS9_11use_defaultEEESH_EEENSJ_IJSM_SI_EEENS0_18inequality_wrapperINS9_8equal_toIsEEEEPmJSH_EEE10hipError_tPvRmT3_T4_T5_T6_T7_T9_mT8_P12ihipStream_tbDpT10_ENKUlT_T0_E_clISt17integral_constantIbLb1EES1D_EEDaS18_S19_EUlS18_E_NS1_11comp_targetILNS1_3genE9ELNS1_11target_archE1100ELNS1_3gpuE3ELNS1_3repE0EEENS1_30default_config_static_selectorELNS0_4arch9wavefront6targetE0EEEvT1_, .Lfunc_end1187-_ZN7rocprim17ROCPRIM_400000_NS6detail17trampoline_kernelINS0_14default_configENS1_25partition_config_selectorILNS1_17partition_subalgoE9EsjbEEZZNS1_14partition_implILS5_9ELb0ES3_jN6thrust23THRUST_200600_302600_NS6detail15normal_iteratorINS9_10device_ptrIsEEEENSB_INSC_IjEEEEPNS0_10empty_typeENS0_5tupleIJNS9_16discard_iteratorINS9_11use_defaultEEESH_EEENSJ_IJSM_SI_EEENS0_18inequality_wrapperINS9_8equal_toIsEEEEPmJSH_EEE10hipError_tPvRmT3_T4_T5_T6_T7_T9_mT8_P12ihipStream_tbDpT10_ENKUlT_T0_E_clISt17integral_constantIbLb1EES1D_EEDaS18_S19_EUlS18_E_NS1_11comp_targetILNS1_3genE9ELNS1_11target_archE1100ELNS1_3gpuE3ELNS1_3repE0EEENS1_30default_config_static_selectorELNS0_4arch9wavefront6targetE0EEEvT1_
                                        ; -- End function
	.section	.AMDGPU.csdata,"",@progbits
; Kernel info:
; codeLenInByte = 8256
; NumSgprs: 26
; NumVgprs: 63
; ScratchSize: 0
; MemoryBound: 0
; FloatMode: 240
; IeeeMode: 1
; LDSByteSize: 5640 bytes/workgroup (compile time only)
; SGPRBlocks: 3
; VGPRBlocks: 7
; NumSGPRsForWavesPerEU: 26
; NumVGPRsForWavesPerEU: 63
; Occupancy: 16
; WaveLimiterHint : 1
; COMPUTE_PGM_RSRC2:SCRATCH_EN: 0
; COMPUTE_PGM_RSRC2:USER_SGPR: 15
; COMPUTE_PGM_RSRC2:TRAP_HANDLER: 0
; COMPUTE_PGM_RSRC2:TGID_X_EN: 1
; COMPUTE_PGM_RSRC2:TGID_Y_EN: 0
; COMPUTE_PGM_RSRC2:TGID_Z_EN: 0
; COMPUTE_PGM_RSRC2:TIDIG_COMP_CNT: 0
	.section	.text._ZN7rocprim17ROCPRIM_400000_NS6detail17trampoline_kernelINS0_14default_configENS1_25partition_config_selectorILNS1_17partition_subalgoE9EsjbEEZZNS1_14partition_implILS5_9ELb0ES3_jN6thrust23THRUST_200600_302600_NS6detail15normal_iteratorINS9_10device_ptrIsEEEENSB_INSC_IjEEEEPNS0_10empty_typeENS0_5tupleIJNS9_16discard_iteratorINS9_11use_defaultEEESH_EEENSJ_IJSM_SI_EEENS0_18inequality_wrapperINS9_8equal_toIsEEEEPmJSH_EEE10hipError_tPvRmT3_T4_T5_T6_T7_T9_mT8_P12ihipStream_tbDpT10_ENKUlT_T0_E_clISt17integral_constantIbLb1EES1D_EEDaS18_S19_EUlS18_E_NS1_11comp_targetILNS1_3genE8ELNS1_11target_archE1030ELNS1_3gpuE2ELNS1_3repE0EEENS1_30default_config_static_selectorELNS0_4arch9wavefront6targetE0EEEvT1_,"axG",@progbits,_ZN7rocprim17ROCPRIM_400000_NS6detail17trampoline_kernelINS0_14default_configENS1_25partition_config_selectorILNS1_17partition_subalgoE9EsjbEEZZNS1_14partition_implILS5_9ELb0ES3_jN6thrust23THRUST_200600_302600_NS6detail15normal_iteratorINS9_10device_ptrIsEEEENSB_INSC_IjEEEEPNS0_10empty_typeENS0_5tupleIJNS9_16discard_iteratorINS9_11use_defaultEEESH_EEENSJ_IJSM_SI_EEENS0_18inequality_wrapperINS9_8equal_toIsEEEEPmJSH_EEE10hipError_tPvRmT3_T4_T5_T6_T7_T9_mT8_P12ihipStream_tbDpT10_ENKUlT_T0_E_clISt17integral_constantIbLb1EES1D_EEDaS18_S19_EUlS18_E_NS1_11comp_targetILNS1_3genE8ELNS1_11target_archE1030ELNS1_3gpuE2ELNS1_3repE0EEENS1_30default_config_static_selectorELNS0_4arch9wavefront6targetE0EEEvT1_,comdat
	.protected	_ZN7rocprim17ROCPRIM_400000_NS6detail17trampoline_kernelINS0_14default_configENS1_25partition_config_selectorILNS1_17partition_subalgoE9EsjbEEZZNS1_14partition_implILS5_9ELb0ES3_jN6thrust23THRUST_200600_302600_NS6detail15normal_iteratorINS9_10device_ptrIsEEEENSB_INSC_IjEEEEPNS0_10empty_typeENS0_5tupleIJNS9_16discard_iteratorINS9_11use_defaultEEESH_EEENSJ_IJSM_SI_EEENS0_18inequality_wrapperINS9_8equal_toIsEEEEPmJSH_EEE10hipError_tPvRmT3_T4_T5_T6_T7_T9_mT8_P12ihipStream_tbDpT10_ENKUlT_T0_E_clISt17integral_constantIbLb1EES1D_EEDaS18_S19_EUlS18_E_NS1_11comp_targetILNS1_3genE8ELNS1_11target_archE1030ELNS1_3gpuE2ELNS1_3repE0EEENS1_30default_config_static_selectorELNS0_4arch9wavefront6targetE0EEEvT1_ ; -- Begin function _ZN7rocprim17ROCPRIM_400000_NS6detail17trampoline_kernelINS0_14default_configENS1_25partition_config_selectorILNS1_17partition_subalgoE9EsjbEEZZNS1_14partition_implILS5_9ELb0ES3_jN6thrust23THRUST_200600_302600_NS6detail15normal_iteratorINS9_10device_ptrIsEEEENSB_INSC_IjEEEEPNS0_10empty_typeENS0_5tupleIJNS9_16discard_iteratorINS9_11use_defaultEEESH_EEENSJ_IJSM_SI_EEENS0_18inequality_wrapperINS9_8equal_toIsEEEEPmJSH_EEE10hipError_tPvRmT3_T4_T5_T6_T7_T9_mT8_P12ihipStream_tbDpT10_ENKUlT_T0_E_clISt17integral_constantIbLb1EES1D_EEDaS18_S19_EUlS18_E_NS1_11comp_targetILNS1_3genE8ELNS1_11target_archE1030ELNS1_3gpuE2ELNS1_3repE0EEENS1_30default_config_static_selectorELNS0_4arch9wavefront6targetE0EEEvT1_
	.globl	_ZN7rocprim17ROCPRIM_400000_NS6detail17trampoline_kernelINS0_14default_configENS1_25partition_config_selectorILNS1_17partition_subalgoE9EsjbEEZZNS1_14partition_implILS5_9ELb0ES3_jN6thrust23THRUST_200600_302600_NS6detail15normal_iteratorINS9_10device_ptrIsEEEENSB_INSC_IjEEEEPNS0_10empty_typeENS0_5tupleIJNS9_16discard_iteratorINS9_11use_defaultEEESH_EEENSJ_IJSM_SI_EEENS0_18inequality_wrapperINS9_8equal_toIsEEEEPmJSH_EEE10hipError_tPvRmT3_T4_T5_T6_T7_T9_mT8_P12ihipStream_tbDpT10_ENKUlT_T0_E_clISt17integral_constantIbLb1EES1D_EEDaS18_S19_EUlS18_E_NS1_11comp_targetILNS1_3genE8ELNS1_11target_archE1030ELNS1_3gpuE2ELNS1_3repE0EEENS1_30default_config_static_selectorELNS0_4arch9wavefront6targetE0EEEvT1_
	.p2align	8
	.type	_ZN7rocprim17ROCPRIM_400000_NS6detail17trampoline_kernelINS0_14default_configENS1_25partition_config_selectorILNS1_17partition_subalgoE9EsjbEEZZNS1_14partition_implILS5_9ELb0ES3_jN6thrust23THRUST_200600_302600_NS6detail15normal_iteratorINS9_10device_ptrIsEEEENSB_INSC_IjEEEEPNS0_10empty_typeENS0_5tupleIJNS9_16discard_iteratorINS9_11use_defaultEEESH_EEENSJ_IJSM_SI_EEENS0_18inequality_wrapperINS9_8equal_toIsEEEEPmJSH_EEE10hipError_tPvRmT3_T4_T5_T6_T7_T9_mT8_P12ihipStream_tbDpT10_ENKUlT_T0_E_clISt17integral_constantIbLb1EES1D_EEDaS18_S19_EUlS18_E_NS1_11comp_targetILNS1_3genE8ELNS1_11target_archE1030ELNS1_3gpuE2ELNS1_3repE0EEENS1_30default_config_static_selectorELNS0_4arch9wavefront6targetE0EEEvT1_,@function
_ZN7rocprim17ROCPRIM_400000_NS6detail17trampoline_kernelINS0_14default_configENS1_25partition_config_selectorILNS1_17partition_subalgoE9EsjbEEZZNS1_14partition_implILS5_9ELb0ES3_jN6thrust23THRUST_200600_302600_NS6detail15normal_iteratorINS9_10device_ptrIsEEEENSB_INSC_IjEEEEPNS0_10empty_typeENS0_5tupleIJNS9_16discard_iteratorINS9_11use_defaultEEESH_EEENSJ_IJSM_SI_EEENS0_18inequality_wrapperINS9_8equal_toIsEEEEPmJSH_EEE10hipError_tPvRmT3_T4_T5_T6_T7_T9_mT8_P12ihipStream_tbDpT10_ENKUlT_T0_E_clISt17integral_constantIbLb1EES1D_EEDaS18_S19_EUlS18_E_NS1_11comp_targetILNS1_3genE8ELNS1_11target_archE1030ELNS1_3gpuE2ELNS1_3repE0EEENS1_30default_config_static_selectorELNS0_4arch9wavefront6targetE0EEEvT1_: ; @_ZN7rocprim17ROCPRIM_400000_NS6detail17trampoline_kernelINS0_14default_configENS1_25partition_config_selectorILNS1_17partition_subalgoE9EsjbEEZZNS1_14partition_implILS5_9ELb0ES3_jN6thrust23THRUST_200600_302600_NS6detail15normal_iteratorINS9_10device_ptrIsEEEENSB_INSC_IjEEEEPNS0_10empty_typeENS0_5tupleIJNS9_16discard_iteratorINS9_11use_defaultEEESH_EEENSJ_IJSM_SI_EEENS0_18inequality_wrapperINS9_8equal_toIsEEEEPmJSH_EEE10hipError_tPvRmT3_T4_T5_T6_T7_T9_mT8_P12ihipStream_tbDpT10_ENKUlT_T0_E_clISt17integral_constantIbLb1EES1D_EEDaS18_S19_EUlS18_E_NS1_11comp_targetILNS1_3genE8ELNS1_11target_archE1030ELNS1_3gpuE2ELNS1_3repE0EEENS1_30default_config_static_selectorELNS0_4arch9wavefront6targetE0EEEvT1_
; %bb.0:
	.section	.rodata,"a",@progbits
	.p2align	6, 0x0
	.amdhsa_kernel _ZN7rocprim17ROCPRIM_400000_NS6detail17trampoline_kernelINS0_14default_configENS1_25partition_config_selectorILNS1_17partition_subalgoE9EsjbEEZZNS1_14partition_implILS5_9ELb0ES3_jN6thrust23THRUST_200600_302600_NS6detail15normal_iteratorINS9_10device_ptrIsEEEENSB_INSC_IjEEEEPNS0_10empty_typeENS0_5tupleIJNS9_16discard_iteratorINS9_11use_defaultEEESH_EEENSJ_IJSM_SI_EEENS0_18inequality_wrapperINS9_8equal_toIsEEEEPmJSH_EEE10hipError_tPvRmT3_T4_T5_T6_T7_T9_mT8_P12ihipStream_tbDpT10_ENKUlT_T0_E_clISt17integral_constantIbLb1EES1D_EEDaS18_S19_EUlS18_E_NS1_11comp_targetILNS1_3genE8ELNS1_11target_archE1030ELNS1_3gpuE2ELNS1_3repE0EEENS1_30default_config_static_selectorELNS0_4arch9wavefront6targetE0EEEvT1_
		.amdhsa_group_segment_fixed_size 0
		.amdhsa_private_segment_fixed_size 0
		.amdhsa_kernarg_size 144
		.amdhsa_user_sgpr_count 15
		.amdhsa_user_sgpr_dispatch_ptr 0
		.amdhsa_user_sgpr_queue_ptr 0
		.amdhsa_user_sgpr_kernarg_segment_ptr 1
		.amdhsa_user_sgpr_dispatch_id 0
		.amdhsa_user_sgpr_private_segment_size 0
		.amdhsa_wavefront_size32 1
		.amdhsa_uses_dynamic_stack 0
		.amdhsa_enable_private_segment 0
		.amdhsa_system_sgpr_workgroup_id_x 1
		.amdhsa_system_sgpr_workgroup_id_y 0
		.amdhsa_system_sgpr_workgroup_id_z 0
		.amdhsa_system_sgpr_workgroup_info 0
		.amdhsa_system_vgpr_workitem_id 0
		.amdhsa_next_free_vgpr 1
		.amdhsa_next_free_sgpr 1
		.amdhsa_reserve_vcc 0
		.amdhsa_float_round_mode_32 0
		.amdhsa_float_round_mode_16_64 0
		.amdhsa_float_denorm_mode_32 3
		.amdhsa_float_denorm_mode_16_64 3
		.amdhsa_dx10_clamp 1
		.amdhsa_ieee_mode 1
		.amdhsa_fp16_overflow 0
		.amdhsa_workgroup_processor_mode 1
		.amdhsa_memory_ordered 1
		.amdhsa_forward_progress 0
		.amdhsa_shared_vgpr_count 0
		.amdhsa_exception_fp_ieee_invalid_op 0
		.amdhsa_exception_fp_denorm_src 0
		.amdhsa_exception_fp_ieee_div_zero 0
		.amdhsa_exception_fp_ieee_overflow 0
		.amdhsa_exception_fp_ieee_underflow 0
		.amdhsa_exception_fp_ieee_inexact 0
		.amdhsa_exception_int_div_zero 0
	.end_amdhsa_kernel
	.section	.text._ZN7rocprim17ROCPRIM_400000_NS6detail17trampoline_kernelINS0_14default_configENS1_25partition_config_selectorILNS1_17partition_subalgoE9EsjbEEZZNS1_14partition_implILS5_9ELb0ES3_jN6thrust23THRUST_200600_302600_NS6detail15normal_iteratorINS9_10device_ptrIsEEEENSB_INSC_IjEEEEPNS0_10empty_typeENS0_5tupleIJNS9_16discard_iteratorINS9_11use_defaultEEESH_EEENSJ_IJSM_SI_EEENS0_18inequality_wrapperINS9_8equal_toIsEEEEPmJSH_EEE10hipError_tPvRmT3_T4_T5_T6_T7_T9_mT8_P12ihipStream_tbDpT10_ENKUlT_T0_E_clISt17integral_constantIbLb1EES1D_EEDaS18_S19_EUlS18_E_NS1_11comp_targetILNS1_3genE8ELNS1_11target_archE1030ELNS1_3gpuE2ELNS1_3repE0EEENS1_30default_config_static_selectorELNS0_4arch9wavefront6targetE0EEEvT1_,"axG",@progbits,_ZN7rocprim17ROCPRIM_400000_NS6detail17trampoline_kernelINS0_14default_configENS1_25partition_config_selectorILNS1_17partition_subalgoE9EsjbEEZZNS1_14partition_implILS5_9ELb0ES3_jN6thrust23THRUST_200600_302600_NS6detail15normal_iteratorINS9_10device_ptrIsEEEENSB_INSC_IjEEEEPNS0_10empty_typeENS0_5tupleIJNS9_16discard_iteratorINS9_11use_defaultEEESH_EEENSJ_IJSM_SI_EEENS0_18inequality_wrapperINS9_8equal_toIsEEEEPmJSH_EEE10hipError_tPvRmT3_T4_T5_T6_T7_T9_mT8_P12ihipStream_tbDpT10_ENKUlT_T0_E_clISt17integral_constantIbLb1EES1D_EEDaS18_S19_EUlS18_E_NS1_11comp_targetILNS1_3genE8ELNS1_11target_archE1030ELNS1_3gpuE2ELNS1_3repE0EEENS1_30default_config_static_selectorELNS0_4arch9wavefront6targetE0EEEvT1_,comdat
.Lfunc_end1188:
	.size	_ZN7rocprim17ROCPRIM_400000_NS6detail17trampoline_kernelINS0_14default_configENS1_25partition_config_selectorILNS1_17partition_subalgoE9EsjbEEZZNS1_14partition_implILS5_9ELb0ES3_jN6thrust23THRUST_200600_302600_NS6detail15normal_iteratorINS9_10device_ptrIsEEEENSB_INSC_IjEEEEPNS0_10empty_typeENS0_5tupleIJNS9_16discard_iteratorINS9_11use_defaultEEESH_EEENSJ_IJSM_SI_EEENS0_18inequality_wrapperINS9_8equal_toIsEEEEPmJSH_EEE10hipError_tPvRmT3_T4_T5_T6_T7_T9_mT8_P12ihipStream_tbDpT10_ENKUlT_T0_E_clISt17integral_constantIbLb1EES1D_EEDaS18_S19_EUlS18_E_NS1_11comp_targetILNS1_3genE8ELNS1_11target_archE1030ELNS1_3gpuE2ELNS1_3repE0EEENS1_30default_config_static_selectorELNS0_4arch9wavefront6targetE0EEEvT1_, .Lfunc_end1188-_ZN7rocprim17ROCPRIM_400000_NS6detail17trampoline_kernelINS0_14default_configENS1_25partition_config_selectorILNS1_17partition_subalgoE9EsjbEEZZNS1_14partition_implILS5_9ELb0ES3_jN6thrust23THRUST_200600_302600_NS6detail15normal_iteratorINS9_10device_ptrIsEEEENSB_INSC_IjEEEEPNS0_10empty_typeENS0_5tupleIJNS9_16discard_iteratorINS9_11use_defaultEEESH_EEENSJ_IJSM_SI_EEENS0_18inequality_wrapperINS9_8equal_toIsEEEEPmJSH_EEE10hipError_tPvRmT3_T4_T5_T6_T7_T9_mT8_P12ihipStream_tbDpT10_ENKUlT_T0_E_clISt17integral_constantIbLb1EES1D_EEDaS18_S19_EUlS18_E_NS1_11comp_targetILNS1_3genE8ELNS1_11target_archE1030ELNS1_3gpuE2ELNS1_3repE0EEENS1_30default_config_static_selectorELNS0_4arch9wavefront6targetE0EEEvT1_
                                        ; -- End function
	.section	.AMDGPU.csdata,"",@progbits
; Kernel info:
; codeLenInByte = 0
; NumSgprs: 0
; NumVgprs: 0
; ScratchSize: 0
; MemoryBound: 0
; FloatMode: 240
; IeeeMode: 1
; LDSByteSize: 0 bytes/workgroup (compile time only)
; SGPRBlocks: 0
; VGPRBlocks: 0
; NumSGPRsForWavesPerEU: 1
; NumVGPRsForWavesPerEU: 1
; Occupancy: 16
; WaveLimiterHint : 0
; COMPUTE_PGM_RSRC2:SCRATCH_EN: 0
; COMPUTE_PGM_RSRC2:USER_SGPR: 15
; COMPUTE_PGM_RSRC2:TRAP_HANDLER: 0
; COMPUTE_PGM_RSRC2:TGID_X_EN: 1
; COMPUTE_PGM_RSRC2:TGID_Y_EN: 0
; COMPUTE_PGM_RSRC2:TGID_Z_EN: 0
; COMPUTE_PGM_RSRC2:TIDIG_COMP_CNT: 0
	.section	.text._ZN7rocprim17ROCPRIM_400000_NS6detail17trampoline_kernelINS0_14default_configENS1_25partition_config_selectorILNS1_17partition_subalgoE9EsjbEEZZNS1_14partition_implILS5_9ELb0ES3_jN6thrust23THRUST_200600_302600_NS6detail15normal_iteratorINS9_10device_ptrIsEEEENSB_INSC_IjEEEEPNS0_10empty_typeENS0_5tupleIJNS9_16discard_iteratorINS9_11use_defaultEEESH_EEENSJ_IJSM_SI_EEENS0_18inequality_wrapperINS9_8equal_toIsEEEEPmJSH_EEE10hipError_tPvRmT3_T4_T5_T6_T7_T9_mT8_P12ihipStream_tbDpT10_ENKUlT_T0_E_clISt17integral_constantIbLb1EES1C_IbLb0EEEEDaS18_S19_EUlS18_E_NS1_11comp_targetILNS1_3genE0ELNS1_11target_archE4294967295ELNS1_3gpuE0ELNS1_3repE0EEENS1_30default_config_static_selectorELNS0_4arch9wavefront6targetE0EEEvT1_,"axG",@progbits,_ZN7rocprim17ROCPRIM_400000_NS6detail17trampoline_kernelINS0_14default_configENS1_25partition_config_selectorILNS1_17partition_subalgoE9EsjbEEZZNS1_14partition_implILS5_9ELb0ES3_jN6thrust23THRUST_200600_302600_NS6detail15normal_iteratorINS9_10device_ptrIsEEEENSB_INSC_IjEEEEPNS0_10empty_typeENS0_5tupleIJNS9_16discard_iteratorINS9_11use_defaultEEESH_EEENSJ_IJSM_SI_EEENS0_18inequality_wrapperINS9_8equal_toIsEEEEPmJSH_EEE10hipError_tPvRmT3_T4_T5_T6_T7_T9_mT8_P12ihipStream_tbDpT10_ENKUlT_T0_E_clISt17integral_constantIbLb1EES1C_IbLb0EEEEDaS18_S19_EUlS18_E_NS1_11comp_targetILNS1_3genE0ELNS1_11target_archE4294967295ELNS1_3gpuE0ELNS1_3repE0EEENS1_30default_config_static_selectorELNS0_4arch9wavefront6targetE0EEEvT1_,comdat
	.protected	_ZN7rocprim17ROCPRIM_400000_NS6detail17trampoline_kernelINS0_14default_configENS1_25partition_config_selectorILNS1_17partition_subalgoE9EsjbEEZZNS1_14partition_implILS5_9ELb0ES3_jN6thrust23THRUST_200600_302600_NS6detail15normal_iteratorINS9_10device_ptrIsEEEENSB_INSC_IjEEEEPNS0_10empty_typeENS0_5tupleIJNS9_16discard_iteratorINS9_11use_defaultEEESH_EEENSJ_IJSM_SI_EEENS0_18inequality_wrapperINS9_8equal_toIsEEEEPmJSH_EEE10hipError_tPvRmT3_T4_T5_T6_T7_T9_mT8_P12ihipStream_tbDpT10_ENKUlT_T0_E_clISt17integral_constantIbLb1EES1C_IbLb0EEEEDaS18_S19_EUlS18_E_NS1_11comp_targetILNS1_3genE0ELNS1_11target_archE4294967295ELNS1_3gpuE0ELNS1_3repE0EEENS1_30default_config_static_selectorELNS0_4arch9wavefront6targetE0EEEvT1_ ; -- Begin function _ZN7rocprim17ROCPRIM_400000_NS6detail17trampoline_kernelINS0_14default_configENS1_25partition_config_selectorILNS1_17partition_subalgoE9EsjbEEZZNS1_14partition_implILS5_9ELb0ES3_jN6thrust23THRUST_200600_302600_NS6detail15normal_iteratorINS9_10device_ptrIsEEEENSB_INSC_IjEEEEPNS0_10empty_typeENS0_5tupleIJNS9_16discard_iteratorINS9_11use_defaultEEESH_EEENSJ_IJSM_SI_EEENS0_18inequality_wrapperINS9_8equal_toIsEEEEPmJSH_EEE10hipError_tPvRmT3_T4_T5_T6_T7_T9_mT8_P12ihipStream_tbDpT10_ENKUlT_T0_E_clISt17integral_constantIbLb1EES1C_IbLb0EEEEDaS18_S19_EUlS18_E_NS1_11comp_targetILNS1_3genE0ELNS1_11target_archE4294967295ELNS1_3gpuE0ELNS1_3repE0EEENS1_30default_config_static_selectorELNS0_4arch9wavefront6targetE0EEEvT1_
	.globl	_ZN7rocprim17ROCPRIM_400000_NS6detail17trampoline_kernelINS0_14default_configENS1_25partition_config_selectorILNS1_17partition_subalgoE9EsjbEEZZNS1_14partition_implILS5_9ELb0ES3_jN6thrust23THRUST_200600_302600_NS6detail15normal_iteratorINS9_10device_ptrIsEEEENSB_INSC_IjEEEEPNS0_10empty_typeENS0_5tupleIJNS9_16discard_iteratorINS9_11use_defaultEEESH_EEENSJ_IJSM_SI_EEENS0_18inequality_wrapperINS9_8equal_toIsEEEEPmJSH_EEE10hipError_tPvRmT3_T4_T5_T6_T7_T9_mT8_P12ihipStream_tbDpT10_ENKUlT_T0_E_clISt17integral_constantIbLb1EES1C_IbLb0EEEEDaS18_S19_EUlS18_E_NS1_11comp_targetILNS1_3genE0ELNS1_11target_archE4294967295ELNS1_3gpuE0ELNS1_3repE0EEENS1_30default_config_static_selectorELNS0_4arch9wavefront6targetE0EEEvT1_
	.p2align	8
	.type	_ZN7rocprim17ROCPRIM_400000_NS6detail17trampoline_kernelINS0_14default_configENS1_25partition_config_selectorILNS1_17partition_subalgoE9EsjbEEZZNS1_14partition_implILS5_9ELb0ES3_jN6thrust23THRUST_200600_302600_NS6detail15normal_iteratorINS9_10device_ptrIsEEEENSB_INSC_IjEEEEPNS0_10empty_typeENS0_5tupleIJNS9_16discard_iteratorINS9_11use_defaultEEESH_EEENSJ_IJSM_SI_EEENS0_18inequality_wrapperINS9_8equal_toIsEEEEPmJSH_EEE10hipError_tPvRmT3_T4_T5_T6_T7_T9_mT8_P12ihipStream_tbDpT10_ENKUlT_T0_E_clISt17integral_constantIbLb1EES1C_IbLb0EEEEDaS18_S19_EUlS18_E_NS1_11comp_targetILNS1_3genE0ELNS1_11target_archE4294967295ELNS1_3gpuE0ELNS1_3repE0EEENS1_30default_config_static_selectorELNS0_4arch9wavefront6targetE0EEEvT1_,@function
_ZN7rocprim17ROCPRIM_400000_NS6detail17trampoline_kernelINS0_14default_configENS1_25partition_config_selectorILNS1_17partition_subalgoE9EsjbEEZZNS1_14partition_implILS5_9ELb0ES3_jN6thrust23THRUST_200600_302600_NS6detail15normal_iteratorINS9_10device_ptrIsEEEENSB_INSC_IjEEEEPNS0_10empty_typeENS0_5tupleIJNS9_16discard_iteratorINS9_11use_defaultEEESH_EEENSJ_IJSM_SI_EEENS0_18inequality_wrapperINS9_8equal_toIsEEEEPmJSH_EEE10hipError_tPvRmT3_T4_T5_T6_T7_T9_mT8_P12ihipStream_tbDpT10_ENKUlT_T0_E_clISt17integral_constantIbLb1EES1C_IbLb0EEEEDaS18_S19_EUlS18_E_NS1_11comp_targetILNS1_3genE0ELNS1_11target_archE4294967295ELNS1_3gpuE0ELNS1_3repE0EEENS1_30default_config_static_selectorELNS0_4arch9wavefront6targetE0EEEvT1_: ; @_ZN7rocprim17ROCPRIM_400000_NS6detail17trampoline_kernelINS0_14default_configENS1_25partition_config_selectorILNS1_17partition_subalgoE9EsjbEEZZNS1_14partition_implILS5_9ELb0ES3_jN6thrust23THRUST_200600_302600_NS6detail15normal_iteratorINS9_10device_ptrIsEEEENSB_INSC_IjEEEEPNS0_10empty_typeENS0_5tupleIJNS9_16discard_iteratorINS9_11use_defaultEEESH_EEENSJ_IJSM_SI_EEENS0_18inequality_wrapperINS9_8equal_toIsEEEEPmJSH_EEE10hipError_tPvRmT3_T4_T5_T6_T7_T9_mT8_P12ihipStream_tbDpT10_ENKUlT_T0_E_clISt17integral_constantIbLb1EES1C_IbLb0EEEEDaS18_S19_EUlS18_E_NS1_11comp_targetILNS1_3genE0ELNS1_11target_archE4294967295ELNS1_3gpuE0ELNS1_3repE0EEENS1_30default_config_static_selectorELNS0_4arch9wavefront6targetE0EEEvT1_
; %bb.0:
	.section	.rodata,"a",@progbits
	.p2align	6, 0x0
	.amdhsa_kernel _ZN7rocprim17ROCPRIM_400000_NS6detail17trampoline_kernelINS0_14default_configENS1_25partition_config_selectorILNS1_17partition_subalgoE9EsjbEEZZNS1_14partition_implILS5_9ELb0ES3_jN6thrust23THRUST_200600_302600_NS6detail15normal_iteratorINS9_10device_ptrIsEEEENSB_INSC_IjEEEEPNS0_10empty_typeENS0_5tupleIJNS9_16discard_iteratorINS9_11use_defaultEEESH_EEENSJ_IJSM_SI_EEENS0_18inequality_wrapperINS9_8equal_toIsEEEEPmJSH_EEE10hipError_tPvRmT3_T4_T5_T6_T7_T9_mT8_P12ihipStream_tbDpT10_ENKUlT_T0_E_clISt17integral_constantIbLb1EES1C_IbLb0EEEEDaS18_S19_EUlS18_E_NS1_11comp_targetILNS1_3genE0ELNS1_11target_archE4294967295ELNS1_3gpuE0ELNS1_3repE0EEENS1_30default_config_static_selectorELNS0_4arch9wavefront6targetE0EEEvT1_
		.amdhsa_group_segment_fixed_size 0
		.amdhsa_private_segment_fixed_size 0
		.amdhsa_kernarg_size 128
		.amdhsa_user_sgpr_count 15
		.amdhsa_user_sgpr_dispatch_ptr 0
		.amdhsa_user_sgpr_queue_ptr 0
		.amdhsa_user_sgpr_kernarg_segment_ptr 1
		.amdhsa_user_sgpr_dispatch_id 0
		.amdhsa_user_sgpr_private_segment_size 0
		.amdhsa_wavefront_size32 1
		.amdhsa_uses_dynamic_stack 0
		.amdhsa_enable_private_segment 0
		.amdhsa_system_sgpr_workgroup_id_x 1
		.amdhsa_system_sgpr_workgroup_id_y 0
		.amdhsa_system_sgpr_workgroup_id_z 0
		.amdhsa_system_sgpr_workgroup_info 0
		.amdhsa_system_vgpr_workitem_id 0
		.amdhsa_next_free_vgpr 1
		.amdhsa_next_free_sgpr 1
		.amdhsa_reserve_vcc 0
		.amdhsa_float_round_mode_32 0
		.amdhsa_float_round_mode_16_64 0
		.amdhsa_float_denorm_mode_32 3
		.amdhsa_float_denorm_mode_16_64 3
		.amdhsa_dx10_clamp 1
		.amdhsa_ieee_mode 1
		.amdhsa_fp16_overflow 0
		.amdhsa_workgroup_processor_mode 1
		.amdhsa_memory_ordered 1
		.amdhsa_forward_progress 0
		.amdhsa_shared_vgpr_count 0
		.amdhsa_exception_fp_ieee_invalid_op 0
		.amdhsa_exception_fp_denorm_src 0
		.amdhsa_exception_fp_ieee_div_zero 0
		.amdhsa_exception_fp_ieee_overflow 0
		.amdhsa_exception_fp_ieee_underflow 0
		.amdhsa_exception_fp_ieee_inexact 0
		.amdhsa_exception_int_div_zero 0
	.end_amdhsa_kernel
	.section	.text._ZN7rocprim17ROCPRIM_400000_NS6detail17trampoline_kernelINS0_14default_configENS1_25partition_config_selectorILNS1_17partition_subalgoE9EsjbEEZZNS1_14partition_implILS5_9ELb0ES3_jN6thrust23THRUST_200600_302600_NS6detail15normal_iteratorINS9_10device_ptrIsEEEENSB_INSC_IjEEEEPNS0_10empty_typeENS0_5tupleIJNS9_16discard_iteratorINS9_11use_defaultEEESH_EEENSJ_IJSM_SI_EEENS0_18inequality_wrapperINS9_8equal_toIsEEEEPmJSH_EEE10hipError_tPvRmT3_T4_T5_T6_T7_T9_mT8_P12ihipStream_tbDpT10_ENKUlT_T0_E_clISt17integral_constantIbLb1EES1C_IbLb0EEEEDaS18_S19_EUlS18_E_NS1_11comp_targetILNS1_3genE0ELNS1_11target_archE4294967295ELNS1_3gpuE0ELNS1_3repE0EEENS1_30default_config_static_selectorELNS0_4arch9wavefront6targetE0EEEvT1_,"axG",@progbits,_ZN7rocprim17ROCPRIM_400000_NS6detail17trampoline_kernelINS0_14default_configENS1_25partition_config_selectorILNS1_17partition_subalgoE9EsjbEEZZNS1_14partition_implILS5_9ELb0ES3_jN6thrust23THRUST_200600_302600_NS6detail15normal_iteratorINS9_10device_ptrIsEEEENSB_INSC_IjEEEEPNS0_10empty_typeENS0_5tupleIJNS9_16discard_iteratorINS9_11use_defaultEEESH_EEENSJ_IJSM_SI_EEENS0_18inequality_wrapperINS9_8equal_toIsEEEEPmJSH_EEE10hipError_tPvRmT3_T4_T5_T6_T7_T9_mT8_P12ihipStream_tbDpT10_ENKUlT_T0_E_clISt17integral_constantIbLb1EES1C_IbLb0EEEEDaS18_S19_EUlS18_E_NS1_11comp_targetILNS1_3genE0ELNS1_11target_archE4294967295ELNS1_3gpuE0ELNS1_3repE0EEENS1_30default_config_static_selectorELNS0_4arch9wavefront6targetE0EEEvT1_,comdat
.Lfunc_end1189:
	.size	_ZN7rocprim17ROCPRIM_400000_NS6detail17trampoline_kernelINS0_14default_configENS1_25partition_config_selectorILNS1_17partition_subalgoE9EsjbEEZZNS1_14partition_implILS5_9ELb0ES3_jN6thrust23THRUST_200600_302600_NS6detail15normal_iteratorINS9_10device_ptrIsEEEENSB_INSC_IjEEEEPNS0_10empty_typeENS0_5tupleIJNS9_16discard_iteratorINS9_11use_defaultEEESH_EEENSJ_IJSM_SI_EEENS0_18inequality_wrapperINS9_8equal_toIsEEEEPmJSH_EEE10hipError_tPvRmT3_T4_T5_T6_T7_T9_mT8_P12ihipStream_tbDpT10_ENKUlT_T0_E_clISt17integral_constantIbLb1EES1C_IbLb0EEEEDaS18_S19_EUlS18_E_NS1_11comp_targetILNS1_3genE0ELNS1_11target_archE4294967295ELNS1_3gpuE0ELNS1_3repE0EEENS1_30default_config_static_selectorELNS0_4arch9wavefront6targetE0EEEvT1_, .Lfunc_end1189-_ZN7rocprim17ROCPRIM_400000_NS6detail17trampoline_kernelINS0_14default_configENS1_25partition_config_selectorILNS1_17partition_subalgoE9EsjbEEZZNS1_14partition_implILS5_9ELb0ES3_jN6thrust23THRUST_200600_302600_NS6detail15normal_iteratorINS9_10device_ptrIsEEEENSB_INSC_IjEEEEPNS0_10empty_typeENS0_5tupleIJNS9_16discard_iteratorINS9_11use_defaultEEESH_EEENSJ_IJSM_SI_EEENS0_18inequality_wrapperINS9_8equal_toIsEEEEPmJSH_EEE10hipError_tPvRmT3_T4_T5_T6_T7_T9_mT8_P12ihipStream_tbDpT10_ENKUlT_T0_E_clISt17integral_constantIbLb1EES1C_IbLb0EEEEDaS18_S19_EUlS18_E_NS1_11comp_targetILNS1_3genE0ELNS1_11target_archE4294967295ELNS1_3gpuE0ELNS1_3repE0EEENS1_30default_config_static_selectorELNS0_4arch9wavefront6targetE0EEEvT1_
                                        ; -- End function
	.section	.AMDGPU.csdata,"",@progbits
; Kernel info:
; codeLenInByte = 0
; NumSgprs: 0
; NumVgprs: 0
; ScratchSize: 0
; MemoryBound: 0
; FloatMode: 240
; IeeeMode: 1
; LDSByteSize: 0 bytes/workgroup (compile time only)
; SGPRBlocks: 0
; VGPRBlocks: 0
; NumSGPRsForWavesPerEU: 1
; NumVGPRsForWavesPerEU: 1
; Occupancy: 16
; WaveLimiterHint : 0
; COMPUTE_PGM_RSRC2:SCRATCH_EN: 0
; COMPUTE_PGM_RSRC2:USER_SGPR: 15
; COMPUTE_PGM_RSRC2:TRAP_HANDLER: 0
; COMPUTE_PGM_RSRC2:TGID_X_EN: 1
; COMPUTE_PGM_RSRC2:TGID_Y_EN: 0
; COMPUTE_PGM_RSRC2:TGID_Z_EN: 0
; COMPUTE_PGM_RSRC2:TIDIG_COMP_CNT: 0
	.section	.text._ZN7rocprim17ROCPRIM_400000_NS6detail17trampoline_kernelINS0_14default_configENS1_25partition_config_selectorILNS1_17partition_subalgoE9EsjbEEZZNS1_14partition_implILS5_9ELb0ES3_jN6thrust23THRUST_200600_302600_NS6detail15normal_iteratorINS9_10device_ptrIsEEEENSB_INSC_IjEEEEPNS0_10empty_typeENS0_5tupleIJNS9_16discard_iteratorINS9_11use_defaultEEESH_EEENSJ_IJSM_SI_EEENS0_18inequality_wrapperINS9_8equal_toIsEEEEPmJSH_EEE10hipError_tPvRmT3_T4_T5_T6_T7_T9_mT8_P12ihipStream_tbDpT10_ENKUlT_T0_E_clISt17integral_constantIbLb1EES1C_IbLb0EEEEDaS18_S19_EUlS18_E_NS1_11comp_targetILNS1_3genE5ELNS1_11target_archE942ELNS1_3gpuE9ELNS1_3repE0EEENS1_30default_config_static_selectorELNS0_4arch9wavefront6targetE0EEEvT1_,"axG",@progbits,_ZN7rocprim17ROCPRIM_400000_NS6detail17trampoline_kernelINS0_14default_configENS1_25partition_config_selectorILNS1_17partition_subalgoE9EsjbEEZZNS1_14partition_implILS5_9ELb0ES3_jN6thrust23THRUST_200600_302600_NS6detail15normal_iteratorINS9_10device_ptrIsEEEENSB_INSC_IjEEEEPNS0_10empty_typeENS0_5tupleIJNS9_16discard_iteratorINS9_11use_defaultEEESH_EEENSJ_IJSM_SI_EEENS0_18inequality_wrapperINS9_8equal_toIsEEEEPmJSH_EEE10hipError_tPvRmT3_T4_T5_T6_T7_T9_mT8_P12ihipStream_tbDpT10_ENKUlT_T0_E_clISt17integral_constantIbLb1EES1C_IbLb0EEEEDaS18_S19_EUlS18_E_NS1_11comp_targetILNS1_3genE5ELNS1_11target_archE942ELNS1_3gpuE9ELNS1_3repE0EEENS1_30default_config_static_selectorELNS0_4arch9wavefront6targetE0EEEvT1_,comdat
	.protected	_ZN7rocprim17ROCPRIM_400000_NS6detail17trampoline_kernelINS0_14default_configENS1_25partition_config_selectorILNS1_17partition_subalgoE9EsjbEEZZNS1_14partition_implILS5_9ELb0ES3_jN6thrust23THRUST_200600_302600_NS6detail15normal_iteratorINS9_10device_ptrIsEEEENSB_INSC_IjEEEEPNS0_10empty_typeENS0_5tupleIJNS9_16discard_iteratorINS9_11use_defaultEEESH_EEENSJ_IJSM_SI_EEENS0_18inequality_wrapperINS9_8equal_toIsEEEEPmJSH_EEE10hipError_tPvRmT3_T4_T5_T6_T7_T9_mT8_P12ihipStream_tbDpT10_ENKUlT_T0_E_clISt17integral_constantIbLb1EES1C_IbLb0EEEEDaS18_S19_EUlS18_E_NS1_11comp_targetILNS1_3genE5ELNS1_11target_archE942ELNS1_3gpuE9ELNS1_3repE0EEENS1_30default_config_static_selectorELNS0_4arch9wavefront6targetE0EEEvT1_ ; -- Begin function _ZN7rocprim17ROCPRIM_400000_NS6detail17trampoline_kernelINS0_14default_configENS1_25partition_config_selectorILNS1_17partition_subalgoE9EsjbEEZZNS1_14partition_implILS5_9ELb0ES3_jN6thrust23THRUST_200600_302600_NS6detail15normal_iteratorINS9_10device_ptrIsEEEENSB_INSC_IjEEEEPNS0_10empty_typeENS0_5tupleIJNS9_16discard_iteratorINS9_11use_defaultEEESH_EEENSJ_IJSM_SI_EEENS0_18inequality_wrapperINS9_8equal_toIsEEEEPmJSH_EEE10hipError_tPvRmT3_T4_T5_T6_T7_T9_mT8_P12ihipStream_tbDpT10_ENKUlT_T0_E_clISt17integral_constantIbLb1EES1C_IbLb0EEEEDaS18_S19_EUlS18_E_NS1_11comp_targetILNS1_3genE5ELNS1_11target_archE942ELNS1_3gpuE9ELNS1_3repE0EEENS1_30default_config_static_selectorELNS0_4arch9wavefront6targetE0EEEvT1_
	.globl	_ZN7rocprim17ROCPRIM_400000_NS6detail17trampoline_kernelINS0_14default_configENS1_25partition_config_selectorILNS1_17partition_subalgoE9EsjbEEZZNS1_14partition_implILS5_9ELb0ES3_jN6thrust23THRUST_200600_302600_NS6detail15normal_iteratorINS9_10device_ptrIsEEEENSB_INSC_IjEEEEPNS0_10empty_typeENS0_5tupleIJNS9_16discard_iteratorINS9_11use_defaultEEESH_EEENSJ_IJSM_SI_EEENS0_18inequality_wrapperINS9_8equal_toIsEEEEPmJSH_EEE10hipError_tPvRmT3_T4_T5_T6_T7_T9_mT8_P12ihipStream_tbDpT10_ENKUlT_T0_E_clISt17integral_constantIbLb1EES1C_IbLb0EEEEDaS18_S19_EUlS18_E_NS1_11comp_targetILNS1_3genE5ELNS1_11target_archE942ELNS1_3gpuE9ELNS1_3repE0EEENS1_30default_config_static_selectorELNS0_4arch9wavefront6targetE0EEEvT1_
	.p2align	8
	.type	_ZN7rocprim17ROCPRIM_400000_NS6detail17trampoline_kernelINS0_14default_configENS1_25partition_config_selectorILNS1_17partition_subalgoE9EsjbEEZZNS1_14partition_implILS5_9ELb0ES3_jN6thrust23THRUST_200600_302600_NS6detail15normal_iteratorINS9_10device_ptrIsEEEENSB_INSC_IjEEEEPNS0_10empty_typeENS0_5tupleIJNS9_16discard_iteratorINS9_11use_defaultEEESH_EEENSJ_IJSM_SI_EEENS0_18inequality_wrapperINS9_8equal_toIsEEEEPmJSH_EEE10hipError_tPvRmT3_T4_T5_T6_T7_T9_mT8_P12ihipStream_tbDpT10_ENKUlT_T0_E_clISt17integral_constantIbLb1EES1C_IbLb0EEEEDaS18_S19_EUlS18_E_NS1_11comp_targetILNS1_3genE5ELNS1_11target_archE942ELNS1_3gpuE9ELNS1_3repE0EEENS1_30default_config_static_selectorELNS0_4arch9wavefront6targetE0EEEvT1_,@function
_ZN7rocprim17ROCPRIM_400000_NS6detail17trampoline_kernelINS0_14default_configENS1_25partition_config_selectorILNS1_17partition_subalgoE9EsjbEEZZNS1_14partition_implILS5_9ELb0ES3_jN6thrust23THRUST_200600_302600_NS6detail15normal_iteratorINS9_10device_ptrIsEEEENSB_INSC_IjEEEEPNS0_10empty_typeENS0_5tupleIJNS9_16discard_iteratorINS9_11use_defaultEEESH_EEENSJ_IJSM_SI_EEENS0_18inequality_wrapperINS9_8equal_toIsEEEEPmJSH_EEE10hipError_tPvRmT3_T4_T5_T6_T7_T9_mT8_P12ihipStream_tbDpT10_ENKUlT_T0_E_clISt17integral_constantIbLb1EES1C_IbLb0EEEEDaS18_S19_EUlS18_E_NS1_11comp_targetILNS1_3genE5ELNS1_11target_archE942ELNS1_3gpuE9ELNS1_3repE0EEENS1_30default_config_static_selectorELNS0_4arch9wavefront6targetE0EEEvT1_: ; @_ZN7rocprim17ROCPRIM_400000_NS6detail17trampoline_kernelINS0_14default_configENS1_25partition_config_selectorILNS1_17partition_subalgoE9EsjbEEZZNS1_14partition_implILS5_9ELb0ES3_jN6thrust23THRUST_200600_302600_NS6detail15normal_iteratorINS9_10device_ptrIsEEEENSB_INSC_IjEEEEPNS0_10empty_typeENS0_5tupleIJNS9_16discard_iteratorINS9_11use_defaultEEESH_EEENSJ_IJSM_SI_EEENS0_18inequality_wrapperINS9_8equal_toIsEEEEPmJSH_EEE10hipError_tPvRmT3_T4_T5_T6_T7_T9_mT8_P12ihipStream_tbDpT10_ENKUlT_T0_E_clISt17integral_constantIbLb1EES1C_IbLb0EEEEDaS18_S19_EUlS18_E_NS1_11comp_targetILNS1_3genE5ELNS1_11target_archE942ELNS1_3gpuE9ELNS1_3repE0EEENS1_30default_config_static_selectorELNS0_4arch9wavefront6targetE0EEEvT1_
; %bb.0:
	.section	.rodata,"a",@progbits
	.p2align	6, 0x0
	.amdhsa_kernel _ZN7rocprim17ROCPRIM_400000_NS6detail17trampoline_kernelINS0_14default_configENS1_25partition_config_selectorILNS1_17partition_subalgoE9EsjbEEZZNS1_14partition_implILS5_9ELb0ES3_jN6thrust23THRUST_200600_302600_NS6detail15normal_iteratorINS9_10device_ptrIsEEEENSB_INSC_IjEEEEPNS0_10empty_typeENS0_5tupleIJNS9_16discard_iteratorINS9_11use_defaultEEESH_EEENSJ_IJSM_SI_EEENS0_18inequality_wrapperINS9_8equal_toIsEEEEPmJSH_EEE10hipError_tPvRmT3_T4_T5_T6_T7_T9_mT8_P12ihipStream_tbDpT10_ENKUlT_T0_E_clISt17integral_constantIbLb1EES1C_IbLb0EEEEDaS18_S19_EUlS18_E_NS1_11comp_targetILNS1_3genE5ELNS1_11target_archE942ELNS1_3gpuE9ELNS1_3repE0EEENS1_30default_config_static_selectorELNS0_4arch9wavefront6targetE0EEEvT1_
		.amdhsa_group_segment_fixed_size 0
		.amdhsa_private_segment_fixed_size 0
		.amdhsa_kernarg_size 128
		.amdhsa_user_sgpr_count 15
		.amdhsa_user_sgpr_dispatch_ptr 0
		.amdhsa_user_sgpr_queue_ptr 0
		.amdhsa_user_sgpr_kernarg_segment_ptr 1
		.amdhsa_user_sgpr_dispatch_id 0
		.amdhsa_user_sgpr_private_segment_size 0
		.amdhsa_wavefront_size32 1
		.amdhsa_uses_dynamic_stack 0
		.amdhsa_enable_private_segment 0
		.amdhsa_system_sgpr_workgroup_id_x 1
		.amdhsa_system_sgpr_workgroup_id_y 0
		.amdhsa_system_sgpr_workgroup_id_z 0
		.amdhsa_system_sgpr_workgroup_info 0
		.amdhsa_system_vgpr_workitem_id 0
		.amdhsa_next_free_vgpr 1
		.amdhsa_next_free_sgpr 1
		.amdhsa_reserve_vcc 0
		.amdhsa_float_round_mode_32 0
		.amdhsa_float_round_mode_16_64 0
		.amdhsa_float_denorm_mode_32 3
		.amdhsa_float_denorm_mode_16_64 3
		.amdhsa_dx10_clamp 1
		.amdhsa_ieee_mode 1
		.amdhsa_fp16_overflow 0
		.amdhsa_workgroup_processor_mode 1
		.amdhsa_memory_ordered 1
		.amdhsa_forward_progress 0
		.amdhsa_shared_vgpr_count 0
		.amdhsa_exception_fp_ieee_invalid_op 0
		.amdhsa_exception_fp_denorm_src 0
		.amdhsa_exception_fp_ieee_div_zero 0
		.amdhsa_exception_fp_ieee_overflow 0
		.amdhsa_exception_fp_ieee_underflow 0
		.amdhsa_exception_fp_ieee_inexact 0
		.amdhsa_exception_int_div_zero 0
	.end_amdhsa_kernel
	.section	.text._ZN7rocprim17ROCPRIM_400000_NS6detail17trampoline_kernelINS0_14default_configENS1_25partition_config_selectorILNS1_17partition_subalgoE9EsjbEEZZNS1_14partition_implILS5_9ELb0ES3_jN6thrust23THRUST_200600_302600_NS6detail15normal_iteratorINS9_10device_ptrIsEEEENSB_INSC_IjEEEEPNS0_10empty_typeENS0_5tupleIJNS9_16discard_iteratorINS9_11use_defaultEEESH_EEENSJ_IJSM_SI_EEENS0_18inequality_wrapperINS9_8equal_toIsEEEEPmJSH_EEE10hipError_tPvRmT3_T4_T5_T6_T7_T9_mT8_P12ihipStream_tbDpT10_ENKUlT_T0_E_clISt17integral_constantIbLb1EES1C_IbLb0EEEEDaS18_S19_EUlS18_E_NS1_11comp_targetILNS1_3genE5ELNS1_11target_archE942ELNS1_3gpuE9ELNS1_3repE0EEENS1_30default_config_static_selectorELNS0_4arch9wavefront6targetE0EEEvT1_,"axG",@progbits,_ZN7rocprim17ROCPRIM_400000_NS6detail17trampoline_kernelINS0_14default_configENS1_25partition_config_selectorILNS1_17partition_subalgoE9EsjbEEZZNS1_14partition_implILS5_9ELb0ES3_jN6thrust23THRUST_200600_302600_NS6detail15normal_iteratorINS9_10device_ptrIsEEEENSB_INSC_IjEEEEPNS0_10empty_typeENS0_5tupleIJNS9_16discard_iteratorINS9_11use_defaultEEESH_EEENSJ_IJSM_SI_EEENS0_18inequality_wrapperINS9_8equal_toIsEEEEPmJSH_EEE10hipError_tPvRmT3_T4_T5_T6_T7_T9_mT8_P12ihipStream_tbDpT10_ENKUlT_T0_E_clISt17integral_constantIbLb1EES1C_IbLb0EEEEDaS18_S19_EUlS18_E_NS1_11comp_targetILNS1_3genE5ELNS1_11target_archE942ELNS1_3gpuE9ELNS1_3repE0EEENS1_30default_config_static_selectorELNS0_4arch9wavefront6targetE0EEEvT1_,comdat
.Lfunc_end1190:
	.size	_ZN7rocprim17ROCPRIM_400000_NS6detail17trampoline_kernelINS0_14default_configENS1_25partition_config_selectorILNS1_17partition_subalgoE9EsjbEEZZNS1_14partition_implILS5_9ELb0ES3_jN6thrust23THRUST_200600_302600_NS6detail15normal_iteratorINS9_10device_ptrIsEEEENSB_INSC_IjEEEEPNS0_10empty_typeENS0_5tupleIJNS9_16discard_iteratorINS9_11use_defaultEEESH_EEENSJ_IJSM_SI_EEENS0_18inequality_wrapperINS9_8equal_toIsEEEEPmJSH_EEE10hipError_tPvRmT3_T4_T5_T6_T7_T9_mT8_P12ihipStream_tbDpT10_ENKUlT_T0_E_clISt17integral_constantIbLb1EES1C_IbLb0EEEEDaS18_S19_EUlS18_E_NS1_11comp_targetILNS1_3genE5ELNS1_11target_archE942ELNS1_3gpuE9ELNS1_3repE0EEENS1_30default_config_static_selectorELNS0_4arch9wavefront6targetE0EEEvT1_, .Lfunc_end1190-_ZN7rocprim17ROCPRIM_400000_NS6detail17trampoline_kernelINS0_14default_configENS1_25partition_config_selectorILNS1_17partition_subalgoE9EsjbEEZZNS1_14partition_implILS5_9ELb0ES3_jN6thrust23THRUST_200600_302600_NS6detail15normal_iteratorINS9_10device_ptrIsEEEENSB_INSC_IjEEEEPNS0_10empty_typeENS0_5tupleIJNS9_16discard_iteratorINS9_11use_defaultEEESH_EEENSJ_IJSM_SI_EEENS0_18inequality_wrapperINS9_8equal_toIsEEEEPmJSH_EEE10hipError_tPvRmT3_T4_T5_T6_T7_T9_mT8_P12ihipStream_tbDpT10_ENKUlT_T0_E_clISt17integral_constantIbLb1EES1C_IbLb0EEEEDaS18_S19_EUlS18_E_NS1_11comp_targetILNS1_3genE5ELNS1_11target_archE942ELNS1_3gpuE9ELNS1_3repE0EEENS1_30default_config_static_selectorELNS0_4arch9wavefront6targetE0EEEvT1_
                                        ; -- End function
	.section	.AMDGPU.csdata,"",@progbits
; Kernel info:
; codeLenInByte = 0
; NumSgprs: 0
; NumVgprs: 0
; ScratchSize: 0
; MemoryBound: 0
; FloatMode: 240
; IeeeMode: 1
; LDSByteSize: 0 bytes/workgroup (compile time only)
; SGPRBlocks: 0
; VGPRBlocks: 0
; NumSGPRsForWavesPerEU: 1
; NumVGPRsForWavesPerEU: 1
; Occupancy: 16
; WaveLimiterHint : 0
; COMPUTE_PGM_RSRC2:SCRATCH_EN: 0
; COMPUTE_PGM_RSRC2:USER_SGPR: 15
; COMPUTE_PGM_RSRC2:TRAP_HANDLER: 0
; COMPUTE_PGM_RSRC2:TGID_X_EN: 1
; COMPUTE_PGM_RSRC2:TGID_Y_EN: 0
; COMPUTE_PGM_RSRC2:TGID_Z_EN: 0
; COMPUTE_PGM_RSRC2:TIDIG_COMP_CNT: 0
	.section	.text._ZN7rocprim17ROCPRIM_400000_NS6detail17trampoline_kernelINS0_14default_configENS1_25partition_config_selectorILNS1_17partition_subalgoE9EsjbEEZZNS1_14partition_implILS5_9ELb0ES3_jN6thrust23THRUST_200600_302600_NS6detail15normal_iteratorINS9_10device_ptrIsEEEENSB_INSC_IjEEEEPNS0_10empty_typeENS0_5tupleIJNS9_16discard_iteratorINS9_11use_defaultEEESH_EEENSJ_IJSM_SI_EEENS0_18inequality_wrapperINS9_8equal_toIsEEEEPmJSH_EEE10hipError_tPvRmT3_T4_T5_T6_T7_T9_mT8_P12ihipStream_tbDpT10_ENKUlT_T0_E_clISt17integral_constantIbLb1EES1C_IbLb0EEEEDaS18_S19_EUlS18_E_NS1_11comp_targetILNS1_3genE4ELNS1_11target_archE910ELNS1_3gpuE8ELNS1_3repE0EEENS1_30default_config_static_selectorELNS0_4arch9wavefront6targetE0EEEvT1_,"axG",@progbits,_ZN7rocprim17ROCPRIM_400000_NS6detail17trampoline_kernelINS0_14default_configENS1_25partition_config_selectorILNS1_17partition_subalgoE9EsjbEEZZNS1_14partition_implILS5_9ELb0ES3_jN6thrust23THRUST_200600_302600_NS6detail15normal_iteratorINS9_10device_ptrIsEEEENSB_INSC_IjEEEEPNS0_10empty_typeENS0_5tupleIJNS9_16discard_iteratorINS9_11use_defaultEEESH_EEENSJ_IJSM_SI_EEENS0_18inequality_wrapperINS9_8equal_toIsEEEEPmJSH_EEE10hipError_tPvRmT3_T4_T5_T6_T7_T9_mT8_P12ihipStream_tbDpT10_ENKUlT_T0_E_clISt17integral_constantIbLb1EES1C_IbLb0EEEEDaS18_S19_EUlS18_E_NS1_11comp_targetILNS1_3genE4ELNS1_11target_archE910ELNS1_3gpuE8ELNS1_3repE0EEENS1_30default_config_static_selectorELNS0_4arch9wavefront6targetE0EEEvT1_,comdat
	.protected	_ZN7rocprim17ROCPRIM_400000_NS6detail17trampoline_kernelINS0_14default_configENS1_25partition_config_selectorILNS1_17partition_subalgoE9EsjbEEZZNS1_14partition_implILS5_9ELb0ES3_jN6thrust23THRUST_200600_302600_NS6detail15normal_iteratorINS9_10device_ptrIsEEEENSB_INSC_IjEEEEPNS0_10empty_typeENS0_5tupleIJNS9_16discard_iteratorINS9_11use_defaultEEESH_EEENSJ_IJSM_SI_EEENS0_18inequality_wrapperINS9_8equal_toIsEEEEPmJSH_EEE10hipError_tPvRmT3_T4_T5_T6_T7_T9_mT8_P12ihipStream_tbDpT10_ENKUlT_T0_E_clISt17integral_constantIbLb1EES1C_IbLb0EEEEDaS18_S19_EUlS18_E_NS1_11comp_targetILNS1_3genE4ELNS1_11target_archE910ELNS1_3gpuE8ELNS1_3repE0EEENS1_30default_config_static_selectorELNS0_4arch9wavefront6targetE0EEEvT1_ ; -- Begin function _ZN7rocprim17ROCPRIM_400000_NS6detail17trampoline_kernelINS0_14default_configENS1_25partition_config_selectorILNS1_17partition_subalgoE9EsjbEEZZNS1_14partition_implILS5_9ELb0ES3_jN6thrust23THRUST_200600_302600_NS6detail15normal_iteratorINS9_10device_ptrIsEEEENSB_INSC_IjEEEEPNS0_10empty_typeENS0_5tupleIJNS9_16discard_iteratorINS9_11use_defaultEEESH_EEENSJ_IJSM_SI_EEENS0_18inequality_wrapperINS9_8equal_toIsEEEEPmJSH_EEE10hipError_tPvRmT3_T4_T5_T6_T7_T9_mT8_P12ihipStream_tbDpT10_ENKUlT_T0_E_clISt17integral_constantIbLb1EES1C_IbLb0EEEEDaS18_S19_EUlS18_E_NS1_11comp_targetILNS1_3genE4ELNS1_11target_archE910ELNS1_3gpuE8ELNS1_3repE0EEENS1_30default_config_static_selectorELNS0_4arch9wavefront6targetE0EEEvT1_
	.globl	_ZN7rocprim17ROCPRIM_400000_NS6detail17trampoline_kernelINS0_14default_configENS1_25partition_config_selectorILNS1_17partition_subalgoE9EsjbEEZZNS1_14partition_implILS5_9ELb0ES3_jN6thrust23THRUST_200600_302600_NS6detail15normal_iteratorINS9_10device_ptrIsEEEENSB_INSC_IjEEEEPNS0_10empty_typeENS0_5tupleIJNS9_16discard_iteratorINS9_11use_defaultEEESH_EEENSJ_IJSM_SI_EEENS0_18inequality_wrapperINS9_8equal_toIsEEEEPmJSH_EEE10hipError_tPvRmT3_T4_T5_T6_T7_T9_mT8_P12ihipStream_tbDpT10_ENKUlT_T0_E_clISt17integral_constantIbLb1EES1C_IbLb0EEEEDaS18_S19_EUlS18_E_NS1_11comp_targetILNS1_3genE4ELNS1_11target_archE910ELNS1_3gpuE8ELNS1_3repE0EEENS1_30default_config_static_selectorELNS0_4arch9wavefront6targetE0EEEvT1_
	.p2align	8
	.type	_ZN7rocprim17ROCPRIM_400000_NS6detail17trampoline_kernelINS0_14default_configENS1_25partition_config_selectorILNS1_17partition_subalgoE9EsjbEEZZNS1_14partition_implILS5_9ELb0ES3_jN6thrust23THRUST_200600_302600_NS6detail15normal_iteratorINS9_10device_ptrIsEEEENSB_INSC_IjEEEEPNS0_10empty_typeENS0_5tupleIJNS9_16discard_iteratorINS9_11use_defaultEEESH_EEENSJ_IJSM_SI_EEENS0_18inequality_wrapperINS9_8equal_toIsEEEEPmJSH_EEE10hipError_tPvRmT3_T4_T5_T6_T7_T9_mT8_P12ihipStream_tbDpT10_ENKUlT_T0_E_clISt17integral_constantIbLb1EES1C_IbLb0EEEEDaS18_S19_EUlS18_E_NS1_11comp_targetILNS1_3genE4ELNS1_11target_archE910ELNS1_3gpuE8ELNS1_3repE0EEENS1_30default_config_static_selectorELNS0_4arch9wavefront6targetE0EEEvT1_,@function
_ZN7rocprim17ROCPRIM_400000_NS6detail17trampoline_kernelINS0_14default_configENS1_25partition_config_selectorILNS1_17partition_subalgoE9EsjbEEZZNS1_14partition_implILS5_9ELb0ES3_jN6thrust23THRUST_200600_302600_NS6detail15normal_iteratorINS9_10device_ptrIsEEEENSB_INSC_IjEEEEPNS0_10empty_typeENS0_5tupleIJNS9_16discard_iteratorINS9_11use_defaultEEESH_EEENSJ_IJSM_SI_EEENS0_18inequality_wrapperINS9_8equal_toIsEEEEPmJSH_EEE10hipError_tPvRmT3_T4_T5_T6_T7_T9_mT8_P12ihipStream_tbDpT10_ENKUlT_T0_E_clISt17integral_constantIbLb1EES1C_IbLb0EEEEDaS18_S19_EUlS18_E_NS1_11comp_targetILNS1_3genE4ELNS1_11target_archE910ELNS1_3gpuE8ELNS1_3repE0EEENS1_30default_config_static_selectorELNS0_4arch9wavefront6targetE0EEEvT1_: ; @_ZN7rocprim17ROCPRIM_400000_NS6detail17trampoline_kernelINS0_14default_configENS1_25partition_config_selectorILNS1_17partition_subalgoE9EsjbEEZZNS1_14partition_implILS5_9ELb0ES3_jN6thrust23THRUST_200600_302600_NS6detail15normal_iteratorINS9_10device_ptrIsEEEENSB_INSC_IjEEEEPNS0_10empty_typeENS0_5tupleIJNS9_16discard_iteratorINS9_11use_defaultEEESH_EEENSJ_IJSM_SI_EEENS0_18inequality_wrapperINS9_8equal_toIsEEEEPmJSH_EEE10hipError_tPvRmT3_T4_T5_T6_T7_T9_mT8_P12ihipStream_tbDpT10_ENKUlT_T0_E_clISt17integral_constantIbLb1EES1C_IbLb0EEEEDaS18_S19_EUlS18_E_NS1_11comp_targetILNS1_3genE4ELNS1_11target_archE910ELNS1_3gpuE8ELNS1_3repE0EEENS1_30default_config_static_selectorELNS0_4arch9wavefront6targetE0EEEvT1_
; %bb.0:
	.section	.rodata,"a",@progbits
	.p2align	6, 0x0
	.amdhsa_kernel _ZN7rocprim17ROCPRIM_400000_NS6detail17trampoline_kernelINS0_14default_configENS1_25partition_config_selectorILNS1_17partition_subalgoE9EsjbEEZZNS1_14partition_implILS5_9ELb0ES3_jN6thrust23THRUST_200600_302600_NS6detail15normal_iteratorINS9_10device_ptrIsEEEENSB_INSC_IjEEEEPNS0_10empty_typeENS0_5tupleIJNS9_16discard_iteratorINS9_11use_defaultEEESH_EEENSJ_IJSM_SI_EEENS0_18inequality_wrapperINS9_8equal_toIsEEEEPmJSH_EEE10hipError_tPvRmT3_T4_T5_T6_T7_T9_mT8_P12ihipStream_tbDpT10_ENKUlT_T0_E_clISt17integral_constantIbLb1EES1C_IbLb0EEEEDaS18_S19_EUlS18_E_NS1_11comp_targetILNS1_3genE4ELNS1_11target_archE910ELNS1_3gpuE8ELNS1_3repE0EEENS1_30default_config_static_selectorELNS0_4arch9wavefront6targetE0EEEvT1_
		.amdhsa_group_segment_fixed_size 0
		.amdhsa_private_segment_fixed_size 0
		.amdhsa_kernarg_size 128
		.amdhsa_user_sgpr_count 15
		.amdhsa_user_sgpr_dispatch_ptr 0
		.amdhsa_user_sgpr_queue_ptr 0
		.amdhsa_user_sgpr_kernarg_segment_ptr 1
		.amdhsa_user_sgpr_dispatch_id 0
		.amdhsa_user_sgpr_private_segment_size 0
		.amdhsa_wavefront_size32 1
		.amdhsa_uses_dynamic_stack 0
		.amdhsa_enable_private_segment 0
		.amdhsa_system_sgpr_workgroup_id_x 1
		.amdhsa_system_sgpr_workgroup_id_y 0
		.amdhsa_system_sgpr_workgroup_id_z 0
		.amdhsa_system_sgpr_workgroup_info 0
		.amdhsa_system_vgpr_workitem_id 0
		.amdhsa_next_free_vgpr 1
		.amdhsa_next_free_sgpr 1
		.amdhsa_reserve_vcc 0
		.amdhsa_float_round_mode_32 0
		.amdhsa_float_round_mode_16_64 0
		.amdhsa_float_denorm_mode_32 3
		.amdhsa_float_denorm_mode_16_64 3
		.amdhsa_dx10_clamp 1
		.amdhsa_ieee_mode 1
		.amdhsa_fp16_overflow 0
		.amdhsa_workgroup_processor_mode 1
		.amdhsa_memory_ordered 1
		.amdhsa_forward_progress 0
		.amdhsa_shared_vgpr_count 0
		.amdhsa_exception_fp_ieee_invalid_op 0
		.amdhsa_exception_fp_denorm_src 0
		.amdhsa_exception_fp_ieee_div_zero 0
		.amdhsa_exception_fp_ieee_overflow 0
		.amdhsa_exception_fp_ieee_underflow 0
		.amdhsa_exception_fp_ieee_inexact 0
		.amdhsa_exception_int_div_zero 0
	.end_amdhsa_kernel
	.section	.text._ZN7rocprim17ROCPRIM_400000_NS6detail17trampoline_kernelINS0_14default_configENS1_25partition_config_selectorILNS1_17partition_subalgoE9EsjbEEZZNS1_14partition_implILS5_9ELb0ES3_jN6thrust23THRUST_200600_302600_NS6detail15normal_iteratorINS9_10device_ptrIsEEEENSB_INSC_IjEEEEPNS0_10empty_typeENS0_5tupleIJNS9_16discard_iteratorINS9_11use_defaultEEESH_EEENSJ_IJSM_SI_EEENS0_18inequality_wrapperINS9_8equal_toIsEEEEPmJSH_EEE10hipError_tPvRmT3_T4_T5_T6_T7_T9_mT8_P12ihipStream_tbDpT10_ENKUlT_T0_E_clISt17integral_constantIbLb1EES1C_IbLb0EEEEDaS18_S19_EUlS18_E_NS1_11comp_targetILNS1_3genE4ELNS1_11target_archE910ELNS1_3gpuE8ELNS1_3repE0EEENS1_30default_config_static_selectorELNS0_4arch9wavefront6targetE0EEEvT1_,"axG",@progbits,_ZN7rocprim17ROCPRIM_400000_NS6detail17trampoline_kernelINS0_14default_configENS1_25partition_config_selectorILNS1_17partition_subalgoE9EsjbEEZZNS1_14partition_implILS5_9ELb0ES3_jN6thrust23THRUST_200600_302600_NS6detail15normal_iteratorINS9_10device_ptrIsEEEENSB_INSC_IjEEEEPNS0_10empty_typeENS0_5tupleIJNS9_16discard_iteratorINS9_11use_defaultEEESH_EEENSJ_IJSM_SI_EEENS0_18inequality_wrapperINS9_8equal_toIsEEEEPmJSH_EEE10hipError_tPvRmT3_T4_T5_T6_T7_T9_mT8_P12ihipStream_tbDpT10_ENKUlT_T0_E_clISt17integral_constantIbLb1EES1C_IbLb0EEEEDaS18_S19_EUlS18_E_NS1_11comp_targetILNS1_3genE4ELNS1_11target_archE910ELNS1_3gpuE8ELNS1_3repE0EEENS1_30default_config_static_selectorELNS0_4arch9wavefront6targetE0EEEvT1_,comdat
.Lfunc_end1191:
	.size	_ZN7rocprim17ROCPRIM_400000_NS6detail17trampoline_kernelINS0_14default_configENS1_25partition_config_selectorILNS1_17partition_subalgoE9EsjbEEZZNS1_14partition_implILS5_9ELb0ES3_jN6thrust23THRUST_200600_302600_NS6detail15normal_iteratorINS9_10device_ptrIsEEEENSB_INSC_IjEEEEPNS0_10empty_typeENS0_5tupleIJNS9_16discard_iteratorINS9_11use_defaultEEESH_EEENSJ_IJSM_SI_EEENS0_18inequality_wrapperINS9_8equal_toIsEEEEPmJSH_EEE10hipError_tPvRmT3_T4_T5_T6_T7_T9_mT8_P12ihipStream_tbDpT10_ENKUlT_T0_E_clISt17integral_constantIbLb1EES1C_IbLb0EEEEDaS18_S19_EUlS18_E_NS1_11comp_targetILNS1_3genE4ELNS1_11target_archE910ELNS1_3gpuE8ELNS1_3repE0EEENS1_30default_config_static_selectorELNS0_4arch9wavefront6targetE0EEEvT1_, .Lfunc_end1191-_ZN7rocprim17ROCPRIM_400000_NS6detail17trampoline_kernelINS0_14default_configENS1_25partition_config_selectorILNS1_17partition_subalgoE9EsjbEEZZNS1_14partition_implILS5_9ELb0ES3_jN6thrust23THRUST_200600_302600_NS6detail15normal_iteratorINS9_10device_ptrIsEEEENSB_INSC_IjEEEEPNS0_10empty_typeENS0_5tupleIJNS9_16discard_iteratorINS9_11use_defaultEEESH_EEENSJ_IJSM_SI_EEENS0_18inequality_wrapperINS9_8equal_toIsEEEEPmJSH_EEE10hipError_tPvRmT3_T4_T5_T6_T7_T9_mT8_P12ihipStream_tbDpT10_ENKUlT_T0_E_clISt17integral_constantIbLb1EES1C_IbLb0EEEEDaS18_S19_EUlS18_E_NS1_11comp_targetILNS1_3genE4ELNS1_11target_archE910ELNS1_3gpuE8ELNS1_3repE0EEENS1_30default_config_static_selectorELNS0_4arch9wavefront6targetE0EEEvT1_
                                        ; -- End function
	.section	.AMDGPU.csdata,"",@progbits
; Kernel info:
; codeLenInByte = 0
; NumSgprs: 0
; NumVgprs: 0
; ScratchSize: 0
; MemoryBound: 0
; FloatMode: 240
; IeeeMode: 1
; LDSByteSize: 0 bytes/workgroup (compile time only)
; SGPRBlocks: 0
; VGPRBlocks: 0
; NumSGPRsForWavesPerEU: 1
; NumVGPRsForWavesPerEU: 1
; Occupancy: 15
; WaveLimiterHint : 0
; COMPUTE_PGM_RSRC2:SCRATCH_EN: 0
; COMPUTE_PGM_RSRC2:USER_SGPR: 15
; COMPUTE_PGM_RSRC2:TRAP_HANDLER: 0
; COMPUTE_PGM_RSRC2:TGID_X_EN: 1
; COMPUTE_PGM_RSRC2:TGID_Y_EN: 0
; COMPUTE_PGM_RSRC2:TGID_Z_EN: 0
; COMPUTE_PGM_RSRC2:TIDIG_COMP_CNT: 0
	.section	.text._ZN7rocprim17ROCPRIM_400000_NS6detail17trampoline_kernelINS0_14default_configENS1_25partition_config_selectorILNS1_17partition_subalgoE9EsjbEEZZNS1_14partition_implILS5_9ELb0ES3_jN6thrust23THRUST_200600_302600_NS6detail15normal_iteratorINS9_10device_ptrIsEEEENSB_INSC_IjEEEEPNS0_10empty_typeENS0_5tupleIJNS9_16discard_iteratorINS9_11use_defaultEEESH_EEENSJ_IJSM_SI_EEENS0_18inequality_wrapperINS9_8equal_toIsEEEEPmJSH_EEE10hipError_tPvRmT3_T4_T5_T6_T7_T9_mT8_P12ihipStream_tbDpT10_ENKUlT_T0_E_clISt17integral_constantIbLb1EES1C_IbLb0EEEEDaS18_S19_EUlS18_E_NS1_11comp_targetILNS1_3genE3ELNS1_11target_archE908ELNS1_3gpuE7ELNS1_3repE0EEENS1_30default_config_static_selectorELNS0_4arch9wavefront6targetE0EEEvT1_,"axG",@progbits,_ZN7rocprim17ROCPRIM_400000_NS6detail17trampoline_kernelINS0_14default_configENS1_25partition_config_selectorILNS1_17partition_subalgoE9EsjbEEZZNS1_14partition_implILS5_9ELb0ES3_jN6thrust23THRUST_200600_302600_NS6detail15normal_iteratorINS9_10device_ptrIsEEEENSB_INSC_IjEEEEPNS0_10empty_typeENS0_5tupleIJNS9_16discard_iteratorINS9_11use_defaultEEESH_EEENSJ_IJSM_SI_EEENS0_18inequality_wrapperINS9_8equal_toIsEEEEPmJSH_EEE10hipError_tPvRmT3_T4_T5_T6_T7_T9_mT8_P12ihipStream_tbDpT10_ENKUlT_T0_E_clISt17integral_constantIbLb1EES1C_IbLb0EEEEDaS18_S19_EUlS18_E_NS1_11comp_targetILNS1_3genE3ELNS1_11target_archE908ELNS1_3gpuE7ELNS1_3repE0EEENS1_30default_config_static_selectorELNS0_4arch9wavefront6targetE0EEEvT1_,comdat
	.protected	_ZN7rocprim17ROCPRIM_400000_NS6detail17trampoline_kernelINS0_14default_configENS1_25partition_config_selectorILNS1_17partition_subalgoE9EsjbEEZZNS1_14partition_implILS5_9ELb0ES3_jN6thrust23THRUST_200600_302600_NS6detail15normal_iteratorINS9_10device_ptrIsEEEENSB_INSC_IjEEEEPNS0_10empty_typeENS0_5tupleIJNS9_16discard_iteratorINS9_11use_defaultEEESH_EEENSJ_IJSM_SI_EEENS0_18inequality_wrapperINS9_8equal_toIsEEEEPmJSH_EEE10hipError_tPvRmT3_T4_T5_T6_T7_T9_mT8_P12ihipStream_tbDpT10_ENKUlT_T0_E_clISt17integral_constantIbLb1EES1C_IbLb0EEEEDaS18_S19_EUlS18_E_NS1_11comp_targetILNS1_3genE3ELNS1_11target_archE908ELNS1_3gpuE7ELNS1_3repE0EEENS1_30default_config_static_selectorELNS0_4arch9wavefront6targetE0EEEvT1_ ; -- Begin function _ZN7rocprim17ROCPRIM_400000_NS6detail17trampoline_kernelINS0_14default_configENS1_25partition_config_selectorILNS1_17partition_subalgoE9EsjbEEZZNS1_14partition_implILS5_9ELb0ES3_jN6thrust23THRUST_200600_302600_NS6detail15normal_iteratorINS9_10device_ptrIsEEEENSB_INSC_IjEEEEPNS0_10empty_typeENS0_5tupleIJNS9_16discard_iteratorINS9_11use_defaultEEESH_EEENSJ_IJSM_SI_EEENS0_18inequality_wrapperINS9_8equal_toIsEEEEPmJSH_EEE10hipError_tPvRmT3_T4_T5_T6_T7_T9_mT8_P12ihipStream_tbDpT10_ENKUlT_T0_E_clISt17integral_constantIbLb1EES1C_IbLb0EEEEDaS18_S19_EUlS18_E_NS1_11comp_targetILNS1_3genE3ELNS1_11target_archE908ELNS1_3gpuE7ELNS1_3repE0EEENS1_30default_config_static_selectorELNS0_4arch9wavefront6targetE0EEEvT1_
	.globl	_ZN7rocprim17ROCPRIM_400000_NS6detail17trampoline_kernelINS0_14default_configENS1_25partition_config_selectorILNS1_17partition_subalgoE9EsjbEEZZNS1_14partition_implILS5_9ELb0ES3_jN6thrust23THRUST_200600_302600_NS6detail15normal_iteratorINS9_10device_ptrIsEEEENSB_INSC_IjEEEEPNS0_10empty_typeENS0_5tupleIJNS9_16discard_iteratorINS9_11use_defaultEEESH_EEENSJ_IJSM_SI_EEENS0_18inequality_wrapperINS9_8equal_toIsEEEEPmJSH_EEE10hipError_tPvRmT3_T4_T5_T6_T7_T9_mT8_P12ihipStream_tbDpT10_ENKUlT_T0_E_clISt17integral_constantIbLb1EES1C_IbLb0EEEEDaS18_S19_EUlS18_E_NS1_11comp_targetILNS1_3genE3ELNS1_11target_archE908ELNS1_3gpuE7ELNS1_3repE0EEENS1_30default_config_static_selectorELNS0_4arch9wavefront6targetE0EEEvT1_
	.p2align	8
	.type	_ZN7rocprim17ROCPRIM_400000_NS6detail17trampoline_kernelINS0_14default_configENS1_25partition_config_selectorILNS1_17partition_subalgoE9EsjbEEZZNS1_14partition_implILS5_9ELb0ES3_jN6thrust23THRUST_200600_302600_NS6detail15normal_iteratorINS9_10device_ptrIsEEEENSB_INSC_IjEEEEPNS0_10empty_typeENS0_5tupleIJNS9_16discard_iteratorINS9_11use_defaultEEESH_EEENSJ_IJSM_SI_EEENS0_18inequality_wrapperINS9_8equal_toIsEEEEPmJSH_EEE10hipError_tPvRmT3_T4_T5_T6_T7_T9_mT8_P12ihipStream_tbDpT10_ENKUlT_T0_E_clISt17integral_constantIbLb1EES1C_IbLb0EEEEDaS18_S19_EUlS18_E_NS1_11comp_targetILNS1_3genE3ELNS1_11target_archE908ELNS1_3gpuE7ELNS1_3repE0EEENS1_30default_config_static_selectorELNS0_4arch9wavefront6targetE0EEEvT1_,@function
_ZN7rocprim17ROCPRIM_400000_NS6detail17trampoline_kernelINS0_14default_configENS1_25partition_config_selectorILNS1_17partition_subalgoE9EsjbEEZZNS1_14partition_implILS5_9ELb0ES3_jN6thrust23THRUST_200600_302600_NS6detail15normal_iteratorINS9_10device_ptrIsEEEENSB_INSC_IjEEEEPNS0_10empty_typeENS0_5tupleIJNS9_16discard_iteratorINS9_11use_defaultEEESH_EEENSJ_IJSM_SI_EEENS0_18inequality_wrapperINS9_8equal_toIsEEEEPmJSH_EEE10hipError_tPvRmT3_T4_T5_T6_T7_T9_mT8_P12ihipStream_tbDpT10_ENKUlT_T0_E_clISt17integral_constantIbLb1EES1C_IbLb0EEEEDaS18_S19_EUlS18_E_NS1_11comp_targetILNS1_3genE3ELNS1_11target_archE908ELNS1_3gpuE7ELNS1_3repE0EEENS1_30default_config_static_selectorELNS0_4arch9wavefront6targetE0EEEvT1_: ; @_ZN7rocprim17ROCPRIM_400000_NS6detail17trampoline_kernelINS0_14default_configENS1_25partition_config_selectorILNS1_17partition_subalgoE9EsjbEEZZNS1_14partition_implILS5_9ELb0ES3_jN6thrust23THRUST_200600_302600_NS6detail15normal_iteratorINS9_10device_ptrIsEEEENSB_INSC_IjEEEEPNS0_10empty_typeENS0_5tupleIJNS9_16discard_iteratorINS9_11use_defaultEEESH_EEENSJ_IJSM_SI_EEENS0_18inequality_wrapperINS9_8equal_toIsEEEEPmJSH_EEE10hipError_tPvRmT3_T4_T5_T6_T7_T9_mT8_P12ihipStream_tbDpT10_ENKUlT_T0_E_clISt17integral_constantIbLb1EES1C_IbLb0EEEEDaS18_S19_EUlS18_E_NS1_11comp_targetILNS1_3genE3ELNS1_11target_archE908ELNS1_3gpuE7ELNS1_3repE0EEENS1_30default_config_static_selectorELNS0_4arch9wavefront6targetE0EEEvT1_
; %bb.0:
	.section	.rodata,"a",@progbits
	.p2align	6, 0x0
	.amdhsa_kernel _ZN7rocprim17ROCPRIM_400000_NS6detail17trampoline_kernelINS0_14default_configENS1_25partition_config_selectorILNS1_17partition_subalgoE9EsjbEEZZNS1_14partition_implILS5_9ELb0ES3_jN6thrust23THRUST_200600_302600_NS6detail15normal_iteratorINS9_10device_ptrIsEEEENSB_INSC_IjEEEEPNS0_10empty_typeENS0_5tupleIJNS9_16discard_iteratorINS9_11use_defaultEEESH_EEENSJ_IJSM_SI_EEENS0_18inequality_wrapperINS9_8equal_toIsEEEEPmJSH_EEE10hipError_tPvRmT3_T4_T5_T6_T7_T9_mT8_P12ihipStream_tbDpT10_ENKUlT_T0_E_clISt17integral_constantIbLb1EES1C_IbLb0EEEEDaS18_S19_EUlS18_E_NS1_11comp_targetILNS1_3genE3ELNS1_11target_archE908ELNS1_3gpuE7ELNS1_3repE0EEENS1_30default_config_static_selectorELNS0_4arch9wavefront6targetE0EEEvT1_
		.amdhsa_group_segment_fixed_size 0
		.amdhsa_private_segment_fixed_size 0
		.amdhsa_kernarg_size 128
		.amdhsa_user_sgpr_count 15
		.amdhsa_user_sgpr_dispatch_ptr 0
		.amdhsa_user_sgpr_queue_ptr 0
		.amdhsa_user_sgpr_kernarg_segment_ptr 1
		.amdhsa_user_sgpr_dispatch_id 0
		.amdhsa_user_sgpr_private_segment_size 0
		.amdhsa_wavefront_size32 1
		.amdhsa_uses_dynamic_stack 0
		.amdhsa_enable_private_segment 0
		.amdhsa_system_sgpr_workgroup_id_x 1
		.amdhsa_system_sgpr_workgroup_id_y 0
		.amdhsa_system_sgpr_workgroup_id_z 0
		.amdhsa_system_sgpr_workgroup_info 0
		.amdhsa_system_vgpr_workitem_id 0
		.amdhsa_next_free_vgpr 1
		.amdhsa_next_free_sgpr 1
		.amdhsa_reserve_vcc 0
		.amdhsa_float_round_mode_32 0
		.amdhsa_float_round_mode_16_64 0
		.amdhsa_float_denorm_mode_32 3
		.amdhsa_float_denorm_mode_16_64 3
		.amdhsa_dx10_clamp 1
		.amdhsa_ieee_mode 1
		.amdhsa_fp16_overflow 0
		.amdhsa_workgroup_processor_mode 1
		.amdhsa_memory_ordered 1
		.amdhsa_forward_progress 0
		.amdhsa_shared_vgpr_count 0
		.amdhsa_exception_fp_ieee_invalid_op 0
		.amdhsa_exception_fp_denorm_src 0
		.amdhsa_exception_fp_ieee_div_zero 0
		.amdhsa_exception_fp_ieee_overflow 0
		.amdhsa_exception_fp_ieee_underflow 0
		.amdhsa_exception_fp_ieee_inexact 0
		.amdhsa_exception_int_div_zero 0
	.end_amdhsa_kernel
	.section	.text._ZN7rocprim17ROCPRIM_400000_NS6detail17trampoline_kernelINS0_14default_configENS1_25partition_config_selectorILNS1_17partition_subalgoE9EsjbEEZZNS1_14partition_implILS5_9ELb0ES3_jN6thrust23THRUST_200600_302600_NS6detail15normal_iteratorINS9_10device_ptrIsEEEENSB_INSC_IjEEEEPNS0_10empty_typeENS0_5tupleIJNS9_16discard_iteratorINS9_11use_defaultEEESH_EEENSJ_IJSM_SI_EEENS0_18inequality_wrapperINS9_8equal_toIsEEEEPmJSH_EEE10hipError_tPvRmT3_T4_T5_T6_T7_T9_mT8_P12ihipStream_tbDpT10_ENKUlT_T0_E_clISt17integral_constantIbLb1EES1C_IbLb0EEEEDaS18_S19_EUlS18_E_NS1_11comp_targetILNS1_3genE3ELNS1_11target_archE908ELNS1_3gpuE7ELNS1_3repE0EEENS1_30default_config_static_selectorELNS0_4arch9wavefront6targetE0EEEvT1_,"axG",@progbits,_ZN7rocprim17ROCPRIM_400000_NS6detail17trampoline_kernelINS0_14default_configENS1_25partition_config_selectorILNS1_17partition_subalgoE9EsjbEEZZNS1_14partition_implILS5_9ELb0ES3_jN6thrust23THRUST_200600_302600_NS6detail15normal_iteratorINS9_10device_ptrIsEEEENSB_INSC_IjEEEEPNS0_10empty_typeENS0_5tupleIJNS9_16discard_iteratorINS9_11use_defaultEEESH_EEENSJ_IJSM_SI_EEENS0_18inequality_wrapperINS9_8equal_toIsEEEEPmJSH_EEE10hipError_tPvRmT3_T4_T5_T6_T7_T9_mT8_P12ihipStream_tbDpT10_ENKUlT_T0_E_clISt17integral_constantIbLb1EES1C_IbLb0EEEEDaS18_S19_EUlS18_E_NS1_11comp_targetILNS1_3genE3ELNS1_11target_archE908ELNS1_3gpuE7ELNS1_3repE0EEENS1_30default_config_static_selectorELNS0_4arch9wavefront6targetE0EEEvT1_,comdat
.Lfunc_end1192:
	.size	_ZN7rocprim17ROCPRIM_400000_NS6detail17trampoline_kernelINS0_14default_configENS1_25partition_config_selectorILNS1_17partition_subalgoE9EsjbEEZZNS1_14partition_implILS5_9ELb0ES3_jN6thrust23THRUST_200600_302600_NS6detail15normal_iteratorINS9_10device_ptrIsEEEENSB_INSC_IjEEEEPNS0_10empty_typeENS0_5tupleIJNS9_16discard_iteratorINS9_11use_defaultEEESH_EEENSJ_IJSM_SI_EEENS0_18inequality_wrapperINS9_8equal_toIsEEEEPmJSH_EEE10hipError_tPvRmT3_T4_T5_T6_T7_T9_mT8_P12ihipStream_tbDpT10_ENKUlT_T0_E_clISt17integral_constantIbLb1EES1C_IbLb0EEEEDaS18_S19_EUlS18_E_NS1_11comp_targetILNS1_3genE3ELNS1_11target_archE908ELNS1_3gpuE7ELNS1_3repE0EEENS1_30default_config_static_selectorELNS0_4arch9wavefront6targetE0EEEvT1_, .Lfunc_end1192-_ZN7rocprim17ROCPRIM_400000_NS6detail17trampoline_kernelINS0_14default_configENS1_25partition_config_selectorILNS1_17partition_subalgoE9EsjbEEZZNS1_14partition_implILS5_9ELb0ES3_jN6thrust23THRUST_200600_302600_NS6detail15normal_iteratorINS9_10device_ptrIsEEEENSB_INSC_IjEEEEPNS0_10empty_typeENS0_5tupleIJNS9_16discard_iteratorINS9_11use_defaultEEESH_EEENSJ_IJSM_SI_EEENS0_18inequality_wrapperINS9_8equal_toIsEEEEPmJSH_EEE10hipError_tPvRmT3_T4_T5_T6_T7_T9_mT8_P12ihipStream_tbDpT10_ENKUlT_T0_E_clISt17integral_constantIbLb1EES1C_IbLb0EEEEDaS18_S19_EUlS18_E_NS1_11comp_targetILNS1_3genE3ELNS1_11target_archE908ELNS1_3gpuE7ELNS1_3repE0EEENS1_30default_config_static_selectorELNS0_4arch9wavefront6targetE0EEEvT1_
                                        ; -- End function
	.section	.AMDGPU.csdata,"",@progbits
; Kernel info:
; codeLenInByte = 0
; NumSgprs: 0
; NumVgprs: 0
; ScratchSize: 0
; MemoryBound: 0
; FloatMode: 240
; IeeeMode: 1
; LDSByteSize: 0 bytes/workgroup (compile time only)
; SGPRBlocks: 0
; VGPRBlocks: 0
; NumSGPRsForWavesPerEU: 1
; NumVGPRsForWavesPerEU: 1
; Occupancy: 16
; WaveLimiterHint : 0
; COMPUTE_PGM_RSRC2:SCRATCH_EN: 0
; COMPUTE_PGM_RSRC2:USER_SGPR: 15
; COMPUTE_PGM_RSRC2:TRAP_HANDLER: 0
; COMPUTE_PGM_RSRC2:TGID_X_EN: 1
; COMPUTE_PGM_RSRC2:TGID_Y_EN: 0
; COMPUTE_PGM_RSRC2:TGID_Z_EN: 0
; COMPUTE_PGM_RSRC2:TIDIG_COMP_CNT: 0
	.section	.text._ZN7rocprim17ROCPRIM_400000_NS6detail17trampoline_kernelINS0_14default_configENS1_25partition_config_selectorILNS1_17partition_subalgoE9EsjbEEZZNS1_14partition_implILS5_9ELb0ES3_jN6thrust23THRUST_200600_302600_NS6detail15normal_iteratorINS9_10device_ptrIsEEEENSB_INSC_IjEEEEPNS0_10empty_typeENS0_5tupleIJNS9_16discard_iteratorINS9_11use_defaultEEESH_EEENSJ_IJSM_SI_EEENS0_18inequality_wrapperINS9_8equal_toIsEEEEPmJSH_EEE10hipError_tPvRmT3_T4_T5_T6_T7_T9_mT8_P12ihipStream_tbDpT10_ENKUlT_T0_E_clISt17integral_constantIbLb1EES1C_IbLb0EEEEDaS18_S19_EUlS18_E_NS1_11comp_targetILNS1_3genE2ELNS1_11target_archE906ELNS1_3gpuE6ELNS1_3repE0EEENS1_30default_config_static_selectorELNS0_4arch9wavefront6targetE0EEEvT1_,"axG",@progbits,_ZN7rocprim17ROCPRIM_400000_NS6detail17trampoline_kernelINS0_14default_configENS1_25partition_config_selectorILNS1_17partition_subalgoE9EsjbEEZZNS1_14partition_implILS5_9ELb0ES3_jN6thrust23THRUST_200600_302600_NS6detail15normal_iteratorINS9_10device_ptrIsEEEENSB_INSC_IjEEEEPNS0_10empty_typeENS0_5tupleIJNS9_16discard_iteratorINS9_11use_defaultEEESH_EEENSJ_IJSM_SI_EEENS0_18inequality_wrapperINS9_8equal_toIsEEEEPmJSH_EEE10hipError_tPvRmT3_T4_T5_T6_T7_T9_mT8_P12ihipStream_tbDpT10_ENKUlT_T0_E_clISt17integral_constantIbLb1EES1C_IbLb0EEEEDaS18_S19_EUlS18_E_NS1_11comp_targetILNS1_3genE2ELNS1_11target_archE906ELNS1_3gpuE6ELNS1_3repE0EEENS1_30default_config_static_selectorELNS0_4arch9wavefront6targetE0EEEvT1_,comdat
	.protected	_ZN7rocprim17ROCPRIM_400000_NS6detail17trampoline_kernelINS0_14default_configENS1_25partition_config_selectorILNS1_17partition_subalgoE9EsjbEEZZNS1_14partition_implILS5_9ELb0ES3_jN6thrust23THRUST_200600_302600_NS6detail15normal_iteratorINS9_10device_ptrIsEEEENSB_INSC_IjEEEEPNS0_10empty_typeENS0_5tupleIJNS9_16discard_iteratorINS9_11use_defaultEEESH_EEENSJ_IJSM_SI_EEENS0_18inequality_wrapperINS9_8equal_toIsEEEEPmJSH_EEE10hipError_tPvRmT3_T4_T5_T6_T7_T9_mT8_P12ihipStream_tbDpT10_ENKUlT_T0_E_clISt17integral_constantIbLb1EES1C_IbLb0EEEEDaS18_S19_EUlS18_E_NS1_11comp_targetILNS1_3genE2ELNS1_11target_archE906ELNS1_3gpuE6ELNS1_3repE0EEENS1_30default_config_static_selectorELNS0_4arch9wavefront6targetE0EEEvT1_ ; -- Begin function _ZN7rocprim17ROCPRIM_400000_NS6detail17trampoline_kernelINS0_14default_configENS1_25partition_config_selectorILNS1_17partition_subalgoE9EsjbEEZZNS1_14partition_implILS5_9ELb0ES3_jN6thrust23THRUST_200600_302600_NS6detail15normal_iteratorINS9_10device_ptrIsEEEENSB_INSC_IjEEEEPNS0_10empty_typeENS0_5tupleIJNS9_16discard_iteratorINS9_11use_defaultEEESH_EEENSJ_IJSM_SI_EEENS0_18inequality_wrapperINS9_8equal_toIsEEEEPmJSH_EEE10hipError_tPvRmT3_T4_T5_T6_T7_T9_mT8_P12ihipStream_tbDpT10_ENKUlT_T0_E_clISt17integral_constantIbLb1EES1C_IbLb0EEEEDaS18_S19_EUlS18_E_NS1_11comp_targetILNS1_3genE2ELNS1_11target_archE906ELNS1_3gpuE6ELNS1_3repE0EEENS1_30default_config_static_selectorELNS0_4arch9wavefront6targetE0EEEvT1_
	.globl	_ZN7rocprim17ROCPRIM_400000_NS6detail17trampoline_kernelINS0_14default_configENS1_25partition_config_selectorILNS1_17partition_subalgoE9EsjbEEZZNS1_14partition_implILS5_9ELb0ES3_jN6thrust23THRUST_200600_302600_NS6detail15normal_iteratorINS9_10device_ptrIsEEEENSB_INSC_IjEEEEPNS0_10empty_typeENS0_5tupleIJNS9_16discard_iteratorINS9_11use_defaultEEESH_EEENSJ_IJSM_SI_EEENS0_18inequality_wrapperINS9_8equal_toIsEEEEPmJSH_EEE10hipError_tPvRmT3_T4_T5_T6_T7_T9_mT8_P12ihipStream_tbDpT10_ENKUlT_T0_E_clISt17integral_constantIbLb1EES1C_IbLb0EEEEDaS18_S19_EUlS18_E_NS1_11comp_targetILNS1_3genE2ELNS1_11target_archE906ELNS1_3gpuE6ELNS1_3repE0EEENS1_30default_config_static_selectorELNS0_4arch9wavefront6targetE0EEEvT1_
	.p2align	8
	.type	_ZN7rocprim17ROCPRIM_400000_NS6detail17trampoline_kernelINS0_14default_configENS1_25partition_config_selectorILNS1_17partition_subalgoE9EsjbEEZZNS1_14partition_implILS5_9ELb0ES3_jN6thrust23THRUST_200600_302600_NS6detail15normal_iteratorINS9_10device_ptrIsEEEENSB_INSC_IjEEEEPNS0_10empty_typeENS0_5tupleIJNS9_16discard_iteratorINS9_11use_defaultEEESH_EEENSJ_IJSM_SI_EEENS0_18inequality_wrapperINS9_8equal_toIsEEEEPmJSH_EEE10hipError_tPvRmT3_T4_T5_T6_T7_T9_mT8_P12ihipStream_tbDpT10_ENKUlT_T0_E_clISt17integral_constantIbLb1EES1C_IbLb0EEEEDaS18_S19_EUlS18_E_NS1_11comp_targetILNS1_3genE2ELNS1_11target_archE906ELNS1_3gpuE6ELNS1_3repE0EEENS1_30default_config_static_selectorELNS0_4arch9wavefront6targetE0EEEvT1_,@function
_ZN7rocprim17ROCPRIM_400000_NS6detail17trampoline_kernelINS0_14default_configENS1_25partition_config_selectorILNS1_17partition_subalgoE9EsjbEEZZNS1_14partition_implILS5_9ELb0ES3_jN6thrust23THRUST_200600_302600_NS6detail15normal_iteratorINS9_10device_ptrIsEEEENSB_INSC_IjEEEEPNS0_10empty_typeENS0_5tupleIJNS9_16discard_iteratorINS9_11use_defaultEEESH_EEENSJ_IJSM_SI_EEENS0_18inequality_wrapperINS9_8equal_toIsEEEEPmJSH_EEE10hipError_tPvRmT3_T4_T5_T6_T7_T9_mT8_P12ihipStream_tbDpT10_ENKUlT_T0_E_clISt17integral_constantIbLb1EES1C_IbLb0EEEEDaS18_S19_EUlS18_E_NS1_11comp_targetILNS1_3genE2ELNS1_11target_archE906ELNS1_3gpuE6ELNS1_3repE0EEENS1_30default_config_static_selectorELNS0_4arch9wavefront6targetE0EEEvT1_: ; @_ZN7rocprim17ROCPRIM_400000_NS6detail17trampoline_kernelINS0_14default_configENS1_25partition_config_selectorILNS1_17partition_subalgoE9EsjbEEZZNS1_14partition_implILS5_9ELb0ES3_jN6thrust23THRUST_200600_302600_NS6detail15normal_iteratorINS9_10device_ptrIsEEEENSB_INSC_IjEEEEPNS0_10empty_typeENS0_5tupleIJNS9_16discard_iteratorINS9_11use_defaultEEESH_EEENSJ_IJSM_SI_EEENS0_18inequality_wrapperINS9_8equal_toIsEEEEPmJSH_EEE10hipError_tPvRmT3_T4_T5_T6_T7_T9_mT8_P12ihipStream_tbDpT10_ENKUlT_T0_E_clISt17integral_constantIbLb1EES1C_IbLb0EEEEDaS18_S19_EUlS18_E_NS1_11comp_targetILNS1_3genE2ELNS1_11target_archE906ELNS1_3gpuE6ELNS1_3repE0EEENS1_30default_config_static_selectorELNS0_4arch9wavefront6targetE0EEEvT1_
; %bb.0:
	.section	.rodata,"a",@progbits
	.p2align	6, 0x0
	.amdhsa_kernel _ZN7rocprim17ROCPRIM_400000_NS6detail17trampoline_kernelINS0_14default_configENS1_25partition_config_selectorILNS1_17partition_subalgoE9EsjbEEZZNS1_14partition_implILS5_9ELb0ES3_jN6thrust23THRUST_200600_302600_NS6detail15normal_iteratorINS9_10device_ptrIsEEEENSB_INSC_IjEEEEPNS0_10empty_typeENS0_5tupleIJNS9_16discard_iteratorINS9_11use_defaultEEESH_EEENSJ_IJSM_SI_EEENS0_18inequality_wrapperINS9_8equal_toIsEEEEPmJSH_EEE10hipError_tPvRmT3_T4_T5_T6_T7_T9_mT8_P12ihipStream_tbDpT10_ENKUlT_T0_E_clISt17integral_constantIbLb1EES1C_IbLb0EEEEDaS18_S19_EUlS18_E_NS1_11comp_targetILNS1_3genE2ELNS1_11target_archE906ELNS1_3gpuE6ELNS1_3repE0EEENS1_30default_config_static_selectorELNS0_4arch9wavefront6targetE0EEEvT1_
		.amdhsa_group_segment_fixed_size 0
		.amdhsa_private_segment_fixed_size 0
		.amdhsa_kernarg_size 128
		.amdhsa_user_sgpr_count 15
		.amdhsa_user_sgpr_dispatch_ptr 0
		.amdhsa_user_sgpr_queue_ptr 0
		.amdhsa_user_sgpr_kernarg_segment_ptr 1
		.amdhsa_user_sgpr_dispatch_id 0
		.amdhsa_user_sgpr_private_segment_size 0
		.amdhsa_wavefront_size32 1
		.amdhsa_uses_dynamic_stack 0
		.amdhsa_enable_private_segment 0
		.amdhsa_system_sgpr_workgroup_id_x 1
		.amdhsa_system_sgpr_workgroup_id_y 0
		.amdhsa_system_sgpr_workgroup_id_z 0
		.amdhsa_system_sgpr_workgroup_info 0
		.amdhsa_system_vgpr_workitem_id 0
		.amdhsa_next_free_vgpr 1
		.amdhsa_next_free_sgpr 1
		.amdhsa_reserve_vcc 0
		.amdhsa_float_round_mode_32 0
		.amdhsa_float_round_mode_16_64 0
		.amdhsa_float_denorm_mode_32 3
		.amdhsa_float_denorm_mode_16_64 3
		.amdhsa_dx10_clamp 1
		.amdhsa_ieee_mode 1
		.amdhsa_fp16_overflow 0
		.amdhsa_workgroup_processor_mode 1
		.amdhsa_memory_ordered 1
		.amdhsa_forward_progress 0
		.amdhsa_shared_vgpr_count 0
		.amdhsa_exception_fp_ieee_invalid_op 0
		.amdhsa_exception_fp_denorm_src 0
		.amdhsa_exception_fp_ieee_div_zero 0
		.amdhsa_exception_fp_ieee_overflow 0
		.amdhsa_exception_fp_ieee_underflow 0
		.amdhsa_exception_fp_ieee_inexact 0
		.amdhsa_exception_int_div_zero 0
	.end_amdhsa_kernel
	.section	.text._ZN7rocprim17ROCPRIM_400000_NS6detail17trampoline_kernelINS0_14default_configENS1_25partition_config_selectorILNS1_17partition_subalgoE9EsjbEEZZNS1_14partition_implILS5_9ELb0ES3_jN6thrust23THRUST_200600_302600_NS6detail15normal_iteratorINS9_10device_ptrIsEEEENSB_INSC_IjEEEEPNS0_10empty_typeENS0_5tupleIJNS9_16discard_iteratorINS9_11use_defaultEEESH_EEENSJ_IJSM_SI_EEENS0_18inequality_wrapperINS9_8equal_toIsEEEEPmJSH_EEE10hipError_tPvRmT3_T4_T5_T6_T7_T9_mT8_P12ihipStream_tbDpT10_ENKUlT_T0_E_clISt17integral_constantIbLb1EES1C_IbLb0EEEEDaS18_S19_EUlS18_E_NS1_11comp_targetILNS1_3genE2ELNS1_11target_archE906ELNS1_3gpuE6ELNS1_3repE0EEENS1_30default_config_static_selectorELNS0_4arch9wavefront6targetE0EEEvT1_,"axG",@progbits,_ZN7rocprim17ROCPRIM_400000_NS6detail17trampoline_kernelINS0_14default_configENS1_25partition_config_selectorILNS1_17partition_subalgoE9EsjbEEZZNS1_14partition_implILS5_9ELb0ES3_jN6thrust23THRUST_200600_302600_NS6detail15normal_iteratorINS9_10device_ptrIsEEEENSB_INSC_IjEEEEPNS0_10empty_typeENS0_5tupleIJNS9_16discard_iteratorINS9_11use_defaultEEESH_EEENSJ_IJSM_SI_EEENS0_18inequality_wrapperINS9_8equal_toIsEEEEPmJSH_EEE10hipError_tPvRmT3_T4_T5_T6_T7_T9_mT8_P12ihipStream_tbDpT10_ENKUlT_T0_E_clISt17integral_constantIbLb1EES1C_IbLb0EEEEDaS18_S19_EUlS18_E_NS1_11comp_targetILNS1_3genE2ELNS1_11target_archE906ELNS1_3gpuE6ELNS1_3repE0EEENS1_30default_config_static_selectorELNS0_4arch9wavefront6targetE0EEEvT1_,comdat
.Lfunc_end1193:
	.size	_ZN7rocprim17ROCPRIM_400000_NS6detail17trampoline_kernelINS0_14default_configENS1_25partition_config_selectorILNS1_17partition_subalgoE9EsjbEEZZNS1_14partition_implILS5_9ELb0ES3_jN6thrust23THRUST_200600_302600_NS6detail15normal_iteratorINS9_10device_ptrIsEEEENSB_INSC_IjEEEEPNS0_10empty_typeENS0_5tupleIJNS9_16discard_iteratorINS9_11use_defaultEEESH_EEENSJ_IJSM_SI_EEENS0_18inequality_wrapperINS9_8equal_toIsEEEEPmJSH_EEE10hipError_tPvRmT3_T4_T5_T6_T7_T9_mT8_P12ihipStream_tbDpT10_ENKUlT_T0_E_clISt17integral_constantIbLb1EES1C_IbLb0EEEEDaS18_S19_EUlS18_E_NS1_11comp_targetILNS1_3genE2ELNS1_11target_archE906ELNS1_3gpuE6ELNS1_3repE0EEENS1_30default_config_static_selectorELNS0_4arch9wavefront6targetE0EEEvT1_, .Lfunc_end1193-_ZN7rocprim17ROCPRIM_400000_NS6detail17trampoline_kernelINS0_14default_configENS1_25partition_config_selectorILNS1_17partition_subalgoE9EsjbEEZZNS1_14partition_implILS5_9ELb0ES3_jN6thrust23THRUST_200600_302600_NS6detail15normal_iteratorINS9_10device_ptrIsEEEENSB_INSC_IjEEEEPNS0_10empty_typeENS0_5tupleIJNS9_16discard_iteratorINS9_11use_defaultEEESH_EEENSJ_IJSM_SI_EEENS0_18inequality_wrapperINS9_8equal_toIsEEEEPmJSH_EEE10hipError_tPvRmT3_T4_T5_T6_T7_T9_mT8_P12ihipStream_tbDpT10_ENKUlT_T0_E_clISt17integral_constantIbLb1EES1C_IbLb0EEEEDaS18_S19_EUlS18_E_NS1_11comp_targetILNS1_3genE2ELNS1_11target_archE906ELNS1_3gpuE6ELNS1_3repE0EEENS1_30default_config_static_selectorELNS0_4arch9wavefront6targetE0EEEvT1_
                                        ; -- End function
	.section	.AMDGPU.csdata,"",@progbits
; Kernel info:
; codeLenInByte = 0
; NumSgprs: 0
; NumVgprs: 0
; ScratchSize: 0
; MemoryBound: 0
; FloatMode: 240
; IeeeMode: 1
; LDSByteSize: 0 bytes/workgroup (compile time only)
; SGPRBlocks: 0
; VGPRBlocks: 0
; NumSGPRsForWavesPerEU: 1
; NumVGPRsForWavesPerEU: 1
; Occupancy: 16
; WaveLimiterHint : 0
; COMPUTE_PGM_RSRC2:SCRATCH_EN: 0
; COMPUTE_PGM_RSRC2:USER_SGPR: 15
; COMPUTE_PGM_RSRC2:TRAP_HANDLER: 0
; COMPUTE_PGM_RSRC2:TGID_X_EN: 1
; COMPUTE_PGM_RSRC2:TGID_Y_EN: 0
; COMPUTE_PGM_RSRC2:TGID_Z_EN: 0
; COMPUTE_PGM_RSRC2:TIDIG_COMP_CNT: 0
	.section	.text._ZN7rocprim17ROCPRIM_400000_NS6detail17trampoline_kernelINS0_14default_configENS1_25partition_config_selectorILNS1_17partition_subalgoE9EsjbEEZZNS1_14partition_implILS5_9ELb0ES3_jN6thrust23THRUST_200600_302600_NS6detail15normal_iteratorINS9_10device_ptrIsEEEENSB_INSC_IjEEEEPNS0_10empty_typeENS0_5tupleIJNS9_16discard_iteratorINS9_11use_defaultEEESH_EEENSJ_IJSM_SI_EEENS0_18inequality_wrapperINS9_8equal_toIsEEEEPmJSH_EEE10hipError_tPvRmT3_T4_T5_T6_T7_T9_mT8_P12ihipStream_tbDpT10_ENKUlT_T0_E_clISt17integral_constantIbLb1EES1C_IbLb0EEEEDaS18_S19_EUlS18_E_NS1_11comp_targetILNS1_3genE10ELNS1_11target_archE1200ELNS1_3gpuE4ELNS1_3repE0EEENS1_30default_config_static_selectorELNS0_4arch9wavefront6targetE0EEEvT1_,"axG",@progbits,_ZN7rocprim17ROCPRIM_400000_NS6detail17trampoline_kernelINS0_14default_configENS1_25partition_config_selectorILNS1_17partition_subalgoE9EsjbEEZZNS1_14partition_implILS5_9ELb0ES3_jN6thrust23THRUST_200600_302600_NS6detail15normal_iteratorINS9_10device_ptrIsEEEENSB_INSC_IjEEEEPNS0_10empty_typeENS0_5tupleIJNS9_16discard_iteratorINS9_11use_defaultEEESH_EEENSJ_IJSM_SI_EEENS0_18inequality_wrapperINS9_8equal_toIsEEEEPmJSH_EEE10hipError_tPvRmT3_T4_T5_T6_T7_T9_mT8_P12ihipStream_tbDpT10_ENKUlT_T0_E_clISt17integral_constantIbLb1EES1C_IbLb0EEEEDaS18_S19_EUlS18_E_NS1_11comp_targetILNS1_3genE10ELNS1_11target_archE1200ELNS1_3gpuE4ELNS1_3repE0EEENS1_30default_config_static_selectorELNS0_4arch9wavefront6targetE0EEEvT1_,comdat
	.protected	_ZN7rocprim17ROCPRIM_400000_NS6detail17trampoline_kernelINS0_14default_configENS1_25partition_config_selectorILNS1_17partition_subalgoE9EsjbEEZZNS1_14partition_implILS5_9ELb0ES3_jN6thrust23THRUST_200600_302600_NS6detail15normal_iteratorINS9_10device_ptrIsEEEENSB_INSC_IjEEEEPNS0_10empty_typeENS0_5tupleIJNS9_16discard_iteratorINS9_11use_defaultEEESH_EEENSJ_IJSM_SI_EEENS0_18inequality_wrapperINS9_8equal_toIsEEEEPmJSH_EEE10hipError_tPvRmT3_T4_T5_T6_T7_T9_mT8_P12ihipStream_tbDpT10_ENKUlT_T0_E_clISt17integral_constantIbLb1EES1C_IbLb0EEEEDaS18_S19_EUlS18_E_NS1_11comp_targetILNS1_3genE10ELNS1_11target_archE1200ELNS1_3gpuE4ELNS1_3repE0EEENS1_30default_config_static_selectorELNS0_4arch9wavefront6targetE0EEEvT1_ ; -- Begin function _ZN7rocprim17ROCPRIM_400000_NS6detail17trampoline_kernelINS0_14default_configENS1_25partition_config_selectorILNS1_17partition_subalgoE9EsjbEEZZNS1_14partition_implILS5_9ELb0ES3_jN6thrust23THRUST_200600_302600_NS6detail15normal_iteratorINS9_10device_ptrIsEEEENSB_INSC_IjEEEEPNS0_10empty_typeENS0_5tupleIJNS9_16discard_iteratorINS9_11use_defaultEEESH_EEENSJ_IJSM_SI_EEENS0_18inequality_wrapperINS9_8equal_toIsEEEEPmJSH_EEE10hipError_tPvRmT3_T4_T5_T6_T7_T9_mT8_P12ihipStream_tbDpT10_ENKUlT_T0_E_clISt17integral_constantIbLb1EES1C_IbLb0EEEEDaS18_S19_EUlS18_E_NS1_11comp_targetILNS1_3genE10ELNS1_11target_archE1200ELNS1_3gpuE4ELNS1_3repE0EEENS1_30default_config_static_selectorELNS0_4arch9wavefront6targetE0EEEvT1_
	.globl	_ZN7rocprim17ROCPRIM_400000_NS6detail17trampoline_kernelINS0_14default_configENS1_25partition_config_selectorILNS1_17partition_subalgoE9EsjbEEZZNS1_14partition_implILS5_9ELb0ES3_jN6thrust23THRUST_200600_302600_NS6detail15normal_iteratorINS9_10device_ptrIsEEEENSB_INSC_IjEEEEPNS0_10empty_typeENS0_5tupleIJNS9_16discard_iteratorINS9_11use_defaultEEESH_EEENSJ_IJSM_SI_EEENS0_18inequality_wrapperINS9_8equal_toIsEEEEPmJSH_EEE10hipError_tPvRmT3_T4_T5_T6_T7_T9_mT8_P12ihipStream_tbDpT10_ENKUlT_T0_E_clISt17integral_constantIbLb1EES1C_IbLb0EEEEDaS18_S19_EUlS18_E_NS1_11comp_targetILNS1_3genE10ELNS1_11target_archE1200ELNS1_3gpuE4ELNS1_3repE0EEENS1_30default_config_static_selectorELNS0_4arch9wavefront6targetE0EEEvT1_
	.p2align	8
	.type	_ZN7rocprim17ROCPRIM_400000_NS6detail17trampoline_kernelINS0_14default_configENS1_25partition_config_selectorILNS1_17partition_subalgoE9EsjbEEZZNS1_14partition_implILS5_9ELb0ES3_jN6thrust23THRUST_200600_302600_NS6detail15normal_iteratorINS9_10device_ptrIsEEEENSB_INSC_IjEEEEPNS0_10empty_typeENS0_5tupleIJNS9_16discard_iteratorINS9_11use_defaultEEESH_EEENSJ_IJSM_SI_EEENS0_18inequality_wrapperINS9_8equal_toIsEEEEPmJSH_EEE10hipError_tPvRmT3_T4_T5_T6_T7_T9_mT8_P12ihipStream_tbDpT10_ENKUlT_T0_E_clISt17integral_constantIbLb1EES1C_IbLb0EEEEDaS18_S19_EUlS18_E_NS1_11comp_targetILNS1_3genE10ELNS1_11target_archE1200ELNS1_3gpuE4ELNS1_3repE0EEENS1_30default_config_static_selectorELNS0_4arch9wavefront6targetE0EEEvT1_,@function
_ZN7rocprim17ROCPRIM_400000_NS6detail17trampoline_kernelINS0_14default_configENS1_25partition_config_selectorILNS1_17partition_subalgoE9EsjbEEZZNS1_14partition_implILS5_9ELb0ES3_jN6thrust23THRUST_200600_302600_NS6detail15normal_iteratorINS9_10device_ptrIsEEEENSB_INSC_IjEEEEPNS0_10empty_typeENS0_5tupleIJNS9_16discard_iteratorINS9_11use_defaultEEESH_EEENSJ_IJSM_SI_EEENS0_18inequality_wrapperINS9_8equal_toIsEEEEPmJSH_EEE10hipError_tPvRmT3_T4_T5_T6_T7_T9_mT8_P12ihipStream_tbDpT10_ENKUlT_T0_E_clISt17integral_constantIbLb1EES1C_IbLb0EEEEDaS18_S19_EUlS18_E_NS1_11comp_targetILNS1_3genE10ELNS1_11target_archE1200ELNS1_3gpuE4ELNS1_3repE0EEENS1_30default_config_static_selectorELNS0_4arch9wavefront6targetE0EEEvT1_: ; @_ZN7rocprim17ROCPRIM_400000_NS6detail17trampoline_kernelINS0_14default_configENS1_25partition_config_selectorILNS1_17partition_subalgoE9EsjbEEZZNS1_14partition_implILS5_9ELb0ES3_jN6thrust23THRUST_200600_302600_NS6detail15normal_iteratorINS9_10device_ptrIsEEEENSB_INSC_IjEEEEPNS0_10empty_typeENS0_5tupleIJNS9_16discard_iteratorINS9_11use_defaultEEESH_EEENSJ_IJSM_SI_EEENS0_18inequality_wrapperINS9_8equal_toIsEEEEPmJSH_EEE10hipError_tPvRmT3_T4_T5_T6_T7_T9_mT8_P12ihipStream_tbDpT10_ENKUlT_T0_E_clISt17integral_constantIbLb1EES1C_IbLb0EEEEDaS18_S19_EUlS18_E_NS1_11comp_targetILNS1_3genE10ELNS1_11target_archE1200ELNS1_3gpuE4ELNS1_3repE0EEENS1_30default_config_static_selectorELNS0_4arch9wavefront6targetE0EEEvT1_
; %bb.0:
	.section	.rodata,"a",@progbits
	.p2align	6, 0x0
	.amdhsa_kernel _ZN7rocprim17ROCPRIM_400000_NS6detail17trampoline_kernelINS0_14default_configENS1_25partition_config_selectorILNS1_17partition_subalgoE9EsjbEEZZNS1_14partition_implILS5_9ELb0ES3_jN6thrust23THRUST_200600_302600_NS6detail15normal_iteratorINS9_10device_ptrIsEEEENSB_INSC_IjEEEEPNS0_10empty_typeENS0_5tupleIJNS9_16discard_iteratorINS9_11use_defaultEEESH_EEENSJ_IJSM_SI_EEENS0_18inequality_wrapperINS9_8equal_toIsEEEEPmJSH_EEE10hipError_tPvRmT3_T4_T5_T6_T7_T9_mT8_P12ihipStream_tbDpT10_ENKUlT_T0_E_clISt17integral_constantIbLb1EES1C_IbLb0EEEEDaS18_S19_EUlS18_E_NS1_11comp_targetILNS1_3genE10ELNS1_11target_archE1200ELNS1_3gpuE4ELNS1_3repE0EEENS1_30default_config_static_selectorELNS0_4arch9wavefront6targetE0EEEvT1_
		.amdhsa_group_segment_fixed_size 0
		.amdhsa_private_segment_fixed_size 0
		.amdhsa_kernarg_size 128
		.amdhsa_user_sgpr_count 15
		.amdhsa_user_sgpr_dispatch_ptr 0
		.amdhsa_user_sgpr_queue_ptr 0
		.amdhsa_user_sgpr_kernarg_segment_ptr 1
		.amdhsa_user_sgpr_dispatch_id 0
		.amdhsa_user_sgpr_private_segment_size 0
		.amdhsa_wavefront_size32 1
		.amdhsa_uses_dynamic_stack 0
		.amdhsa_enable_private_segment 0
		.amdhsa_system_sgpr_workgroup_id_x 1
		.amdhsa_system_sgpr_workgroup_id_y 0
		.amdhsa_system_sgpr_workgroup_id_z 0
		.amdhsa_system_sgpr_workgroup_info 0
		.amdhsa_system_vgpr_workitem_id 0
		.amdhsa_next_free_vgpr 1
		.amdhsa_next_free_sgpr 1
		.amdhsa_reserve_vcc 0
		.amdhsa_float_round_mode_32 0
		.amdhsa_float_round_mode_16_64 0
		.amdhsa_float_denorm_mode_32 3
		.amdhsa_float_denorm_mode_16_64 3
		.amdhsa_dx10_clamp 1
		.amdhsa_ieee_mode 1
		.amdhsa_fp16_overflow 0
		.amdhsa_workgroup_processor_mode 1
		.amdhsa_memory_ordered 1
		.amdhsa_forward_progress 0
		.amdhsa_shared_vgpr_count 0
		.amdhsa_exception_fp_ieee_invalid_op 0
		.amdhsa_exception_fp_denorm_src 0
		.amdhsa_exception_fp_ieee_div_zero 0
		.amdhsa_exception_fp_ieee_overflow 0
		.amdhsa_exception_fp_ieee_underflow 0
		.amdhsa_exception_fp_ieee_inexact 0
		.amdhsa_exception_int_div_zero 0
	.end_amdhsa_kernel
	.section	.text._ZN7rocprim17ROCPRIM_400000_NS6detail17trampoline_kernelINS0_14default_configENS1_25partition_config_selectorILNS1_17partition_subalgoE9EsjbEEZZNS1_14partition_implILS5_9ELb0ES3_jN6thrust23THRUST_200600_302600_NS6detail15normal_iteratorINS9_10device_ptrIsEEEENSB_INSC_IjEEEEPNS0_10empty_typeENS0_5tupleIJNS9_16discard_iteratorINS9_11use_defaultEEESH_EEENSJ_IJSM_SI_EEENS0_18inequality_wrapperINS9_8equal_toIsEEEEPmJSH_EEE10hipError_tPvRmT3_T4_T5_T6_T7_T9_mT8_P12ihipStream_tbDpT10_ENKUlT_T0_E_clISt17integral_constantIbLb1EES1C_IbLb0EEEEDaS18_S19_EUlS18_E_NS1_11comp_targetILNS1_3genE10ELNS1_11target_archE1200ELNS1_3gpuE4ELNS1_3repE0EEENS1_30default_config_static_selectorELNS0_4arch9wavefront6targetE0EEEvT1_,"axG",@progbits,_ZN7rocprim17ROCPRIM_400000_NS6detail17trampoline_kernelINS0_14default_configENS1_25partition_config_selectorILNS1_17partition_subalgoE9EsjbEEZZNS1_14partition_implILS5_9ELb0ES3_jN6thrust23THRUST_200600_302600_NS6detail15normal_iteratorINS9_10device_ptrIsEEEENSB_INSC_IjEEEEPNS0_10empty_typeENS0_5tupleIJNS9_16discard_iteratorINS9_11use_defaultEEESH_EEENSJ_IJSM_SI_EEENS0_18inequality_wrapperINS9_8equal_toIsEEEEPmJSH_EEE10hipError_tPvRmT3_T4_T5_T6_T7_T9_mT8_P12ihipStream_tbDpT10_ENKUlT_T0_E_clISt17integral_constantIbLb1EES1C_IbLb0EEEEDaS18_S19_EUlS18_E_NS1_11comp_targetILNS1_3genE10ELNS1_11target_archE1200ELNS1_3gpuE4ELNS1_3repE0EEENS1_30default_config_static_selectorELNS0_4arch9wavefront6targetE0EEEvT1_,comdat
.Lfunc_end1194:
	.size	_ZN7rocprim17ROCPRIM_400000_NS6detail17trampoline_kernelINS0_14default_configENS1_25partition_config_selectorILNS1_17partition_subalgoE9EsjbEEZZNS1_14partition_implILS5_9ELb0ES3_jN6thrust23THRUST_200600_302600_NS6detail15normal_iteratorINS9_10device_ptrIsEEEENSB_INSC_IjEEEEPNS0_10empty_typeENS0_5tupleIJNS9_16discard_iteratorINS9_11use_defaultEEESH_EEENSJ_IJSM_SI_EEENS0_18inequality_wrapperINS9_8equal_toIsEEEEPmJSH_EEE10hipError_tPvRmT3_T4_T5_T6_T7_T9_mT8_P12ihipStream_tbDpT10_ENKUlT_T0_E_clISt17integral_constantIbLb1EES1C_IbLb0EEEEDaS18_S19_EUlS18_E_NS1_11comp_targetILNS1_3genE10ELNS1_11target_archE1200ELNS1_3gpuE4ELNS1_3repE0EEENS1_30default_config_static_selectorELNS0_4arch9wavefront6targetE0EEEvT1_, .Lfunc_end1194-_ZN7rocprim17ROCPRIM_400000_NS6detail17trampoline_kernelINS0_14default_configENS1_25partition_config_selectorILNS1_17partition_subalgoE9EsjbEEZZNS1_14partition_implILS5_9ELb0ES3_jN6thrust23THRUST_200600_302600_NS6detail15normal_iteratorINS9_10device_ptrIsEEEENSB_INSC_IjEEEEPNS0_10empty_typeENS0_5tupleIJNS9_16discard_iteratorINS9_11use_defaultEEESH_EEENSJ_IJSM_SI_EEENS0_18inequality_wrapperINS9_8equal_toIsEEEEPmJSH_EEE10hipError_tPvRmT3_T4_T5_T6_T7_T9_mT8_P12ihipStream_tbDpT10_ENKUlT_T0_E_clISt17integral_constantIbLb1EES1C_IbLb0EEEEDaS18_S19_EUlS18_E_NS1_11comp_targetILNS1_3genE10ELNS1_11target_archE1200ELNS1_3gpuE4ELNS1_3repE0EEENS1_30default_config_static_selectorELNS0_4arch9wavefront6targetE0EEEvT1_
                                        ; -- End function
	.section	.AMDGPU.csdata,"",@progbits
; Kernel info:
; codeLenInByte = 0
; NumSgprs: 0
; NumVgprs: 0
; ScratchSize: 0
; MemoryBound: 0
; FloatMode: 240
; IeeeMode: 1
; LDSByteSize: 0 bytes/workgroup (compile time only)
; SGPRBlocks: 0
; VGPRBlocks: 0
; NumSGPRsForWavesPerEU: 1
; NumVGPRsForWavesPerEU: 1
; Occupancy: 16
; WaveLimiterHint : 0
; COMPUTE_PGM_RSRC2:SCRATCH_EN: 0
; COMPUTE_PGM_RSRC2:USER_SGPR: 15
; COMPUTE_PGM_RSRC2:TRAP_HANDLER: 0
; COMPUTE_PGM_RSRC2:TGID_X_EN: 1
; COMPUTE_PGM_RSRC2:TGID_Y_EN: 0
; COMPUTE_PGM_RSRC2:TGID_Z_EN: 0
; COMPUTE_PGM_RSRC2:TIDIG_COMP_CNT: 0
	.section	.text._ZN7rocprim17ROCPRIM_400000_NS6detail17trampoline_kernelINS0_14default_configENS1_25partition_config_selectorILNS1_17partition_subalgoE9EsjbEEZZNS1_14partition_implILS5_9ELb0ES3_jN6thrust23THRUST_200600_302600_NS6detail15normal_iteratorINS9_10device_ptrIsEEEENSB_INSC_IjEEEEPNS0_10empty_typeENS0_5tupleIJNS9_16discard_iteratorINS9_11use_defaultEEESH_EEENSJ_IJSM_SI_EEENS0_18inequality_wrapperINS9_8equal_toIsEEEEPmJSH_EEE10hipError_tPvRmT3_T4_T5_T6_T7_T9_mT8_P12ihipStream_tbDpT10_ENKUlT_T0_E_clISt17integral_constantIbLb1EES1C_IbLb0EEEEDaS18_S19_EUlS18_E_NS1_11comp_targetILNS1_3genE9ELNS1_11target_archE1100ELNS1_3gpuE3ELNS1_3repE0EEENS1_30default_config_static_selectorELNS0_4arch9wavefront6targetE0EEEvT1_,"axG",@progbits,_ZN7rocprim17ROCPRIM_400000_NS6detail17trampoline_kernelINS0_14default_configENS1_25partition_config_selectorILNS1_17partition_subalgoE9EsjbEEZZNS1_14partition_implILS5_9ELb0ES3_jN6thrust23THRUST_200600_302600_NS6detail15normal_iteratorINS9_10device_ptrIsEEEENSB_INSC_IjEEEEPNS0_10empty_typeENS0_5tupleIJNS9_16discard_iteratorINS9_11use_defaultEEESH_EEENSJ_IJSM_SI_EEENS0_18inequality_wrapperINS9_8equal_toIsEEEEPmJSH_EEE10hipError_tPvRmT3_T4_T5_T6_T7_T9_mT8_P12ihipStream_tbDpT10_ENKUlT_T0_E_clISt17integral_constantIbLb1EES1C_IbLb0EEEEDaS18_S19_EUlS18_E_NS1_11comp_targetILNS1_3genE9ELNS1_11target_archE1100ELNS1_3gpuE3ELNS1_3repE0EEENS1_30default_config_static_selectorELNS0_4arch9wavefront6targetE0EEEvT1_,comdat
	.protected	_ZN7rocprim17ROCPRIM_400000_NS6detail17trampoline_kernelINS0_14default_configENS1_25partition_config_selectorILNS1_17partition_subalgoE9EsjbEEZZNS1_14partition_implILS5_9ELb0ES3_jN6thrust23THRUST_200600_302600_NS6detail15normal_iteratorINS9_10device_ptrIsEEEENSB_INSC_IjEEEEPNS0_10empty_typeENS0_5tupleIJNS9_16discard_iteratorINS9_11use_defaultEEESH_EEENSJ_IJSM_SI_EEENS0_18inequality_wrapperINS9_8equal_toIsEEEEPmJSH_EEE10hipError_tPvRmT3_T4_T5_T6_T7_T9_mT8_P12ihipStream_tbDpT10_ENKUlT_T0_E_clISt17integral_constantIbLb1EES1C_IbLb0EEEEDaS18_S19_EUlS18_E_NS1_11comp_targetILNS1_3genE9ELNS1_11target_archE1100ELNS1_3gpuE3ELNS1_3repE0EEENS1_30default_config_static_selectorELNS0_4arch9wavefront6targetE0EEEvT1_ ; -- Begin function _ZN7rocprim17ROCPRIM_400000_NS6detail17trampoline_kernelINS0_14default_configENS1_25partition_config_selectorILNS1_17partition_subalgoE9EsjbEEZZNS1_14partition_implILS5_9ELb0ES3_jN6thrust23THRUST_200600_302600_NS6detail15normal_iteratorINS9_10device_ptrIsEEEENSB_INSC_IjEEEEPNS0_10empty_typeENS0_5tupleIJNS9_16discard_iteratorINS9_11use_defaultEEESH_EEENSJ_IJSM_SI_EEENS0_18inequality_wrapperINS9_8equal_toIsEEEEPmJSH_EEE10hipError_tPvRmT3_T4_T5_T6_T7_T9_mT8_P12ihipStream_tbDpT10_ENKUlT_T0_E_clISt17integral_constantIbLb1EES1C_IbLb0EEEEDaS18_S19_EUlS18_E_NS1_11comp_targetILNS1_3genE9ELNS1_11target_archE1100ELNS1_3gpuE3ELNS1_3repE0EEENS1_30default_config_static_selectorELNS0_4arch9wavefront6targetE0EEEvT1_
	.globl	_ZN7rocprim17ROCPRIM_400000_NS6detail17trampoline_kernelINS0_14default_configENS1_25partition_config_selectorILNS1_17partition_subalgoE9EsjbEEZZNS1_14partition_implILS5_9ELb0ES3_jN6thrust23THRUST_200600_302600_NS6detail15normal_iteratorINS9_10device_ptrIsEEEENSB_INSC_IjEEEEPNS0_10empty_typeENS0_5tupleIJNS9_16discard_iteratorINS9_11use_defaultEEESH_EEENSJ_IJSM_SI_EEENS0_18inequality_wrapperINS9_8equal_toIsEEEEPmJSH_EEE10hipError_tPvRmT3_T4_T5_T6_T7_T9_mT8_P12ihipStream_tbDpT10_ENKUlT_T0_E_clISt17integral_constantIbLb1EES1C_IbLb0EEEEDaS18_S19_EUlS18_E_NS1_11comp_targetILNS1_3genE9ELNS1_11target_archE1100ELNS1_3gpuE3ELNS1_3repE0EEENS1_30default_config_static_selectorELNS0_4arch9wavefront6targetE0EEEvT1_
	.p2align	8
	.type	_ZN7rocprim17ROCPRIM_400000_NS6detail17trampoline_kernelINS0_14default_configENS1_25partition_config_selectorILNS1_17partition_subalgoE9EsjbEEZZNS1_14partition_implILS5_9ELb0ES3_jN6thrust23THRUST_200600_302600_NS6detail15normal_iteratorINS9_10device_ptrIsEEEENSB_INSC_IjEEEEPNS0_10empty_typeENS0_5tupleIJNS9_16discard_iteratorINS9_11use_defaultEEESH_EEENSJ_IJSM_SI_EEENS0_18inequality_wrapperINS9_8equal_toIsEEEEPmJSH_EEE10hipError_tPvRmT3_T4_T5_T6_T7_T9_mT8_P12ihipStream_tbDpT10_ENKUlT_T0_E_clISt17integral_constantIbLb1EES1C_IbLb0EEEEDaS18_S19_EUlS18_E_NS1_11comp_targetILNS1_3genE9ELNS1_11target_archE1100ELNS1_3gpuE3ELNS1_3repE0EEENS1_30default_config_static_selectorELNS0_4arch9wavefront6targetE0EEEvT1_,@function
_ZN7rocprim17ROCPRIM_400000_NS6detail17trampoline_kernelINS0_14default_configENS1_25partition_config_selectorILNS1_17partition_subalgoE9EsjbEEZZNS1_14partition_implILS5_9ELb0ES3_jN6thrust23THRUST_200600_302600_NS6detail15normal_iteratorINS9_10device_ptrIsEEEENSB_INSC_IjEEEEPNS0_10empty_typeENS0_5tupleIJNS9_16discard_iteratorINS9_11use_defaultEEESH_EEENSJ_IJSM_SI_EEENS0_18inequality_wrapperINS9_8equal_toIsEEEEPmJSH_EEE10hipError_tPvRmT3_T4_T5_T6_T7_T9_mT8_P12ihipStream_tbDpT10_ENKUlT_T0_E_clISt17integral_constantIbLb1EES1C_IbLb0EEEEDaS18_S19_EUlS18_E_NS1_11comp_targetILNS1_3genE9ELNS1_11target_archE1100ELNS1_3gpuE3ELNS1_3repE0EEENS1_30default_config_static_selectorELNS0_4arch9wavefront6targetE0EEEvT1_: ; @_ZN7rocprim17ROCPRIM_400000_NS6detail17trampoline_kernelINS0_14default_configENS1_25partition_config_selectorILNS1_17partition_subalgoE9EsjbEEZZNS1_14partition_implILS5_9ELb0ES3_jN6thrust23THRUST_200600_302600_NS6detail15normal_iteratorINS9_10device_ptrIsEEEENSB_INSC_IjEEEEPNS0_10empty_typeENS0_5tupleIJNS9_16discard_iteratorINS9_11use_defaultEEESH_EEENSJ_IJSM_SI_EEENS0_18inequality_wrapperINS9_8equal_toIsEEEEPmJSH_EEE10hipError_tPvRmT3_T4_T5_T6_T7_T9_mT8_P12ihipStream_tbDpT10_ENKUlT_T0_E_clISt17integral_constantIbLb1EES1C_IbLb0EEEEDaS18_S19_EUlS18_E_NS1_11comp_targetILNS1_3genE9ELNS1_11target_archE1100ELNS1_3gpuE3ELNS1_3repE0EEENS1_30default_config_static_selectorELNS0_4arch9wavefront6targetE0EEEvT1_
; %bb.0:
	s_clause 0x4
	s_load_b128 s[4:7], s[0:1], 0x8
	s_load_b32 s14, s[0:1], 0x78
	s_load_b128 s[16:19], s[0:1], 0x50
	s_load_b64 s[2:3], s[0:1], 0x60
	s_load_b64 s[8:9], s[0:1], 0x18
	v_lshlrev_b32_e32 v9, 1, v0
	s_waitcnt lgkmcnt(0)
	s_lshl_b64 s[10:11], s[6:7], 1
	s_mul_i32 s20, s14, 0x580
	s_add_u32 s21, s4, s10
	s_addc_u32 s22, s5, s11
	s_add_i32 s4, s20, s6
	s_load_b64 s[12:13], s[18:19], 0x0
	s_sub_i32 s18, s2, s4
	s_add_i32 s14, s14, -1
	s_addk_i32 s18, 0x580
	s_add_u32 s4, s6, s20
	s_addc_u32 s5, s7, 0
	s_cmp_eq_u32 s15, s14
	v_cmp_ge_u64_e64 s2, s[4:5], s[2:3]
	s_cselect_b32 s14, -1, 0
	s_mov_b32 s5, 0
	s_mul_i32 s4, s15, 0x580
	s_mov_b32 s20, -1
	s_delay_alu instid0(VALU_DEP_1)
	s_and_b32 s19, s14, s2
	s_lshl_b64 s[2:3], s[4:5], 1
	s_xor_b32 s10, s19, -1
	s_add_u32 s11, s21, s2
	s_addc_u32 s3, s22, s3
	s_and_b32 vcc_lo, exec_lo, s10
	s_cbranch_vccz .LBB1195_2
; %bb.1:
	v_add_co_u32 v1, s2, s11, v9
	s_delay_alu instid0(VALU_DEP_1)
	v_add_co_ci_u32_e64 v2, null, s3, 0, s2
	s_mov_b32 s20, s5
	s_clause 0xa
	flat_load_u16 v3, v[1:2]
	flat_load_u16 v4, v[1:2] offset:256
	flat_load_u16 v5, v[1:2] offset:512
	;; [unrolled: 1-line block ×10, first 2 shown]
	s_waitcnt vmcnt(10) lgkmcnt(0)
	ds_store_b16 v9, v3
	s_waitcnt vmcnt(9)
	ds_store_b16 v9, v4 offset:256
	s_waitcnt vmcnt(8)
	ds_store_b16 v9, v5 offset:512
	;; [unrolled: 2-line block ×10, first 2 shown]
	s_waitcnt lgkmcnt(0)
	s_barrier
.LBB1195_2:
	v_cmp_gt_u32_e64 s2, s18, v0
	s_and_not1_b32 vcc_lo, exec_lo, s20
	s_cbranch_vccnz .LBB1195_26
; %bb.3:
                                        ; implicit-def: $vgpr1_vgpr2_vgpr3_vgpr4_vgpr5_vgpr6_vgpr7_vgpr8
	s_delay_alu instid0(VALU_DEP_1)
	s_and_saveexec_b32 s20, s2
	s_cbranch_execz .LBB1195_5
; %bb.4:
	v_add_co_u32 v1, s2, s11, v9
	s_delay_alu instid0(VALU_DEP_1)
	v_add_co_ci_u32_e64 v2, null, s3, 0, s2
	flat_load_d16_b16 v1, v[1:2]
.LBB1195_5:
	s_or_b32 exec_lo, exec_lo, s20
	v_or_b32_e32 v7, 0x80, v0
	s_mov_b32 s2, exec_lo
	s_delay_alu instid0(VALU_DEP_1)
	v_cmpx_gt_u32_e64 s18, v7
	s_cbranch_execz .LBB1195_7
; %bb.6:
	v_add_co_u32 v7, s20, s11, v9
	s_delay_alu instid0(VALU_DEP_1)
	v_add_co_ci_u32_e64 v8, null, s3, 0, s20
	s_waitcnt vmcnt(0) lgkmcnt(0)
	flat_load_d16_hi_b16 v1, v[7:8] offset:256
.LBB1195_7:
	s_or_b32 exec_lo, exec_lo, s2
	v_or_b32_e32 v7, 0x100, v0
	s_mov_b32 s2, exec_lo
	s_delay_alu instid0(VALU_DEP_1)
	v_cmpx_gt_u32_e64 s18, v7
	s_cbranch_execz .LBB1195_9
; %bb.8:
	v_add_co_u32 v7, s20, s11, v9
	s_delay_alu instid0(VALU_DEP_1)
	v_add_co_ci_u32_e64 v8, null, s3, 0, s20
	flat_load_d16_b16 v2, v[7:8] offset:512
.LBB1195_9:
	s_or_b32 exec_lo, exec_lo, s2
	v_or_b32_e32 v7, 0x180, v0
	s_mov_b32 s2, exec_lo
	s_delay_alu instid0(VALU_DEP_1)
	v_cmpx_gt_u32_e64 s18, v7
	s_cbranch_execz .LBB1195_11
; %bb.10:
	v_add_co_u32 v7, s20, s11, v9
	s_delay_alu instid0(VALU_DEP_1)
	v_add_co_ci_u32_e64 v8, null, s3, 0, s20
	s_waitcnt vmcnt(0) lgkmcnt(0)
	flat_load_d16_hi_b16 v2, v[7:8] offset:768
.LBB1195_11:
	s_or_b32 exec_lo, exec_lo, s2
	v_or_b32_e32 v7, 0x200, v0
	s_mov_b32 s2, exec_lo
	s_delay_alu instid0(VALU_DEP_1)
	v_cmpx_gt_u32_e64 s18, v7
	s_cbranch_execz .LBB1195_13
; %bb.12:
	v_add_co_u32 v7, s20, s11, v9
	s_delay_alu instid0(VALU_DEP_1)
	v_add_co_ci_u32_e64 v8, null, s3, 0, s20
	flat_load_d16_b16 v3, v[7:8] offset:1024
.LBB1195_13:
	;; [unrolled: 25-line block ×5, first 2 shown]
	s_or_b32 exec_lo, exec_lo, s2
	s_waitcnt vmcnt(0) lgkmcnt(0)
	ds_store_b16 v9, v1
	ds_store_b16_d16_hi v9, v1 offset:256
	ds_store_b16 v9, v2 offset:512
	ds_store_b16_d16_hi v9, v2 offset:768
	ds_store_b16 v9, v3 offset:1024
	;; [unrolled: 2-line block ×5, first 2 shown]
	s_waitcnt lgkmcnt(0)
	s_barrier
.LBB1195_26:
	v_mul_u32_u24_e32 v1, 11, v0
	s_waitcnt lgkmcnt(0)
	buffer_gl0_inv
	s_lshl_b64 s[20:21], s[6:7], 2
	s_delay_alu instid0(SALU_CYCLE_1)
	s_add_u32 s2, s8, s20
	v_lshlrev_b32_e32 v2, 1, v1
	s_addc_u32 s8, s9, s21
	s_lshl_b64 s[4:5], s[4:5], 2
	ds_load_b128 v[12:15], v2
	ds_load_u16 v35, v2 offset:16
	ds_load_u16 v34, v2 offset:18
	;; [unrolled: 1-line block ×3, first 2 shown]
	s_add_u32 s2, s2, s4
	s_addc_u32 s4, s8, s5
	s_and_b32 vcc_lo, exec_lo, s10
	s_mov_b32 s5, -1
	s_waitcnt lgkmcnt(0)
	s_barrier
	buffer_gl0_inv
	s_cbranch_vccz .LBB1195_28
; %bb.27:
	v_lshlrev_b32_e32 v7, 2, v0
	s_delay_alu instid0(VALU_DEP_1) | instskip(NEXT) | instid1(VALU_DEP_1)
	v_add_co_u32 v3, s5, s2, v7
	v_add_co_ci_u32_e64 v4, null, s4, 0, s5
	s_mov_b32 s5, 0
	s_delay_alu instid0(VALU_DEP_2) | instskip(NEXT) | instid1(VALU_DEP_2)
	v_add_co_u32 v5, vcc_lo, 0x1000, v3
	v_add_co_ci_u32_e32 v6, vcc_lo, 0, v4, vcc_lo
	s_clause 0xa
	flat_load_b32 v8, v[3:4]
	flat_load_b32 v10, v[3:4] offset:512
	flat_load_b32 v11, v[3:4] offset:1024
	;; [unrolled: 1-line block ×7, first 2 shown]
	flat_load_b32 v4, v[5:6]
	flat_load_b32 v20, v[5:6] offset:512
	flat_load_b32 v5, v[5:6] offset:1024
	s_waitcnt vmcnt(9) lgkmcnt(9)
	ds_store_2addr_stride64_b32 v7, v8, v10 offset1:2
	s_waitcnt vmcnt(7) lgkmcnt(8)
	ds_store_2addr_stride64_b32 v7, v11, v16 offset0:4 offset1:6
	s_waitcnt vmcnt(5) lgkmcnt(7)
	ds_store_2addr_stride64_b32 v7, v17, v18 offset0:8 offset1:10
	;; [unrolled: 2-line block ×4, first 2 shown]
	s_waitcnt vmcnt(0) lgkmcnt(5)
	ds_store_b32 v7, v5 offset:5120
	s_waitcnt lgkmcnt(0)
	s_barrier
.LBB1195_28:
	s_and_not1_b32 vcc_lo, exec_lo, s5
	s_cbranch_vccnz .LBB1195_52
; %bb.29:
	s_mov_b32 s5, exec_lo
                                        ; implicit-def: $vgpr3
	v_cmpx_gt_u32_e64 s18, v0
	s_cbranch_execz .LBB1195_31
; %bb.30:
	v_lshlrev_b32_e32 v3, 2, v0
	s_delay_alu instid0(VALU_DEP_1) | instskip(NEXT) | instid1(VALU_DEP_1)
	v_add_co_u32 v3, s8, s2, v3
	v_add_co_ci_u32_e64 v4, null, s4, 0, s8
	flat_load_b32 v3, v[3:4]
.LBB1195_31:
	s_or_b32 exec_lo, exec_lo, s5
	v_or_b32_e32 v4, 0x80, v0
	s_delay_alu instid0(VALU_DEP_1)
	v_cmp_gt_u32_e32 vcc_lo, s18, v4
                                        ; implicit-def: $vgpr4
	s_and_saveexec_b32 s5, vcc_lo
	s_cbranch_execz .LBB1195_33
; %bb.32:
	v_lshlrev_b32_e32 v4, 2, v0
	s_delay_alu instid0(VALU_DEP_1) | instskip(NEXT) | instid1(VALU_DEP_1)
	v_add_co_u32 v4, s8, s2, v4
	v_add_co_ci_u32_e64 v5, null, s4, 0, s8
	flat_load_b32 v4, v[4:5] offset:512
.LBB1195_33:
	s_or_b32 exec_lo, exec_lo, s5
	v_or_b32_e32 v5, 0x100, v0
	s_delay_alu instid0(VALU_DEP_1)
	v_cmp_gt_u32_e32 vcc_lo, s18, v5
                                        ; implicit-def: $vgpr5
	s_and_saveexec_b32 s5, vcc_lo
	s_cbranch_execz .LBB1195_35
; %bb.34:
	v_lshlrev_b32_e32 v5, 2, v0
	s_delay_alu instid0(VALU_DEP_1) | instskip(NEXT) | instid1(VALU_DEP_1)
	v_add_co_u32 v5, s8, s2, v5
	v_add_co_ci_u32_e64 v6, null, s4, 0, s8
	flat_load_b32 v5, v[5:6] offset:1024
.LBB1195_35:
	s_or_b32 exec_lo, exec_lo, s5
	v_or_b32_e32 v6, 0x180, v0
	s_delay_alu instid0(VALU_DEP_1)
	v_cmp_gt_u32_e32 vcc_lo, s18, v6
                                        ; implicit-def: $vgpr6
	s_and_saveexec_b32 s5, vcc_lo
	s_cbranch_execz .LBB1195_37
; %bb.36:
	v_lshlrev_b32_e32 v6, 2, v0
	s_delay_alu instid0(VALU_DEP_1) | instskip(NEXT) | instid1(VALU_DEP_1)
	v_add_co_u32 v6, s8, s2, v6
	v_add_co_ci_u32_e64 v7, null, s4, 0, s8
	flat_load_b32 v6, v[6:7] offset:1536
.LBB1195_37:
	s_or_b32 exec_lo, exec_lo, s5
	v_or_b32_e32 v7, 0x200, v0
	s_delay_alu instid0(VALU_DEP_1)
	v_cmp_gt_u32_e32 vcc_lo, s18, v7
                                        ; implicit-def: $vgpr7
	s_and_saveexec_b32 s5, vcc_lo
	s_cbranch_execz .LBB1195_39
; %bb.38:
	v_lshlrev_b32_e32 v7, 2, v0
	s_delay_alu instid0(VALU_DEP_1) | instskip(NEXT) | instid1(VALU_DEP_1)
	v_add_co_u32 v7, s8, s2, v7
	v_add_co_ci_u32_e64 v8, null, s4, 0, s8
	flat_load_b32 v7, v[7:8] offset:2048
.LBB1195_39:
	s_or_b32 exec_lo, exec_lo, s5
	v_or_b32_e32 v8, 0x280, v0
	s_delay_alu instid0(VALU_DEP_1)
	v_cmp_gt_u32_e32 vcc_lo, s18, v8
                                        ; implicit-def: $vgpr8
	s_and_saveexec_b32 s5, vcc_lo
	s_cbranch_execz .LBB1195_41
; %bb.40:
	v_lshlrev_b32_e32 v8, 2, v0
	s_delay_alu instid0(VALU_DEP_1) | instskip(NEXT) | instid1(VALU_DEP_1)
	v_add_co_u32 v10, s8, s2, v8
	v_add_co_ci_u32_e64 v11, null, s4, 0, s8
	flat_load_b32 v8, v[10:11] offset:2560
.LBB1195_41:
	s_or_b32 exec_lo, exec_lo, s5
	v_or_b32_e32 v10, 0x300, v0
	s_delay_alu instid0(VALU_DEP_1)
	v_cmp_gt_u32_e32 vcc_lo, s18, v10
                                        ; implicit-def: $vgpr10
	s_and_saveexec_b32 s5, vcc_lo
	s_cbranch_execz .LBB1195_43
; %bb.42:
	v_lshlrev_b32_e32 v10, 2, v0
	s_delay_alu instid0(VALU_DEP_1) | instskip(NEXT) | instid1(VALU_DEP_1)
	v_add_co_u32 v10, s8, s2, v10
	v_add_co_ci_u32_e64 v11, null, s4, 0, s8
	flat_load_b32 v10, v[10:11] offset:3072
.LBB1195_43:
	s_or_b32 exec_lo, exec_lo, s5
	v_or_b32_e32 v11, 0x380, v0
	s_delay_alu instid0(VALU_DEP_1)
	v_cmp_gt_u32_e32 vcc_lo, s18, v11
                                        ; implicit-def: $vgpr11
	s_and_saveexec_b32 s5, vcc_lo
	s_cbranch_execz .LBB1195_45
; %bb.44:
	v_lshlrev_b32_e32 v11, 2, v0
	s_delay_alu instid0(VALU_DEP_1) | instskip(NEXT) | instid1(VALU_DEP_1)
	v_add_co_u32 v16, s8, s2, v11
	v_add_co_ci_u32_e64 v17, null, s4, 0, s8
	flat_load_b32 v11, v[16:17] offset:3584
.LBB1195_45:
	s_or_b32 exec_lo, exec_lo, s5
	v_or_b32_e32 v17, 0x400, v0
	s_mov_b32 s5, exec_lo
                                        ; implicit-def: $vgpr16
	s_delay_alu instid0(VALU_DEP_1)
	v_cmpx_gt_u32_e64 s18, v17
	s_cbranch_execz .LBB1195_47
; %bb.46:
	v_lshlrev_b32_e32 v16, 2, v17
	s_delay_alu instid0(VALU_DEP_1) | instskip(NEXT) | instid1(VALU_DEP_1)
	v_add_co_u32 v16, s8, s2, v16
	v_add_co_ci_u32_e64 v17, null, s4, 0, s8
	flat_load_b32 v16, v[16:17]
.LBB1195_47:
	s_or_b32 exec_lo, exec_lo, s5
	v_or_b32_e32 v18, 0x480, v0
	s_mov_b32 s5, exec_lo
                                        ; implicit-def: $vgpr17
	s_delay_alu instid0(VALU_DEP_1)
	v_cmpx_gt_u32_e64 s18, v18
	s_cbranch_execz .LBB1195_49
; %bb.48:
	v_lshlrev_b32_e32 v17, 2, v18
	s_delay_alu instid0(VALU_DEP_1) | instskip(NEXT) | instid1(VALU_DEP_1)
	v_add_co_u32 v17, s8, s2, v17
	v_add_co_ci_u32_e64 v18, null, s4, 0, s8
	flat_load_b32 v17, v[17:18]
.LBB1195_49:
	s_or_b32 exec_lo, exec_lo, s5
	v_or_b32_e32 v19, 0x500, v0
	s_mov_b32 s5, exec_lo
                                        ; implicit-def: $vgpr18
	s_delay_alu instid0(VALU_DEP_1)
	v_cmpx_gt_u32_e64 s18, v19
	s_cbranch_execz .LBB1195_51
; %bb.50:
	v_lshlrev_b32_e32 v18, 2, v19
	s_delay_alu instid0(VALU_DEP_1) | instskip(NEXT) | instid1(VALU_DEP_1)
	v_add_co_u32 v18, s2, s2, v18
	v_add_co_ci_u32_e64 v19, null, s4, 0, s2
	flat_load_b32 v18, v[18:19]
.LBB1195_51:
	s_or_b32 exec_lo, exec_lo, s5
	v_mad_i32_i24 v2, 0xffffffee, v0, v2
	s_waitcnt vmcnt(0) lgkmcnt(0)
	ds_store_2addr_stride64_b32 v2, v3, v4 offset1:2
	ds_store_2addr_stride64_b32 v2, v5, v6 offset0:4 offset1:6
	ds_store_2addr_stride64_b32 v2, v7, v8 offset0:8 offset1:10
	;; [unrolled: 1-line block ×4, first 2 shown]
	ds_store_b32 v2, v18 offset:5120
	s_waitcnt lgkmcnt(0)
	s_barrier
.LBB1195_52:
	v_lshlrev_b32_e32 v41, 2, v1
	buffer_gl0_inv
	s_cmp_lg_u32 s15, 0
	v_lshrrev_b32_e32 v40, 16, v12
	s_cselect_b32 s20, -1, 0
	ds_load_2addr_b32 v[27:28], v41 offset1:1
	ds_load_2addr_b32 v[25:26], v41 offset0:2 offset1:3
	ds_load_2addr_b32 v[23:24], v41 offset0:4 offset1:5
	;; [unrolled: 1-line block ×4, first 2 shown]
	ds_load_b32 v36, v41 offset:40
	s_cmp_lg_u64 s[6:7], 0
	v_lshrrev_b32_e32 v39, 16, v13
	s_cselect_b32 s2, -1, 0
	v_lshrrev_b32_e32 v38, 16, v14
	v_lshrrev_b32_e32 v37, 16, v15
	v_add_nc_u32_e32 v5, 1, v1
	v_add_nc_u32_e32 v6, 2, v1
	;; [unrolled: 1-line block ×10, first 2 shown]
	s_or_b32 s2, s20, s2
	s_mov_b32 s21, 0
	s_and_b32 vcc_lo, exec_lo, s2
	s_waitcnt lgkmcnt(0)
	s_barrier
	buffer_gl0_inv
	s_cbranch_vccz .LBB1195_57
; %bb.53:
	v_add_co_u32 v16, s2, -2, s11
	s_delay_alu instid0(VALU_DEP_1)
	v_add_co_ci_u32_e64 v17, null, -1, s3, s2
	s_mov_b32 s3, -1
	s_and_b32 vcc_lo, exec_lo, s10
	flat_load_u16 v16, v[16:17]
	ds_store_b16 v9, v33
	s_cbranch_vccz .LBB1195_59
; %bb.54:
	s_waitcnt vmcnt(0) lgkmcnt(1)
	v_mov_b32_e32 v17, v16
	s_mov_b32 s3, 0
	s_mov_b32 s2, exec_lo
	s_waitcnt lgkmcnt(0)
	s_barrier
	buffer_gl0_inv
	v_cmpx_ne_u32_e32 0, v0
	s_cbranch_execz .LBB1195_56
; %bb.55:
	v_add_nc_u32_e32 v17, -2, v9
	ds_load_u16 v17, v17
.LBB1195_56:
	s_or_b32 exec_lo, exec_lo, s2
	v_cmp_ne_u16_e32 vcc_lo, v15, v37
	s_waitcnt lgkmcnt(0)
	v_cmp_ne_u16_e64 s2, v17, v12
	v_cndmask_b32_e64 v18, 0, 1, vcc_lo
	v_cmp_ne_u16_e32 vcc_lo, v38, v15
	s_delay_alu instid0(VALU_DEP_2) | instskip(SKIP_2) | instid1(VALU_DEP_2)
	v_lshlrev_b16 v18, 8, v18
	v_cndmask_b32_e64 v29, 0, 1, vcc_lo
	v_cmp_ne_u16_e32 vcc_lo, v14, v38
	v_or_b32_e32 v18, v29, v18
	v_cndmask_b32_e64 v30, 0, 1, vcc_lo
	v_cmp_ne_u16_e32 vcc_lo, v39, v14
	s_delay_alu instid0(VALU_DEP_3) | instskip(NEXT) | instid1(VALU_DEP_3)
	v_lshlrev_b32_e32 v18, 16, v18
	v_lshlrev_b16 v30, 8, v30
	v_cndmask_b32_e64 v32, 0, 1, vcc_lo
	v_cmp_ne_u16_e32 vcc_lo, v13, v39
	s_delay_alu instid0(VALU_DEP_2) | instskip(SKIP_2) | instid1(VALU_DEP_3)
	v_or_b32_e32 v30, v32, v30
	v_cndmask_b32_e64 v42, 0, 1, vcc_lo
	v_cmp_ne_u16_e32 vcc_lo, v40, v13
	v_and_b32_e32 v30, 0xffff, v30
	s_delay_alu instid0(VALU_DEP_3) | instskip(SKIP_2) | instid1(VALU_DEP_4)
	v_lshlrev_b16 v42, 8, v42
	v_cndmask_b32_e64 v44, 0, 1, vcc_lo
	v_cmp_ne_u16_e32 vcc_lo, v12, v40
	v_or_b32_e32 v30, v30, v18
	s_delay_alu instid0(VALU_DEP_3) | instskip(SKIP_2) | instid1(VALU_DEP_3)
	v_or_b32_e32 v42, v44, v42
	v_cndmask_b32_e64 v45, 0, 1, vcc_lo
	v_cmp_ne_u16_e32 vcc_lo, v34, v33
	v_lshlrev_b32_e32 v29, 16, v42
	s_delay_alu instid0(VALU_DEP_3) | instskip(SKIP_2) | instid1(VALU_DEP_3)
	v_lshlrev_b16 v44, 8, v45
	v_cndmask_b32_e64 v43, 0, 1, vcc_lo
	v_cmp_ne_u16_e32 vcc_lo, v35, v34
	v_and_b32_e32 v44, 0xffff, v44
	v_cndmask_b32_e64 v32, 0, 1, vcc_lo
	v_cmp_ne_u16_e32 vcc_lo, v37, v35
	s_delay_alu instid0(VALU_DEP_3)
	v_or_b32_e32 v29, v44, v29
	v_cndmask_b32_e64 v42, 0, 1, vcc_lo
	s_and_b32 vcc_lo, exec_lo, s3
	s_cbranch_vccnz .LBB1195_60
	s_branch .LBB1195_63
.LBB1195_57:
                                        ; implicit-def: $sgpr2
                                        ; implicit-def: $vgpr43
                                        ; implicit-def: $vgpr32
                                        ; implicit-def: $vgpr42
                                        ; implicit-def: $vgpr30
	s_branch .LBB1195_64
.LBB1195_58:
                                        ; implicit-def: $vgpr16_vgpr17_vgpr18
	s_and_saveexec_b32 s3, s21
	s_cbranch_execnz .LBB1195_72
	s_branch .LBB1195_73
.LBB1195_59:
                                        ; implicit-def: $sgpr2
                                        ; implicit-def: $vgpr43
                                        ; implicit-def: $vgpr32
                                        ; implicit-def: $vgpr42
                                        ; implicit-def: $vgpr30
	s_and_b32 vcc_lo, exec_lo, s3
	s_cbranch_vccz .LBB1195_63
.LBB1195_60:
	s_mov_b32 s2, exec_lo
	s_waitcnt vmcnt(0) lgkmcnt(0)
	s_barrier
	buffer_gl0_inv
	v_cmpx_ne_u32_e32 0, v0
	s_cbranch_execz .LBB1195_62
; %bb.61:
	v_add_nc_u32_e32 v9, -2, v9
	ds_load_u16 v16, v9
.LBB1195_62:
	s_or_b32 exec_lo, exec_lo, s2
	v_cmp_gt_u32_e32 vcc_lo, s18, v10
	v_cmp_ne_u16_e64 s2, v34, v33
	v_cmp_gt_u32_e64 s3, s18, v11
	v_cmp_ne_u16_e64 s4, v35, v34
	v_cmp_gt_u32_e64 s5, s18, v5
	v_cmp_ne_u16_e64 s6, v12, v40
	s_and_b32 s2, vcc_lo, s2
	v_cmp_gt_u32_e32 vcc_lo, s18, v2
	v_cndmask_b32_e64 v43, 0, 1, s2
	v_cmp_ne_u16_e64 s2, v15, v37
	s_and_b32 s3, s3, s4
	v_cmp_ne_u16_e64 s4, v38, v15
	v_cndmask_b32_e64 v32, 0, 1, s3
	v_cmp_gt_u32_e64 s3, s18, v4
	s_and_b32 s2, vcc_lo, s2
	v_cmp_gt_u32_e32 vcc_lo, s18, v7
	v_cndmask_b32_e64 v9, 0, 1, s2
	v_cmp_ne_u16_e64 s2, v14, v38
	s_and_b32 s3, s3, s4
	v_cmp_ne_u16_e64 s4, v13, v39
	v_cndmask_b32_e64 v17, 0, 1, s3
	v_cmp_gt_u32_e64 s3, s18, v3
	;; [unrolled: 8-line block ×3, first 2 shown]
	s_and_b32 s2, vcc_lo, s2
	v_lshlrev_b16 v18, 8, v18
	v_cndmask_b32_e64 v30, 0, 1, s2
	v_lshlrev_b16 v29, 8, v29
	s_and_b32 s2, s3, s4
	v_lshlrev_b16 v9, 8, v9
	v_cndmask_b32_e64 v42, 0, 1, s2
	s_and_b32 s2, s5, s6
	v_or_b32_e32 v18, v30, v18
	v_cndmask_b32_e64 v44, 0, 1, s2
	v_or_b32_e32 v9, v17, v9
	v_or_b32_e32 v29, v42, v29
	v_cmp_gt_u32_e32 vcc_lo, s18, v31
	v_cmp_ne_u16_e64 s2, v37, v35
	v_lshlrev_b16 v42, 8, v44
	v_and_b32_e32 v18, 0xffff, v18
	v_lshlrev_b32_e32 v17, 16, v29
	v_lshlrev_b32_e32 v9, 16, v9
	s_and_b32 s2, vcc_lo, s2
	v_and_b32_e32 v29, 0xffff, v42
	v_cndmask_b32_e64 v42, 0, 1, s2
	v_cmp_gt_u32_e32 vcc_lo, s18, v1
	s_waitcnt lgkmcnt(0)
	v_cmp_ne_u16_e64 s2, v16, v12
	v_or_b32_e32 v30, v18, v9
	v_or_b32_e32 v29, v29, v17
	s_delay_alu instid0(VALU_DEP_3)
	s_and_b32 s2, vcc_lo, s2
.LBB1195_63:
	s_mov_b32 s21, -1
	s_cbranch_execnz .LBB1195_58
.LBB1195_64:
	v_mad_i32_i24 v9, 0xffffffd6, v0, v41
	s_and_b32 vcc_lo, exec_lo, s10
	v_cmp_ne_u16_e64 s2, v34, v33
	v_cmp_ne_u16_e64 s9, v35, v34
	;; [unrolled: 1-line block ×10, first 2 shown]
	ds_store_b16 v9, v33
	s_cbranch_vccz .LBB1195_68
; %bb.65:
	s_waitcnt vmcnt(0) lgkmcnt(2)
	v_cndmask_b32_e64 v16, 0, 1, s11
	v_cndmask_b32_e64 v32, 0, 1, s9
	;; [unrolled: 1-line block ×5, first 2 shown]
	v_lshlrev_b16 v16, 8, v16
	v_cndmask_b32_e64 v44, 0, 1, s4
	v_cndmask_b32_e64 v42, 0, 1, s10
	;; [unrolled: 1-line block ×4, first 2 shown]
	v_lshlrev_b16 v17, 8, v17
	v_lshlrev_b16 v45, 8, v32
	v_or_b32_e32 v16, v29, v16
	v_lshlrev_b16 v29, 8, v30
	v_lshlrev_b16 v30, 8, v44
	v_or_b32_e32 v17, v18, v17
	v_or_b32_e32 v18, v42, v45
	v_and_b32_e32 v16, 0xffff, v16
	v_or_b32_e32 v29, v43, v29
	v_or_b32_e32 v30, 1, v30
	v_lshlrev_b32_e32 v17, 16, v17
	v_and_b32_e32 v18, 0xffff, v18
	v_cndmask_b32_e64 v43, 0, 1, s2
	v_lshlrev_b32_e32 v29, 16, v29
	v_and_b32_e32 v44, 0xffff, v30
	v_or_b32_e32 v30, v16, v17
	s_mov_b32 s3, 0
	v_lshl_or_b32 v18, v43, 16, v18
	s_mov_b32 s4, exec_lo
	v_or_b32_e32 v29, v44, v29
	s_waitcnt lgkmcnt(0)
	s_barrier
	buffer_gl0_inv
                                        ; implicit-def: $sgpr2
	v_cmpx_ne_u32_e32 0, v0
	s_xor_b32 s4, exec_lo, s4
	s_cbranch_execz .LBB1195_67
; %bb.66:
	v_add_nc_u32_e32 v16, -2, v9
	s_or_b32 s21, s21, exec_lo
	ds_load_u16 v16, v16
	s_waitcnt lgkmcnt(0)
	v_cmp_ne_u16_e32 vcc_lo, v16, v12
                                        ; implicit-def: $vgpr16_vgpr17_vgpr18
	s_and_b32 s2, vcc_lo, exec_lo
.LBB1195_67:
	s_or_b32 exec_lo, exec_lo, s4
	s_delay_alu instid0(SALU_CYCLE_1)
	s_and_b32 vcc_lo, exec_lo, s3
	s_cbranch_vccnz .LBB1195_69
	s_branch .LBB1195_71
.LBB1195_68:
                                        ; implicit-def: $sgpr2
                                        ; implicit-def: $vgpr43
                                        ; implicit-def: $vgpr32
                                        ; implicit-def: $vgpr42
                                        ; implicit-def: $vgpr30
                                        ; implicit-def: $vgpr16_vgpr17_vgpr18
	s_cbranch_execz .LBB1195_71
.LBB1195_69:
	v_cmp_gt_u32_e32 vcc_lo, s18, v11
	v_cmp_ne_u16_e64 s2, v35, v34
	v_cmp_gt_u32_e64 s5, s18, v31
	v_cmp_ne_u16_e64 s6, v37, v35
	v_cmp_gt_u32_e64 s3, s18, v10
	v_cmp_ne_u16_e64 s4, v34, v33
	s_and_b32 s2, vcc_lo, s2
	v_cmp_gt_u32_e32 vcc_lo, s18, v2
	v_cndmask_b32_e64 v32, 0, 1, s2
	v_cmp_ne_u16_e64 s2, v15, v37
	s_and_b32 s5, s5, s6
	v_cmp_ne_u16_e64 s6, v38, v15
	v_cndmask_b32_e64 v42, 0, 1, s5
	v_cmp_gt_u32_e64 s5, s18, v4
	s_and_b32 s2, vcc_lo, s2
	v_cmp_gt_u32_e32 vcc_lo, s18, v7
	s_waitcnt vmcnt(0) lgkmcnt(2)
	v_cndmask_b32_e64 v16, 0, 1, s2
	v_cmp_ne_u16_e64 s2, v14, v38
	s_and_b32 s5, s5, s6
	v_cmp_ne_u16_e64 s6, v39, v14
	v_cndmask_b32_e64 v17, 0, 1, s5
	v_cmp_gt_u32_e64 s5, s18, v8
	s_and_b32 s2, vcc_lo, s2
	v_cmp_gt_u32_e32 vcc_lo, s18, v3
	v_cndmask_b32_e64 v18, 0, 1, s2
	v_cmp_ne_u16_e64 s2, v13, v39
	s_and_b32 s5, s5, s6
	v_cmp_ne_u16_e64 s6, v40, v13
	v_cndmask_b32_e64 v29, 0, 1, s5
	v_cmp_gt_u32_e64 s5, s18, v6
	s_and_b32 s2, vcc_lo, s2
	v_cmp_gt_u32_e32 vcc_lo, s18, v5
	v_cndmask_b32_e64 v30, 0, 1, s2
	v_cmp_ne_u16_e64 s2, v12, v40
	v_lshlrev_b16 v18, 8, v18
	v_lshlrev_b16 v16, 8, v16
	s_and_b32 s5, s5, s6
	v_lshlrev_b16 v45, 8, v32
	s_and_b32 s2, vcc_lo, s2
	v_cndmask_b32_e64 v43, 0, 1, s5
	v_cndmask_b32_e64 v44, 0, 1, s2
	v_or_b32_e32 v18, v29, v18
	v_or_b32_e32 v16, v17, v16
	v_lshlrev_b16 v17, 8, v30
	v_or_b32_e32 v30, v42, v45
	v_lshlrev_b16 v29, 8, v44
	s_and_b32 s2, s3, s4
	v_and_b32_e32 v18, 0xffff, v18
	v_or_b32_e32 v17, v43, v17
	v_lshlrev_b32_e32 v16, 16, v16
	v_or_b32_e32 v29, 1, v29
	v_and_b32_e32 v44, 0xffff, v30
	v_cndmask_b32_e64 v43, 0, 1, s2
	v_lshlrev_b32_e32 v17, 16, v17
	v_or_b32_e32 v30, v18, v16
	v_and_b32_e32 v29, 0xffff, v29
	s_mov_b32 s3, exec_lo
	v_lshl_or_b32 v18, v43, 16, v44
	s_waitcnt lgkmcnt(0)
	s_barrier
	v_or_b32_e32 v29, v29, v17
	buffer_gl0_inv
                                        ; implicit-def: $sgpr2
	v_cmpx_ne_u32_e32 0, v0
	s_cbranch_execz .LBB1195_167
; %bb.70:
	v_add_nc_u32_e32 v9, -2, v9
	v_cmp_gt_u32_e32 vcc_lo, s18, v1
	s_or_b32 s21, s21, exec_lo
                                        ; implicit-def: $vgpr16_vgpr17_vgpr18
	ds_load_u16 v9, v9
	s_waitcnt lgkmcnt(0)
	v_cmp_ne_u16_e64 s2, v9, v12
	s_delay_alu instid0(VALU_DEP_1) | instskip(NEXT) | instid1(SALU_CYCLE_1)
	s_and_b32 s2, vcc_lo, s2
	s_and_b32 s2, s2, exec_lo
	s_or_b32 exec_lo, exec_lo, s3
.LBB1195_71:
	s_and_saveexec_b32 s3, s21
	s_cbranch_execz .LBB1195_73
.LBB1195_72:
	s_waitcnt vmcnt(0) lgkmcnt(1)
	v_lshrrev_b32_e32 v16, 24, v29
	v_lshrrev_b32_e32 v17, 16, v29
	;; [unrolled: 1-line block ×3, first 2 shown]
	v_cndmask_b32_e64 v9, 0, 1, s2
	v_lshlrev_b16 v29, 8, v32
	v_and_b32_e32 v32, 0xff, v42
	v_lshlrev_b16 v16, 8, v16
	v_and_b32_e32 v17, 0xff, v17
	v_lshlrev_b16 v18, 8, v18
	v_and_b32_e32 v42, 0xff, v43
	v_or_b32_e32 v29, v32, v29
	s_delay_alu instid0(VALU_DEP_4) | instskip(NEXT) | instid1(VALU_DEP_4)
	v_or_b32_e32 v16, v17, v16
	v_or_b32_e32 v9, v9, v18
	s_delay_alu instid0(VALU_DEP_4) | instskip(NEXT) | instid1(VALU_DEP_4)
	v_lshlrev_b32_e32 v17, 16, v42
	v_and_b32_e32 v18, 0xffff, v29
	s_delay_alu instid0(VALU_DEP_4) | instskip(NEXT) | instid1(VALU_DEP_4)
	v_lshlrev_b32_e32 v16, 16, v16
	v_and_b32_e32 v9, 0xffff, v9
	s_delay_alu instid0(VALU_DEP_3) | instskip(NEXT) | instid1(VALU_DEP_2)
	v_or_b32_e32 v18, v18, v17
	v_or_b32_e32 v29, v9, v16
.LBB1195_73:
	s_or_b32 exec_lo, exec_lo, s3
	s_load_b64 s[8:9], s[0:1], 0x70
	s_and_not1_b32 vcc_lo, exec_lo, s19
	s_cbranch_vccnz .LBB1195_75
; %bb.74:
	v_cmp_gt_u32_e32 vcc_lo, s18, v1
	v_cmp_gt_u32_e64 s0, s18, v5
	v_and_b32_e32 v5, 0xffffff00, v30
	v_cmp_gt_u32_e64 s2, s18, v6
	v_cmp_gt_u32_e64 s4, s18, v3
	v_cndmask_b32_e32 v1, 0, v29, vcc_lo
	v_and_b32_e32 v9, 0xff000000, v18
	v_cmp_gt_u32_e32 vcc_lo, s18, v31
	v_cmp_gt_u32_e64 s1, s18, v11
	v_cmp_gt_u32_e64 s3, s18, v10
	v_and_b32_e32 v1, 0xff, v1
	s_delay_alu instid0(VALU_DEP_1) | instskip(SKIP_1) | instid1(VALU_DEP_2)
	v_cndmask_b32_e64 v1, v1, v29, s0
	v_cmp_gt_u32_e64 s0, s18, v8
	v_and_b32_e32 v1, 0xffff, v1
	s_delay_alu instid0(VALU_DEP_2) | instskip(NEXT) | instid1(VALU_DEP_2)
	v_cndmask_b32_e64 v5, v5, v30, s0
	v_cndmask_b32_e64 v1, v1, v29, s2
	s_delay_alu instid0(VALU_DEP_2) | instskip(SKIP_1) | instid1(VALU_DEP_3)
	v_and_b32_e32 v5, 0xffff00ff, v5
	v_cmp_gt_u32_e64 s2, s18, v7
	v_and_b32_e32 v1, 0xffffff, v1
	s_delay_alu instid0(VALU_DEP_2) | instskip(NEXT) | instid1(VALU_DEP_2)
	v_cndmask_b32_e64 v5, v5, v30, s2
	v_cndmask_b32_e64 v1, v1, v29, s4
	s_delay_alu instid0(VALU_DEP_2) | instskip(NEXT) | instid1(VALU_DEP_2)
	v_and_b32_e32 v3, 0xff00ffff, v5
	v_cndmask_b32_e64 v1, v1, v29, s0
	v_cmp_gt_u32_e64 s0, s18, v4
	s_delay_alu instid0(VALU_DEP_2) | instskip(NEXT) | instid1(VALU_DEP_2)
	v_cndmask_b32_e64 v1, v1, v29, s2
	v_cndmask_b32_e64 v3, v3, v30, s0
	v_cndmask_b32_e32 v9, v9, v18, vcc_lo
	v_cmp_gt_u32_e64 s2, s18, v2
	s_delay_alu instid0(VALU_DEP_4) | instskip(NEXT) | instid1(VALU_DEP_4)
	v_cndmask_b32_e64 v1, v1, v29, s0
	v_and_b32_e32 v2, 0xffffff, v3
	s_delay_alu instid0(VALU_DEP_4) | instskip(NEXT) | instid1(VALU_DEP_1)
	v_and_b32_e32 v9, 0xff0000ff, v9
	v_cndmask_b32_e64 v8, v9, v18, s1
	s_or_b32 s1, s3, s1
	s_delay_alu instid0(SALU_CYCLE_1) | instskip(NEXT) | instid1(VALU_DEP_1)
	s_or_b32 s0, s1, vcc_lo
	v_and_b32_e32 v6, 0xff00ffff, v8
	s_or_b32 vcc_lo, s0, s2
	v_dual_cndmask_b32 v30, v2, v30 :: v_dual_cndmask_b32 v1, v1, v29
	s_delay_alu instid0(VALU_DEP_2) | instskip(NEXT) | instid1(VALU_DEP_2)
	v_cndmask_b32_e64 v6, v6, v18, s3
	v_perm_b32 v29, v1, v1, 0x3020104
	s_delay_alu instid0(VALU_DEP_2) | instskip(SKIP_1) | instid1(VALU_DEP_2)
	v_lshrrev_b32_e32 v5, 8, v6
	v_and_b32_e32 v4, 0xff, v6
	v_lshlrev_b16 v5, 8, v5
	s_delay_alu instid0(VALU_DEP_1) | instskip(NEXT) | instid1(VALU_DEP_1)
	v_or_b32_e32 v3, v4, v5
	v_and_b32_e32 v2, 0xffff, v3
	s_delay_alu instid0(VALU_DEP_1)
	v_and_or_b32 v18, 0xff0000, v6, v2
.LBB1195_75:
	v_and_b32_e32 v43, 0xff, v29
	v_bfe_u32 v44, v29, 8, 8
	v_alignbit_b32 v1, v30, v29, 24
	v_bfe_u32 v45, v29, 16, 8
	v_and_b32_e32 v46, 0xff, v30
	v_bfe_u32 v48, v30, 8, 8
	v_bfe_u32 v49, v30, 16, 8
	v_and_b32_e32 v47, 0xff, v1
	v_add3_u32 v1, v44, v43, v45
	v_lshrrev_b32_e32 v42, 24, v30
	v_mbcnt_lo_u32_b32 v52, -1, 0
	v_and_b32_e32 v50, 0xff, v18
	v_bfe_u32 v51, v18, 8, 8
	v_add3_u32 v1, v1, v47, v46
	v_bfe_u32 v3, v18, 16, 8
	v_and_b32_e32 v2, 15, v52
	v_or_b32_e32 v4, 31, v0
	v_and_b32_e32 v5, 16, v52
	v_add3_u32 v1, v1, v48, v49
	v_lshrrev_b32_e32 v53, 5, v0
	v_cmp_eq_u32_e64 s5, 0, v2
	v_cmp_lt_u32_e64 s4, 1, v2
	v_cmp_lt_u32_e64 s3, 3, v2
	v_add3_u32 v1, v1, v42, v50
	v_cmp_lt_u32_e64 s2, 7, v2
	v_cmp_eq_u32_e64 s1, 0, v5
	v_cmp_eq_u32_e64 s0, v4, v0
	s_and_b32 vcc_lo, exec_lo, s20
	v_add3_u32 v54, v1, v51, v3
	s_mov_b32 s6, -1
	s_waitcnt vmcnt(0) lgkmcnt(0)
	s_barrier
	buffer_gl0_inv
	s_cbranch_vccz .LBB1195_106
; %bb.76:
	v_mov_b32_dpp v1, v54 row_shr:1 row_mask:0xf bank_mask:0xf
	s_delay_alu instid0(VALU_DEP_1) | instskip(NEXT) | instid1(VALU_DEP_1)
	v_cndmask_b32_e64 v1, v1, 0, s5
	v_add_nc_u32_e32 v1, v1, v54
	s_delay_alu instid0(VALU_DEP_1) | instskip(NEXT) | instid1(VALU_DEP_1)
	v_mov_b32_dpp v2, v1 row_shr:2 row_mask:0xf bank_mask:0xf
	v_cndmask_b32_e64 v2, 0, v2, s4
	s_delay_alu instid0(VALU_DEP_1) | instskip(NEXT) | instid1(VALU_DEP_1)
	v_add_nc_u32_e32 v1, v1, v2
	v_mov_b32_dpp v2, v1 row_shr:4 row_mask:0xf bank_mask:0xf
	s_delay_alu instid0(VALU_DEP_1) | instskip(NEXT) | instid1(VALU_DEP_1)
	v_cndmask_b32_e64 v2, 0, v2, s3
	v_add_nc_u32_e32 v1, v1, v2
	s_delay_alu instid0(VALU_DEP_1) | instskip(NEXT) | instid1(VALU_DEP_1)
	v_mov_b32_dpp v2, v1 row_shr:8 row_mask:0xf bank_mask:0xf
	v_cndmask_b32_e64 v2, 0, v2, s2
	s_delay_alu instid0(VALU_DEP_1) | instskip(SKIP_3) | instid1(VALU_DEP_1)
	v_add_nc_u32_e32 v1, v1, v2
	ds_swizzle_b32 v2, v1 offset:swizzle(BROADCAST,32,15)
	s_waitcnt lgkmcnt(0)
	v_cndmask_b32_e64 v2, v2, 0, s1
	v_add_nc_u32_e32 v1, v1, v2
	s_and_saveexec_b32 s6, s0
	s_cbranch_execz .LBB1195_78
; %bb.77:
	v_lshlrev_b32_e32 v2, 2, v53
	ds_store_b32 v2, v1
.LBB1195_78:
	s_or_b32 exec_lo, exec_lo, s6
	s_delay_alu instid0(SALU_CYCLE_1)
	s_mov_b32 s6, exec_lo
	s_waitcnt lgkmcnt(0)
	s_barrier
	buffer_gl0_inv
	v_cmpx_gt_u32_e32 4, v0
	s_cbranch_execz .LBB1195_80
; %bb.79:
	v_and_b32_e32 v4, 3, v52
	s_delay_alu instid0(VALU_DEP_1) | instskip(SKIP_4) | instid1(VALU_DEP_1)
	v_cmp_ne_u32_e32 vcc_lo, 0, v4
	v_lshlrev_b32_e32 v2, 2, v0
	ds_load_b32 v3, v2
	s_waitcnt lgkmcnt(0)
	v_mov_b32_dpp v5, v3 row_shr:1 row_mask:0xf bank_mask:0xf
	v_cndmask_b32_e32 v5, 0, v5, vcc_lo
	v_cmp_lt_u32_e32 vcc_lo, 1, v4
	s_delay_alu instid0(VALU_DEP_2) | instskip(NEXT) | instid1(VALU_DEP_1)
	v_add_nc_u32_e32 v3, v5, v3
	v_mov_b32_dpp v5, v3 row_shr:2 row_mask:0xf bank_mask:0xf
	s_delay_alu instid0(VALU_DEP_1) | instskip(NEXT) | instid1(VALU_DEP_1)
	v_cndmask_b32_e32 v4, 0, v5, vcc_lo
	v_add_nc_u32_e32 v3, v3, v4
	ds_store_b32 v2, v3
.LBB1195_80:
	s_or_b32 exec_lo, exec_lo, s6
	v_cmp_gt_u32_e32 vcc_lo, 32, v0
	s_mov_b32 s7, exec_lo
	s_waitcnt lgkmcnt(0)
	s_barrier
	buffer_gl0_inv
                                        ; implicit-def: $vgpr9
	v_cmpx_lt_u32_e32 31, v0
	s_cbranch_execz .LBB1195_82
; %bb.81:
	v_lshl_add_u32 v2, v53, 2, -4
	ds_load_b32 v9, v2
	s_waitcnt lgkmcnt(0)
	v_add_nc_u32_e32 v1, v9, v1
.LBB1195_82:
	s_or_b32 exec_lo, exec_lo, s7
	v_add_nc_u32_e32 v2, -1, v52
	s_delay_alu instid0(VALU_DEP_1) | instskip(NEXT) | instid1(VALU_DEP_1)
	v_cmp_gt_i32_e64 s6, 0, v2
	v_cndmask_b32_e64 v2, v2, v52, s6
	v_cmp_eq_u32_e64 s6, 0, v52
	s_delay_alu instid0(VALU_DEP_2)
	v_lshlrev_b32_e32 v2, 2, v2
	ds_bpermute_b32 v10, v2, v1
	s_and_saveexec_b32 s7, vcc_lo
	s_cbranch_execz .LBB1195_105
; %bb.83:
	v_mov_b32_e32 v5, 0
	ds_load_b32 v1, v5 offset:12
	s_and_saveexec_b32 s10, s6
	s_cbranch_execz .LBB1195_85
; %bb.84:
	s_add_i32 s18, s15, 32
	s_mov_b32 s19, 0
	v_mov_b32_e32 v2, 1
	s_lshl_b64 s[18:19], s[18:19], 3
	s_delay_alu instid0(SALU_CYCLE_1)
	s_add_u32 s18, s8, s18
	s_addc_u32 s19, s9, s19
	s_waitcnt lgkmcnt(0)
	global_store_b64 v5, v[1:2], s[18:19]
.LBB1195_85:
	s_or_b32 exec_lo, exec_lo, s10
	v_xad_u32 v3, v52, -1, s15
	s_mov_b32 s11, 0
	s_mov_b32 s10, exec_lo
	s_delay_alu instid0(VALU_DEP_1) | instskip(NEXT) | instid1(VALU_DEP_1)
	v_add_nc_u32_e32 v4, 32, v3
	v_lshlrev_b64 v[4:5], 3, v[4:5]
	s_delay_alu instid0(VALU_DEP_1) | instskip(NEXT) | instid1(VALU_DEP_2)
	v_add_co_u32 v7, vcc_lo, s8, v4
	v_add_co_ci_u32_e32 v8, vcc_lo, s9, v5, vcc_lo
	global_load_b64 v[5:6], v[7:8], off glc
	s_waitcnt vmcnt(0)
	v_and_b32_e32 v2, 0xff, v6
	s_delay_alu instid0(VALU_DEP_1)
	v_cmpx_eq_u16_e32 0, v2
	s_cbranch_execz .LBB1195_91
; %bb.86:
	s_mov_b32 s18, 1
	.p2align	6
.LBB1195_87:                            ; =>This Loop Header: Depth=1
                                        ;     Child Loop BB1195_88 Depth 2
	s_delay_alu instid0(SALU_CYCLE_1)
	s_max_u32 s19, s18, 1
.LBB1195_88:                            ;   Parent Loop BB1195_87 Depth=1
                                        ; =>  This Inner Loop Header: Depth=2
	s_delay_alu instid0(SALU_CYCLE_1)
	s_add_i32 s19, s19, -1
	s_sleep 1
	s_cmp_eq_u32 s19, 0
	s_cbranch_scc0 .LBB1195_88
; %bb.89:                               ;   in Loop: Header=BB1195_87 Depth=1
	global_load_b64 v[5:6], v[7:8], off glc
	s_cmp_lt_u32 s18, 32
	s_cselect_b32 s19, -1, 0
	s_delay_alu instid0(SALU_CYCLE_1) | instskip(SKIP_3) | instid1(VALU_DEP_1)
	s_cmp_lg_u32 s19, 0
	s_addc_u32 s18, s18, 0
	s_waitcnt vmcnt(0)
	v_and_b32_e32 v2, 0xff, v6
	v_cmp_ne_u16_e32 vcc_lo, 0, v2
	s_or_b32 s11, vcc_lo, s11
	s_delay_alu instid0(SALU_CYCLE_1)
	s_and_not1_b32 exec_lo, exec_lo, s11
	s_cbranch_execnz .LBB1195_87
; %bb.90:
	s_or_b32 exec_lo, exec_lo, s11
.LBB1195_91:
	s_delay_alu instid0(SALU_CYCLE_1)
	s_or_b32 exec_lo, exec_lo, s10
	v_cmp_ne_u32_e32 vcc_lo, 31, v52
	v_lshlrev_b32_e64 v16, v52, -1
	v_add_nc_u32_e32 v31, 2, v52
	v_add_nc_u32_e32 v55, 4, v52
	;; [unrolled: 1-line block ×3, first 2 shown]
	v_add_co_ci_u32_e32 v2, vcc_lo, 0, v52, vcc_lo
	v_add_nc_u32_e32 v59, 16, v52
	s_delay_alu instid0(VALU_DEP_2)
	v_lshlrev_b32_e32 v11, 2, v2
	v_and_b32_e32 v2, 0xff, v6
	ds_bpermute_b32 v4, v11, v5
	v_cmp_eq_u16_e32 vcc_lo, 2, v2
	v_and_or_b32 v2, vcc_lo, v16, 0x80000000
	v_cmp_gt_u32_e32 vcc_lo, 30, v52
	s_delay_alu instid0(VALU_DEP_2) | instskip(SKIP_1) | instid1(VALU_DEP_2)
	v_ctz_i32_b32_e32 v2, v2
	v_cndmask_b32_e64 v7, 0, 1, vcc_lo
	v_cmp_lt_u32_e32 vcc_lo, v52, v2
	s_waitcnt lgkmcnt(0)
	s_delay_alu instid0(VALU_DEP_2) | instskip(NEXT) | instid1(VALU_DEP_1)
	v_dual_cndmask_b32 v4, 0, v4 :: v_dual_lshlrev_b32 v7, 1, v7
	v_add_lshl_u32 v17, v7, v52, 2
	v_cmp_gt_u32_e32 vcc_lo, 28, v52
	s_delay_alu instid0(VALU_DEP_3) | instskip(SKIP_4) | instid1(VALU_DEP_1)
	v_add_nc_u32_e32 v4, v4, v5
	v_cndmask_b32_e64 v7, 0, 1, vcc_lo
	v_cmp_le_u32_e32 vcc_lo, v31, v2
	ds_bpermute_b32 v5, v17, v4
	v_lshlrev_b32_e32 v7, 2, v7
	v_add_lshl_u32 v32, v7, v52, 2
	s_waitcnt lgkmcnt(0)
	v_cndmask_b32_e32 v5, 0, v5, vcc_lo
	v_cmp_gt_u32_e32 vcc_lo, 24, v52
	s_delay_alu instid0(VALU_DEP_2) | instskip(SKIP_4) | instid1(VALU_DEP_1)
	v_add_nc_u32_e32 v4, v4, v5
	v_cndmask_b32_e64 v7, 0, 1, vcc_lo
	v_cmp_le_u32_e32 vcc_lo, v55, v2
	ds_bpermute_b32 v5, v32, v4
	v_lshlrev_b32_e32 v7, 3, v7
	v_add_lshl_u32 v56, v7, v52, 2
	s_waitcnt lgkmcnt(0)
	v_cndmask_b32_e32 v5, 0, v5, vcc_lo
	v_cmp_gt_u32_e32 vcc_lo, 16, v52
	s_delay_alu instid0(VALU_DEP_2) | instskip(SKIP_4) | instid1(VALU_DEP_1)
	v_add_nc_u32_e32 v4, v4, v5
	v_cndmask_b32_e64 v7, 0, 1, vcc_lo
	v_cmp_le_u32_e32 vcc_lo, v57, v2
	ds_bpermute_b32 v5, v56, v4
	v_lshlrev_b32_e32 v7, 4, v7
	v_add_lshl_u32 v58, v7, v52, 2
	s_waitcnt lgkmcnt(0)
	v_cndmask_b32_e32 v5, 0, v5, vcc_lo
	v_cmp_le_u32_e32 vcc_lo, v59, v2
	s_delay_alu instid0(VALU_DEP_2) | instskip(SKIP_3) | instid1(VALU_DEP_1)
	v_add_nc_u32_e32 v4, v4, v5
	ds_bpermute_b32 v5, v58, v4
	s_waitcnt lgkmcnt(0)
	v_cndmask_b32_e32 v2, 0, v5, vcc_lo
	v_dual_mov_b32 v4, 0 :: v_dual_add_nc_u32 v5, v4, v2
	s_branch .LBB1195_93
.LBB1195_92:                            ;   in Loop: Header=BB1195_93 Depth=1
	s_or_b32 exec_lo, exec_lo, s10
	ds_bpermute_b32 v8, v11, v5
	v_and_b32_e32 v7, 0xff, v6
	v_subrev_nc_u32_e32 v3, 32, v3
	s_delay_alu instid0(VALU_DEP_2) | instskip(SKIP_1) | instid1(VALU_DEP_1)
	v_cmp_eq_u16_e32 vcc_lo, 2, v7
	v_and_or_b32 v7, vcc_lo, v16, 0x80000000
	v_ctz_i32_b32_e32 v7, v7
	s_delay_alu instid0(VALU_DEP_1) | instskip(SKIP_3) | instid1(VALU_DEP_2)
	v_cmp_lt_u32_e32 vcc_lo, v52, v7
	s_waitcnt lgkmcnt(0)
	v_cndmask_b32_e32 v8, 0, v8, vcc_lo
	v_cmp_le_u32_e32 vcc_lo, v31, v7
	v_add_nc_u32_e32 v5, v8, v5
	ds_bpermute_b32 v8, v17, v5
	s_waitcnt lgkmcnt(0)
	v_cndmask_b32_e32 v8, 0, v8, vcc_lo
	v_cmp_le_u32_e32 vcc_lo, v55, v7
	s_delay_alu instid0(VALU_DEP_2) | instskip(SKIP_4) | instid1(VALU_DEP_2)
	v_add_nc_u32_e32 v5, v5, v8
	ds_bpermute_b32 v8, v32, v5
	s_waitcnt lgkmcnt(0)
	v_cndmask_b32_e32 v8, 0, v8, vcc_lo
	v_cmp_le_u32_e32 vcc_lo, v57, v7
	v_add_nc_u32_e32 v5, v5, v8
	ds_bpermute_b32 v8, v56, v5
	s_waitcnt lgkmcnt(0)
	v_cndmask_b32_e32 v8, 0, v8, vcc_lo
	v_cmp_le_u32_e32 vcc_lo, v59, v7
	s_delay_alu instid0(VALU_DEP_2) | instskip(SKIP_3) | instid1(VALU_DEP_1)
	v_add_nc_u32_e32 v5, v5, v8
	ds_bpermute_b32 v8, v58, v5
	s_waitcnt lgkmcnt(0)
	v_cndmask_b32_e32 v7, 0, v8, vcc_lo
	v_add3_u32 v5, v7, v2, v5
.LBB1195_93:                            ; =>This Loop Header: Depth=1
                                        ;     Child Loop BB1195_96 Depth 2
                                        ;       Child Loop BB1195_97 Depth 3
	v_and_b32_e32 v2, 0xff, v6
	s_delay_alu instid0(VALU_DEP_1) | instskip(SKIP_2) | instid1(VALU_DEP_1)
	v_cmp_ne_u16_e32 vcc_lo, 2, v2
	v_cndmask_b32_e64 v2, 0, 1, vcc_lo
	;;#ASMSTART
	;;#ASMEND
	v_cmp_ne_u32_e32 vcc_lo, 0, v2
	v_mov_b32_e32 v2, v5
	s_cmp_lg_u32 vcc_lo, exec_lo
	s_cbranch_scc1 .LBB1195_100
; %bb.94:                               ;   in Loop: Header=BB1195_93 Depth=1
	v_lshlrev_b64 v[5:6], 3, v[3:4]
	s_mov_b32 s10, exec_lo
	s_delay_alu instid0(VALU_DEP_1) | instskip(NEXT) | instid1(VALU_DEP_2)
	v_add_co_u32 v7, vcc_lo, s8, v5
	v_add_co_ci_u32_e32 v8, vcc_lo, s9, v6, vcc_lo
	global_load_b64 v[5:6], v[7:8], off glc
	s_waitcnt vmcnt(0)
	v_and_b32_e32 v60, 0xff, v6
	s_delay_alu instid0(VALU_DEP_1)
	v_cmpx_eq_u16_e32 0, v60
	s_cbranch_execz .LBB1195_92
; %bb.95:                               ;   in Loop: Header=BB1195_93 Depth=1
	s_mov_b32 s18, 1
	s_mov_b32 s11, 0
	.p2align	6
.LBB1195_96:                            ;   Parent Loop BB1195_93 Depth=1
                                        ; =>  This Loop Header: Depth=2
                                        ;       Child Loop BB1195_97 Depth 3
	s_max_u32 s19, s18, 1
.LBB1195_97:                            ;   Parent Loop BB1195_93 Depth=1
                                        ;     Parent Loop BB1195_96 Depth=2
                                        ; =>    This Inner Loop Header: Depth=3
	s_delay_alu instid0(SALU_CYCLE_1)
	s_add_i32 s19, s19, -1
	s_sleep 1
	s_cmp_eq_u32 s19, 0
	s_cbranch_scc0 .LBB1195_97
; %bb.98:                               ;   in Loop: Header=BB1195_96 Depth=2
	global_load_b64 v[5:6], v[7:8], off glc
	s_cmp_lt_u32 s18, 32
	s_cselect_b32 s19, -1, 0
	s_delay_alu instid0(SALU_CYCLE_1) | instskip(SKIP_3) | instid1(VALU_DEP_1)
	s_cmp_lg_u32 s19, 0
	s_addc_u32 s18, s18, 0
	s_waitcnt vmcnt(0)
	v_and_b32_e32 v60, 0xff, v6
	v_cmp_ne_u16_e32 vcc_lo, 0, v60
	s_or_b32 s11, vcc_lo, s11
	s_delay_alu instid0(SALU_CYCLE_1)
	s_and_not1_b32 exec_lo, exec_lo, s11
	s_cbranch_execnz .LBB1195_96
; %bb.99:                               ;   in Loop: Header=BB1195_93 Depth=1
	s_or_b32 exec_lo, exec_lo, s11
	s_branch .LBB1195_92
.LBB1195_100:                           ;   in Loop: Header=BB1195_93 Depth=1
                                        ; implicit-def: $vgpr5
                                        ; implicit-def: $vgpr6
	s_cbranch_execz .LBB1195_93
; %bb.101:
	s_and_saveexec_b32 s10, s6
	s_cbranch_execz .LBB1195_103
; %bb.102:
	s_add_i32 s18, s15, 32
	s_mov_b32 s19, 0
	v_dual_mov_b32 v4, 2 :: v_dual_add_nc_u32 v3, v2, v1
	s_lshl_b64 s[18:19], s[18:19], 3
	v_mov_b32_e32 v5, 0
	s_add_u32 s18, s8, s18
	s_addc_u32 s19, s9, s19
	global_store_b64 v5, v[3:4], s[18:19]
	ds_store_b64 v5, v[1:2] offset:5632
.LBB1195_103:
	s_or_b32 exec_lo, exec_lo, s10
	v_cmp_eq_u32_e32 vcc_lo, 0, v0
	s_and_b32 exec_lo, exec_lo, vcc_lo
	s_cbranch_execz .LBB1195_105
; %bb.104:
	v_mov_b32_e32 v1, 0
	ds_store_b32 v1, v2 offset:12
.LBB1195_105:
	s_or_b32 exec_lo, exec_lo, s7
	s_waitcnt lgkmcnt(0)
	v_cndmask_b32_e64 v2, v10, v9, s6
	v_cmp_ne_u32_e32 vcc_lo, 0, v0
	v_mov_b32_e32 v11, 0
	s_waitcnt_vscnt null, 0x0
	s_barrier
	buffer_gl0_inv
	v_cndmask_b32_e32 v2, 0, v2, vcc_lo
	ds_load_b32 v1, v11 offset:12
	s_waitcnt lgkmcnt(0)
	s_barrier
	buffer_gl0_inv
	ds_load_b64 v[16:17], v11 offset:5632
	v_add_nc_u32_e32 v1, v1, v2
	s_delay_alu instid0(VALU_DEP_1) | instskip(NEXT) | instid1(VALU_DEP_1)
	v_add_nc_u32_e32 v2, v1, v43
	v_add_nc_u32_e32 v3, v2, v44
	s_delay_alu instid0(VALU_DEP_1) | instskip(NEXT) | instid1(VALU_DEP_1)
	v_add_nc_u32_e32 v4, v3, v45
	;; [unrolled: 3-line block ×5, first 2 shown]
	v_add_nc_u32_e32 v11, v10, v51
	v_lshrrev_b64 v[31:32], 24, v[29:30]
	s_branch .LBB1195_116
.LBB1195_106:
                                        ; implicit-def: $vgpr17
                                        ; implicit-def: $vgpr1_vgpr2_vgpr3_vgpr4_vgpr5_vgpr6_vgpr7_vgpr8_vgpr9_vgpr10_vgpr11
	v_lshrrev_b64 v[31:32], 24, v[29:30]
	s_and_b32 vcc_lo, exec_lo, s6
	s_cbranch_vccz .LBB1195_116
; %bb.107:
	v_mov_b32_dpp v1, v54 row_shr:1 row_mask:0xf bank_mask:0xf
	s_delay_alu instid0(VALU_DEP_1) | instskip(NEXT) | instid1(VALU_DEP_1)
	v_cndmask_b32_e64 v1, v1, 0, s5
	v_add_nc_u32_e32 v1, v1, v54
	s_delay_alu instid0(VALU_DEP_1) | instskip(NEXT) | instid1(VALU_DEP_1)
	v_mov_b32_dpp v2, v1 row_shr:2 row_mask:0xf bank_mask:0xf
	v_cndmask_b32_e64 v2, 0, v2, s4
	s_delay_alu instid0(VALU_DEP_1) | instskip(NEXT) | instid1(VALU_DEP_1)
	v_add_nc_u32_e32 v1, v1, v2
	v_mov_b32_dpp v2, v1 row_shr:4 row_mask:0xf bank_mask:0xf
	s_delay_alu instid0(VALU_DEP_1) | instskip(NEXT) | instid1(VALU_DEP_1)
	v_cndmask_b32_e64 v2, 0, v2, s3
	v_add_nc_u32_e32 v1, v1, v2
	s_delay_alu instid0(VALU_DEP_1) | instskip(NEXT) | instid1(VALU_DEP_1)
	v_mov_b32_dpp v2, v1 row_shr:8 row_mask:0xf bank_mask:0xf
	v_cndmask_b32_e64 v2, 0, v2, s2
	s_delay_alu instid0(VALU_DEP_1) | instskip(SKIP_3) | instid1(VALU_DEP_1)
	v_add_nc_u32_e32 v1, v1, v2
	ds_swizzle_b32 v2, v1 offset:swizzle(BROADCAST,32,15)
	s_waitcnt lgkmcnt(0)
	v_cndmask_b32_e64 v2, v2, 0, s1
	v_add_nc_u32_e32 v1, v1, v2
	s_and_saveexec_b32 s1, s0
	s_cbranch_execz .LBB1195_109
; %bb.108:
	v_lshlrev_b32_e32 v2, 2, v53
	ds_store_b32 v2, v1
.LBB1195_109:
	s_or_b32 exec_lo, exec_lo, s1
	s_delay_alu instid0(SALU_CYCLE_1)
	s_mov_b32 s0, exec_lo
	s_waitcnt lgkmcnt(0)
	s_barrier
	buffer_gl0_inv
	v_cmpx_gt_u32_e32 4, v0
	s_cbranch_execz .LBB1195_111
; %bb.110:
	v_mad_i32_i24 v2, 0xffffffd8, v0, v41
	ds_load_b32 v3, v2
	s_waitcnt lgkmcnt(0)
	v_mov_b32_dpp v5, v3 row_shr:1 row_mask:0xf bank_mask:0xf
	v_and_b32_e32 v4, 3, v52
	s_delay_alu instid0(VALU_DEP_1) | instskip(NEXT) | instid1(VALU_DEP_3)
	v_cmp_ne_u32_e32 vcc_lo, 0, v4
	v_cndmask_b32_e32 v5, 0, v5, vcc_lo
	v_cmp_lt_u32_e32 vcc_lo, 1, v4
	s_delay_alu instid0(VALU_DEP_2) | instskip(NEXT) | instid1(VALU_DEP_1)
	v_add_nc_u32_e32 v3, v5, v3
	v_mov_b32_dpp v5, v3 row_shr:2 row_mask:0xf bank_mask:0xf
	s_delay_alu instid0(VALU_DEP_1) | instskip(NEXT) | instid1(VALU_DEP_1)
	v_cndmask_b32_e32 v4, 0, v5, vcc_lo
	v_add_nc_u32_e32 v3, v3, v4
	ds_store_b32 v2, v3
.LBB1195_111:
	s_or_b32 exec_lo, exec_lo, s0
	v_dual_mov_b32 v3, 0 :: v_dual_mov_b32 v2, 0
	s_mov_b32 s0, exec_lo
	s_waitcnt lgkmcnt(0)
	s_barrier
	buffer_gl0_inv
	v_cmpx_lt_u32_e32 31, v0
	s_cbranch_execz .LBB1195_113
; %bb.112:
	v_lshl_add_u32 v2, v53, 2, -4
	ds_load_b32 v2, v2
.LBB1195_113:
	s_or_b32 exec_lo, exec_lo, s0
	v_add_nc_u32_e32 v4, -1, v52
	ds_load_b32 v16, v3 offset:12
	s_waitcnt lgkmcnt(1)
	v_add_nc_u32_e32 v1, v2, v1
	v_cmp_gt_i32_e32 vcc_lo, 0, v4
	v_cndmask_b32_e32 v4, v4, v52, vcc_lo
	v_cmp_eq_u32_e32 vcc_lo, 0, v0
	s_delay_alu instid0(VALU_DEP_2)
	v_lshlrev_b32_e32 v4, 2, v4
	ds_bpermute_b32 v1, v4, v1
	s_and_saveexec_b32 s0, vcc_lo
	s_cbranch_execz .LBB1195_115
; %bb.114:
	v_mov_b32_e32 v3, 0
	v_mov_b32_e32 v17, 2
	s_waitcnt lgkmcnt(1)
	global_store_b64 v3, v[16:17], s[8:9] offset:256
.LBB1195_115:
	s_or_b32 exec_lo, exec_lo, s0
	v_cmp_eq_u32_e64 s0, 0, v52
	s_waitcnt lgkmcnt(0)
	s_waitcnt_vscnt null, 0x0
	s_barrier
	buffer_gl0_inv
	v_mov_b32_e32 v17, 0
	v_cndmask_b32_e64 v1, v1, v2, s0
	s_delay_alu instid0(VALU_DEP_1) | instskip(NEXT) | instid1(VALU_DEP_1)
	v_cndmask_b32_e64 v1, v1, 0, vcc_lo
	v_add_nc_u32_e32 v2, v1, v43
	s_delay_alu instid0(VALU_DEP_1) | instskip(NEXT) | instid1(VALU_DEP_1)
	v_add_nc_u32_e32 v3, v2, v44
	v_add_nc_u32_e32 v4, v3, v45
	s_delay_alu instid0(VALU_DEP_1) | instskip(NEXT) | instid1(VALU_DEP_1)
	v_add_nc_u32_e32 v5, v4, v47
	;; [unrolled: 3-line block ×4, first 2 shown]
	v_add_nc_u32_e32 v10, v9, v50
	s_delay_alu instid0(VALU_DEP_1)
	v_add_nc_u32_e32 v11, v10, v51
.LBB1195_116:
	v_lshrrev_b32_e32 v45, 16, v29
	v_lshrrev_b32_e32 v46, 8, v29
	v_and_b32_e32 v29, 1, v29
	s_waitcnt lgkmcnt(0)
	v_cmp_gt_u32_e32 vcc_lo, 0x81, v16
	v_lshrrev_b32_e32 v32, 16, v18
	v_lshrrev_b32_e32 v44, 8, v30
	;; [unrolled: 1-line block ×4, first 2 shown]
	v_cmp_lt_u32_e64 s0, 0x80, v16
	v_cmp_eq_u32_e64 s1, 1, v29
	s_cbranch_vccnz .LBB1195_140
; %bb.117:
	s_delay_alu instid0(VALU_DEP_1)
	s_and_saveexec_b32 s2, s1
	s_cbranch_execz .LBB1195_119
; %bb.118:
	v_sub_nc_u32_e32 v47, v1, v17
	s_delay_alu instid0(VALU_DEP_1)
	v_lshlrev_b32_e32 v47, 1, v47
	ds_store_b16 v47, v12
.LBB1195_119:
	s_or_b32 exec_lo, exec_lo, s2
	v_and_b32_e32 v12, 1, v46
	s_mov_b32 s1, exec_lo
	s_delay_alu instid0(VALU_DEP_1)
	v_cmpx_eq_u32_e32 1, v12
	s_cbranch_execz .LBB1195_121
; %bb.120:
	v_sub_nc_u32_e32 v12, v2, v17
	s_delay_alu instid0(VALU_DEP_1)
	v_lshlrev_b32_e32 v12, 1, v12
	ds_store_b16 v12, v40
.LBB1195_121:
	s_or_b32 exec_lo, exec_lo, s1
	v_and_b32_e32 v12, 1, v45
	s_mov_b32 s1, exec_lo
	s_delay_alu instid0(VALU_DEP_1)
	v_cmpx_eq_u32_e32 1, v12
	;; [unrolled: 12-line block ×10, first 2 shown]
	s_cbranch_execz .LBB1195_139
; %bb.138:
	v_sub_nc_u32_e32 v12, v11, v17
	s_delay_alu instid0(VALU_DEP_1)
	v_lshlrev_b32_e32 v12, 1, v12
	ds_store_b16 v12, v33
.LBB1195_139:
	s_or_b32 exec_lo, exec_lo, s1
	s_waitcnt lgkmcnt(0)
	s_barrier
	buffer_gl0_inv
.LBB1195_140:
	s_delay_alu instid0(VALU_DEP_2)
	s_and_not1_b32 vcc_lo, exec_lo, s0
	s_barrier
	buffer_gl0_inv
	s_cbranch_vccz .LBB1195_143
; %bb.141:
	v_cmp_eq_u32_e32 vcc_lo, 0, v0
	s_and_b32 s0, vcc_lo, s14
	s_delay_alu instid0(SALU_CYCLE_1)
	s_and_saveexec_b32 s1, s0
	s_cbranch_execnz .LBB1195_166
.LBB1195_142:
	s_endpgm
.LBB1195_143:
	s_mov_b32 s0, exec_lo
	v_cmpx_eq_u32_e32 1, v29
	s_cbranch_execz .LBB1195_145
; %bb.144:
	v_sub_nc_u32_e32 v1, v1, v17
	s_delay_alu instid0(VALU_DEP_1)
	v_lshlrev_b32_e32 v1, 2, v1
	ds_store_b32 v1, v27
.LBB1195_145:
	s_or_b32 exec_lo, exec_lo, s0
	v_and_b32_e32 v1, 1, v46
	s_mov_b32 s0, exec_lo
	s_delay_alu instid0(VALU_DEP_1)
	v_cmpx_eq_u32_e32 1, v1
	s_cbranch_execz .LBB1195_147
; %bb.146:
	v_sub_nc_u32_e32 v1, v2, v17
	s_delay_alu instid0(VALU_DEP_1)
	v_lshlrev_b32_e32 v1, 2, v1
	ds_store_b32 v1, v28
.LBB1195_147:
	s_or_b32 exec_lo, exec_lo, s0
	v_and_b32_e32 v1, 1, v45
	s_mov_b32 s0, exec_lo
	s_delay_alu instid0(VALU_DEP_1)
	;; [unrolled: 12-line block ×10, first 2 shown]
	v_cmpx_eq_u32_e32 1, v1
	s_cbranch_execz .LBB1195_165
; %bb.164:
	v_sub_nc_u32_e32 v1, v11, v17
	s_delay_alu instid0(VALU_DEP_1)
	v_lshlrev_b32_e32 v1, 2, v1
	ds_store_b32 v1, v36
.LBB1195_165:
	s_or_b32 exec_lo, exec_lo, s0
	s_waitcnt lgkmcnt(0)
	s_barrier
	buffer_gl0_inv
	v_cmp_eq_u32_e32 vcc_lo, 0, v0
	s_and_b32 s0, vcc_lo, s14
	s_delay_alu instid0(SALU_CYCLE_1)
	s_and_saveexec_b32 s1, s0
	s_cbranch_execz .LBB1195_142
.LBB1195_166:
	v_add_co_u32 v0, s0, s12, v16
	s_delay_alu instid0(VALU_DEP_1) | instskip(SKIP_1) | instid1(VALU_DEP_3)
	v_add_co_ci_u32_e64 v1, null, s13, 0, s0
	v_mov_b32_e32 v2, 0
	v_add_co_u32 v0, vcc_lo, v0, v17
	s_delay_alu instid0(VALU_DEP_3)
	v_add_co_ci_u32_e32 v1, vcc_lo, 0, v1, vcc_lo
	global_store_b64 v2, v[0:1], s[16:17]
	s_nop 0
	s_sendmsg sendmsg(MSG_DEALLOC_VGPRS)
	s_endpgm
.LBB1195_167:
	s_or_b32 exec_lo, exec_lo, s3
	s_and_saveexec_b32 s3, s21
	s_cbranch_execnz .LBB1195_72
	s_branch .LBB1195_73
	.section	.rodata,"a",@progbits
	.p2align	6, 0x0
	.amdhsa_kernel _ZN7rocprim17ROCPRIM_400000_NS6detail17trampoline_kernelINS0_14default_configENS1_25partition_config_selectorILNS1_17partition_subalgoE9EsjbEEZZNS1_14partition_implILS5_9ELb0ES3_jN6thrust23THRUST_200600_302600_NS6detail15normal_iteratorINS9_10device_ptrIsEEEENSB_INSC_IjEEEEPNS0_10empty_typeENS0_5tupleIJNS9_16discard_iteratorINS9_11use_defaultEEESH_EEENSJ_IJSM_SI_EEENS0_18inequality_wrapperINS9_8equal_toIsEEEEPmJSH_EEE10hipError_tPvRmT3_T4_T5_T6_T7_T9_mT8_P12ihipStream_tbDpT10_ENKUlT_T0_E_clISt17integral_constantIbLb1EES1C_IbLb0EEEEDaS18_S19_EUlS18_E_NS1_11comp_targetILNS1_3genE9ELNS1_11target_archE1100ELNS1_3gpuE3ELNS1_3repE0EEENS1_30default_config_static_selectorELNS0_4arch9wavefront6targetE0EEEvT1_
		.amdhsa_group_segment_fixed_size 5640
		.amdhsa_private_segment_fixed_size 0
		.amdhsa_kernarg_size 128
		.amdhsa_user_sgpr_count 15
		.amdhsa_user_sgpr_dispatch_ptr 0
		.amdhsa_user_sgpr_queue_ptr 0
		.amdhsa_user_sgpr_kernarg_segment_ptr 1
		.amdhsa_user_sgpr_dispatch_id 0
		.amdhsa_user_sgpr_private_segment_size 0
		.amdhsa_wavefront_size32 1
		.amdhsa_uses_dynamic_stack 0
		.amdhsa_enable_private_segment 0
		.amdhsa_system_sgpr_workgroup_id_x 1
		.amdhsa_system_sgpr_workgroup_id_y 0
		.amdhsa_system_sgpr_workgroup_id_z 0
		.amdhsa_system_sgpr_workgroup_info 0
		.amdhsa_system_vgpr_workitem_id 0
		.amdhsa_next_free_vgpr 61
		.amdhsa_next_free_sgpr 23
		.amdhsa_reserve_vcc 1
		.amdhsa_float_round_mode_32 0
		.amdhsa_float_round_mode_16_64 0
		.amdhsa_float_denorm_mode_32 3
		.amdhsa_float_denorm_mode_16_64 3
		.amdhsa_dx10_clamp 1
		.amdhsa_ieee_mode 1
		.amdhsa_fp16_overflow 0
		.amdhsa_workgroup_processor_mode 1
		.amdhsa_memory_ordered 1
		.amdhsa_forward_progress 0
		.amdhsa_shared_vgpr_count 0
		.amdhsa_exception_fp_ieee_invalid_op 0
		.amdhsa_exception_fp_denorm_src 0
		.amdhsa_exception_fp_ieee_div_zero 0
		.amdhsa_exception_fp_ieee_overflow 0
		.amdhsa_exception_fp_ieee_underflow 0
		.amdhsa_exception_fp_ieee_inexact 0
		.amdhsa_exception_int_div_zero 0
	.end_amdhsa_kernel
	.section	.text._ZN7rocprim17ROCPRIM_400000_NS6detail17trampoline_kernelINS0_14default_configENS1_25partition_config_selectorILNS1_17partition_subalgoE9EsjbEEZZNS1_14partition_implILS5_9ELb0ES3_jN6thrust23THRUST_200600_302600_NS6detail15normal_iteratorINS9_10device_ptrIsEEEENSB_INSC_IjEEEEPNS0_10empty_typeENS0_5tupleIJNS9_16discard_iteratorINS9_11use_defaultEEESH_EEENSJ_IJSM_SI_EEENS0_18inequality_wrapperINS9_8equal_toIsEEEEPmJSH_EEE10hipError_tPvRmT3_T4_T5_T6_T7_T9_mT8_P12ihipStream_tbDpT10_ENKUlT_T0_E_clISt17integral_constantIbLb1EES1C_IbLb0EEEEDaS18_S19_EUlS18_E_NS1_11comp_targetILNS1_3genE9ELNS1_11target_archE1100ELNS1_3gpuE3ELNS1_3repE0EEENS1_30default_config_static_selectorELNS0_4arch9wavefront6targetE0EEEvT1_,"axG",@progbits,_ZN7rocprim17ROCPRIM_400000_NS6detail17trampoline_kernelINS0_14default_configENS1_25partition_config_selectorILNS1_17partition_subalgoE9EsjbEEZZNS1_14partition_implILS5_9ELb0ES3_jN6thrust23THRUST_200600_302600_NS6detail15normal_iteratorINS9_10device_ptrIsEEEENSB_INSC_IjEEEEPNS0_10empty_typeENS0_5tupleIJNS9_16discard_iteratorINS9_11use_defaultEEESH_EEENSJ_IJSM_SI_EEENS0_18inequality_wrapperINS9_8equal_toIsEEEEPmJSH_EEE10hipError_tPvRmT3_T4_T5_T6_T7_T9_mT8_P12ihipStream_tbDpT10_ENKUlT_T0_E_clISt17integral_constantIbLb1EES1C_IbLb0EEEEDaS18_S19_EUlS18_E_NS1_11comp_targetILNS1_3genE9ELNS1_11target_archE1100ELNS1_3gpuE3ELNS1_3repE0EEENS1_30default_config_static_selectorELNS0_4arch9wavefront6targetE0EEEvT1_,comdat
.Lfunc_end1195:
	.size	_ZN7rocprim17ROCPRIM_400000_NS6detail17trampoline_kernelINS0_14default_configENS1_25partition_config_selectorILNS1_17partition_subalgoE9EsjbEEZZNS1_14partition_implILS5_9ELb0ES3_jN6thrust23THRUST_200600_302600_NS6detail15normal_iteratorINS9_10device_ptrIsEEEENSB_INSC_IjEEEEPNS0_10empty_typeENS0_5tupleIJNS9_16discard_iteratorINS9_11use_defaultEEESH_EEENSJ_IJSM_SI_EEENS0_18inequality_wrapperINS9_8equal_toIsEEEEPmJSH_EEE10hipError_tPvRmT3_T4_T5_T6_T7_T9_mT8_P12ihipStream_tbDpT10_ENKUlT_T0_E_clISt17integral_constantIbLb1EES1C_IbLb0EEEEDaS18_S19_EUlS18_E_NS1_11comp_targetILNS1_3genE9ELNS1_11target_archE1100ELNS1_3gpuE3ELNS1_3repE0EEENS1_30default_config_static_selectorELNS0_4arch9wavefront6targetE0EEEvT1_, .Lfunc_end1195-_ZN7rocprim17ROCPRIM_400000_NS6detail17trampoline_kernelINS0_14default_configENS1_25partition_config_selectorILNS1_17partition_subalgoE9EsjbEEZZNS1_14partition_implILS5_9ELb0ES3_jN6thrust23THRUST_200600_302600_NS6detail15normal_iteratorINS9_10device_ptrIsEEEENSB_INSC_IjEEEEPNS0_10empty_typeENS0_5tupleIJNS9_16discard_iteratorINS9_11use_defaultEEESH_EEENSJ_IJSM_SI_EEENS0_18inequality_wrapperINS9_8equal_toIsEEEEPmJSH_EEE10hipError_tPvRmT3_T4_T5_T6_T7_T9_mT8_P12ihipStream_tbDpT10_ENKUlT_T0_E_clISt17integral_constantIbLb1EES1C_IbLb0EEEEDaS18_S19_EUlS18_E_NS1_11comp_targetILNS1_3genE9ELNS1_11target_archE1100ELNS1_3gpuE3ELNS1_3repE0EEENS1_30default_config_static_selectorELNS0_4arch9wavefront6targetE0EEEvT1_
                                        ; -- End function
	.section	.AMDGPU.csdata,"",@progbits
; Kernel info:
; codeLenInByte = 8136
; NumSgprs: 25
; NumVgprs: 61
; ScratchSize: 0
; MemoryBound: 0
; FloatMode: 240
; IeeeMode: 1
; LDSByteSize: 5640 bytes/workgroup (compile time only)
; SGPRBlocks: 3
; VGPRBlocks: 7
; NumSGPRsForWavesPerEU: 25
; NumVGPRsForWavesPerEU: 61
; Occupancy: 16
; WaveLimiterHint : 1
; COMPUTE_PGM_RSRC2:SCRATCH_EN: 0
; COMPUTE_PGM_RSRC2:USER_SGPR: 15
; COMPUTE_PGM_RSRC2:TRAP_HANDLER: 0
; COMPUTE_PGM_RSRC2:TGID_X_EN: 1
; COMPUTE_PGM_RSRC2:TGID_Y_EN: 0
; COMPUTE_PGM_RSRC2:TGID_Z_EN: 0
; COMPUTE_PGM_RSRC2:TIDIG_COMP_CNT: 0
	.section	.text._ZN7rocprim17ROCPRIM_400000_NS6detail17trampoline_kernelINS0_14default_configENS1_25partition_config_selectorILNS1_17partition_subalgoE9EsjbEEZZNS1_14partition_implILS5_9ELb0ES3_jN6thrust23THRUST_200600_302600_NS6detail15normal_iteratorINS9_10device_ptrIsEEEENSB_INSC_IjEEEEPNS0_10empty_typeENS0_5tupleIJNS9_16discard_iteratorINS9_11use_defaultEEESH_EEENSJ_IJSM_SI_EEENS0_18inequality_wrapperINS9_8equal_toIsEEEEPmJSH_EEE10hipError_tPvRmT3_T4_T5_T6_T7_T9_mT8_P12ihipStream_tbDpT10_ENKUlT_T0_E_clISt17integral_constantIbLb1EES1C_IbLb0EEEEDaS18_S19_EUlS18_E_NS1_11comp_targetILNS1_3genE8ELNS1_11target_archE1030ELNS1_3gpuE2ELNS1_3repE0EEENS1_30default_config_static_selectorELNS0_4arch9wavefront6targetE0EEEvT1_,"axG",@progbits,_ZN7rocprim17ROCPRIM_400000_NS6detail17trampoline_kernelINS0_14default_configENS1_25partition_config_selectorILNS1_17partition_subalgoE9EsjbEEZZNS1_14partition_implILS5_9ELb0ES3_jN6thrust23THRUST_200600_302600_NS6detail15normal_iteratorINS9_10device_ptrIsEEEENSB_INSC_IjEEEEPNS0_10empty_typeENS0_5tupleIJNS9_16discard_iteratorINS9_11use_defaultEEESH_EEENSJ_IJSM_SI_EEENS0_18inequality_wrapperINS9_8equal_toIsEEEEPmJSH_EEE10hipError_tPvRmT3_T4_T5_T6_T7_T9_mT8_P12ihipStream_tbDpT10_ENKUlT_T0_E_clISt17integral_constantIbLb1EES1C_IbLb0EEEEDaS18_S19_EUlS18_E_NS1_11comp_targetILNS1_3genE8ELNS1_11target_archE1030ELNS1_3gpuE2ELNS1_3repE0EEENS1_30default_config_static_selectorELNS0_4arch9wavefront6targetE0EEEvT1_,comdat
	.protected	_ZN7rocprim17ROCPRIM_400000_NS6detail17trampoline_kernelINS0_14default_configENS1_25partition_config_selectorILNS1_17partition_subalgoE9EsjbEEZZNS1_14partition_implILS5_9ELb0ES3_jN6thrust23THRUST_200600_302600_NS6detail15normal_iteratorINS9_10device_ptrIsEEEENSB_INSC_IjEEEEPNS0_10empty_typeENS0_5tupleIJNS9_16discard_iteratorINS9_11use_defaultEEESH_EEENSJ_IJSM_SI_EEENS0_18inequality_wrapperINS9_8equal_toIsEEEEPmJSH_EEE10hipError_tPvRmT3_T4_T5_T6_T7_T9_mT8_P12ihipStream_tbDpT10_ENKUlT_T0_E_clISt17integral_constantIbLb1EES1C_IbLb0EEEEDaS18_S19_EUlS18_E_NS1_11comp_targetILNS1_3genE8ELNS1_11target_archE1030ELNS1_3gpuE2ELNS1_3repE0EEENS1_30default_config_static_selectorELNS0_4arch9wavefront6targetE0EEEvT1_ ; -- Begin function _ZN7rocprim17ROCPRIM_400000_NS6detail17trampoline_kernelINS0_14default_configENS1_25partition_config_selectorILNS1_17partition_subalgoE9EsjbEEZZNS1_14partition_implILS5_9ELb0ES3_jN6thrust23THRUST_200600_302600_NS6detail15normal_iteratorINS9_10device_ptrIsEEEENSB_INSC_IjEEEEPNS0_10empty_typeENS0_5tupleIJNS9_16discard_iteratorINS9_11use_defaultEEESH_EEENSJ_IJSM_SI_EEENS0_18inequality_wrapperINS9_8equal_toIsEEEEPmJSH_EEE10hipError_tPvRmT3_T4_T5_T6_T7_T9_mT8_P12ihipStream_tbDpT10_ENKUlT_T0_E_clISt17integral_constantIbLb1EES1C_IbLb0EEEEDaS18_S19_EUlS18_E_NS1_11comp_targetILNS1_3genE8ELNS1_11target_archE1030ELNS1_3gpuE2ELNS1_3repE0EEENS1_30default_config_static_selectorELNS0_4arch9wavefront6targetE0EEEvT1_
	.globl	_ZN7rocprim17ROCPRIM_400000_NS6detail17trampoline_kernelINS0_14default_configENS1_25partition_config_selectorILNS1_17partition_subalgoE9EsjbEEZZNS1_14partition_implILS5_9ELb0ES3_jN6thrust23THRUST_200600_302600_NS6detail15normal_iteratorINS9_10device_ptrIsEEEENSB_INSC_IjEEEEPNS0_10empty_typeENS0_5tupleIJNS9_16discard_iteratorINS9_11use_defaultEEESH_EEENSJ_IJSM_SI_EEENS0_18inequality_wrapperINS9_8equal_toIsEEEEPmJSH_EEE10hipError_tPvRmT3_T4_T5_T6_T7_T9_mT8_P12ihipStream_tbDpT10_ENKUlT_T0_E_clISt17integral_constantIbLb1EES1C_IbLb0EEEEDaS18_S19_EUlS18_E_NS1_11comp_targetILNS1_3genE8ELNS1_11target_archE1030ELNS1_3gpuE2ELNS1_3repE0EEENS1_30default_config_static_selectorELNS0_4arch9wavefront6targetE0EEEvT1_
	.p2align	8
	.type	_ZN7rocprim17ROCPRIM_400000_NS6detail17trampoline_kernelINS0_14default_configENS1_25partition_config_selectorILNS1_17partition_subalgoE9EsjbEEZZNS1_14partition_implILS5_9ELb0ES3_jN6thrust23THRUST_200600_302600_NS6detail15normal_iteratorINS9_10device_ptrIsEEEENSB_INSC_IjEEEEPNS0_10empty_typeENS0_5tupleIJNS9_16discard_iteratorINS9_11use_defaultEEESH_EEENSJ_IJSM_SI_EEENS0_18inequality_wrapperINS9_8equal_toIsEEEEPmJSH_EEE10hipError_tPvRmT3_T4_T5_T6_T7_T9_mT8_P12ihipStream_tbDpT10_ENKUlT_T0_E_clISt17integral_constantIbLb1EES1C_IbLb0EEEEDaS18_S19_EUlS18_E_NS1_11comp_targetILNS1_3genE8ELNS1_11target_archE1030ELNS1_3gpuE2ELNS1_3repE0EEENS1_30default_config_static_selectorELNS0_4arch9wavefront6targetE0EEEvT1_,@function
_ZN7rocprim17ROCPRIM_400000_NS6detail17trampoline_kernelINS0_14default_configENS1_25partition_config_selectorILNS1_17partition_subalgoE9EsjbEEZZNS1_14partition_implILS5_9ELb0ES3_jN6thrust23THRUST_200600_302600_NS6detail15normal_iteratorINS9_10device_ptrIsEEEENSB_INSC_IjEEEEPNS0_10empty_typeENS0_5tupleIJNS9_16discard_iteratorINS9_11use_defaultEEESH_EEENSJ_IJSM_SI_EEENS0_18inequality_wrapperINS9_8equal_toIsEEEEPmJSH_EEE10hipError_tPvRmT3_T4_T5_T6_T7_T9_mT8_P12ihipStream_tbDpT10_ENKUlT_T0_E_clISt17integral_constantIbLb1EES1C_IbLb0EEEEDaS18_S19_EUlS18_E_NS1_11comp_targetILNS1_3genE8ELNS1_11target_archE1030ELNS1_3gpuE2ELNS1_3repE0EEENS1_30default_config_static_selectorELNS0_4arch9wavefront6targetE0EEEvT1_: ; @_ZN7rocprim17ROCPRIM_400000_NS6detail17trampoline_kernelINS0_14default_configENS1_25partition_config_selectorILNS1_17partition_subalgoE9EsjbEEZZNS1_14partition_implILS5_9ELb0ES3_jN6thrust23THRUST_200600_302600_NS6detail15normal_iteratorINS9_10device_ptrIsEEEENSB_INSC_IjEEEEPNS0_10empty_typeENS0_5tupleIJNS9_16discard_iteratorINS9_11use_defaultEEESH_EEENSJ_IJSM_SI_EEENS0_18inequality_wrapperINS9_8equal_toIsEEEEPmJSH_EEE10hipError_tPvRmT3_T4_T5_T6_T7_T9_mT8_P12ihipStream_tbDpT10_ENKUlT_T0_E_clISt17integral_constantIbLb1EES1C_IbLb0EEEEDaS18_S19_EUlS18_E_NS1_11comp_targetILNS1_3genE8ELNS1_11target_archE1030ELNS1_3gpuE2ELNS1_3repE0EEENS1_30default_config_static_selectorELNS0_4arch9wavefront6targetE0EEEvT1_
; %bb.0:
	.section	.rodata,"a",@progbits
	.p2align	6, 0x0
	.amdhsa_kernel _ZN7rocprim17ROCPRIM_400000_NS6detail17trampoline_kernelINS0_14default_configENS1_25partition_config_selectorILNS1_17partition_subalgoE9EsjbEEZZNS1_14partition_implILS5_9ELb0ES3_jN6thrust23THRUST_200600_302600_NS6detail15normal_iteratorINS9_10device_ptrIsEEEENSB_INSC_IjEEEEPNS0_10empty_typeENS0_5tupleIJNS9_16discard_iteratorINS9_11use_defaultEEESH_EEENSJ_IJSM_SI_EEENS0_18inequality_wrapperINS9_8equal_toIsEEEEPmJSH_EEE10hipError_tPvRmT3_T4_T5_T6_T7_T9_mT8_P12ihipStream_tbDpT10_ENKUlT_T0_E_clISt17integral_constantIbLb1EES1C_IbLb0EEEEDaS18_S19_EUlS18_E_NS1_11comp_targetILNS1_3genE8ELNS1_11target_archE1030ELNS1_3gpuE2ELNS1_3repE0EEENS1_30default_config_static_selectorELNS0_4arch9wavefront6targetE0EEEvT1_
		.amdhsa_group_segment_fixed_size 0
		.amdhsa_private_segment_fixed_size 0
		.amdhsa_kernarg_size 128
		.amdhsa_user_sgpr_count 15
		.amdhsa_user_sgpr_dispatch_ptr 0
		.amdhsa_user_sgpr_queue_ptr 0
		.amdhsa_user_sgpr_kernarg_segment_ptr 1
		.amdhsa_user_sgpr_dispatch_id 0
		.amdhsa_user_sgpr_private_segment_size 0
		.amdhsa_wavefront_size32 1
		.amdhsa_uses_dynamic_stack 0
		.amdhsa_enable_private_segment 0
		.amdhsa_system_sgpr_workgroup_id_x 1
		.amdhsa_system_sgpr_workgroup_id_y 0
		.amdhsa_system_sgpr_workgroup_id_z 0
		.amdhsa_system_sgpr_workgroup_info 0
		.amdhsa_system_vgpr_workitem_id 0
		.amdhsa_next_free_vgpr 1
		.amdhsa_next_free_sgpr 1
		.amdhsa_reserve_vcc 0
		.amdhsa_float_round_mode_32 0
		.amdhsa_float_round_mode_16_64 0
		.amdhsa_float_denorm_mode_32 3
		.amdhsa_float_denorm_mode_16_64 3
		.amdhsa_dx10_clamp 1
		.amdhsa_ieee_mode 1
		.amdhsa_fp16_overflow 0
		.amdhsa_workgroup_processor_mode 1
		.amdhsa_memory_ordered 1
		.amdhsa_forward_progress 0
		.amdhsa_shared_vgpr_count 0
		.amdhsa_exception_fp_ieee_invalid_op 0
		.amdhsa_exception_fp_denorm_src 0
		.amdhsa_exception_fp_ieee_div_zero 0
		.amdhsa_exception_fp_ieee_overflow 0
		.amdhsa_exception_fp_ieee_underflow 0
		.amdhsa_exception_fp_ieee_inexact 0
		.amdhsa_exception_int_div_zero 0
	.end_amdhsa_kernel
	.section	.text._ZN7rocprim17ROCPRIM_400000_NS6detail17trampoline_kernelINS0_14default_configENS1_25partition_config_selectorILNS1_17partition_subalgoE9EsjbEEZZNS1_14partition_implILS5_9ELb0ES3_jN6thrust23THRUST_200600_302600_NS6detail15normal_iteratorINS9_10device_ptrIsEEEENSB_INSC_IjEEEEPNS0_10empty_typeENS0_5tupleIJNS9_16discard_iteratorINS9_11use_defaultEEESH_EEENSJ_IJSM_SI_EEENS0_18inequality_wrapperINS9_8equal_toIsEEEEPmJSH_EEE10hipError_tPvRmT3_T4_T5_T6_T7_T9_mT8_P12ihipStream_tbDpT10_ENKUlT_T0_E_clISt17integral_constantIbLb1EES1C_IbLb0EEEEDaS18_S19_EUlS18_E_NS1_11comp_targetILNS1_3genE8ELNS1_11target_archE1030ELNS1_3gpuE2ELNS1_3repE0EEENS1_30default_config_static_selectorELNS0_4arch9wavefront6targetE0EEEvT1_,"axG",@progbits,_ZN7rocprim17ROCPRIM_400000_NS6detail17trampoline_kernelINS0_14default_configENS1_25partition_config_selectorILNS1_17partition_subalgoE9EsjbEEZZNS1_14partition_implILS5_9ELb0ES3_jN6thrust23THRUST_200600_302600_NS6detail15normal_iteratorINS9_10device_ptrIsEEEENSB_INSC_IjEEEEPNS0_10empty_typeENS0_5tupleIJNS9_16discard_iteratorINS9_11use_defaultEEESH_EEENSJ_IJSM_SI_EEENS0_18inequality_wrapperINS9_8equal_toIsEEEEPmJSH_EEE10hipError_tPvRmT3_T4_T5_T6_T7_T9_mT8_P12ihipStream_tbDpT10_ENKUlT_T0_E_clISt17integral_constantIbLb1EES1C_IbLb0EEEEDaS18_S19_EUlS18_E_NS1_11comp_targetILNS1_3genE8ELNS1_11target_archE1030ELNS1_3gpuE2ELNS1_3repE0EEENS1_30default_config_static_selectorELNS0_4arch9wavefront6targetE0EEEvT1_,comdat
.Lfunc_end1196:
	.size	_ZN7rocprim17ROCPRIM_400000_NS6detail17trampoline_kernelINS0_14default_configENS1_25partition_config_selectorILNS1_17partition_subalgoE9EsjbEEZZNS1_14partition_implILS5_9ELb0ES3_jN6thrust23THRUST_200600_302600_NS6detail15normal_iteratorINS9_10device_ptrIsEEEENSB_INSC_IjEEEEPNS0_10empty_typeENS0_5tupleIJNS9_16discard_iteratorINS9_11use_defaultEEESH_EEENSJ_IJSM_SI_EEENS0_18inequality_wrapperINS9_8equal_toIsEEEEPmJSH_EEE10hipError_tPvRmT3_T4_T5_T6_T7_T9_mT8_P12ihipStream_tbDpT10_ENKUlT_T0_E_clISt17integral_constantIbLb1EES1C_IbLb0EEEEDaS18_S19_EUlS18_E_NS1_11comp_targetILNS1_3genE8ELNS1_11target_archE1030ELNS1_3gpuE2ELNS1_3repE0EEENS1_30default_config_static_selectorELNS0_4arch9wavefront6targetE0EEEvT1_, .Lfunc_end1196-_ZN7rocprim17ROCPRIM_400000_NS6detail17trampoline_kernelINS0_14default_configENS1_25partition_config_selectorILNS1_17partition_subalgoE9EsjbEEZZNS1_14partition_implILS5_9ELb0ES3_jN6thrust23THRUST_200600_302600_NS6detail15normal_iteratorINS9_10device_ptrIsEEEENSB_INSC_IjEEEEPNS0_10empty_typeENS0_5tupleIJNS9_16discard_iteratorINS9_11use_defaultEEESH_EEENSJ_IJSM_SI_EEENS0_18inequality_wrapperINS9_8equal_toIsEEEEPmJSH_EEE10hipError_tPvRmT3_T4_T5_T6_T7_T9_mT8_P12ihipStream_tbDpT10_ENKUlT_T0_E_clISt17integral_constantIbLb1EES1C_IbLb0EEEEDaS18_S19_EUlS18_E_NS1_11comp_targetILNS1_3genE8ELNS1_11target_archE1030ELNS1_3gpuE2ELNS1_3repE0EEENS1_30default_config_static_selectorELNS0_4arch9wavefront6targetE0EEEvT1_
                                        ; -- End function
	.section	.AMDGPU.csdata,"",@progbits
; Kernel info:
; codeLenInByte = 0
; NumSgprs: 0
; NumVgprs: 0
; ScratchSize: 0
; MemoryBound: 0
; FloatMode: 240
; IeeeMode: 1
; LDSByteSize: 0 bytes/workgroup (compile time only)
; SGPRBlocks: 0
; VGPRBlocks: 0
; NumSGPRsForWavesPerEU: 1
; NumVGPRsForWavesPerEU: 1
; Occupancy: 16
; WaveLimiterHint : 0
; COMPUTE_PGM_RSRC2:SCRATCH_EN: 0
; COMPUTE_PGM_RSRC2:USER_SGPR: 15
; COMPUTE_PGM_RSRC2:TRAP_HANDLER: 0
; COMPUTE_PGM_RSRC2:TGID_X_EN: 1
; COMPUTE_PGM_RSRC2:TGID_Y_EN: 0
; COMPUTE_PGM_RSRC2:TGID_Z_EN: 0
; COMPUTE_PGM_RSRC2:TIDIG_COMP_CNT: 0
	.section	.text._ZN7rocprim17ROCPRIM_400000_NS6detail17trampoline_kernelINS0_14default_configENS1_25partition_config_selectorILNS1_17partition_subalgoE9EsjbEEZZNS1_14partition_implILS5_9ELb0ES3_jN6thrust23THRUST_200600_302600_NS6detail15normal_iteratorINS9_10device_ptrIsEEEENSB_INSC_IjEEEEPNS0_10empty_typeENS0_5tupleIJNS9_16discard_iteratorINS9_11use_defaultEEESH_EEENSJ_IJSM_SI_EEENS0_18inequality_wrapperINS9_8equal_toIsEEEEPmJSH_EEE10hipError_tPvRmT3_T4_T5_T6_T7_T9_mT8_P12ihipStream_tbDpT10_ENKUlT_T0_E_clISt17integral_constantIbLb0EES1C_IbLb1EEEEDaS18_S19_EUlS18_E_NS1_11comp_targetILNS1_3genE0ELNS1_11target_archE4294967295ELNS1_3gpuE0ELNS1_3repE0EEENS1_30default_config_static_selectorELNS0_4arch9wavefront6targetE0EEEvT1_,"axG",@progbits,_ZN7rocprim17ROCPRIM_400000_NS6detail17trampoline_kernelINS0_14default_configENS1_25partition_config_selectorILNS1_17partition_subalgoE9EsjbEEZZNS1_14partition_implILS5_9ELb0ES3_jN6thrust23THRUST_200600_302600_NS6detail15normal_iteratorINS9_10device_ptrIsEEEENSB_INSC_IjEEEEPNS0_10empty_typeENS0_5tupleIJNS9_16discard_iteratorINS9_11use_defaultEEESH_EEENSJ_IJSM_SI_EEENS0_18inequality_wrapperINS9_8equal_toIsEEEEPmJSH_EEE10hipError_tPvRmT3_T4_T5_T6_T7_T9_mT8_P12ihipStream_tbDpT10_ENKUlT_T0_E_clISt17integral_constantIbLb0EES1C_IbLb1EEEEDaS18_S19_EUlS18_E_NS1_11comp_targetILNS1_3genE0ELNS1_11target_archE4294967295ELNS1_3gpuE0ELNS1_3repE0EEENS1_30default_config_static_selectorELNS0_4arch9wavefront6targetE0EEEvT1_,comdat
	.protected	_ZN7rocprim17ROCPRIM_400000_NS6detail17trampoline_kernelINS0_14default_configENS1_25partition_config_selectorILNS1_17partition_subalgoE9EsjbEEZZNS1_14partition_implILS5_9ELb0ES3_jN6thrust23THRUST_200600_302600_NS6detail15normal_iteratorINS9_10device_ptrIsEEEENSB_INSC_IjEEEEPNS0_10empty_typeENS0_5tupleIJNS9_16discard_iteratorINS9_11use_defaultEEESH_EEENSJ_IJSM_SI_EEENS0_18inequality_wrapperINS9_8equal_toIsEEEEPmJSH_EEE10hipError_tPvRmT3_T4_T5_T6_T7_T9_mT8_P12ihipStream_tbDpT10_ENKUlT_T0_E_clISt17integral_constantIbLb0EES1C_IbLb1EEEEDaS18_S19_EUlS18_E_NS1_11comp_targetILNS1_3genE0ELNS1_11target_archE4294967295ELNS1_3gpuE0ELNS1_3repE0EEENS1_30default_config_static_selectorELNS0_4arch9wavefront6targetE0EEEvT1_ ; -- Begin function _ZN7rocprim17ROCPRIM_400000_NS6detail17trampoline_kernelINS0_14default_configENS1_25partition_config_selectorILNS1_17partition_subalgoE9EsjbEEZZNS1_14partition_implILS5_9ELb0ES3_jN6thrust23THRUST_200600_302600_NS6detail15normal_iteratorINS9_10device_ptrIsEEEENSB_INSC_IjEEEEPNS0_10empty_typeENS0_5tupleIJNS9_16discard_iteratorINS9_11use_defaultEEESH_EEENSJ_IJSM_SI_EEENS0_18inequality_wrapperINS9_8equal_toIsEEEEPmJSH_EEE10hipError_tPvRmT3_T4_T5_T6_T7_T9_mT8_P12ihipStream_tbDpT10_ENKUlT_T0_E_clISt17integral_constantIbLb0EES1C_IbLb1EEEEDaS18_S19_EUlS18_E_NS1_11comp_targetILNS1_3genE0ELNS1_11target_archE4294967295ELNS1_3gpuE0ELNS1_3repE0EEENS1_30default_config_static_selectorELNS0_4arch9wavefront6targetE0EEEvT1_
	.globl	_ZN7rocprim17ROCPRIM_400000_NS6detail17trampoline_kernelINS0_14default_configENS1_25partition_config_selectorILNS1_17partition_subalgoE9EsjbEEZZNS1_14partition_implILS5_9ELb0ES3_jN6thrust23THRUST_200600_302600_NS6detail15normal_iteratorINS9_10device_ptrIsEEEENSB_INSC_IjEEEEPNS0_10empty_typeENS0_5tupleIJNS9_16discard_iteratorINS9_11use_defaultEEESH_EEENSJ_IJSM_SI_EEENS0_18inequality_wrapperINS9_8equal_toIsEEEEPmJSH_EEE10hipError_tPvRmT3_T4_T5_T6_T7_T9_mT8_P12ihipStream_tbDpT10_ENKUlT_T0_E_clISt17integral_constantIbLb0EES1C_IbLb1EEEEDaS18_S19_EUlS18_E_NS1_11comp_targetILNS1_3genE0ELNS1_11target_archE4294967295ELNS1_3gpuE0ELNS1_3repE0EEENS1_30default_config_static_selectorELNS0_4arch9wavefront6targetE0EEEvT1_
	.p2align	8
	.type	_ZN7rocprim17ROCPRIM_400000_NS6detail17trampoline_kernelINS0_14default_configENS1_25partition_config_selectorILNS1_17partition_subalgoE9EsjbEEZZNS1_14partition_implILS5_9ELb0ES3_jN6thrust23THRUST_200600_302600_NS6detail15normal_iteratorINS9_10device_ptrIsEEEENSB_INSC_IjEEEEPNS0_10empty_typeENS0_5tupleIJNS9_16discard_iteratorINS9_11use_defaultEEESH_EEENSJ_IJSM_SI_EEENS0_18inequality_wrapperINS9_8equal_toIsEEEEPmJSH_EEE10hipError_tPvRmT3_T4_T5_T6_T7_T9_mT8_P12ihipStream_tbDpT10_ENKUlT_T0_E_clISt17integral_constantIbLb0EES1C_IbLb1EEEEDaS18_S19_EUlS18_E_NS1_11comp_targetILNS1_3genE0ELNS1_11target_archE4294967295ELNS1_3gpuE0ELNS1_3repE0EEENS1_30default_config_static_selectorELNS0_4arch9wavefront6targetE0EEEvT1_,@function
_ZN7rocprim17ROCPRIM_400000_NS6detail17trampoline_kernelINS0_14default_configENS1_25partition_config_selectorILNS1_17partition_subalgoE9EsjbEEZZNS1_14partition_implILS5_9ELb0ES3_jN6thrust23THRUST_200600_302600_NS6detail15normal_iteratorINS9_10device_ptrIsEEEENSB_INSC_IjEEEEPNS0_10empty_typeENS0_5tupleIJNS9_16discard_iteratorINS9_11use_defaultEEESH_EEENSJ_IJSM_SI_EEENS0_18inequality_wrapperINS9_8equal_toIsEEEEPmJSH_EEE10hipError_tPvRmT3_T4_T5_T6_T7_T9_mT8_P12ihipStream_tbDpT10_ENKUlT_T0_E_clISt17integral_constantIbLb0EES1C_IbLb1EEEEDaS18_S19_EUlS18_E_NS1_11comp_targetILNS1_3genE0ELNS1_11target_archE4294967295ELNS1_3gpuE0ELNS1_3repE0EEENS1_30default_config_static_selectorELNS0_4arch9wavefront6targetE0EEEvT1_: ; @_ZN7rocprim17ROCPRIM_400000_NS6detail17trampoline_kernelINS0_14default_configENS1_25partition_config_selectorILNS1_17partition_subalgoE9EsjbEEZZNS1_14partition_implILS5_9ELb0ES3_jN6thrust23THRUST_200600_302600_NS6detail15normal_iteratorINS9_10device_ptrIsEEEENSB_INSC_IjEEEEPNS0_10empty_typeENS0_5tupleIJNS9_16discard_iteratorINS9_11use_defaultEEESH_EEENSJ_IJSM_SI_EEENS0_18inequality_wrapperINS9_8equal_toIsEEEEPmJSH_EEE10hipError_tPvRmT3_T4_T5_T6_T7_T9_mT8_P12ihipStream_tbDpT10_ENKUlT_T0_E_clISt17integral_constantIbLb0EES1C_IbLb1EEEEDaS18_S19_EUlS18_E_NS1_11comp_targetILNS1_3genE0ELNS1_11target_archE4294967295ELNS1_3gpuE0ELNS1_3repE0EEENS1_30default_config_static_selectorELNS0_4arch9wavefront6targetE0EEEvT1_
; %bb.0:
	.section	.rodata,"a",@progbits
	.p2align	6, 0x0
	.amdhsa_kernel _ZN7rocprim17ROCPRIM_400000_NS6detail17trampoline_kernelINS0_14default_configENS1_25partition_config_selectorILNS1_17partition_subalgoE9EsjbEEZZNS1_14partition_implILS5_9ELb0ES3_jN6thrust23THRUST_200600_302600_NS6detail15normal_iteratorINS9_10device_ptrIsEEEENSB_INSC_IjEEEEPNS0_10empty_typeENS0_5tupleIJNS9_16discard_iteratorINS9_11use_defaultEEESH_EEENSJ_IJSM_SI_EEENS0_18inequality_wrapperINS9_8equal_toIsEEEEPmJSH_EEE10hipError_tPvRmT3_T4_T5_T6_T7_T9_mT8_P12ihipStream_tbDpT10_ENKUlT_T0_E_clISt17integral_constantIbLb0EES1C_IbLb1EEEEDaS18_S19_EUlS18_E_NS1_11comp_targetILNS1_3genE0ELNS1_11target_archE4294967295ELNS1_3gpuE0ELNS1_3repE0EEENS1_30default_config_static_selectorELNS0_4arch9wavefront6targetE0EEEvT1_
		.amdhsa_group_segment_fixed_size 0
		.amdhsa_private_segment_fixed_size 0
		.amdhsa_kernarg_size 144
		.amdhsa_user_sgpr_count 15
		.amdhsa_user_sgpr_dispatch_ptr 0
		.amdhsa_user_sgpr_queue_ptr 0
		.amdhsa_user_sgpr_kernarg_segment_ptr 1
		.amdhsa_user_sgpr_dispatch_id 0
		.amdhsa_user_sgpr_private_segment_size 0
		.amdhsa_wavefront_size32 1
		.amdhsa_uses_dynamic_stack 0
		.amdhsa_enable_private_segment 0
		.amdhsa_system_sgpr_workgroup_id_x 1
		.amdhsa_system_sgpr_workgroup_id_y 0
		.amdhsa_system_sgpr_workgroup_id_z 0
		.amdhsa_system_sgpr_workgroup_info 0
		.amdhsa_system_vgpr_workitem_id 0
		.amdhsa_next_free_vgpr 1
		.amdhsa_next_free_sgpr 1
		.amdhsa_reserve_vcc 0
		.amdhsa_float_round_mode_32 0
		.amdhsa_float_round_mode_16_64 0
		.amdhsa_float_denorm_mode_32 3
		.amdhsa_float_denorm_mode_16_64 3
		.amdhsa_dx10_clamp 1
		.amdhsa_ieee_mode 1
		.amdhsa_fp16_overflow 0
		.amdhsa_workgroup_processor_mode 1
		.amdhsa_memory_ordered 1
		.amdhsa_forward_progress 0
		.amdhsa_shared_vgpr_count 0
		.amdhsa_exception_fp_ieee_invalid_op 0
		.amdhsa_exception_fp_denorm_src 0
		.amdhsa_exception_fp_ieee_div_zero 0
		.amdhsa_exception_fp_ieee_overflow 0
		.amdhsa_exception_fp_ieee_underflow 0
		.amdhsa_exception_fp_ieee_inexact 0
		.amdhsa_exception_int_div_zero 0
	.end_amdhsa_kernel
	.section	.text._ZN7rocprim17ROCPRIM_400000_NS6detail17trampoline_kernelINS0_14default_configENS1_25partition_config_selectorILNS1_17partition_subalgoE9EsjbEEZZNS1_14partition_implILS5_9ELb0ES3_jN6thrust23THRUST_200600_302600_NS6detail15normal_iteratorINS9_10device_ptrIsEEEENSB_INSC_IjEEEEPNS0_10empty_typeENS0_5tupleIJNS9_16discard_iteratorINS9_11use_defaultEEESH_EEENSJ_IJSM_SI_EEENS0_18inequality_wrapperINS9_8equal_toIsEEEEPmJSH_EEE10hipError_tPvRmT3_T4_T5_T6_T7_T9_mT8_P12ihipStream_tbDpT10_ENKUlT_T0_E_clISt17integral_constantIbLb0EES1C_IbLb1EEEEDaS18_S19_EUlS18_E_NS1_11comp_targetILNS1_3genE0ELNS1_11target_archE4294967295ELNS1_3gpuE0ELNS1_3repE0EEENS1_30default_config_static_selectorELNS0_4arch9wavefront6targetE0EEEvT1_,"axG",@progbits,_ZN7rocprim17ROCPRIM_400000_NS6detail17trampoline_kernelINS0_14default_configENS1_25partition_config_selectorILNS1_17partition_subalgoE9EsjbEEZZNS1_14partition_implILS5_9ELb0ES3_jN6thrust23THRUST_200600_302600_NS6detail15normal_iteratorINS9_10device_ptrIsEEEENSB_INSC_IjEEEEPNS0_10empty_typeENS0_5tupleIJNS9_16discard_iteratorINS9_11use_defaultEEESH_EEENSJ_IJSM_SI_EEENS0_18inequality_wrapperINS9_8equal_toIsEEEEPmJSH_EEE10hipError_tPvRmT3_T4_T5_T6_T7_T9_mT8_P12ihipStream_tbDpT10_ENKUlT_T0_E_clISt17integral_constantIbLb0EES1C_IbLb1EEEEDaS18_S19_EUlS18_E_NS1_11comp_targetILNS1_3genE0ELNS1_11target_archE4294967295ELNS1_3gpuE0ELNS1_3repE0EEENS1_30default_config_static_selectorELNS0_4arch9wavefront6targetE0EEEvT1_,comdat
.Lfunc_end1197:
	.size	_ZN7rocprim17ROCPRIM_400000_NS6detail17trampoline_kernelINS0_14default_configENS1_25partition_config_selectorILNS1_17partition_subalgoE9EsjbEEZZNS1_14partition_implILS5_9ELb0ES3_jN6thrust23THRUST_200600_302600_NS6detail15normal_iteratorINS9_10device_ptrIsEEEENSB_INSC_IjEEEEPNS0_10empty_typeENS0_5tupleIJNS9_16discard_iteratorINS9_11use_defaultEEESH_EEENSJ_IJSM_SI_EEENS0_18inequality_wrapperINS9_8equal_toIsEEEEPmJSH_EEE10hipError_tPvRmT3_T4_T5_T6_T7_T9_mT8_P12ihipStream_tbDpT10_ENKUlT_T0_E_clISt17integral_constantIbLb0EES1C_IbLb1EEEEDaS18_S19_EUlS18_E_NS1_11comp_targetILNS1_3genE0ELNS1_11target_archE4294967295ELNS1_3gpuE0ELNS1_3repE0EEENS1_30default_config_static_selectorELNS0_4arch9wavefront6targetE0EEEvT1_, .Lfunc_end1197-_ZN7rocprim17ROCPRIM_400000_NS6detail17trampoline_kernelINS0_14default_configENS1_25partition_config_selectorILNS1_17partition_subalgoE9EsjbEEZZNS1_14partition_implILS5_9ELb0ES3_jN6thrust23THRUST_200600_302600_NS6detail15normal_iteratorINS9_10device_ptrIsEEEENSB_INSC_IjEEEEPNS0_10empty_typeENS0_5tupleIJNS9_16discard_iteratorINS9_11use_defaultEEESH_EEENSJ_IJSM_SI_EEENS0_18inequality_wrapperINS9_8equal_toIsEEEEPmJSH_EEE10hipError_tPvRmT3_T4_T5_T6_T7_T9_mT8_P12ihipStream_tbDpT10_ENKUlT_T0_E_clISt17integral_constantIbLb0EES1C_IbLb1EEEEDaS18_S19_EUlS18_E_NS1_11comp_targetILNS1_3genE0ELNS1_11target_archE4294967295ELNS1_3gpuE0ELNS1_3repE0EEENS1_30default_config_static_selectorELNS0_4arch9wavefront6targetE0EEEvT1_
                                        ; -- End function
	.section	.AMDGPU.csdata,"",@progbits
; Kernel info:
; codeLenInByte = 0
; NumSgprs: 0
; NumVgprs: 0
; ScratchSize: 0
; MemoryBound: 0
; FloatMode: 240
; IeeeMode: 1
; LDSByteSize: 0 bytes/workgroup (compile time only)
; SGPRBlocks: 0
; VGPRBlocks: 0
; NumSGPRsForWavesPerEU: 1
; NumVGPRsForWavesPerEU: 1
; Occupancy: 16
; WaveLimiterHint : 0
; COMPUTE_PGM_RSRC2:SCRATCH_EN: 0
; COMPUTE_PGM_RSRC2:USER_SGPR: 15
; COMPUTE_PGM_RSRC2:TRAP_HANDLER: 0
; COMPUTE_PGM_RSRC2:TGID_X_EN: 1
; COMPUTE_PGM_RSRC2:TGID_Y_EN: 0
; COMPUTE_PGM_RSRC2:TGID_Z_EN: 0
; COMPUTE_PGM_RSRC2:TIDIG_COMP_CNT: 0
	.section	.text._ZN7rocprim17ROCPRIM_400000_NS6detail17trampoline_kernelINS0_14default_configENS1_25partition_config_selectorILNS1_17partition_subalgoE9EsjbEEZZNS1_14partition_implILS5_9ELb0ES3_jN6thrust23THRUST_200600_302600_NS6detail15normal_iteratorINS9_10device_ptrIsEEEENSB_INSC_IjEEEEPNS0_10empty_typeENS0_5tupleIJNS9_16discard_iteratorINS9_11use_defaultEEESH_EEENSJ_IJSM_SI_EEENS0_18inequality_wrapperINS9_8equal_toIsEEEEPmJSH_EEE10hipError_tPvRmT3_T4_T5_T6_T7_T9_mT8_P12ihipStream_tbDpT10_ENKUlT_T0_E_clISt17integral_constantIbLb0EES1C_IbLb1EEEEDaS18_S19_EUlS18_E_NS1_11comp_targetILNS1_3genE5ELNS1_11target_archE942ELNS1_3gpuE9ELNS1_3repE0EEENS1_30default_config_static_selectorELNS0_4arch9wavefront6targetE0EEEvT1_,"axG",@progbits,_ZN7rocprim17ROCPRIM_400000_NS6detail17trampoline_kernelINS0_14default_configENS1_25partition_config_selectorILNS1_17partition_subalgoE9EsjbEEZZNS1_14partition_implILS5_9ELb0ES3_jN6thrust23THRUST_200600_302600_NS6detail15normal_iteratorINS9_10device_ptrIsEEEENSB_INSC_IjEEEEPNS0_10empty_typeENS0_5tupleIJNS9_16discard_iteratorINS9_11use_defaultEEESH_EEENSJ_IJSM_SI_EEENS0_18inequality_wrapperINS9_8equal_toIsEEEEPmJSH_EEE10hipError_tPvRmT3_T4_T5_T6_T7_T9_mT8_P12ihipStream_tbDpT10_ENKUlT_T0_E_clISt17integral_constantIbLb0EES1C_IbLb1EEEEDaS18_S19_EUlS18_E_NS1_11comp_targetILNS1_3genE5ELNS1_11target_archE942ELNS1_3gpuE9ELNS1_3repE0EEENS1_30default_config_static_selectorELNS0_4arch9wavefront6targetE0EEEvT1_,comdat
	.protected	_ZN7rocprim17ROCPRIM_400000_NS6detail17trampoline_kernelINS0_14default_configENS1_25partition_config_selectorILNS1_17partition_subalgoE9EsjbEEZZNS1_14partition_implILS5_9ELb0ES3_jN6thrust23THRUST_200600_302600_NS6detail15normal_iteratorINS9_10device_ptrIsEEEENSB_INSC_IjEEEEPNS0_10empty_typeENS0_5tupleIJNS9_16discard_iteratorINS9_11use_defaultEEESH_EEENSJ_IJSM_SI_EEENS0_18inequality_wrapperINS9_8equal_toIsEEEEPmJSH_EEE10hipError_tPvRmT3_T4_T5_T6_T7_T9_mT8_P12ihipStream_tbDpT10_ENKUlT_T0_E_clISt17integral_constantIbLb0EES1C_IbLb1EEEEDaS18_S19_EUlS18_E_NS1_11comp_targetILNS1_3genE5ELNS1_11target_archE942ELNS1_3gpuE9ELNS1_3repE0EEENS1_30default_config_static_selectorELNS0_4arch9wavefront6targetE0EEEvT1_ ; -- Begin function _ZN7rocprim17ROCPRIM_400000_NS6detail17trampoline_kernelINS0_14default_configENS1_25partition_config_selectorILNS1_17partition_subalgoE9EsjbEEZZNS1_14partition_implILS5_9ELb0ES3_jN6thrust23THRUST_200600_302600_NS6detail15normal_iteratorINS9_10device_ptrIsEEEENSB_INSC_IjEEEEPNS0_10empty_typeENS0_5tupleIJNS9_16discard_iteratorINS9_11use_defaultEEESH_EEENSJ_IJSM_SI_EEENS0_18inequality_wrapperINS9_8equal_toIsEEEEPmJSH_EEE10hipError_tPvRmT3_T4_T5_T6_T7_T9_mT8_P12ihipStream_tbDpT10_ENKUlT_T0_E_clISt17integral_constantIbLb0EES1C_IbLb1EEEEDaS18_S19_EUlS18_E_NS1_11comp_targetILNS1_3genE5ELNS1_11target_archE942ELNS1_3gpuE9ELNS1_3repE0EEENS1_30default_config_static_selectorELNS0_4arch9wavefront6targetE0EEEvT1_
	.globl	_ZN7rocprim17ROCPRIM_400000_NS6detail17trampoline_kernelINS0_14default_configENS1_25partition_config_selectorILNS1_17partition_subalgoE9EsjbEEZZNS1_14partition_implILS5_9ELb0ES3_jN6thrust23THRUST_200600_302600_NS6detail15normal_iteratorINS9_10device_ptrIsEEEENSB_INSC_IjEEEEPNS0_10empty_typeENS0_5tupleIJNS9_16discard_iteratorINS9_11use_defaultEEESH_EEENSJ_IJSM_SI_EEENS0_18inequality_wrapperINS9_8equal_toIsEEEEPmJSH_EEE10hipError_tPvRmT3_T4_T5_T6_T7_T9_mT8_P12ihipStream_tbDpT10_ENKUlT_T0_E_clISt17integral_constantIbLb0EES1C_IbLb1EEEEDaS18_S19_EUlS18_E_NS1_11comp_targetILNS1_3genE5ELNS1_11target_archE942ELNS1_3gpuE9ELNS1_3repE0EEENS1_30default_config_static_selectorELNS0_4arch9wavefront6targetE0EEEvT1_
	.p2align	8
	.type	_ZN7rocprim17ROCPRIM_400000_NS6detail17trampoline_kernelINS0_14default_configENS1_25partition_config_selectorILNS1_17partition_subalgoE9EsjbEEZZNS1_14partition_implILS5_9ELb0ES3_jN6thrust23THRUST_200600_302600_NS6detail15normal_iteratorINS9_10device_ptrIsEEEENSB_INSC_IjEEEEPNS0_10empty_typeENS0_5tupleIJNS9_16discard_iteratorINS9_11use_defaultEEESH_EEENSJ_IJSM_SI_EEENS0_18inequality_wrapperINS9_8equal_toIsEEEEPmJSH_EEE10hipError_tPvRmT3_T4_T5_T6_T7_T9_mT8_P12ihipStream_tbDpT10_ENKUlT_T0_E_clISt17integral_constantIbLb0EES1C_IbLb1EEEEDaS18_S19_EUlS18_E_NS1_11comp_targetILNS1_3genE5ELNS1_11target_archE942ELNS1_3gpuE9ELNS1_3repE0EEENS1_30default_config_static_selectorELNS0_4arch9wavefront6targetE0EEEvT1_,@function
_ZN7rocprim17ROCPRIM_400000_NS6detail17trampoline_kernelINS0_14default_configENS1_25partition_config_selectorILNS1_17partition_subalgoE9EsjbEEZZNS1_14partition_implILS5_9ELb0ES3_jN6thrust23THRUST_200600_302600_NS6detail15normal_iteratorINS9_10device_ptrIsEEEENSB_INSC_IjEEEEPNS0_10empty_typeENS0_5tupleIJNS9_16discard_iteratorINS9_11use_defaultEEESH_EEENSJ_IJSM_SI_EEENS0_18inequality_wrapperINS9_8equal_toIsEEEEPmJSH_EEE10hipError_tPvRmT3_T4_T5_T6_T7_T9_mT8_P12ihipStream_tbDpT10_ENKUlT_T0_E_clISt17integral_constantIbLb0EES1C_IbLb1EEEEDaS18_S19_EUlS18_E_NS1_11comp_targetILNS1_3genE5ELNS1_11target_archE942ELNS1_3gpuE9ELNS1_3repE0EEENS1_30default_config_static_selectorELNS0_4arch9wavefront6targetE0EEEvT1_: ; @_ZN7rocprim17ROCPRIM_400000_NS6detail17trampoline_kernelINS0_14default_configENS1_25partition_config_selectorILNS1_17partition_subalgoE9EsjbEEZZNS1_14partition_implILS5_9ELb0ES3_jN6thrust23THRUST_200600_302600_NS6detail15normal_iteratorINS9_10device_ptrIsEEEENSB_INSC_IjEEEEPNS0_10empty_typeENS0_5tupleIJNS9_16discard_iteratorINS9_11use_defaultEEESH_EEENSJ_IJSM_SI_EEENS0_18inequality_wrapperINS9_8equal_toIsEEEEPmJSH_EEE10hipError_tPvRmT3_T4_T5_T6_T7_T9_mT8_P12ihipStream_tbDpT10_ENKUlT_T0_E_clISt17integral_constantIbLb0EES1C_IbLb1EEEEDaS18_S19_EUlS18_E_NS1_11comp_targetILNS1_3genE5ELNS1_11target_archE942ELNS1_3gpuE9ELNS1_3repE0EEENS1_30default_config_static_selectorELNS0_4arch9wavefront6targetE0EEEvT1_
; %bb.0:
	.section	.rodata,"a",@progbits
	.p2align	6, 0x0
	.amdhsa_kernel _ZN7rocprim17ROCPRIM_400000_NS6detail17trampoline_kernelINS0_14default_configENS1_25partition_config_selectorILNS1_17partition_subalgoE9EsjbEEZZNS1_14partition_implILS5_9ELb0ES3_jN6thrust23THRUST_200600_302600_NS6detail15normal_iteratorINS9_10device_ptrIsEEEENSB_INSC_IjEEEEPNS0_10empty_typeENS0_5tupleIJNS9_16discard_iteratorINS9_11use_defaultEEESH_EEENSJ_IJSM_SI_EEENS0_18inequality_wrapperINS9_8equal_toIsEEEEPmJSH_EEE10hipError_tPvRmT3_T4_T5_T6_T7_T9_mT8_P12ihipStream_tbDpT10_ENKUlT_T0_E_clISt17integral_constantIbLb0EES1C_IbLb1EEEEDaS18_S19_EUlS18_E_NS1_11comp_targetILNS1_3genE5ELNS1_11target_archE942ELNS1_3gpuE9ELNS1_3repE0EEENS1_30default_config_static_selectorELNS0_4arch9wavefront6targetE0EEEvT1_
		.amdhsa_group_segment_fixed_size 0
		.amdhsa_private_segment_fixed_size 0
		.amdhsa_kernarg_size 144
		.amdhsa_user_sgpr_count 15
		.amdhsa_user_sgpr_dispatch_ptr 0
		.amdhsa_user_sgpr_queue_ptr 0
		.amdhsa_user_sgpr_kernarg_segment_ptr 1
		.amdhsa_user_sgpr_dispatch_id 0
		.amdhsa_user_sgpr_private_segment_size 0
		.amdhsa_wavefront_size32 1
		.amdhsa_uses_dynamic_stack 0
		.amdhsa_enable_private_segment 0
		.amdhsa_system_sgpr_workgroup_id_x 1
		.amdhsa_system_sgpr_workgroup_id_y 0
		.amdhsa_system_sgpr_workgroup_id_z 0
		.amdhsa_system_sgpr_workgroup_info 0
		.amdhsa_system_vgpr_workitem_id 0
		.amdhsa_next_free_vgpr 1
		.amdhsa_next_free_sgpr 1
		.amdhsa_reserve_vcc 0
		.amdhsa_float_round_mode_32 0
		.amdhsa_float_round_mode_16_64 0
		.amdhsa_float_denorm_mode_32 3
		.amdhsa_float_denorm_mode_16_64 3
		.amdhsa_dx10_clamp 1
		.amdhsa_ieee_mode 1
		.amdhsa_fp16_overflow 0
		.amdhsa_workgroup_processor_mode 1
		.amdhsa_memory_ordered 1
		.amdhsa_forward_progress 0
		.amdhsa_shared_vgpr_count 0
		.amdhsa_exception_fp_ieee_invalid_op 0
		.amdhsa_exception_fp_denorm_src 0
		.amdhsa_exception_fp_ieee_div_zero 0
		.amdhsa_exception_fp_ieee_overflow 0
		.amdhsa_exception_fp_ieee_underflow 0
		.amdhsa_exception_fp_ieee_inexact 0
		.amdhsa_exception_int_div_zero 0
	.end_amdhsa_kernel
	.section	.text._ZN7rocprim17ROCPRIM_400000_NS6detail17trampoline_kernelINS0_14default_configENS1_25partition_config_selectorILNS1_17partition_subalgoE9EsjbEEZZNS1_14partition_implILS5_9ELb0ES3_jN6thrust23THRUST_200600_302600_NS6detail15normal_iteratorINS9_10device_ptrIsEEEENSB_INSC_IjEEEEPNS0_10empty_typeENS0_5tupleIJNS9_16discard_iteratorINS9_11use_defaultEEESH_EEENSJ_IJSM_SI_EEENS0_18inequality_wrapperINS9_8equal_toIsEEEEPmJSH_EEE10hipError_tPvRmT3_T4_T5_T6_T7_T9_mT8_P12ihipStream_tbDpT10_ENKUlT_T0_E_clISt17integral_constantIbLb0EES1C_IbLb1EEEEDaS18_S19_EUlS18_E_NS1_11comp_targetILNS1_3genE5ELNS1_11target_archE942ELNS1_3gpuE9ELNS1_3repE0EEENS1_30default_config_static_selectorELNS0_4arch9wavefront6targetE0EEEvT1_,"axG",@progbits,_ZN7rocprim17ROCPRIM_400000_NS6detail17trampoline_kernelINS0_14default_configENS1_25partition_config_selectorILNS1_17partition_subalgoE9EsjbEEZZNS1_14partition_implILS5_9ELb0ES3_jN6thrust23THRUST_200600_302600_NS6detail15normal_iteratorINS9_10device_ptrIsEEEENSB_INSC_IjEEEEPNS0_10empty_typeENS0_5tupleIJNS9_16discard_iteratorINS9_11use_defaultEEESH_EEENSJ_IJSM_SI_EEENS0_18inequality_wrapperINS9_8equal_toIsEEEEPmJSH_EEE10hipError_tPvRmT3_T4_T5_T6_T7_T9_mT8_P12ihipStream_tbDpT10_ENKUlT_T0_E_clISt17integral_constantIbLb0EES1C_IbLb1EEEEDaS18_S19_EUlS18_E_NS1_11comp_targetILNS1_3genE5ELNS1_11target_archE942ELNS1_3gpuE9ELNS1_3repE0EEENS1_30default_config_static_selectorELNS0_4arch9wavefront6targetE0EEEvT1_,comdat
.Lfunc_end1198:
	.size	_ZN7rocprim17ROCPRIM_400000_NS6detail17trampoline_kernelINS0_14default_configENS1_25partition_config_selectorILNS1_17partition_subalgoE9EsjbEEZZNS1_14partition_implILS5_9ELb0ES3_jN6thrust23THRUST_200600_302600_NS6detail15normal_iteratorINS9_10device_ptrIsEEEENSB_INSC_IjEEEEPNS0_10empty_typeENS0_5tupleIJNS9_16discard_iteratorINS9_11use_defaultEEESH_EEENSJ_IJSM_SI_EEENS0_18inequality_wrapperINS9_8equal_toIsEEEEPmJSH_EEE10hipError_tPvRmT3_T4_T5_T6_T7_T9_mT8_P12ihipStream_tbDpT10_ENKUlT_T0_E_clISt17integral_constantIbLb0EES1C_IbLb1EEEEDaS18_S19_EUlS18_E_NS1_11comp_targetILNS1_3genE5ELNS1_11target_archE942ELNS1_3gpuE9ELNS1_3repE0EEENS1_30default_config_static_selectorELNS0_4arch9wavefront6targetE0EEEvT1_, .Lfunc_end1198-_ZN7rocprim17ROCPRIM_400000_NS6detail17trampoline_kernelINS0_14default_configENS1_25partition_config_selectorILNS1_17partition_subalgoE9EsjbEEZZNS1_14partition_implILS5_9ELb0ES3_jN6thrust23THRUST_200600_302600_NS6detail15normal_iteratorINS9_10device_ptrIsEEEENSB_INSC_IjEEEEPNS0_10empty_typeENS0_5tupleIJNS9_16discard_iteratorINS9_11use_defaultEEESH_EEENSJ_IJSM_SI_EEENS0_18inequality_wrapperINS9_8equal_toIsEEEEPmJSH_EEE10hipError_tPvRmT3_T4_T5_T6_T7_T9_mT8_P12ihipStream_tbDpT10_ENKUlT_T0_E_clISt17integral_constantIbLb0EES1C_IbLb1EEEEDaS18_S19_EUlS18_E_NS1_11comp_targetILNS1_3genE5ELNS1_11target_archE942ELNS1_3gpuE9ELNS1_3repE0EEENS1_30default_config_static_selectorELNS0_4arch9wavefront6targetE0EEEvT1_
                                        ; -- End function
	.section	.AMDGPU.csdata,"",@progbits
; Kernel info:
; codeLenInByte = 0
; NumSgprs: 0
; NumVgprs: 0
; ScratchSize: 0
; MemoryBound: 0
; FloatMode: 240
; IeeeMode: 1
; LDSByteSize: 0 bytes/workgroup (compile time only)
; SGPRBlocks: 0
; VGPRBlocks: 0
; NumSGPRsForWavesPerEU: 1
; NumVGPRsForWavesPerEU: 1
; Occupancy: 16
; WaveLimiterHint : 0
; COMPUTE_PGM_RSRC2:SCRATCH_EN: 0
; COMPUTE_PGM_RSRC2:USER_SGPR: 15
; COMPUTE_PGM_RSRC2:TRAP_HANDLER: 0
; COMPUTE_PGM_RSRC2:TGID_X_EN: 1
; COMPUTE_PGM_RSRC2:TGID_Y_EN: 0
; COMPUTE_PGM_RSRC2:TGID_Z_EN: 0
; COMPUTE_PGM_RSRC2:TIDIG_COMP_CNT: 0
	.section	.text._ZN7rocprim17ROCPRIM_400000_NS6detail17trampoline_kernelINS0_14default_configENS1_25partition_config_selectorILNS1_17partition_subalgoE9EsjbEEZZNS1_14partition_implILS5_9ELb0ES3_jN6thrust23THRUST_200600_302600_NS6detail15normal_iteratorINS9_10device_ptrIsEEEENSB_INSC_IjEEEEPNS0_10empty_typeENS0_5tupleIJNS9_16discard_iteratorINS9_11use_defaultEEESH_EEENSJ_IJSM_SI_EEENS0_18inequality_wrapperINS9_8equal_toIsEEEEPmJSH_EEE10hipError_tPvRmT3_T4_T5_T6_T7_T9_mT8_P12ihipStream_tbDpT10_ENKUlT_T0_E_clISt17integral_constantIbLb0EES1C_IbLb1EEEEDaS18_S19_EUlS18_E_NS1_11comp_targetILNS1_3genE4ELNS1_11target_archE910ELNS1_3gpuE8ELNS1_3repE0EEENS1_30default_config_static_selectorELNS0_4arch9wavefront6targetE0EEEvT1_,"axG",@progbits,_ZN7rocprim17ROCPRIM_400000_NS6detail17trampoline_kernelINS0_14default_configENS1_25partition_config_selectorILNS1_17partition_subalgoE9EsjbEEZZNS1_14partition_implILS5_9ELb0ES3_jN6thrust23THRUST_200600_302600_NS6detail15normal_iteratorINS9_10device_ptrIsEEEENSB_INSC_IjEEEEPNS0_10empty_typeENS0_5tupleIJNS9_16discard_iteratorINS9_11use_defaultEEESH_EEENSJ_IJSM_SI_EEENS0_18inequality_wrapperINS9_8equal_toIsEEEEPmJSH_EEE10hipError_tPvRmT3_T4_T5_T6_T7_T9_mT8_P12ihipStream_tbDpT10_ENKUlT_T0_E_clISt17integral_constantIbLb0EES1C_IbLb1EEEEDaS18_S19_EUlS18_E_NS1_11comp_targetILNS1_3genE4ELNS1_11target_archE910ELNS1_3gpuE8ELNS1_3repE0EEENS1_30default_config_static_selectorELNS0_4arch9wavefront6targetE0EEEvT1_,comdat
	.protected	_ZN7rocprim17ROCPRIM_400000_NS6detail17trampoline_kernelINS0_14default_configENS1_25partition_config_selectorILNS1_17partition_subalgoE9EsjbEEZZNS1_14partition_implILS5_9ELb0ES3_jN6thrust23THRUST_200600_302600_NS6detail15normal_iteratorINS9_10device_ptrIsEEEENSB_INSC_IjEEEEPNS0_10empty_typeENS0_5tupleIJNS9_16discard_iteratorINS9_11use_defaultEEESH_EEENSJ_IJSM_SI_EEENS0_18inequality_wrapperINS9_8equal_toIsEEEEPmJSH_EEE10hipError_tPvRmT3_T4_T5_T6_T7_T9_mT8_P12ihipStream_tbDpT10_ENKUlT_T0_E_clISt17integral_constantIbLb0EES1C_IbLb1EEEEDaS18_S19_EUlS18_E_NS1_11comp_targetILNS1_3genE4ELNS1_11target_archE910ELNS1_3gpuE8ELNS1_3repE0EEENS1_30default_config_static_selectorELNS0_4arch9wavefront6targetE0EEEvT1_ ; -- Begin function _ZN7rocprim17ROCPRIM_400000_NS6detail17trampoline_kernelINS0_14default_configENS1_25partition_config_selectorILNS1_17partition_subalgoE9EsjbEEZZNS1_14partition_implILS5_9ELb0ES3_jN6thrust23THRUST_200600_302600_NS6detail15normal_iteratorINS9_10device_ptrIsEEEENSB_INSC_IjEEEEPNS0_10empty_typeENS0_5tupleIJNS9_16discard_iteratorINS9_11use_defaultEEESH_EEENSJ_IJSM_SI_EEENS0_18inequality_wrapperINS9_8equal_toIsEEEEPmJSH_EEE10hipError_tPvRmT3_T4_T5_T6_T7_T9_mT8_P12ihipStream_tbDpT10_ENKUlT_T0_E_clISt17integral_constantIbLb0EES1C_IbLb1EEEEDaS18_S19_EUlS18_E_NS1_11comp_targetILNS1_3genE4ELNS1_11target_archE910ELNS1_3gpuE8ELNS1_3repE0EEENS1_30default_config_static_selectorELNS0_4arch9wavefront6targetE0EEEvT1_
	.globl	_ZN7rocprim17ROCPRIM_400000_NS6detail17trampoline_kernelINS0_14default_configENS1_25partition_config_selectorILNS1_17partition_subalgoE9EsjbEEZZNS1_14partition_implILS5_9ELb0ES3_jN6thrust23THRUST_200600_302600_NS6detail15normal_iteratorINS9_10device_ptrIsEEEENSB_INSC_IjEEEEPNS0_10empty_typeENS0_5tupleIJNS9_16discard_iteratorINS9_11use_defaultEEESH_EEENSJ_IJSM_SI_EEENS0_18inequality_wrapperINS9_8equal_toIsEEEEPmJSH_EEE10hipError_tPvRmT3_T4_T5_T6_T7_T9_mT8_P12ihipStream_tbDpT10_ENKUlT_T0_E_clISt17integral_constantIbLb0EES1C_IbLb1EEEEDaS18_S19_EUlS18_E_NS1_11comp_targetILNS1_3genE4ELNS1_11target_archE910ELNS1_3gpuE8ELNS1_3repE0EEENS1_30default_config_static_selectorELNS0_4arch9wavefront6targetE0EEEvT1_
	.p2align	8
	.type	_ZN7rocprim17ROCPRIM_400000_NS6detail17trampoline_kernelINS0_14default_configENS1_25partition_config_selectorILNS1_17partition_subalgoE9EsjbEEZZNS1_14partition_implILS5_9ELb0ES3_jN6thrust23THRUST_200600_302600_NS6detail15normal_iteratorINS9_10device_ptrIsEEEENSB_INSC_IjEEEEPNS0_10empty_typeENS0_5tupleIJNS9_16discard_iteratorINS9_11use_defaultEEESH_EEENSJ_IJSM_SI_EEENS0_18inequality_wrapperINS9_8equal_toIsEEEEPmJSH_EEE10hipError_tPvRmT3_T4_T5_T6_T7_T9_mT8_P12ihipStream_tbDpT10_ENKUlT_T0_E_clISt17integral_constantIbLb0EES1C_IbLb1EEEEDaS18_S19_EUlS18_E_NS1_11comp_targetILNS1_3genE4ELNS1_11target_archE910ELNS1_3gpuE8ELNS1_3repE0EEENS1_30default_config_static_selectorELNS0_4arch9wavefront6targetE0EEEvT1_,@function
_ZN7rocprim17ROCPRIM_400000_NS6detail17trampoline_kernelINS0_14default_configENS1_25partition_config_selectorILNS1_17partition_subalgoE9EsjbEEZZNS1_14partition_implILS5_9ELb0ES3_jN6thrust23THRUST_200600_302600_NS6detail15normal_iteratorINS9_10device_ptrIsEEEENSB_INSC_IjEEEEPNS0_10empty_typeENS0_5tupleIJNS9_16discard_iteratorINS9_11use_defaultEEESH_EEENSJ_IJSM_SI_EEENS0_18inequality_wrapperINS9_8equal_toIsEEEEPmJSH_EEE10hipError_tPvRmT3_T4_T5_T6_T7_T9_mT8_P12ihipStream_tbDpT10_ENKUlT_T0_E_clISt17integral_constantIbLb0EES1C_IbLb1EEEEDaS18_S19_EUlS18_E_NS1_11comp_targetILNS1_3genE4ELNS1_11target_archE910ELNS1_3gpuE8ELNS1_3repE0EEENS1_30default_config_static_selectorELNS0_4arch9wavefront6targetE0EEEvT1_: ; @_ZN7rocprim17ROCPRIM_400000_NS6detail17trampoline_kernelINS0_14default_configENS1_25partition_config_selectorILNS1_17partition_subalgoE9EsjbEEZZNS1_14partition_implILS5_9ELb0ES3_jN6thrust23THRUST_200600_302600_NS6detail15normal_iteratorINS9_10device_ptrIsEEEENSB_INSC_IjEEEEPNS0_10empty_typeENS0_5tupleIJNS9_16discard_iteratorINS9_11use_defaultEEESH_EEENSJ_IJSM_SI_EEENS0_18inequality_wrapperINS9_8equal_toIsEEEEPmJSH_EEE10hipError_tPvRmT3_T4_T5_T6_T7_T9_mT8_P12ihipStream_tbDpT10_ENKUlT_T0_E_clISt17integral_constantIbLb0EES1C_IbLb1EEEEDaS18_S19_EUlS18_E_NS1_11comp_targetILNS1_3genE4ELNS1_11target_archE910ELNS1_3gpuE8ELNS1_3repE0EEENS1_30default_config_static_selectorELNS0_4arch9wavefront6targetE0EEEvT1_
; %bb.0:
	.section	.rodata,"a",@progbits
	.p2align	6, 0x0
	.amdhsa_kernel _ZN7rocprim17ROCPRIM_400000_NS6detail17trampoline_kernelINS0_14default_configENS1_25partition_config_selectorILNS1_17partition_subalgoE9EsjbEEZZNS1_14partition_implILS5_9ELb0ES3_jN6thrust23THRUST_200600_302600_NS6detail15normal_iteratorINS9_10device_ptrIsEEEENSB_INSC_IjEEEEPNS0_10empty_typeENS0_5tupleIJNS9_16discard_iteratorINS9_11use_defaultEEESH_EEENSJ_IJSM_SI_EEENS0_18inequality_wrapperINS9_8equal_toIsEEEEPmJSH_EEE10hipError_tPvRmT3_T4_T5_T6_T7_T9_mT8_P12ihipStream_tbDpT10_ENKUlT_T0_E_clISt17integral_constantIbLb0EES1C_IbLb1EEEEDaS18_S19_EUlS18_E_NS1_11comp_targetILNS1_3genE4ELNS1_11target_archE910ELNS1_3gpuE8ELNS1_3repE0EEENS1_30default_config_static_selectorELNS0_4arch9wavefront6targetE0EEEvT1_
		.amdhsa_group_segment_fixed_size 0
		.amdhsa_private_segment_fixed_size 0
		.amdhsa_kernarg_size 144
		.amdhsa_user_sgpr_count 15
		.amdhsa_user_sgpr_dispatch_ptr 0
		.amdhsa_user_sgpr_queue_ptr 0
		.amdhsa_user_sgpr_kernarg_segment_ptr 1
		.amdhsa_user_sgpr_dispatch_id 0
		.amdhsa_user_sgpr_private_segment_size 0
		.amdhsa_wavefront_size32 1
		.amdhsa_uses_dynamic_stack 0
		.amdhsa_enable_private_segment 0
		.amdhsa_system_sgpr_workgroup_id_x 1
		.amdhsa_system_sgpr_workgroup_id_y 0
		.amdhsa_system_sgpr_workgroup_id_z 0
		.amdhsa_system_sgpr_workgroup_info 0
		.amdhsa_system_vgpr_workitem_id 0
		.amdhsa_next_free_vgpr 1
		.amdhsa_next_free_sgpr 1
		.amdhsa_reserve_vcc 0
		.amdhsa_float_round_mode_32 0
		.amdhsa_float_round_mode_16_64 0
		.amdhsa_float_denorm_mode_32 3
		.amdhsa_float_denorm_mode_16_64 3
		.amdhsa_dx10_clamp 1
		.amdhsa_ieee_mode 1
		.amdhsa_fp16_overflow 0
		.amdhsa_workgroup_processor_mode 1
		.amdhsa_memory_ordered 1
		.amdhsa_forward_progress 0
		.amdhsa_shared_vgpr_count 0
		.amdhsa_exception_fp_ieee_invalid_op 0
		.amdhsa_exception_fp_denorm_src 0
		.amdhsa_exception_fp_ieee_div_zero 0
		.amdhsa_exception_fp_ieee_overflow 0
		.amdhsa_exception_fp_ieee_underflow 0
		.amdhsa_exception_fp_ieee_inexact 0
		.amdhsa_exception_int_div_zero 0
	.end_amdhsa_kernel
	.section	.text._ZN7rocprim17ROCPRIM_400000_NS6detail17trampoline_kernelINS0_14default_configENS1_25partition_config_selectorILNS1_17partition_subalgoE9EsjbEEZZNS1_14partition_implILS5_9ELb0ES3_jN6thrust23THRUST_200600_302600_NS6detail15normal_iteratorINS9_10device_ptrIsEEEENSB_INSC_IjEEEEPNS0_10empty_typeENS0_5tupleIJNS9_16discard_iteratorINS9_11use_defaultEEESH_EEENSJ_IJSM_SI_EEENS0_18inequality_wrapperINS9_8equal_toIsEEEEPmJSH_EEE10hipError_tPvRmT3_T4_T5_T6_T7_T9_mT8_P12ihipStream_tbDpT10_ENKUlT_T0_E_clISt17integral_constantIbLb0EES1C_IbLb1EEEEDaS18_S19_EUlS18_E_NS1_11comp_targetILNS1_3genE4ELNS1_11target_archE910ELNS1_3gpuE8ELNS1_3repE0EEENS1_30default_config_static_selectorELNS0_4arch9wavefront6targetE0EEEvT1_,"axG",@progbits,_ZN7rocprim17ROCPRIM_400000_NS6detail17trampoline_kernelINS0_14default_configENS1_25partition_config_selectorILNS1_17partition_subalgoE9EsjbEEZZNS1_14partition_implILS5_9ELb0ES3_jN6thrust23THRUST_200600_302600_NS6detail15normal_iteratorINS9_10device_ptrIsEEEENSB_INSC_IjEEEEPNS0_10empty_typeENS0_5tupleIJNS9_16discard_iteratorINS9_11use_defaultEEESH_EEENSJ_IJSM_SI_EEENS0_18inequality_wrapperINS9_8equal_toIsEEEEPmJSH_EEE10hipError_tPvRmT3_T4_T5_T6_T7_T9_mT8_P12ihipStream_tbDpT10_ENKUlT_T0_E_clISt17integral_constantIbLb0EES1C_IbLb1EEEEDaS18_S19_EUlS18_E_NS1_11comp_targetILNS1_3genE4ELNS1_11target_archE910ELNS1_3gpuE8ELNS1_3repE0EEENS1_30default_config_static_selectorELNS0_4arch9wavefront6targetE0EEEvT1_,comdat
.Lfunc_end1199:
	.size	_ZN7rocprim17ROCPRIM_400000_NS6detail17trampoline_kernelINS0_14default_configENS1_25partition_config_selectorILNS1_17partition_subalgoE9EsjbEEZZNS1_14partition_implILS5_9ELb0ES3_jN6thrust23THRUST_200600_302600_NS6detail15normal_iteratorINS9_10device_ptrIsEEEENSB_INSC_IjEEEEPNS0_10empty_typeENS0_5tupleIJNS9_16discard_iteratorINS9_11use_defaultEEESH_EEENSJ_IJSM_SI_EEENS0_18inequality_wrapperINS9_8equal_toIsEEEEPmJSH_EEE10hipError_tPvRmT3_T4_T5_T6_T7_T9_mT8_P12ihipStream_tbDpT10_ENKUlT_T0_E_clISt17integral_constantIbLb0EES1C_IbLb1EEEEDaS18_S19_EUlS18_E_NS1_11comp_targetILNS1_3genE4ELNS1_11target_archE910ELNS1_3gpuE8ELNS1_3repE0EEENS1_30default_config_static_selectorELNS0_4arch9wavefront6targetE0EEEvT1_, .Lfunc_end1199-_ZN7rocprim17ROCPRIM_400000_NS6detail17trampoline_kernelINS0_14default_configENS1_25partition_config_selectorILNS1_17partition_subalgoE9EsjbEEZZNS1_14partition_implILS5_9ELb0ES3_jN6thrust23THRUST_200600_302600_NS6detail15normal_iteratorINS9_10device_ptrIsEEEENSB_INSC_IjEEEEPNS0_10empty_typeENS0_5tupleIJNS9_16discard_iteratorINS9_11use_defaultEEESH_EEENSJ_IJSM_SI_EEENS0_18inequality_wrapperINS9_8equal_toIsEEEEPmJSH_EEE10hipError_tPvRmT3_T4_T5_T6_T7_T9_mT8_P12ihipStream_tbDpT10_ENKUlT_T0_E_clISt17integral_constantIbLb0EES1C_IbLb1EEEEDaS18_S19_EUlS18_E_NS1_11comp_targetILNS1_3genE4ELNS1_11target_archE910ELNS1_3gpuE8ELNS1_3repE0EEENS1_30default_config_static_selectorELNS0_4arch9wavefront6targetE0EEEvT1_
                                        ; -- End function
	.section	.AMDGPU.csdata,"",@progbits
; Kernel info:
; codeLenInByte = 0
; NumSgprs: 0
; NumVgprs: 0
; ScratchSize: 0
; MemoryBound: 0
; FloatMode: 240
; IeeeMode: 1
; LDSByteSize: 0 bytes/workgroup (compile time only)
; SGPRBlocks: 0
; VGPRBlocks: 0
; NumSGPRsForWavesPerEU: 1
; NumVGPRsForWavesPerEU: 1
; Occupancy: 15
; WaveLimiterHint : 0
; COMPUTE_PGM_RSRC2:SCRATCH_EN: 0
; COMPUTE_PGM_RSRC2:USER_SGPR: 15
; COMPUTE_PGM_RSRC2:TRAP_HANDLER: 0
; COMPUTE_PGM_RSRC2:TGID_X_EN: 1
; COMPUTE_PGM_RSRC2:TGID_Y_EN: 0
; COMPUTE_PGM_RSRC2:TGID_Z_EN: 0
; COMPUTE_PGM_RSRC2:TIDIG_COMP_CNT: 0
	.section	.text._ZN7rocprim17ROCPRIM_400000_NS6detail17trampoline_kernelINS0_14default_configENS1_25partition_config_selectorILNS1_17partition_subalgoE9EsjbEEZZNS1_14partition_implILS5_9ELb0ES3_jN6thrust23THRUST_200600_302600_NS6detail15normal_iteratorINS9_10device_ptrIsEEEENSB_INSC_IjEEEEPNS0_10empty_typeENS0_5tupleIJNS9_16discard_iteratorINS9_11use_defaultEEESH_EEENSJ_IJSM_SI_EEENS0_18inequality_wrapperINS9_8equal_toIsEEEEPmJSH_EEE10hipError_tPvRmT3_T4_T5_T6_T7_T9_mT8_P12ihipStream_tbDpT10_ENKUlT_T0_E_clISt17integral_constantIbLb0EES1C_IbLb1EEEEDaS18_S19_EUlS18_E_NS1_11comp_targetILNS1_3genE3ELNS1_11target_archE908ELNS1_3gpuE7ELNS1_3repE0EEENS1_30default_config_static_selectorELNS0_4arch9wavefront6targetE0EEEvT1_,"axG",@progbits,_ZN7rocprim17ROCPRIM_400000_NS6detail17trampoline_kernelINS0_14default_configENS1_25partition_config_selectorILNS1_17partition_subalgoE9EsjbEEZZNS1_14partition_implILS5_9ELb0ES3_jN6thrust23THRUST_200600_302600_NS6detail15normal_iteratorINS9_10device_ptrIsEEEENSB_INSC_IjEEEEPNS0_10empty_typeENS0_5tupleIJNS9_16discard_iteratorINS9_11use_defaultEEESH_EEENSJ_IJSM_SI_EEENS0_18inequality_wrapperINS9_8equal_toIsEEEEPmJSH_EEE10hipError_tPvRmT3_T4_T5_T6_T7_T9_mT8_P12ihipStream_tbDpT10_ENKUlT_T0_E_clISt17integral_constantIbLb0EES1C_IbLb1EEEEDaS18_S19_EUlS18_E_NS1_11comp_targetILNS1_3genE3ELNS1_11target_archE908ELNS1_3gpuE7ELNS1_3repE0EEENS1_30default_config_static_selectorELNS0_4arch9wavefront6targetE0EEEvT1_,comdat
	.protected	_ZN7rocprim17ROCPRIM_400000_NS6detail17trampoline_kernelINS0_14default_configENS1_25partition_config_selectorILNS1_17partition_subalgoE9EsjbEEZZNS1_14partition_implILS5_9ELb0ES3_jN6thrust23THRUST_200600_302600_NS6detail15normal_iteratorINS9_10device_ptrIsEEEENSB_INSC_IjEEEEPNS0_10empty_typeENS0_5tupleIJNS9_16discard_iteratorINS9_11use_defaultEEESH_EEENSJ_IJSM_SI_EEENS0_18inequality_wrapperINS9_8equal_toIsEEEEPmJSH_EEE10hipError_tPvRmT3_T4_T5_T6_T7_T9_mT8_P12ihipStream_tbDpT10_ENKUlT_T0_E_clISt17integral_constantIbLb0EES1C_IbLb1EEEEDaS18_S19_EUlS18_E_NS1_11comp_targetILNS1_3genE3ELNS1_11target_archE908ELNS1_3gpuE7ELNS1_3repE0EEENS1_30default_config_static_selectorELNS0_4arch9wavefront6targetE0EEEvT1_ ; -- Begin function _ZN7rocprim17ROCPRIM_400000_NS6detail17trampoline_kernelINS0_14default_configENS1_25partition_config_selectorILNS1_17partition_subalgoE9EsjbEEZZNS1_14partition_implILS5_9ELb0ES3_jN6thrust23THRUST_200600_302600_NS6detail15normal_iteratorINS9_10device_ptrIsEEEENSB_INSC_IjEEEEPNS0_10empty_typeENS0_5tupleIJNS9_16discard_iteratorINS9_11use_defaultEEESH_EEENSJ_IJSM_SI_EEENS0_18inequality_wrapperINS9_8equal_toIsEEEEPmJSH_EEE10hipError_tPvRmT3_T4_T5_T6_T7_T9_mT8_P12ihipStream_tbDpT10_ENKUlT_T0_E_clISt17integral_constantIbLb0EES1C_IbLb1EEEEDaS18_S19_EUlS18_E_NS1_11comp_targetILNS1_3genE3ELNS1_11target_archE908ELNS1_3gpuE7ELNS1_3repE0EEENS1_30default_config_static_selectorELNS0_4arch9wavefront6targetE0EEEvT1_
	.globl	_ZN7rocprim17ROCPRIM_400000_NS6detail17trampoline_kernelINS0_14default_configENS1_25partition_config_selectorILNS1_17partition_subalgoE9EsjbEEZZNS1_14partition_implILS5_9ELb0ES3_jN6thrust23THRUST_200600_302600_NS6detail15normal_iteratorINS9_10device_ptrIsEEEENSB_INSC_IjEEEEPNS0_10empty_typeENS0_5tupleIJNS9_16discard_iteratorINS9_11use_defaultEEESH_EEENSJ_IJSM_SI_EEENS0_18inequality_wrapperINS9_8equal_toIsEEEEPmJSH_EEE10hipError_tPvRmT3_T4_T5_T6_T7_T9_mT8_P12ihipStream_tbDpT10_ENKUlT_T0_E_clISt17integral_constantIbLb0EES1C_IbLb1EEEEDaS18_S19_EUlS18_E_NS1_11comp_targetILNS1_3genE3ELNS1_11target_archE908ELNS1_3gpuE7ELNS1_3repE0EEENS1_30default_config_static_selectorELNS0_4arch9wavefront6targetE0EEEvT1_
	.p2align	8
	.type	_ZN7rocprim17ROCPRIM_400000_NS6detail17trampoline_kernelINS0_14default_configENS1_25partition_config_selectorILNS1_17partition_subalgoE9EsjbEEZZNS1_14partition_implILS5_9ELb0ES3_jN6thrust23THRUST_200600_302600_NS6detail15normal_iteratorINS9_10device_ptrIsEEEENSB_INSC_IjEEEEPNS0_10empty_typeENS0_5tupleIJNS9_16discard_iteratorINS9_11use_defaultEEESH_EEENSJ_IJSM_SI_EEENS0_18inequality_wrapperINS9_8equal_toIsEEEEPmJSH_EEE10hipError_tPvRmT3_T4_T5_T6_T7_T9_mT8_P12ihipStream_tbDpT10_ENKUlT_T0_E_clISt17integral_constantIbLb0EES1C_IbLb1EEEEDaS18_S19_EUlS18_E_NS1_11comp_targetILNS1_3genE3ELNS1_11target_archE908ELNS1_3gpuE7ELNS1_3repE0EEENS1_30default_config_static_selectorELNS0_4arch9wavefront6targetE0EEEvT1_,@function
_ZN7rocprim17ROCPRIM_400000_NS6detail17trampoline_kernelINS0_14default_configENS1_25partition_config_selectorILNS1_17partition_subalgoE9EsjbEEZZNS1_14partition_implILS5_9ELb0ES3_jN6thrust23THRUST_200600_302600_NS6detail15normal_iteratorINS9_10device_ptrIsEEEENSB_INSC_IjEEEEPNS0_10empty_typeENS0_5tupleIJNS9_16discard_iteratorINS9_11use_defaultEEESH_EEENSJ_IJSM_SI_EEENS0_18inequality_wrapperINS9_8equal_toIsEEEEPmJSH_EEE10hipError_tPvRmT3_T4_T5_T6_T7_T9_mT8_P12ihipStream_tbDpT10_ENKUlT_T0_E_clISt17integral_constantIbLb0EES1C_IbLb1EEEEDaS18_S19_EUlS18_E_NS1_11comp_targetILNS1_3genE3ELNS1_11target_archE908ELNS1_3gpuE7ELNS1_3repE0EEENS1_30default_config_static_selectorELNS0_4arch9wavefront6targetE0EEEvT1_: ; @_ZN7rocprim17ROCPRIM_400000_NS6detail17trampoline_kernelINS0_14default_configENS1_25partition_config_selectorILNS1_17partition_subalgoE9EsjbEEZZNS1_14partition_implILS5_9ELb0ES3_jN6thrust23THRUST_200600_302600_NS6detail15normal_iteratorINS9_10device_ptrIsEEEENSB_INSC_IjEEEEPNS0_10empty_typeENS0_5tupleIJNS9_16discard_iteratorINS9_11use_defaultEEESH_EEENSJ_IJSM_SI_EEENS0_18inequality_wrapperINS9_8equal_toIsEEEEPmJSH_EEE10hipError_tPvRmT3_T4_T5_T6_T7_T9_mT8_P12ihipStream_tbDpT10_ENKUlT_T0_E_clISt17integral_constantIbLb0EES1C_IbLb1EEEEDaS18_S19_EUlS18_E_NS1_11comp_targetILNS1_3genE3ELNS1_11target_archE908ELNS1_3gpuE7ELNS1_3repE0EEENS1_30default_config_static_selectorELNS0_4arch9wavefront6targetE0EEEvT1_
; %bb.0:
	.section	.rodata,"a",@progbits
	.p2align	6, 0x0
	.amdhsa_kernel _ZN7rocprim17ROCPRIM_400000_NS6detail17trampoline_kernelINS0_14default_configENS1_25partition_config_selectorILNS1_17partition_subalgoE9EsjbEEZZNS1_14partition_implILS5_9ELb0ES3_jN6thrust23THRUST_200600_302600_NS6detail15normal_iteratorINS9_10device_ptrIsEEEENSB_INSC_IjEEEEPNS0_10empty_typeENS0_5tupleIJNS9_16discard_iteratorINS9_11use_defaultEEESH_EEENSJ_IJSM_SI_EEENS0_18inequality_wrapperINS9_8equal_toIsEEEEPmJSH_EEE10hipError_tPvRmT3_T4_T5_T6_T7_T9_mT8_P12ihipStream_tbDpT10_ENKUlT_T0_E_clISt17integral_constantIbLb0EES1C_IbLb1EEEEDaS18_S19_EUlS18_E_NS1_11comp_targetILNS1_3genE3ELNS1_11target_archE908ELNS1_3gpuE7ELNS1_3repE0EEENS1_30default_config_static_selectorELNS0_4arch9wavefront6targetE0EEEvT1_
		.amdhsa_group_segment_fixed_size 0
		.amdhsa_private_segment_fixed_size 0
		.amdhsa_kernarg_size 144
		.amdhsa_user_sgpr_count 15
		.amdhsa_user_sgpr_dispatch_ptr 0
		.amdhsa_user_sgpr_queue_ptr 0
		.amdhsa_user_sgpr_kernarg_segment_ptr 1
		.amdhsa_user_sgpr_dispatch_id 0
		.amdhsa_user_sgpr_private_segment_size 0
		.amdhsa_wavefront_size32 1
		.amdhsa_uses_dynamic_stack 0
		.amdhsa_enable_private_segment 0
		.amdhsa_system_sgpr_workgroup_id_x 1
		.amdhsa_system_sgpr_workgroup_id_y 0
		.amdhsa_system_sgpr_workgroup_id_z 0
		.amdhsa_system_sgpr_workgroup_info 0
		.amdhsa_system_vgpr_workitem_id 0
		.amdhsa_next_free_vgpr 1
		.amdhsa_next_free_sgpr 1
		.amdhsa_reserve_vcc 0
		.amdhsa_float_round_mode_32 0
		.amdhsa_float_round_mode_16_64 0
		.amdhsa_float_denorm_mode_32 3
		.amdhsa_float_denorm_mode_16_64 3
		.amdhsa_dx10_clamp 1
		.amdhsa_ieee_mode 1
		.amdhsa_fp16_overflow 0
		.amdhsa_workgroup_processor_mode 1
		.amdhsa_memory_ordered 1
		.amdhsa_forward_progress 0
		.amdhsa_shared_vgpr_count 0
		.amdhsa_exception_fp_ieee_invalid_op 0
		.amdhsa_exception_fp_denorm_src 0
		.amdhsa_exception_fp_ieee_div_zero 0
		.amdhsa_exception_fp_ieee_overflow 0
		.amdhsa_exception_fp_ieee_underflow 0
		.amdhsa_exception_fp_ieee_inexact 0
		.amdhsa_exception_int_div_zero 0
	.end_amdhsa_kernel
	.section	.text._ZN7rocprim17ROCPRIM_400000_NS6detail17trampoline_kernelINS0_14default_configENS1_25partition_config_selectorILNS1_17partition_subalgoE9EsjbEEZZNS1_14partition_implILS5_9ELb0ES3_jN6thrust23THRUST_200600_302600_NS6detail15normal_iteratorINS9_10device_ptrIsEEEENSB_INSC_IjEEEEPNS0_10empty_typeENS0_5tupleIJNS9_16discard_iteratorINS9_11use_defaultEEESH_EEENSJ_IJSM_SI_EEENS0_18inequality_wrapperINS9_8equal_toIsEEEEPmJSH_EEE10hipError_tPvRmT3_T4_T5_T6_T7_T9_mT8_P12ihipStream_tbDpT10_ENKUlT_T0_E_clISt17integral_constantIbLb0EES1C_IbLb1EEEEDaS18_S19_EUlS18_E_NS1_11comp_targetILNS1_3genE3ELNS1_11target_archE908ELNS1_3gpuE7ELNS1_3repE0EEENS1_30default_config_static_selectorELNS0_4arch9wavefront6targetE0EEEvT1_,"axG",@progbits,_ZN7rocprim17ROCPRIM_400000_NS6detail17trampoline_kernelINS0_14default_configENS1_25partition_config_selectorILNS1_17partition_subalgoE9EsjbEEZZNS1_14partition_implILS5_9ELb0ES3_jN6thrust23THRUST_200600_302600_NS6detail15normal_iteratorINS9_10device_ptrIsEEEENSB_INSC_IjEEEEPNS0_10empty_typeENS0_5tupleIJNS9_16discard_iteratorINS9_11use_defaultEEESH_EEENSJ_IJSM_SI_EEENS0_18inequality_wrapperINS9_8equal_toIsEEEEPmJSH_EEE10hipError_tPvRmT3_T4_T5_T6_T7_T9_mT8_P12ihipStream_tbDpT10_ENKUlT_T0_E_clISt17integral_constantIbLb0EES1C_IbLb1EEEEDaS18_S19_EUlS18_E_NS1_11comp_targetILNS1_3genE3ELNS1_11target_archE908ELNS1_3gpuE7ELNS1_3repE0EEENS1_30default_config_static_selectorELNS0_4arch9wavefront6targetE0EEEvT1_,comdat
.Lfunc_end1200:
	.size	_ZN7rocprim17ROCPRIM_400000_NS6detail17trampoline_kernelINS0_14default_configENS1_25partition_config_selectorILNS1_17partition_subalgoE9EsjbEEZZNS1_14partition_implILS5_9ELb0ES3_jN6thrust23THRUST_200600_302600_NS6detail15normal_iteratorINS9_10device_ptrIsEEEENSB_INSC_IjEEEEPNS0_10empty_typeENS0_5tupleIJNS9_16discard_iteratorINS9_11use_defaultEEESH_EEENSJ_IJSM_SI_EEENS0_18inequality_wrapperINS9_8equal_toIsEEEEPmJSH_EEE10hipError_tPvRmT3_T4_T5_T6_T7_T9_mT8_P12ihipStream_tbDpT10_ENKUlT_T0_E_clISt17integral_constantIbLb0EES1C_IbLb1EEEEDaS18_S19_EUlS18_E_NS1_11comp_targetILNS1_3genE3ELNS1_11target_archE908ELNS1_3gpuE7ELNS1_3repE0EEENS1_30default_config_static_selectorELNS0_4arch9wavefront6targetE0EEEvT1_, .Lfunc_end1200-_ZN7rocprim17ROCPRIM_400000_NS6detail17trampoline_kernelINS0_14default_configENS1_25partition_config_selectorILNS1_17partition_subalgoE9EsjbEEZZNS1_14partition_implILS5_9ELb0ES3_jN6thrust23THRUST_200600_302600_NS6detail15normal_iteratorINS9_10device_ptrIsEEEENSB_INSC_IjEEEEPNS0_10empty_typeENS0_5tupleIJNS9_16discard_iteratorINS9_11use_defaultEEESH_EEENSJ_IJSM_SI_EEENS0_18inequality_wrapperINS9_8equal_toIsEEEEPmJSH_EEE10hipError_tPvRmT3_T4_T5_T6_T7_T9_mT8_P12ihipStream_tbDpT10_ENKUlT_T0_E_clISt17integral_constantIbLb0EES1C_IbLb1EEEEDaS18_S19_EUlS18_E_NS1_11comp_targetILNS1_3genE3ELNS1_11target_archE908ELNS1_3gpuE7ELNS1_3repE0EEENS1_30default_config_static_selectorELNS0_4arch9wavefront6targetE0EEEvT1_
                                        ; -- End function
	.section	.AMDGPU.csdata,"",@progbits
; Kernel info:
; codeLenInByte = 0
; NumSgprs: 0
; NumVgprs: 0
; ScratchSize: 0
; MemoryBound: 0
; FloatMode: 240
; IeeeMode: 1
; LDSByteSize: 0 bytes/workgroup (compile time only)
; SGPRBlocks: 0
; VGPRBlocks: 0
; NumSGPRsForWavesPerEU: 1
; NumVGPRsForWavesPerEU: 1
; Occupancy: 16
; WaveLimiterHint : 0
; COMPUTE_PGM_RSRC2:SCRATCH_EN: 0
; COMPUTE_PGM_RSRC2:USER_SGPR: 15
; COMPUTE_PGM_RSRC2:TRAP_HANDLER: 0
; COMPUTE_PGM_RSRC2:TGID_X_EN: 1
; COMPUTE_PGM_RSRC2:TGID_Y_EN: 0
; COMPUTE_PGM_RSRC2:TGID_Z_EN: 0
; COMPUTE_PGM_RSRC2:TIDIG_COMP_CNT: 0
	.section	.text._ZN7rocprim17ROCPRIM_400000_NS6detail17trampoline_kernelINS0_14default_configENS1_25partition_config_selectorILNS1_17partition_subalgoE9EsjbEEZZNS1_14partition_implILS5_9ELb0ES3_jN6thrust23THRUST_200600_302600_NS6detail15normal_iteratorINS9_10device_ptrIsEEEENSB_INSC_IjEEEEPNS0_10empty_typeENS0_5tupleIJNS9_16discard_iteratorINS9_11use_defaultEEESH_EEENSJ_IJSM_SI_EEENS0_18inequality_wrapperINS9_8equal_toIsEEEEPmJSH_EEE10hipError_tPvRmT3_T4_T5_T6_T7_T9_mT8_P12ihipStream_tbDpT10_ENKUlT_T0_E_clISt17integral_constantIbLb0EES1C_IbLb1EEEEDaS18_S19_EUlS18_E_NS1_11comp_targetILNS1_3genE2ELNS1_11target_archE906ELNS1_3gpuE6ELNS1_3repE0EEENS1_30default_config_static_selectorELNS0_4arch9wavefront6targetE0EEEvT1_,"axG",@progbits,_ZN7rocprim17ROCPRIM_400000_NS6detail17trampoline_kernelINS0_14default_configENS1_25partition_config_selectorILNS1_17partition_subalgoE9EsjbEEZZNS1_14partition_implILS5_9ELb0ES3_jN6thrust23THRUST_200600_302600_NS6detail15normal_iteratorINS9_10device_ptrIsEEEENSB_INSC_IjEEEEPNS0_10empty_typeENS0_5tupleIJNS9_16discard_iteratorINS9_11use_defaultEEESH_EEENSJ_IJSM_SI_EEENS0_18inequality_wrapperINS9_8equal_toIsEEEEPmJSH_EEE10hipError_tPvRmT3_T4_T5_T6_T7_T9_mT8_P12ihipStream_tbDpT10_ENKUlT_T0_E_clISt17integral_constantIbLb0EES1C_IbLb1EEEEDaS18_S19_EUlS18_E_NS1_11comp_targetILNS1_3genE2ELNS1_11target_archE906ELNS1_3gpuE6ELNS1_3repE0EEENS1_30default_config_static_selectorELNS0_4arch9wavefront6targetE0EEEvT1_,comdat
	.protected	_ZN7rocprim17ROCPRIM_400000_NS6detail17trampoline_kernelINS0_14default_configENS1_25partition_config_selectorILNS1_17partition_subalgoE9EsjbEEZZNS1_14partition_implILS5_9ELb0ES3_jN6thrust23THRUST_200600_302600_NS6detail15normal_iteratorINS9_10device_ptrIsEEEENSB_INSC_IjEEEEPNS0_10empty_typeENS0_5tupleIJNS9_16discard_iteratorINS9_11use_defaultEEESH_EEENSJ_IJSM_SI_EEENS0_18inequality_wrapperINS9_8equal_toIsEEEEPmJSH_EEE10hipError_tPvRmT3_T4_T5_T6_T7_T9_mT8_P12ihipStream_tbDpT10_ENKUlT_T0_E_clISt17integral_constantIbLb0EES1C_IbLb1EEEEDaS18_S19_EUlS18_E_NS1_11comp_targetILNS1_3genE2ELNS1_11target_archE906ELNS1_3gpuE6ELNS1_3repE0EEENS1_30default_config_static_selectorELNS0_4arch9wavefront6targetE0EEEvT1_ ; -- Begin function _ZN7rocprim17ROCPRIM_400000_NS6detail17trampoline_kernelINS0_14default_configENS1_25partition_config_selectorILNS1_17partition_subalgoE9EsjbEEZZNS1_14partition_implILS5_9ELb0ES3_jN6thrust23THRUST_200600_302600_NS6detail15normal_iteratorINS9_10device_ptrIsEEEENSB_INSC_IjEEEEPNS0_10empty_typeENS0_5tupleIJNS9_16discard_iteratorINS9_11use_defaultEEESH_EEENSJ_IJSM_SI_EEENS0_18inequality_wrapperINS9_8equal_toIsEEEEPmJSH_EEE10hipError_tPvRmT3_T4_T5_T6_T7_T9_mT8_P12ihipStream_tbDpT10_ENKUlT_T0_E_clISt17integral_constantIbLb0EES1C_IbLb1EEEEDaS18_S19_EUlS18_E_NS1_11comp_targetILNS1_3genE2ELNS1_11target_archE906ELNS1_3gpuE6ELNS1_3repE0EEENS1_30default_config_static_selectorELNS0_4arch9wavefront6targetE0EEEvT1_
	.globl	_ZN7rocprim17ROCPRIM_400000_NS6detail17trampoline_kernelINS0_14default_configENS1_25partition_config_selectorILNS1_17partition_subalgoE9EsjbEEZZNS1_14partition_implILS5_9ELb0ES3_jN6thrust23THRUST_200600_302600_NS6detail15normal_iteratorINS9_10device_ptrIsEEEENSB_INSC_IjEEEEPNS0_10empty_typeENS0_5tupleIJNS9_16discard_iteratorINS9_11use_defaultEEESH_EEENSJ_IJSM_SI_EEENS0_18inequality_wrapperINS9_8equal_toIsEEEEPmJSH_EEE10hipError_tPvRmT3_T4_T5_T6_T7_T9_mT8_P12ihipStream_tbDpT10_ENKUlT_T0_E_clISt17integral_constantIbLb0EES1C_IbLb1EEEEDaS18_S19_EUlS18_E_NS1_11comp_targetILNS1_3genE2ELNS1_11target_archE906ELNS1_3gpuE6ELNS1_3repE0EEENS1_30default_config_static_selectorELNS0_4arch9wavefront6targetE0EEEvT1_
	.p2align	8
	.type	_ZN7rocprim17ROCPRIM_400000_NS6detail17trampoline_kernelINS0_14default_configENS1_25partition_config_selectorILNS1_17partition_subalgoE9EsjbEEZZNS1_14partition_implILS5_9ELb0ES3_jN6thrust23THRUST_200600_302600_NS6detail15normal_iteratorINS9_10device_ptrIsEEEENSB_INSC_IjEEEEPNS0_10empty_typeENS0_5tupleIJNS9_16discard_iteratorINS9_11use_defaultEEESH_EEENSJ_IJSM_SI_EEENS0_18inequality_wrapperINS9_8equal_toIsEEEEPmJSH_EEE10hipError_tPvRmT3_T4_T5_T6_T7_T9_mT8_P12ihipStream_tbDpT10_ENKUlT_T0_E_clISt17integral_constantIbLb0EES1C_IbLb1EEEEDaS18_S19_EUlS18_E_NS1_11comp_targetILNS1_3genE2ELNS1_11target_archE906ELNS1_3gpuE6ELNS1_3repE0EEENS1_30default_config_static_selectorELNS0_4arch9wavefront6targetE0EEEvT1_,@function
_ZN7rocprim17ROCPRIM_400000_NS6detail17trampoline_kernelINS0_14default_configENS1_25partition_config_selectorILNS1_17partition_subalgoE9EsjbEEZZNS1_14partition_implILS5_9ELb0ES3_jN6thrust23THRUST_200600_302600_NS6detail15normal_iteratorINS9_10device_ptrIsEEEENSB_INSC_IjEEEEPNS0_10empty_typeENS0_5tupleIJNS9_16discard_iteratorINS9_11use_defaultEEESH_EEENSJ_IJSM_SI_EEENS0_18inequality_wrapperINS9_8equal_toIsEEEEPmJSH_EEE10hipError_tPvRmT3_T4_T5_T6_T7_T9_mT8_P12ihipStream_tbDpT10_ENKUlT_T0_E_clISt17integral_constantIbLb0EES1C_IbLb1EEEEDaS18_S19_EUlS18_E_NS1_11comp_targetILNS1_3genE2ELNS1_11target_archE906ELNS1_3gpuE6ELNS1_3repE0EEENS1_30default_config_static_selectorELNS0_4arch9wavefront6targetE0EEEvT1_: ; @_ZN7rocprim17ROCPRIM_400000_NS6detail17trampoline_kernelINS0_14default_configENS1_25partition_config_selectorILNS1_17partition_subalgoE9EsjbEEZZNS1_14partition_implILS5_9ELb0ES3_jN6thrust23THRUST_200600_302600_NS6detail15normal_iteratorINS9_10device_ptrIsEEEENSB_INSC_IjEEEEPNS0_10empty_typeENS0_5tupleIJNS9_16discard_iteratorINS9_11use_defaultEEESH_EEENSJ_IJSM_SI_EEENS0_18inequality_wrapperINS9_8equal_toIsEEEEPmJSH_EEE10hipError_tPvRmT3_T4_T5_T6_T7_T9_mT8_P12ihipStream_tbDpT10_ENKUlT_T0_E_clISt17integral_constantIbLb0EES1C_IbLb1EEEEDaS18_S19_EUlS18_E_NS1_11comp_targetILNS1_3genE2ELNS1_11target_archE906ELNS1_3gpuE6ELNS1_3repE0EEENS1_30default_config_static_selectorELNS0_4arch9wavefront6targetE0EEEvT1_
; %bb.0:
	.section	.rodata,"a",@progbits
	.p2align	6, 0x0
	.amdhsa_kernel _ZN7rocprim17ROCPRIM_400000_NS6detail17trampoline_kernelINS0_14default_configENS1_25partition_config_selectorILNS1_17partition_subalgoE9EsjbEEZZNS1_14partition_implILS5_9ELb0ES3_jN6thrust23THRUST_200600_302600_NS6detail15normal_iteratorINS9_10device_ptrIsEEEENSB_INSC_IjEEEEPNS0_10empty_typeENS0_5tupleIJNS9_16discard_iteratorINS9_11use_defaultEEESH_EEENSJ_IJSM_SI_EEENS0_18inequality_wrapperINS9_8equal_toIsEEEEPmJSH_EEE10hipError_tPvRmT3_T4_T5_T6_T7_T9_mT8_P12ihipStream_tbDpT10_ENKUlT_T0_E_clISt17integral_constantIbLb0EES1C_IbLb1EEEEDaS18_S19_EUlS18_E_NS1_11comp_targetILNS1_3genE2ELNS1_11target_archE906ELNS1_3gpuE6ELNS1_3repE0EEENS1_30default_config_static_selectorELNS0_4arch9wavefront6targetE0EEEvT1_
		.amdhsa_group_segment_fixed_size 0
		.amdhsa_private_segment_fixed_size 0
		.amdhsa_kernarg_size 144
		.amdhsa_user_sgpr_count 15
		.amdhsa_user_sgpr_dispatch_ptr 0
		.amdhsa_user_sgpr_queue_ptr 0
		.amdhsa_user_sgpr_kernarg_segment_ptr 1
		.amdhsa_user_sgpr_dispatch_id 0
		.amdhsa_user_sgpr_private_segment_size 0
		.amdhsa_wavefront_size32 1
		.amdhsa_uses_dynamic_stack 0
		.amdhsa_enable_private_segment 0
		.amdhsa_system_sgpr_workgroup_id_x 1
		.amdhsa_system_sgpr_workgroup_id_y 0
		.amdhsa_system_sgpr_workgroup_id_z 0
		.amdhsa_system_sgpr_workgroup_info 0
		.amdhsa_system_vgpr_workitem_id 0
		.amdhsa_next_free_vgpr 1
		.amdhsa_next_free_sgpr 1
		.amdhsa_reserve_vcc 0
		.amdhsa_float_round_mode_32 0
		.amdhsa_float_round_mode_16_64 0
		.amdhsa_float_denorm_mode_32 3
		.amdhsa_float_denorm_mode_16_64 3
		.amdhsa_dx10_clamp 1
		.amdhsa_ieee_mode 1
		.amdhsa_fp16_overflow 0
		.amdhsa_workgroup_processor_mode 1
		.amdhsa_memory_ordered 1
		.amdhsa_forward_progress 0
		.amdhsa_shared_vgpr_count 0
		.amdhsa_exception_fp_ieee_invalid_op 0
		.amdhsa_exception_fp_denorm_src 0
		.amdhsa_exception_fp_ieee_div_zero 0
		.amdhsa_exception_fp_ieee_overflow 0
		.amdhsa_exception_fp_ieee_underflow 0
		.amdhsa_exception_fp_ieee_inexact 0
		.amdhsa_exception_int_div_zero 0
	.end_amdhsa_kernel
	.section	.text._ZN7rocprim17ROCPRIM_400000_NS6detail17trampoline_kernelINS0_14default_configENS1_25partition_config_selectorILNS1_17partition_subalgoE9EsjbEEZZNS1_14partition_implILS5_9ELb0ES3_jN6thrust23THRUST_200600_302600_NS6detail15normal_iteratorINS9_10device_ptrIsEEEENSB_INSC_IjEEEEPNS0_10empty_typeENS0_5tupleIJNS9_16discard_iteratorINS9_11use_defaultEEESH_EEENSJ_IJSM_SI_EEENS0_18inequality_wrapperINS9_8equal_toIsEEEEPmJSH_EEE10hipError_tPvRmT3_T4_T5_T6_T7_T9_mT8_P12ihipStream_tbDpT10_ENKUlT_T0_E_clISt17integral_constantIbLb0EES1C_IbLb1EEEEDaS18_S19_EUlS18_E_NS1_11comp_targetILNS1_3genE2ELNS1_11target_archE906ELNS1_3gpuE6ELNS1_3repE0EEENS1_30default_config_static_selectorELNS0_4arch9wavefront6targetE0EEEvT1_,"axG",@progbits,_ZN7rocprim17ROCPRIM_400000_NS6detail17trampoline_kernelINS0_14default_configENS1_25partition_config_selectorILNS1_17partition_subalgoE9EsjbEEZZNS1_14partition_implILS5_9ELb0ES3_jN6thrust23THRUST_200600_302600_NS6detail15normal_iteratorINS9_10device_ptrIsEEEENSB_INSC_IjEEEEPNS0_10empty_typeENS0_5tupleIJNS9_16discard_iteratorINS9_11use_defaultEEESH_EEENSJ_IJSM_SI_EEENS0_18inequality_wrapperINS9_8equal_toIsEEEEPmJSH_EEE10hipError_tPvRmT3_T4_T5_T6_T7_T9_mT8_P12ihipStream_tbDpT10_ENKUlT_T0_E_clISt17integral_constantIbLb0EES1C_IbLb1EEEEDaS18_S19_EUlS18_E_NS1_11comp_targetILNS1_3genE2ELNS1_11target_archE906ELNS1_3gpuE6ELNS1_3repE0EEENS1_30default_config_static_selectorELNS0_4arch9wavefront6targetE0EEEvT1_,comdat
.Lfunc_end1201:
	.size	_ZN7rocprim17ROCPRIM_400000_NS6detail17trampoline_kernelINS0_14default_configENS1_25partition_config_selectorILNS1_17partition_subalgoE9EsjbEEZZNS1_14partition_implILS5_9ELb0ES3_jN6thrust23THRUST_200600_302600_NS6detail15normal_iteratorINS9_10device_ptrIsEEEENSB_INSC_IjEEEEPNS0_10empty_typeENS0_5tupleIJNS9_16discard_iteratorINS9_11use_defaultEEESH_EEENSJ_IJSM_SI_EEENS0_18inequality_wrapperINS9_8equal_toIsEEEEPmJSH_EEE10hipError_tPvRmT3_T4_T5_T6_T7_T9_mT8_P12ihipStream_tbDpT10_ENKUlT_T0_E_clISt17integral_constantIbLb0EES1C_IbLb1EEEEDaS18_S19_EUlS18_E_NS1_11comp_targetILNS1_3genE2ELNS1_11target_archE906ELNS1_3gpuE6ELNS1_3repE0EEENS1_30default_config_static_selectorELNS0_4arch9wavefront6targetE0EEEvT1_, .Lfunc_end1201-_ZN7rocprim17ROCPRIM_400000_NS6detail17trampoline_kernelINS0_14default_configENS1_25partition_config_selectorILNS1_17partition_subalgoE9EsjbEEZZNS1_14partition_implILS5_9ELb0ES3_jN6thrust23THRUST_200600_302600_NS6detail15normal_iteratorINS9_10device_ptrIsEEEENSB_INSC_IjEEEEPNS0_10empty_typeENS0_5tupleIJNS9_16discard_iteratorINS9_11use_defaultEEESH_EEENSJ_IJSM_SI_EEENS0_18inequality_wrapperINS9_8equal_toIsEEEEPmJSH_EEE10hipError_tPvRmT3_T4_T5_T6_T7_T9_mT8_P12ihipStream_tbDpT10_ENKUlT_T0_E_clISt17integral_constantIbLb0EES1C_IbLb1EEEEDaS18_S19_EUlS18_E_NS1_11comp_targetILNS1_3genE2ELNS1_11target_archE906ELNS1_3gpuE6ELNS1_3repE0EEENS1_30default_config_static_selectorELNS0_4arch9wavefront6targetE0EEEvT1_
                                        ; -- End function
	.section	.AMDGPU.csdata,"",@progbits
; Kernel info:
; codeLenInByte = 0
; NumSgprs: 0
; NumVgprs: 0
; ScratchSize: 0
; MemoryBound: 0
; FloatMode: 240
; IeeeMode: 1
; LDSByteSize: 0 bytes/workgroup (compile time only)
; SGPRBlocks: 0
; VGPRBlocks: 0
; NumSGPRsForWavesPerEU: 1
; NumVGPRsForWavesPerEU: 1
; Occupancy: 16
; WaveLimiterHint : 0
; COMPUTE_PGM_RSRC2:SCRATCH_EN: 0
; COMPUTE_PGM_RSRC2:USER_SGPR: 15
; COMPUTE_PGM_RSRC2:TRAP_HANDLER: 0
; COMPUTE_PGM_RSRC2:TGID_X_EN: 1
; COMPUTE_PGM_RSRC2:TGID_Y_EN: 0
; COMPUTE_PGM_RSRC2:TGID_Z_EN: 0
; COMPUTE_PGM_RSRC2:TIDIG_COMP_CNT: 0
	.section	.text._ZN7rocprim17ROCPRIM_400000_NS6detail17trampoline_kernelINS0_14default_configENS1_25partition_config_selectorILNS1_17partition_subalgoE9EsjbEEZZNS1_14partition_implILS5_9ELb0ES3_jN6thrust23THRUST_200600_302600_NS6detail15normal_iteratorINS9_10device_ptrIsEEEENSB_INSC_IjEEEEPNS0_10empty_typeENS0_5tupleIJNS9_16discard_iteratorINS9_11use_defaultEEESH_EEENSJ_IJSM_SI_EEENS0_18inequality_wrapperINS9_8equal_toIsEEEEPmJSH_EEE10hipError_tPvRmT3_T4_T5_T6_T7_T9_mT8_P12ihipStream_tbDpT10_ENKUlT_T0_E_clISt17integral_constantIbLb0EES1C_IbLb1EEEEDaS18_S19_EUlS18_E_NS1_11comp_targetILNS1_3genE10ELNS1_11target_archE1200ELNS1_3gpuE4ELNS1_3repE0EEENS1_30default_config_static_selectorELNS0_4arch9wavefront6targetE0EEEvT1_,"axG",@progbits,_ZN7rocprim17ROCPRIM_400000_NS6detail17trampoline_kernelINS0_14default_configENS1_25partition_config_selectorILNS1_17partition_subalgoE9EsjbEEZZNS1_14partition_implILS5_9ELb0ES3_jN6thrust23THRUST_200600_302600_NS6detail15normal_iteratorINS9_10device_ptrIsEEEENSB_INSC_IjEEEEPNS0_10empty_typeENS0_5tupleIJNS9_16discard_iteratorINS9_11use_defaultEEESH_EEENSJ_IJSM_SI_EEENS0_18inequality_wrapperINS9_8equal_toIsEEEEPmJSH_EEE10hipError_tPvRmT3_T4_T5_T6_T7_T9_mT8_P12ihipStream_tbDpT10_ENKUlT_T0_E_clISt17integral_constantIbLb0EES1C_IbLb1EEEEDaS18_S19_EUlS18_E_NS1_11comp_targetILNS1_3genE10ELNS1_11target_archE1200ELNS1_3gpuE4ELNS1_3repE0EEENS1_30default_config_static_selectorELNS0_4arch9wavefront6targetE0EEEvT1_,comdat
	.protected	_ZN7rocprim17ROCPRIM_400000_NS6detail17trampoline_kernelINS0_14default_configENS1_25partition_config_selectorILNS1_17partition_subalgoE9EsjbEEZZNS1_14partition_implILS5_9ELb0ES3_jN6thrust23THRUST_200600_302600_NS6detail15normal_iteratorINS9_10device_ptrIsEEEENSB_INSC_IjEEEEPNS0_10empty_typeENS0_5tupleIJNS9_16discard_iteratorINS9_11use_defaultEEESH_EEENSJ_IJSM_SI_EEENS0_18inequality_wrapperINS9_8equal_toIsEEEEPmJSH_EEE10hipError_tPvRmT3_T4_T5_T6_T7_T9_mT8_P12ihipStream_tbDpT10_ENKUlT_T0_E_clISt17integral_constantIbLb0EES1C_IbLb1EEEEDaS18_S19_EUlS18_E_NS1_11comp_targetILNS1_3genE10ELNS1_11target_archE1200ELNS1_3gpuE4ELNS1_3repE0EEENS1_30default_config_static_selectorELNS0_4arch9wavefront6targetE0EEEvT1_ ; -- Begin function _ZN7rocprim17ROCPRIM_400000_NS6detail17trampoline_kernelINS0_14default_configENS1_25partition_config_selectorILNS1_17partition_subalgoE9EsjbEEZZNS1_14partition_implILS5_9ELb0ES3_jN6thrust23THRUST_200600_302600_NS6detail15normal_iteratorINS9_10device_ptrIsEEEENSB_INSC_IjEEEEPNS0_10empty_typeENS0_5tupleIJNS9_16discard_iteratorINS9_11use_defaultEEESH_EEENSJ_IJSM_SI_EEENS0_18inequality_wrapperINS9_8equal_toIsEEEEPmJSH_EEE10hipError_tPvRmT3_T4_T5_T6_T7_T9_mT8_P12ihipStream_tbDpT10_ENKUlT_T0_E_clISt17integral_constantIbLb0EES1C_IbLb1EEEEDaS18_S19_EUlS18_E_NS1_11comp_targetILNS1_3genE10ELNS1_11target_archE1200ELNS1_3gpuE4ELNS1_3repE0EEENS1_30default_config_static_selectorELNS0_4arch9wavefront6targetE0EEEvT1_
	.globl	_ZN7rocprim17ROCPRIM_400000_NS6detail17trampoline_kernelINS0_14default_configENS1_25partition_config_selectorILNS1_17partition_subalgoE9EsjbEEZZNS1_14partition_implILS5_9ELb0ES3_jN6thrust23THRUST_200600_302600_NS6detail15normal_iteratorINS9_10device_ptrIsEEEENSB_INSC_IjEEEEPNS0_10empty_typeENS0_5tupleIJNS9_16discard_iteratorINS9_11use_defaultEEESH_EEENSJ_IJSM_SI_EEENS0_18inequality_wrapperINS9_8equal_toIsEEEEPmJSH_EEE10hipError_tPvRmT3_T4_T5_T6_T7_T9_mT8_P12ihipStream_tbDpT10_ENKUlT_T0_E_clISt17integral_constantIbLb0EES1C_IbLb1EEEEDaS18_S19_EUlS18_E_NS1_11comp_targetILNS1_3genE10ELNS1_11target_archE1200ELNS1_3gpuE4ELNS1_3repE0EEENS1_30default_config_static_selectorELNS0_4arch9wavefront6targetE0EEEvT1_
	.p2align	8
	.type	_ZN7rocprim17ROCPRIM_400000_NS6detail17trampoline_kernelINS0_14default_configENS1_25partition_config_selectorILNS1_17partition_subalgoE9EsjbEEZZNS1_14partition_implILS5_9ELb0ES3_jN6thrust23THRUST_200600_302600_NS6detail15normal_iteratorINS9_10device_ptrIsEEEENSB_INSC_IjEEEEPNS0_10empty_typeENS0_5tupleIJNS9_16discard_iteratorINS9_11use_defaultEEESH_EEENSJ_IJSM_SI_EEENS0_18inequality_wrapperINS9_8equal_toIsEEEEPmJSH_EEE10hipError_tPvRmT3_T4_T5_T6_T7_T9_mT8_P12ihipStream_tbDpT10_ENKUlT_T0_E_clISt17integral_constantIbLb0EES1C_IbLb1EEEEDaS18_S19_EUlS18_E_NS1_11comp_targetILNS1_3genE10ELNS1_11target_archE1200ELNS1_3gpuE4ELNS1_3repE0EEENS1_30default_config_static_selectorELNS0_4arch9wavefront6targetE0EEEvT1_,@function
_ZN7rocprim17ROCPRIM_400000_NS6detail17trampoline_kernelINS0_14default_configENS1_25partition_config_selectorILNS1_17partition_subalgoE9EsjbEEZZNS1_14partition_implILS5_9ELb0ES3_jN6thrust23THRUST_200600_302600_NS6detail15normal_iteratorINS9_10device_ptrIsEEEENSB_INSC_IjEEEEPNS0_10empty_typeENS0_5tupleIJNS9_16discard_iteratorINS9_11use_defaultEEESH_EEENSJ_IJSM_SI_EEENS0_18inequality_wrapperINS9_8equal_toIsEEEEPmJSH_EEE10hipError_tPvRmT3_T4_T5_T6_T7_T9_mT8_P12ihipStream_tbDpT10_ENKUlT_T0_E_clISt17integral_constantIbLb0EES1C_IbLb1EEEEDaS18_S19_EUlS18_E_NS1_11comp_targetILNS1_3genE10ELNS1_11target_archE1200ELNS1_3gpuE4ELNS1_3repE0EEENS1_30default_config_static_selectorELNS0_4arch9wavefront6targetE0EEEvT1_: ; @_ZN7rocprim17ROCPRIM_400000_NS6detail17trampoline_kernelINS0_14default_configENS1_25partition_config_selectorILNS1_17partition_subalgoE9EsjbEEZZNS1_14partition_implILS5_9ELb0ES3_jN6thrust23THRUST_200600_302600_NS6detail15normal_iteratorINS9_10device_ptrIsEEEENSB_INSC_IjEEEEPNS0_10empty_typeENS0_5tupleIJNS9_16discard_iteratorINS9_11use_defaultEEESH_EEENSJ_IJSM_SI_EEENS0_18inequality_wrapperINS9_8equal_toIsEEEEPmJSH_EEE10hipError_tPvRmT3_T4_T5_T6_T7_T9_mT8_P12ihipStream_tbDpT10_ENKUlT_T0_E_clISt17integral_constantIbLb0EES1C_IbLb1EEEEDaS18_S19_EUlS18_E_NS1_11comp_targetILNS1_3genE10ELNS1_11target_archE1200ELNS1_3gpuE4ELNS1_3repE0EEENS1_30default_config_static_selectorELNS0_4arch9wavefront6targetE0EEEvT1_
; %bb.0:
	.section	.rodata,"a",@progbits
	.p2align	6, 0x0
	.amdhsa_kernel _ZN7rocprim17ROCPRIM_400000_NS6detail17trampoline_kernelINS0_14default_configENS1_25partition_config_selectorILNS1_17partition_subalgoE9EsjbEEZZNS1_14partition_implILS5_9ELb0ES3_jN6thrust23THRUST_200600_302600_NS6detail15normal_iteratorINS9_10device_ptrIsEEEENSB_INSC_IjEEEEPNS0_10empty_typeENS0_5tupleIJNS9_16discard_iteratorINS9_11use_defaultEEESH_EEENSJ_IJSM_SI_EEENS0_18inequality_wrapperINS9_8equal_toIsEEEEPmJSH_EEE10hipError_tPvRmT3_T4_T5_T6_T7_T9_mT8_P12ihipStream_tbDpT10_ENKUlT_T0_E_clISt17integral_constantIbLb0EES1C_IbLb1EEEEDaS18_S19_EUlS18_E_NS1_11comp_targetILNS1_3genE10ELNS1_11target_archE1200ELNS1_3gpuE4ELNS1_3repE0EEENS1_30default_config_static_selectorELNS0_4arch9wavefront6targetE0EEEvT1_
		.amdhsa_group_segment_fixed_size 0
		.amdhsa_private_segment_fixed_size 0
		.amdhsa_kernarg_size 144
		.amdhsa_user_sgpr_count 15
		.amdhsa_user_sgpr_dispatch_ptr 0
		.amdhsa_user_sgpr_queue_ptr 0
		.amdhsa_user_sgpr_kernarg_segment_ptr 1
		.amdhsa_user_sgpr_dispatch_id 0
		.amdhsa_user_sgpr_private_segment_size 0
		.amdhsa_wavefront_size32 1
		.amdhsa_uses_dynamic_stack 0
		.amdhsa_enable_private_segment 0
		.amdhsa_system_sgpr_workgroup_id_x 1
		.amdhsa_system_sgpr_workgroup_id_y 0
		.amdhsa_system_sgpr_workgroup_id_z 0
		.amdhsa_system_sgpr_workgroup_info 0
		.amdhsa_system_vgpr_workitem_id 0
		.amdhsa_next_free_vgpr 1
		.amdhsa_next_free_sgpr 1
		.amdhsa_reserve_vcc 0
		.amdhsa_float_round_mode_32 0
		.amdhsa_float_round_mode_16_64 0
		.amdhsa_float_denorm_mode_32 3
		.amdhsa_float_denorm_mode_16_64 3
		.amdhsa_dx10_clamp 1
		.amdhsa_ieee_mode 1
		.amdhsa_fp16_overflow 0
		.amdhsa_workgroup_processor_mode 1
		.amdhsa_memory_ordered 1
		.amdhsa_forward_progress 0
		.amdhsa_shared_vgpr_count 0
		.amdhsa_exception_fp_ieee_invalid_op 0
		.amdhsa_exception_fp_denorm_src 0
		.amdhsa_exception_fp_ieee_div_zero 0
		.amdhsa_exception_fp_ieee_overflow 0
		.amdhsa_exception_fp_ieee_underflow 0
		.amdhsa_exception_fp_ieee_inexact 0
		.amdhsa_exception_int_div_zero 0
	.end_amdhsa_kernel
	.section	.text._ZN7rocprim17ROCPRIM_400000_NS6detail17trampoline_kernelINS0_14default_configENS1_25partition_config_selectorILNS1_17partition_subalgoE9EsjbEEZZNS1_14partition_implILS5_9ELb0ES3_jN6thrust23THRUST_200600_302600_NS6detail15normal_iteratorINS9_10device_ptrIsEEEENSB_INSC_IjEEEEPNS0_10empty_typeENS0_5tupleIJNS9_16discard_iteratorINS9_11use_defaultEEESH_EEENSJ_IJSM_SI_EEENS0_18inequality_wrapperINS9_8equal_toIsEEEEPmJSH_EEE10hipError_tPvRmT3_T4_T5_T6_T7_T9_mT8_P12ihipStream_tbDpT10_ENKUlT_T0_E_clISt17integral_constantIbLb0EES1C_IbLb1EEEEDaS18_S19_EUlS18_E_NS1_11comp_targetILNS1_3genE10ELNS1_11target_archE1200ELNS1_3gpuE4ELNS1_3repE0EEENS1_30default_config_static_selectorELNS0_4arch9wavefront6targetE0EEEvT1_,"axG",@progbits,_ZN7rocprim17ROCPRIM_400000_NS6detail17trampoline_kernelINS0_14default_configENS1_25partition_config_selectorILNS1_17partition_subalgoE9EsjbEEZZNS1_14partition_implILS5_9ELb0ES3_jN6thrust23THRUST_200600_302600_NS6detail15normal_iteratorINS9_10device_ptrIsEEEENSB_INSC_IjEEEEPNS0_10empty_typeENS0_5tupleIJNS9_16discard_iteratorINS9_11use_defaultEEESH_EEENSJ_IJSM_SI_EEENS0_18inequality_wrapperINS9_8equal_toIsEEEEPmJSH_EEE10hipError_tPvRmT3_T4_T5_T6_T7_T9_mT8_P12ihipStream_tbDpT10_ENKUlT_T0_E_clISt17integral_constantIbLb0EES1C_IbLb1EEEEDaS18_S19_EUlS18_E_NS1_11comp_targetILNS1_3genE10ELNS1_11target_archE1200ELNS1_3gpuE4ELNS1_3repE0EEENS1_30default_config_static_selectorELNS0_4arch9wavefront6targetE0EEEvT1_,comdat
.Lfunc_end1202:
	.size	_ZN7rocprim17ROCPRIM_400000_NS6detail17trampoline_kernelINS0_14default_configENS1_25partition_config_selectorILNS1_17partition_subalgoE9EsjbEEZZNS1_14partition_implILS5_9ELb0ES3_jN6thrust23THRUST_200600_302600_NS6detail15normal_iteratorINS9_10device_ptrIsEEEENSB_INSC_IjEEEEPNS0_10empty_typeENS0_5tupleIJNS9_16discard_iteratorINS9_11use_defaultEEESH_EEENSJ_IJSM_SI_EEENS0_18inequality_wrapperINS9_8equal_toIsEEEEPmJSH_EEE10hipError_tPvRmT3_T4_T5_T6_T7_T9_mT8_P12ihipStream_tbDpT10_ENKUlT_T0_E_clISt17integral_constantIbLb0EES1C_IbLb1EEEEDaS18_S19_EUlS18_E_NS1_11comp_targetILNS1_3genE10ELNS1_11target_archE1200ELNS1_3gpuE4ELNS1_3repE0EEENS1_30default_config_static_selectorELNS0_4arch9wavefront6targetE0EEEvT1_, .Lfunc_end1202-_ZN7rocprim17ROCPRIM_400000_NS6detail17trampoline_kernelINS0_14default_configENS1_25partition_config_selectorILNS1_17partition_subalgoE9EsjbEEZZNS1_14partition_implILS5_9ELb0ES3_jN6thrust23THRUST_200600_302600_NS6detail15normal_iteratorINS9_10device_ptrIsEEEENSB_INSC_IjEEEEPNS0_10empty_typeENS0_5tupleIJNS9_16discard_iteratorINS9_11use_defaultEEESH_EEENSJ_IJSM_SI_EEENS0_18inequality_wrapperINS9_8equal_toIsEEEEPmJSH_EEE10hipError_tPvRmT3_T4_T5_T6_T7_T9_mT8_P12ihipStream_tbDpT10_ENKUlT_T0_E_clISt17integral_constantIbLb0EES1C_IbLb1EEEEDaS18_S19_EUlS18_E_NS1_11comp_targetILNS1_3genE10ELNS1_11target_archE1200ELNS1_3gpuE4ELNS1_3repE0EEENS1_30default_config_static_selectorELNS0_4arch9wavefront6targetE0EEEvT1_
                                        ; -- End function
	.section	.AMDGPU.csdata,"",@progbits
; Kernel info:
; codeLenInByte = 0
; NumSgprs: 0
; NumVgprs: 0
; ScratchSize: 0
; MemoryBound: 0
; FloatMode: 240
; IeeeMode: 1
; LDSByteSize: 0 bytes/workgroup (compile time only)
; SGPRBlocks: 0
; VGPRBlocks: 0
; NumSGPRsForWavesPerEU: 1
; NumVGPRsForWavesPerEU: 1
; Occupancy: 16
; WaveLimiterHint : 0
; COMPUTE_PGM_RSRC2:SCRATCH_EN: 0
; COMPUTE_PGM_RSRC2:USER_SGPR: 15
; COMPUTE_PGM_RSRC2:TRAP_HANDLER: 0
; COMPUTE_PGM_RSRC2:TGID_X_EN: 1
; COMPUTE_PGM_RSRC2:TGID_Y_EN: 0
; COMPUTE_PGM_RSRC2:TGID_Z_EN: 0
; COMPUTE_PGM_RSRC2:TIDIG_COMP_CNT: 0
	.section	.text._ZN7rocprim17ROCPRIM_400000_NS6detail17trampoline_kernelINS0_14default_configENS1_25partition_config_selectorILNS1_17partition_subalgoE9EsjbEEZZNS1_14partition_implILS5_9ELb0ES3_jN6thrust23THRUST_200600_302600_NS6detail15normal_iteratorINS9_10device_ptrIsEEEENSB_INSC_IjEEEEPNS0_10empty_typeENS0_5tupleIJNS9_16discard_iteratorINS9_11use_defaultEEESH_EEENSJ_IJSM_SI_EEENS0_18inequality_wrapperINS9_8equal_toIsEEEEPmJSH_EEE10hipError_tPvRmT3_T4_T5_T6_T7_T9_mT8_P12ihipStream_tbDpT10_ENKUlT_T0_E_clISt17integral_constantIbLb0EES1C_IbLb1EEEEDaS18_S19_EUlS18_E_NS1_11comp_targetILNS1_3genE9ELNS1_11target_archE1100ELNS1_3gpuE3ELNS1_3repE0EEENS1_30default_config_static_selectorELNS0_4arch9wavefront6targetE0EEEvT1_,"axG",@progbits,_ZN7rocprim17ROCPRIM_400000_NS6detail17trampoline_kernelINS0_14default_configENS1_25partition_config_selectorILNS1_17partition_subalgoE9EsjbEEZZNS1_14partition_implILS5_9ELb0ES3_jN6thrust23THRUST_200600_302600_NS6detail15normal_iteratorINS9_10device_ptrIsEEEENSB_INSC_IjEEEEPNS0_10empty_typeENS0_5tupleIJNS9_16discard_iteratorINS9_11use_defaultEEESH_EEENSJ_IJSM_SI_EEENS0_18inequality_wrapperINS9_8equal_toIsEEEEPmJSH_EEE10hipError_tPvRmT3_T4_T5_T6_T7_T9_mT8_P12ihipStream_tbDpT10_ENKUlT_T0_E_clISt17integral_constantIbLb0EES1C_IbLb1EEEEDaS18_S19_EUlS18_E_NS1_11comp_targetILNS1_3genE9ELNS1_11target_archE1100ELNS1_3gpuE3ELNS1_3repE0EEENS1_30default_config_static_selectorELNS0_4arch9wavefront6targetE0EEEvT1_,comdat
	.protected	_ZN7rocprim17ROCPRIM_400000_NS6detail17trampoline_kernelINS0_14default_configENS1_25partition_config_selectorILNS1_17partition_subalgoE9EsjbEEZZNS1_14partition_implILS5_9ELb0ES3_jN6thrust23THRUST_200600_302600_NS6detail15normal_iteratorINS9_10device_ptrIsEEEENSB_INSC_IjEEEEPNS0_10empty_typeENS0_5tupleIJNS9_16discard_iteratorINS9_11use_defaultEEESH_EEENSJ_IJSM_SI_EEENS0_18inequality_wrapperINS9_8equal_toIsEEEEPmJSH_EEE10hipError_tPvRmT3_T4_T5_T6_T7_T9_mT8_P12ihipStream_tbDpT10_ENKUlT_T0_E_clISt17integral_constantIbLb0EES1C_IbLb1EEEEDaS18_S19_EUlS18_E_NS1_11comp_targetILNS1_3genE9ELNS1_11target_archE1100ELNS1_3gpuE3ELNS1_3repE0EEENS1_30default_config_static_selectorELNS0_4arch9wavefront6targetE0EEEvT1_ ; -- Begin function _ZN7rocprim17ROCPRIM_400000_NS6detail17trampoline_kernelINS0_14default_configENS1_25partition_config_selectorILNS1_17partition_subalgoE9EsjbEEZZNS1_14partition_implILS5_9ELb0ES3_jN6thrust23THRUST_200600_302600_NS6detail15normal_iteratorINS9_10device_ptrIsEEEENSB_INSC_IjEEEEPNS0_10empty_typeENS0_5tupleIJNS9_16discard_iteratorINS9_11use_defaultEEESH_EEENSJ_IJSM_SI_EEENS0_18inequality_wrapperINS9_8equal_toIsEEEEPmJSH_EEE10hipError_tPvRmT3_T4_T5_T6_T7_T9_mT8_P12ihipStream_tbDpT10_ENKUlT_T0_E_clISt17integral_constantIbLb0EES1C_IbLb1EEEEDaS18_S19_EUlS18_E_NS1_11comp_targetILNS1_3genE9ELNS1_11target_archE1100ELNS1_3gpuE3ELNS1_3repE0EEENS1_30default_config_static_selectorELNS0_4arch9wavefront6targetE0EEEvT1_
	.globl	_ZN7rocprim17ROCPRIM_400000_NS6detail17trampoline_kernelINS0_14default_configENS1_25partition_config_selectorILNS1_17partition_subalgoE9EsjbEEZZNS1_14partition_implILS5_9ELb0ES3_jN6thrust23THRUST_200600_302600_NS6detail15normal_iteratorINS9_10device_ptrIsEEEENSB_INSC_IjEEEEPNS0_10empty_typeENS0_5tupleIJNS9_16discard_iteratorINS9_11use_defaultEEESH_EEENSJ_IJSM_SI_EEENS0_18inequality_wrapperINS9_8equal_toIsEEEEPmJSH_EEE10hipError_tPvRmT3_T4_T5_T6_T7_T9_mT8_P12ihipStream_tbDpT10_ENKUlT_T0_E_clISt17integral_constantIbLb0EES1C_IbLb1EEEEDaS18_S19_EUlS18_E_NS1_11comp_targetILNS1_3genE9ELNS1_11target_archE1100ELNS1_3gpuE3ELNS1_3repE0EEENS1_30default_config_static_selectorELNS0_4arch9wavefront6targetE0EEEvT1_
	.p2align	8
	.type	_ZN7rocprim17ROCPRIM_400000_NS6detail17trampoline_kernelINS0_14default_configENS1_25partition_config_selectorILNS1_17partition_subalgoE9EsjbEEZZNS1_14partition_implILS5_9ELb0ES3_jN6thrust23THRUST_200600_302600_NS6detail15normal_iteratorINS9_10device_ptrIsEEEENSB_INSC_IjEEEEPNS0_10empty_typeENS0_5tupleIJNS9_16discard_iteratorINS9_11use_defaultEEESH_EEENSJ_IJSM_SI_EEENS0_18inequality_wrapperINS9_8equal_toIsEEEEPmJSH_EEE10hipError_tPvRmT3_T4_T5_T6_T7_T9_mT8_P12ihipStream_tbDpT10_ENKUlT_T0_E_clISt17integral_constantIbLb0EES1C_IbLb1EEEEDaS18_S19_EUlS18_E_NS1_11comp_targetILNS1_3genE9ELNS1_11target_archE1100ELNS1_3gpuE3ELNS1_3repE0EEENS1_30default_config_static_selectorELNS0_4arch9wavefront6targetE0EEEvT1_,@function
_ZN7rocprim17ROCPRIM_400000_NS6detail17trampoline_kernelINS0_14default_configENS1_25partition_config_selectorILNS1_17partition_subalgoE9EsjbEEZZNS1_14partition_implILS5_9ELb0ES3_jN6thrust23THRUST_200600_302600_NS6detail15normal_iteratorINS9_10device_ptrIsEEEENSB_INSC_IjEEEEPNS0_10empty_typeENS0_5tupleIJNS9_16discard_iteratorINS9_11use_defaultEEESH_EEENSJ_IJSM_SI_EEENS0_18inequality_wrapperINS9_8equal_toIsEEEEPmJSH_EEE10hipError_tPvRmT3_T4_T5_T6_T7_T9_mT8_P12ihipStream_tbDpT10_ENKUlT_T0_E_clISt17integral_constantIbLb0EES1C_IbLb1EEEEDaS18_S19_EUlS18_E_NS1_11comp_targetILNS1_3genE9ELNS1_11target_archE1100ELNS1_3gpuE3ELNS1_3repE0EEENS1_30default_config_static_selectorELNS0_4arch9wavefront6targetE0EEEvT1_: ; @_ZN7rocprim17ROCPRIM_400000_NS6detail17trampoline_kernelINS0_14default_configENS1_25partition_config_selectorILNS1_17partition_subalgoE9EsjbEEZZNS1_14partition_implILS5_9ELb0ES3_jN6thrust23THRUST_200600_302600_NS6detail15normal_iteratorINS9_10device_ptrIsEEEENSB_INSC_IjEEEEPNS0_10empty_typeENS0_5tupleIJNS9_16discard_iteratorINS9_11use_defaultEEESH_EEENSJ_IJSM_SI_EEENS0_18inequality_wrapperINS9_8equal_toIsEEEEPmJSH_EEE10hipError_tPvRmT3_T4_T5_T6_T7_T9_mT8_P12ihipStream_tbDpT10_ENKUlT_T0_E_clISt17integral_constantIbLb0EES1C_IbLb1EEEEDaS18_S19_EUlS18_E_NS1_11comp_targetILNS1_3genE9ELNS1_11target_archE1100ELNS1_3gpuE3ELNS1_3repE0EEENS1_30default_config_static_selectorELNS0_4arch9wavefront6targetE0EEEvT1_
; %bb.0:
	s_clause 0x4
	s_load_b128 s[4:7], s[0:1], 0x8
	s_load_b64 s[8:9], s[0:1], 0x18
	s_load_b64 s[10:11], s[0:1], 0x60
	s_load_b128 s[12:15], s[0:1], 0x50
	s_load_b64 s[16:17], s[0:1], 0x70
	v_cmp_ne_u32_e64 s3, 0, v0
	v_cmp_eq_u32_e64 s2, 0, v0
	s_delay_alu instid0(VALU_DEP_1)
	s_and_saveexec_b32 s18, s2
	s_cbranch_execz .LBB1203_4
; %bb.1:
	s_mov_b32 s20, exec_lo
	s_mov_b32 s19, exec_lo
	v_mbcnt_lo_u32_b32 v1, s20, 0
                                        ; implicit-def: $vgpr2
	s_delay_alu instid0(VALU_DEP_1)
	v_cmpx_eq_u32_e32 0, v1
	s_cbranch_execz .LBB1203_3
; %bb.2:
	s_load_b64 s[22:23], s[0:1], 0x80
	s_bcnt1_i32_b32 s20, s20
	s_delay_alu instid0(SALU_CYCLE_1)
	v_dual_mov_b32 v2, 0 :: v_dual_mov_b32 v3, s20
	s_waitcnt lgkmcnt(0)
	global_atomic_add_u32 v2, v2, v3, s[22:23] glc
.LBB1203_3:
	s_or_b32 exec_lo, exec_lo, s19
	s_waitcnt vmcnt(0)
	v_readfirstlane_b32 s19, v2
	s_delay_alu instid0(VALU_DEP_1)
	v_dual_mov_b32 v2, 0 :: v_dual_add_nc_u32 v1, s19, v1
	ds_store_b32 v2, v1
.LBB1203_4:
	s_or_b32 exec_lo, exec_lo, s18
	v_mov_b32_e32 v1, 0
	s_waitcnt lgkmcnt(0)
	s_barrier
	buffer_gl0_inv
	s_load_b32 s0, s[0:1], 0x78
	ds_load_b32 v2, v1
	s_waitcnt lgkmcnt(0)
	s_barrier
	buffer_gl0_inv
	global_load_b64 v[19:20], v1, s[14:15]
	s_lshl_b64 s[14:15], s[6:7], 1
	v_lshlrev_b32_e32 v9, 1, v0
	s_add_u32 s20, s4, s14
	s_addc_u32 s21, s5, s15
	s_mov_b32 s5, 0
	s_mul_i32 s1, s0, 0x580
	v_readfirstlane_b32 s15, v2
	s_add_i32 s4, s1, s6
	s_delay_alu instid0(SALU_CYCLE_1)
	s_sub_i32 s18, s10, s4
	s_add_i32 s4, s0, -1
	s_addk_i32 s18, 0x580
	s_add_u32 s0, s6, s1
	s_addc_u32 s1, s7, 0
	s_cmp_eq_u32 s15, s4
	v_cmp_ge_u64_e64 s0, s[0:1], s[10:11]
	s_cselect_b32 s14, -1, 0
	s_mul_i32 s4, s15, 0x580
	s_delay_alu instid0(VALU_DEP_1)
	s_and_b32 s19, s0, s14
	s_lshl_b64 s[0:1], s[4:5], 1
	s_xor_b32 s10, s19, -1
	s_add_u32 s11, s20, s0
	s_addc_u32 s1, s21, s1
	s_and_b32 vcc_lo, exec_lo, s10
	s_mov_b32 s20, -1
	s_cbranch_vccz .LBB1203_6
; %bb.5:
	v_add_co_u32 v1, s0, s11, v9
	s_delay_alu instid0(VALU_DEP_1)
	v_add_co_ci_u32_e64 v2, null, s1, 0, s0
	s_mov_b32 s20, s5
	s_clause 0xa
	flat_load_u16 v3, v[1:2]
	flat_load_u16 v4, v[1:2] offset:256
	flat_load_u16 v5, v[1:2] offset:512
	;; [unrolled: 1-line block ×10, first 2 shown]
	s_waitcnt vmcnt(10) lgkmcnt(10)
	ds_store_b16 v9, v3
	s_waitcnt vmcnt(9) lgkmcnt(10)
	ds_store_b16 v9, v4 offset:256
	s_waitcnt vmcnt(8) lgkmcnt(10)
	ds_store_b16 v9, v5 offset:512
	;; [unrolled: 2-line block ×10, first 2 shown]
	s_waitcnt lgkmcnt(0)
	s_barrier
.LBB1203_6:
	v_cmp_gt_u32_e64 s0, s18, v0
	s_and_not1_b32 vcc_lo, exec_lo, s20
	s_cbranch_vccnz .LBB1203_30
; %bb.7:
                                        ; implicit-def: $vgpr1_vgpr2_vgpr3_vgpr4_vgpr5_vgpr6_vgpr7_vgpr8
	s_delay_alu instid0(VALU_DEP_1)
	s_and_saveexec_b32 s20, s0
	s_cbranch_execz .LBB1203_9
; %bb.8:
	v_add_co_u32 v1, s0, s11, v9
	s_delay_alu instid0(VALU_DEP_1)
	v_add_co_ci_u32_e64 v2, null, s1, 0, s0
	flat_load_d16_b16 v1, v[1:2]
.LBB1203_9:
	s_or_b32 exec_lo, exec_lo, s20
	v_or_b32_e32 v7, 0x80, v0
	s_mov_b32 s0, exec_lo
	s_delay_alu instid0(VALU_DEP_1)
	v_cmpx_gt_u32_e64 s18, v7
	s_cbranch_execz .LBB1203_11
; %bb.10:
	v_add_co_u32 v7, s20, s11, v9
	s_delay_alu instid0(VALU_DEP_1)
	v_add_co_ci_u32_e64 v8, null, s1, 0, s20
	s_waitcnt vmcnt(0) lgkmcnt(0)
	flat_load_d16_hi_b16 v1, v[7:8] offset:256
.LBB1203_11:
	s_or_b32 exec_lo, exec_lo, s0
	v_or_b32_e32 v7, 0x100, v0
	s_mov_b32 s0, exec_lo
	s_delay_alu instid0(VALU_DEP_1)
	v_cmpx_gt_u32_e64 s18, v7
	s_cbranch_execz .LBB1203_13
; %bb.12:
	v_add_co_u32 v7, s20, s11, v9
	s_delay_alu instid0(VALU_DEP_1)
	v_add_co_ci_u32_e64 v8, null, s1, 0, s20
	flat_load_d16_b16 v2, v[7:8] offset:512
.LBB1203_13:
	s_or_b32 exec_lo, exec_lo, s0
	v_or_b32_e32 v7, 0x180, v0
	s_mov_b32 s0, exec_lo
	s_delay_alu instid0(VALU_DEP_1)
	v_cmpx_gt_u32_e64 s18, v7
	s_cbranch_execz .LBB1203_15
; %bb.14:
	v_add_co_u32 v7, s20, s11, v9
	s_delay_alu instid0(VALU_DEP_1)
	v_add_co_ci_u32_e64 v8, null, s1, 0, s20
	s_waitcnt vmcnt(0) lgkmcnt(0)
	flat_load_d16_hi_b16 v2, v[7:8] offset:768
.LBB1203_15:
	s_or_b32 exec_lo, exec_lo, s0
	v_or_b32_e32 v7, 0x200, v0
	s_mov_b32 s0, exec_lo
	s_delay_alu instid0(VALU_DEP_1)
	v_cmpx_gt_u32_e64 s18, v7
	s_cbranch_execz .LBB1203_17
; %bb.16:
	v_add_co_u32 v7, s20, s11, v9
	s_delay_alu instid0(VALU_DEP_1)
	v_add_co_ci_u32_e64 v8, null, s1, 0, s20
	flat_load_d16_b16 v3, v[7:8] offset:1024
.LBB1203_17:
	;; [unrolled: 25-line block ×5, first 2 shown]
	s_or_b32 exec_lo, exec_lo, s0
	s_waitcnt vmcnt(0) lgkmcnt(0)
	ds_store_b16 v9, v1
	ds_store_b16_d16_hi v9, v1 offset:256
	ds_store_b16 v9, v2 offset:512
	ds_store_b16_d16_hi v9, v2 offset:768
	ds_store_b16 v9, v3 offset:1024
	ds_store_b16_d16_hi v9, v3 offset:1280
	ds_store_b16 v9, v4 offset:1536
	ds_store_b16_d16_hi v9, v4 offset:1792
	ds_store_b16 v9, v5 offset:2048
	ds_store_b16_d16_hi v9, v5 offset:2304
	ds_store_b16 v9, v6 offset:2560
	s_waitcnt lgkmcnt(0)
	s_barrier
.LBB1203_30:
	v_mul_u32_u24_e32 v1, 11, v0
	s_waitcnt vmcnt(0)
	buffer_gl0_inv
	s_lshl_b64 s[20:21], s[6:7], 2
	s_delay_alu instid0(SALU_CYCLE_1)
	s_add_u32 s0, s8, s20
	v_lshlrev_b32_e32 v2, 1, v1
	s_addc_u32 s8, s9, s21
	s_lshl_b64 s[4:5], s[4:5], 2
	ds_load_b128 v[12:15], v2
	ds_load_u16 v37, v2 offset:16
	ds_load_u16 v36, v2 offset:18
	;; [unrolled: 1-line block ×3, first 2 shown]
	s_add_u32 s0, s0, s4
	s_addc_u32 s4, s8, s5
	s_and_b32 vcc_lo, exec_lo, s10
	s_mov_b32 s5, -1
	s_waitcnt lgkmcnt(0)
	s_barrier
	buffer_gl0_inv
	s_cbranch_vccz .LBB1203_32
; %bb.31:
	v_lshlrev_b32_e32 v7, 2, v0
	s_delay_alu instid0(VALU_DEP_1) | instskip(NEXT) | instid1(VALU_DEP_1)
	v_add_co_u32 v3, s5, s0, v7
	v_add_co_ci_u32_e64 v4, null, s4, 0, s5
	s_mov_b32 s5, 0
	s_delay_alu instid0(VALU_DEP_2) | instskip(NEXT) | instid1(VALU_DEP_2)
	v_add_co_u32 v5, vcc_lo, 0x1000, v3
	v_add_co_ci_u32_e32 v6, vcc_lo, 0, v4, vcc_lo
	s_clause 0xa
	flat_load_b32 v8, v[3:4]
	flat_load_b32 v10, v[3:4] offset:512
	flat_load_b32 v11, v[3:4] offset:1024
	;; [unrolled: 1-line block ×7, first 2 shown]
	flat_load_b32 v4, v[5:6]
	flat_load_b32 v22, v[5:6] offset:512
	flat_load_b32 v5, v[5:6] offset:1024
	s_waitcnt vmcnt(9) lgkmcnt(9)
	ds_store_2addr_stride64_b32 v7, v8, v10 offset1:2
	s_waitcnt vmcnt(7) lgkmcnt(8)
	ds_store_2addr_stride64_b32 v7, v11, v16 offset0:4 offset1:6
	s_waitcnt vmcnt(5) lgkmcnt(7)
	ds_store_2addr_stride64_b32 v7, v17, v18 offset0:8 offset1:10
	;; [unrolled: 2-line block ×4, first 2 shown]
	s_waitcnt vmcnt(0) lgkmcnt(5)
	ds_store_b32 v7, v5 offset:5120
	s_waitcnt lgkmcnt(0)
	s_barrier
.LBB1203_32:
	s_and_not1_b32 vcc_lo, exec_lo, s5
	s_cbranch_vccnz .LBB1203_56
; %bb.33:
	s_mov_b32 s5, exec_lo
                                        ; implicit-def: $vgpr3
	v_cmpx_gt_u32_e64 s18, v0
	s_cbranch_execz .LBB1203_35
; %bb.34:
	v_lshlrev_b32_e32 v3, 2, v0
	s_delay_alu instid0(VALU_DEP_1) | instskip(NEXT) | instid1(VALU_DEP_1)
	v_add_co_u32 v3, s8, s0, v3
	v_add_co_ci_u32_e64 v4, null, s4, 0, s8
	flat_load_b32 v3, v[3:4]
.LBB1203_35:
	s_or_b32 exec_lo, exec_lo, s5
	v_or_b32_e32 v4, 0x80, v0
	s_delay_alu instid0(VALU_DEP_1)
	v_cmp_gt_u32_e32 vcc_lo, s18, v4
                                        ; implicit-def: $vgpr4
	s_and_saveexec_b32 s5, vcc_lo
	s_cbranch_execz .LBB1203_37
; %bb.36:
	v_lshlrev_b32_e32 v4, 2, v0
	s_delay_alu instid0(VALU_DEP_1) | instskip(NEXT) | instid1(VALU_DEP_1)
	v_add_co_u32 v4, s8, s0, v4
	v_add_co_ci_u32_e64 v5, null, s4, 0, s8
	flat_load_b32 v4, v[4:5] offset:512
.LBB1203_37:
	s_or_b32 exec_lo, exec_lo, s5
	v_or_b32_e32 v5, 0x100, v0
	s_delay_alu instid0(VALU_DEP_1)
	v_cmp_gt_u32_e32 vcc_lo, s18, v5
                                        ; implicit-def: $vgpr5
	s_and_saveexec_b32 s5, vcc_lo
	s_cbranch_execz .LBB1203_39
; %bb.38:
	v_lshlrev_b32_e32 v5, 2, v0
	s_delay_alu instid0(VALU_DEP_1) | instskip(NEXT) | instid1(VALU_DEP_1)
	v_add_co_u32 v5, s8, s0, v5
	v_add_co_ci_u32_e64 v6, null, s4, 0, s8
	flat_load_b32 v5, v[5:6] offset:1024
.LBB1203_39:
	s_or_b32 exec_lo, exec_lo, s5
	v_or_b32_e32 v6, 0x180, v0
	s_delay_alu instid0(VALU_DEP_1)
	v_cmp_gt_u32_e32 vcc_lo, s18, v6
                                        ; implicit-def: $vgpr6
	s_and_saveexec_b32 s5, vcc_lo
	s_cbranch_execz .LBB1203_41
; %bb.40:
	v_lshlrev_b32_e32 v6, 2, v0
	s_delay_alu instid0(VALU_DEP_1) | instskip(NEXT) | instid1(VALU_DEP_1)
	v_add_co_u32 v6, s8, s0, v6
	v_add_co_ci_u32_e64 v7, null, s4, 0, s8
	flat_load_b32 v6, v[6:7] offset:1536
.LBB1203_41:
	s_or_b32 exec_lo, exec_lo, s5
	v_or_b32_e32 v7, 0x200, v0
	s_delay_alu instid0(VALU_DEP_1)
	v_cmp_gt_u32_e32 vcc_lo, s18, v7
                                        ; implicit-def: $vgpr7
	s_and_saveexec_b32 s5, vcc_lo
	s_cbranch_execz .LBB1203_43
; %bb.42:
	v_lshlrev_b32_e32 v7, 2, v0
	s_delay_alu instid0(VALU_DEP_1) | instskip(NEXT) | instid1(VALU_DEP_1)
	v_add_co_u32 v7, s8, s0, v7
	v_add_co_ci_u32_e64 v8, null, s4, 0, s8
	flat_load_b32 v7, v[7:8] offset:2048
.LBB1203_43:
	s_or_b32 exec_lo, exec_lo, s5
	v_or_b32_e32 v8, 0x280, v0
	s_delay_alu instid0(VALU_DEP_1)
	v_cmp_gt_u32_e32 vcc_lo, s18, v8
                                        ; implicit-def: $vgpr8
	s_and_saveexec_b32 s5, vcc_lo
	s_cbranch_execz .LBB1203_45
; %bb.44:
	v_lshlrev_b32_e32 v8, 2, v0
	s_delay_alu instid0(VALU_DEP_1) | instskip(NEXT) | instid1(VALU_DEP_1)
	v_add_co_u32 v10, s8, s0, v8
	v_add_co_ci_u32_e64 v11, null, s4, 0, s8
	flat_load_b32 v8, v[10:11] offset:2560
.LBB1203_45:
	s_or_b32 exec_lo, exec_lo, s5
	v_or_b32_e32 v10, 0x300, v0
	s_delay_alu instid0(VALU_DEP_1)
	v_cmp_gt_u32_e32 vcc_lo, s18, v10
                                        ; implicit-def: $vgpr10
	s_and_saveexec_b32 s5, vcc_lo
	s_cbranch_execz .LBB1203_47
; %bb.46:
	v_lshlrev_b32_e32 v10, 2, v0
	s_delay_alu instid0(VALU_DEP_1) | instskip(NEXT) | instid1(VALU_DEP_1)
	v_add_co_u32 v10, s8, s0, v10
	v_add_co_ci_u32_e64 v11, null, s4, 0, s8
	flat_load_b32 v10, v[10:11] offset:3072
.LBB1203_47:
	s_or_b32 exec_lo, exec_lo, s5
	v_or_b32_e32 v11, 0x380, v0
	s_delay_alu instid0(VALU_DEP_1)
	v_cmp_gt_u32_e32 vcc_lo, s18, v11
                                        ; implicit-def: $vgpr11
	s_and_saveexec_b32 s5, vcc_lo
	s_cbranch_execz .LBB1203_49
; %bb.48:
	v_lshlrev_b32_e32 v11, 2, v0
	s_delay_alu instid0(VALU_DEP_1) | instskip(NEXT) | instid1(VALU_DEP_1)
	v_add_co_u32 v16, s8, s0, v11
	v_add_co_ci_u32_e64 v17, null, s4, 0, s8
	flat_load_b32 v11, v[16:17] offset:3584
.LBB1203_49:
	s_or_b32 exec_lo, exec_lo, s5
	v_or_b32_e32 v17, 0x400, v0
	s_mov_b32 s5, exec_lo
                                        ; implicit-def: $vgpr16
	s_delay_alu instid0(VALU_DEP_1)
	v_cmpx_gt_u32_e64 s18, v17
	s_cbranch_execz .LBB1203_51
; %bb.50:
	v_lshlrev_b32_e32 v16, 2, v17
	s_delay_alu instid0(VALU_DEP_1) | instskip(NEXT) | instid1(VALU_DEP_1)
	v_add_co_u32 v16, s8, s0, v16
	v_add_co_ci_u32_e64 v17, null, s4, 0, s8
	flat_load_b32 v16, v[16:17]
.LBB1203_51:
	s_or_b32 exec_lo, exec_lo, s5
	v_or_b32_e32 v18, 0x480, v0
	s_mov_b32 s5, exec_lo
                                        ; implicit-def: $vgpr17
	s_delay_alu instid0(VALU_DEP_1)
	v_cmpx_gt_u32_e64 s18, v18
	s_cbranch_execz .LBB1203_53
; %bb.52:
	v_lshlrev_b32_e32 v17, 2, v18
	s_delay_alu instid0(VALU_DEP_1) | instskip(NEXT) | instid1(VALU_DEP_1)
	v_add_co_u32 v17, s8, s0, v17
	v_add_co_ci_u32_e64 v18, null, s4, 0, s8
	flat_load_b32 v17, v[17:18]
.LBB1203_53:
	s_or_b32 exec_lo, exec_lo, s5
	v_or_b32_e32 v21, 0x500, v0
	s_mov_b32 s5, exec_lo
                                        ; implicit-def: $vgpr18
	s_delay_alu instid0(VALU_DEP_1)
	v_cmpx_gt_u32_e64 s18, v21
	s_cbranch_execz .LBB1203_55
; %bb.54:
	v_lshlrev_b32_e32 v18, 2, v21
	s_delay_alu instid0(VALU_DEP_1) | instskip(NEXT) | instid1(VALU_DEP_1)
	v_add_co_u32 v21, s0, s0, v18
	v_add_co_ci_u32_e64 v22, null, s4, 0, s0
	flat_load_b32 v18, v[21:22]
.LBB1203_55:
	s_or_b32 exec_lo, exec_lo, s5
	v_mad_i32_i24 v2, 0xffffffee, v0, v2
	s_waitcnt vmcnt(0) lgkmcnt(0)
	ds_store_2addr_stride64_b32 v2, v3, v4 offset1:2
	ds_store_2addr_stride64_b32 v2, v5, v6 offset0:4 offset1:6
	ds_store_2addr_stride64_b32 v2, v7, v8 offset0:8 offset1:10
	;; [unrolled: 1-line block ×4, first 2 shown]
	ds_store_b32 v2, v18 offset:5120
	s_waitcnt lgkmcnt(0)
	s_barrier
.LBB1203_56:
	v_lshlrev_b32_e32 v43, 2, v1
	buffer_gl0_inv
	s_cmp_lg_u32 s15, 0
	v_lshrrev_b32_e32 v42, 16, v12
	s_cselect_b32 s20, -1, 0
	ds_load_2addr_b32 v[29:30], v43 offset1:1
	ds_load_2addr_b32 v[27:28], v43 offset0:2 offset1:3
	ds_load_2addr_b32 v[25:26], v43 offset0:4 offset1:5
	;; [unrolled: 1-line block ×4, first 2 shown]
	ds_load_b32 v38, v43 offset:40
	s_cmp_lg_u64 s[6:7], 0
	v_lshrrev_b32_e32 v41, 16, v13
	s_cselect_b32 s0, -1, 0
	v_lshrrev_b32_e32 v40, 16, v14
	v_lshrrev_b32_e32 v39, 16, v15
	v_add_nc_u32_e32 v5, 1, v1
	v_add_nc_u32_e32 v6, 2, v1
	;; [unrolled: 1-line block ×10, first 2 shown]
	s_or_b32 s0, s0, s20
	s_mov_b32 s21, 0
	s_and_b32 vcc_lo, exec_lo, s0
	s_waitcnt lgkmcnt(0)
	s_barrier
	buffer_gl0_inv
	s_cbranch_vccz .LBB1203_61
; %bb.57:
	v_add_co_u32 v16, s0, -2, s11
	s_delay_alu instid0(VALU_DEP_1)
	v_add_co_ci_u32_e64 v17, null, -1, s1, s0
	s_mov_b32 s1, -1
	s_and_b32 vcc_lo, exec_lo, s10
	flat_load_u16 v16, v[16:17]
	ds_store_b16 v9, v35
	s_cbranch_vccz .LBB1203_63
; %bb.58:
	s_waitcnt vmcnt(0) lgkmcnt(1)
	v_mov_b32_e32 v17, v16
	s_waitcnt lgkmcnt(0)
	s_barrier
	buffer_gl0_inv
	s_and_saveexec_b32 s0, s3
	s_cbranch_execz .LBB1203_60
; %bb.59:
	v_add_nc_u32_e32 v17, -2, v9
	ds_load_u16 v17, v17
.LBB1203_60:
	s_or_b32 exec_lo, exec_lo, s0
	v_cmp_ne_u16_e32 vcc_lo, v15, v39
	s_waitcnt lgkmcnt(0)
	v_cmp_ne_u16_e64 s0, v17, v12
	v_cndmask_b32_e64 v18, 0, 1, vcc_lo
	v_cmp_ne_u16_e32 vcc_lo, v40, v15
	s_delay_alu instid0(VALU_DEP_2) | instskip(SKIP_2) | instid1(VALU_DEP_2)
	v_lshlrev_b16 v18, 8, v18
	v_cndmask_b32_e64 v31, 0, 1, vcc_lo
	v_cmp_ne_u16_e32 vcc_lo, v14, v40
	v_or_b32_e32 v18, v31, v18
	v_cndmask_b32_e64 v32, 0, 1, vcc_lo
	v_cmp_ne_u16_e32 vcc_lo, v41, v14
	s_delay_alu instid0(VALU_DEP_3) | instskip(NEXT) | instid1(VALU_DEP_3)
	v_lshlrev_b32_e32 v18, 16, v18
	v_lshlrev_b16 v32, 8, v32
	v_cndmask_b32_e64 v34, 0, 1, vcc_lo
	v_cmp_ne_u16_e32 vcc_lo, v13, v41
	s_delay_alu instid0(VALU_DEP_2) | instskip(SKIP_2) | instid1(VALU_DEP_3)
	v_or_b32_e32 v32, v34, v32
	v_cndmask_b32_e64 v44, 0, 1, vcc_lo
	v_cmp_ne_u16_e32 vcc_lo, v42, v13
	v_and_b32_e32 v32, 0xffff, v32
	s_delay_alu instid0(VALU_DEP_3) | instskip(SKIP_2) | instid1(VALU_DEP_4)
	v_lshlrev_b16 v44, 8, v44
	v_cndmask_b32_e64 v46, 0, 1, vcc_lo
	v_cmp_ne_u16_e32 vcc_lo, v12, v42
	v_or_b32_e32 v32, v32, v18
	s_delay_alu instid0(VALU_DEP_3) | instskip(SKIP_2) | instid1(VALU_DEP_3)
	v_or_b32_e32 v44, v46, v44
	v_cndmask_b32_e64 v47, 0, 1, vcc_lo
	v_cmp_ne_u16_e32 vcc_lo, v36, v35
	v_lshlrev_b32_e32 v31, 16, v44
	s_delay_alu instid0(VALU_DEP_3) | instskip(SKIP_2) | instid1(VALU_DEP_3)
	v_lshlrev_b16 v46, 8, v47
	v_cndmask_b32_e64 v45, 0, 1, vcc_lo
	v_cmp_ne_u16_e32 vcc_lo, v37, v36
	v_and_b32_e32 v46, 0xffff, v46
	v_cndmask_b32_e64 v34, 0, 1, vcc_lo
	v_cmp_ne_u16_e32 vcc_lo, v39, v37
	s_delay_alu instid0(VALU_DEP_3)
	v_or_b32_e32 v31, v46, v31
	v_cndmask_b32_e64 v44, 0, 1, vcc_lo
	s_branch .LBB1203_67
.LBB1203_61:
                                        ; implicit-def: $sgpr0
                                        ; implicit-def: $vgpr45
                                        ; implicit-def: $vgpr34
                                        ; implicit-def: $vgpr44
                                        ; implicit-def: $vgpr32
	s_branch .LBB1203_68
.LBB1203_62:
                                        ; implicit-def: $vgpr16_vgpr17_vgpr18
	s_and_saveexec_b32 s1, s21
	s_cbranch_execnz .LBB1203_76
	s_branch .LBB1203_77
.LBB1203_63:
                                        ; implicit-def: $sgpr0
                                        ; implicit-def: $vgpr45
                                        ; implicit-def: $vgpr34
                                        ; implicit-def: $vgpr44
                                        ; implicit-def: $vgpr32
	s_and_b32 vcc_lo, exec_lo, s1
	s_cbranch_vccz .LBB1203_67
; %bb.64:
	s_waitcnt vmcnt(0) lgkmcnt(0)
	s_barrier
	buffer_gl0_inv
	s_and_saveexec_b32 s0, s3
	s_cbranch_execz .LBB1203_66
; %bb.65:
	v_add_nc_u32_e32 v9, -2, v9
	ds_load_u16 v16, v9
.LBB1203_66:
	s_or_b32 exec_lo, exec_lo, s0
	v_cmp_gt_u32_e32 vcc_lo, s18, v10
	v_cmp_ne_u16_e64 s0, v36, v35
	v_cmp_gt_u32_e64 s1, s18, v11
	v_cmp_ne_u16_e64 s4, v37, v36
	v_cmp_gt_u32_e64 s5, s18, v5
	v_cmp_ne_u16_e64 s6, v12, v42
	s_and_b32 s0, vcc_lo, s0
	v_cmp_gt_u32_e32 vcc_lo, s18, v2
	v_cndmask_b32_e64 v45, 0, 1, s0
	v_cmp_ne_u16_e64 s0, v15, v39
	s_and_b32 s1, s1, s4
	v_cmp_ne_u16_e64 s4, v40, v15
	v_cndmask_b32_e64 v34, 0, 1, s1
	v_cmp_gt_u32_e64 s1, s18, v4
	s_and_b32 s0, vcc_lo, s0
	v_cmp_gt_u32_e32 vcc_lo, s18, v7
	v_cndmask_b32_e64 v9, 0, 1, s0
	v_cmp_ne_u16_e64 s0, v14, v40
	s_and_b32 s1, s1, s4
	v_cmp_ne_u16_e64 s4, v13, v41
	v_cndmask_b32_e64 v17, 0, 1, s1
	v_cmp_gt_u32_e64 s1, s18, v3
	;; [unrolled: 8-line block ×3, first 2 shown]
	s_and_b32 s0, vcc_lo, s0
	v_lshlrev_b16 v18, 8, v18
	v_cndmask_b32_e64 v32, 0, 1, s0
	v_lshlrev_b16 v31, 8, v31
	s_and_b32 s0, s1, s4
	v_lshlrev_b16 v9, 8, v9
	v_cndmask_b32_e64 v44, 0, 1, s0
	s_and_b32 s0, s5, s6
	v_or_b32_e32 v18, v32, v18
	v_cndmask_b32_e64 v46, 0, 1, s0
	v_or_b32_e32 v9, v17, v9
	v_or_b32_e32 v31, v44, v31
	v_cmp_gt_u32_e32 vcc_lo, s18, v33
	v_cmp_ne_u16_e64 s0, v39, v37
	v_lshlrev_b16 v44, 8, v46
	v_and_b32_e32 v18, 0xffff, v18
	v_lshlrev_b32_e32 v17, 16, v31
	v_lshlrev_b32_e32 v9, 16, v9
	s_and_b32 s0, vcc_lo, s0
	v_and_b32_e32 v31, 0xffff, v44
	v_cndmask_b32_e64 v44, 0, 1, s0
	v_cmp_gt_u32_e32 vcc_lo, s18, v1
	s_waitcnt lgkmcnt(0)
	v_cmp_ne_u16_e64 s0, v16, v12
	v_or_b32_e32 v32, v18, v9
	v_or_b32_e32 v31, v31, v17
	s_delay_alu instid0(VALU_DEP_3)
	s_and_b32 s0, vcc_lo, s0
.LBB1203_67:
	s_mov_b32 s21, -1
	s_cbranch_execnz .LBB1203_62
.LBB1203_68:
	v_mad_i32_i24 v9, 0xffffffd6, v0, v43
	s_and_b32 vcc_lo, exec_lo, s10
	v_cmp_ne_u16_e64 s0, v36, v35
	v_cmp_ne_u16_e64 s9, v37, v36
	;; [unrolled: 1-line block ×10, first 2 shown]
	ds_store_b16 v9, v35
	s_cbranch_vccz .LBB1203_72
; %bb.69:
	s_waitcnt vmcnt(0) lgkmcnt(2)
	v_cndmask_b32_e64 v16, 0, 1, s11
	v_cndmask_b32_e64 v34, 0, 1, s9
	;; [unrolled: 1-line block ×5, first 2 shown]
	v_lshlrev_b16 v16, 8, v16
	v_cndmask_b32_e64 v46, 0, 1, s4
	v_cndmask_b32_e64 v44, 0, 1, s10
	;; [unrolled: 1-line block ×4, first 2 shown]
	v_lshlrev_b16 v17, 8, v17
	v_lshlrev_b16 v47, 8, v34
	v_or_b32_e32 v16, v31, v16
	v_lshlrev_b16 v31, 8, v32
	v_lshlrev_b16 v32, 8, v46
	v_or_b32_e32 v17, v18, v17
	v_or_b32_e32 v18, v44, v47
	v_and_b32_e32 v16, 0xffff, v16
	v_or_b32_e32 v31, v45, v31
	v_or_b32_e32 v32, 1, v32
	v_lshlrev_b32_e32 v17, 16, v17
	v_and_b32_e32 v18, 0xffff, v18
	v_cndmask_b32_e64 v45, 0, 1, s0
	v_lshlrev_b32_e32 v31, 16, v31
	v_and_b32_e32 v46, 0xffff, v32
	v_or_b32_e32 v32, v16, v17
	s_waitcnt lgkmcnt(0)
	v_lshl_or_b32 v18, v45, 16, v18
	s_barrier
	v_or_b32_e32 v31, v46, v31
	buffer_gl0_inv
                                        ; implicit-def: $sgpr0
	s_and_saveexec_b32 s1, s3
	s_delay_alu instid0(SALU_CYCLE_1)
	s_xor_b32 s1, exec_lo, s1
	s_cbranch_execz .LBB1203_71
; %bb.70:
	v_add_nc_u32_e32 v16, -2, v9
	s_or_b32 s21, s21, exec_lo
	ds_load_u16 v16, v16
	s_waitcnt lgkmcnt(0)
	v_cmp_ne_u16_e32 vcc_lo, v16, v12
                                        ; implicit-def: $vgpr16_vgpr17_vgpr18
	s_and_b32 s0, vcc_lo, exec_lo
.LBB1203_71:
	s_or_b32 exec_lo, exec_lo, s1
	s_branch .LBB1203_75
.LBB1203_72:
                                        ; implicit-def: $sgpr0
                                        ; implicit-def: $vgpr45
                                        ; implicit-def: $vgpr34
                                        ; implicit-def: $vgpr44
                                        ; implicit-def: $vgpr32
                                        ; implicit-def: $vgpr16_vgpr17_vgpr18
	s_cbranch_execz .LBB1203_75
; %bb.73:
	v_cmp_gt_u32_e32 vcc_lo, s18, v11
	v_cmp_ne_u16_e64 s0, v37, v36
	v_cmp_gt_u32_e64 s5, s18, v33
	v_cmp_ne_u16_e64 s6, v39, v37
	v_cmp_gt_u32_e64 s1, s18, v10
	v_cmp_ne_u16_e64 s4, v36, v35
	s_and_b32 s0, vcc_lo, s0
	v_cmp_gt_u32_e32 vcc_lo, s18, v2
	v_cndmask_b32_e64 v34, 0, 1, s0
	v_cmp_ne_u16_e64 s0, v15, v39
	s_and_b32 s5, s5, s6
	v_cmp_ne_u16_e64 s6, v40, v15
	v_cndmask_b32_e64 v44, 0, 1, s5
	v_cmp_gt_u32_e64 s5, s18, v4
	s_and_b32 s0, vcc_lo, s0
	v_cmp_gt_u32_e32 vcc_lo, s18, v7
	s_waitcnt vmcnt(0) lgkmcnt(2)
	v_cndmask_b32_e64 v16, 0, 1, s0
	v_cmp_ne_u16_e64 s0, v14, v40
	s_and_b32 s5, s5, s6
	v_cmp_ne_u16_e64 s6, v41, v14
	v_cndmask_b32_e64 v17, 0, 1, s5
	v_cmp_gt_u32_e64 s5, s18, v8
	s_and_b32 s0, vcc_lo, s0
	v_cmp_gt_u32_e32 vcc_lo, s18, v3
	v_cndmask_b32_e64 v18, 0, 1, s0
	v_cmp_ne_u16_e64 s0, v13, v41
	s_and_b32 s5, s5, s6
	v_cmp_ne_u16_e64 s6, v42, v13
	v_cndmask_b32_e64 v31, 0, 1, s5
	v_cmp_gt_u32_e64 s5, s18, v6
	s_and_b32 s0, vcc_lo, s0
	v_cmp_gt_u32_e32 vcc_lo, s18, v5
	v_cndmask_b32_e64 v32, 0, 1, s0
	v_cmp_ne_u16_e64 s0, v12, v42
	v_lshlrev_b16 v18, 8, v18
	v_lshlrev_b16 v16, 8, v16
	s_and_b32 s5, s5, s6
	v_lshlrev_b16 v47, 8, v34
	s_and_b32 s0, vcc_lo, s0
	v_cndmask_b32_e64 v45, 0, 1, s5
	v_cndmask_b32_e64 v46, 0, 1, s0
	v_or_b32_e32 v18, v31, v18
	v_or_b32_e32 v16, v17, v16
	v_lshlrev_b16 v17, 8, v32
	v_or_b32_e32 v32, v44, v47
	v_lshlrev_b16 v31, 8, v46
	s_and_b32 s0, s1, s4
	v_and_b32_e32 v18, 0xffff, v18
	v_or_b32_e32 v17, v45, v17
	v_lshlrev_b32_e32 v16, 16, v16
	v_or_b32_e32 v31, 1, v31
	v_and_b32_e32 v46, 0xffff, v32
	v_cndmask_b32_e64 v45, 0, 1, s0
	v_lshlrev_b32_e32 v17, 16, v17
	v_or_b32_e32 v32, v18, v16
	v_and_b32_e32 v31, 0xffff, v31
	s_waitcnt lgkmcnt(0)
	v_lshl_or_b32 v18, v45, 16, v46
	s_barrier
	buffer_gl0_inv
	v_or_b32_e32 v31, v31, v17
                                        ; implicit-def: $sgpr0
	s_and_saveexec_b32 s1, s3
	s_cbranch_execz .LBB1203_166
; %bb.74:
	v_add_nc_u32_e32 v9, -2, v9
	v_cmp_gt_u32_e32 vcc_lo, s18, v1
	s_or_b32 s21, s21, exec_lo
                                        ; implicit-def: $vgpr16_vgpr17_vgpr18
	ds_load_u16 v9, v9
	s_waitcnt lgkmcnt(0)
	v_cmp_ne_u16_e64 s0, v9, v12
	s_delay_alu instid0(VALU_DEP_1) | instskip(NEXT) | instid1(SALU_CYCLE_1)
	s_and_b32 s0, vcc_lo, s0
	s_and_b32 s0, s0, exec_lo
	s_or_b32 exec_lo, exec_lo, s1
.LBB1203_75:
	s_and_saveexec_b32 s1, s21
	s_cbranch_execz .LBB1203_77
.LBB1203_76:
	s_waitcnt vmcnt(0) lgkmcnt(1)
	v_lshrrev_b32_e32 v16, 24, v31
	v_lshrrev_b32_e32 v17, 16, v31
	;; [unrolled: 1-line block ×3, first 2 shown]
	v_cndmask_b32_e64 v9, 0, 1, s0
	v_lshlrev_b16 v31, 8, v34
	v_and_b32_e32 v34, 0xff, v44
	v_lshlrev_b16 v16, 8, v16
	v_and_b32_e32 v17, 0xff, v17
	;; [unrolled: 2-line block ×3, first 2 shown]
	v_or_b32_e32 v31, v34, v31
	s_delay_alu instid0(VALU_DEP_4) | instskip(NEXT) | instid1(VALU_DEP_4)
	v_or_b32_e32 v16, v17, v16
	v_or_b32_e32 v9, v9, v18
	s_delay_alu instid0(VALU_DEP_4) | instskip(NEXT) | instid1(VALU_DEP_4)
	v_lshlrev_b32_e32 v17, 16, v44
	v_and_b32_e32 v18, 0xffff, v31
	s_delay_alu instid0(VALU_DEP_4) | instskip(NEXT) | instid1(VALU_DEP_4)
	v_lshlrev_b32_e32 v16, 16, v16
	v_and_b32_e32 v9, 0xffff, v9
	s_delay_alu instid0(VALU_DEP_3) | instskip(NEXT) | instid1(VALU_DEP_2)
	v_or_b32_e32 v18, v18, v17
	v_or_b32_e32 v31, v9, v16
.LBB1203_77:
	s_or_b32 exec_lo, exec_lo, s1
	s_delay_alu instid0(SALU_CYCLE_1)
	s_and_not1_b32 vcc_lo, exec_lo, s19
	s_cbranch_vccnz .LBB1203_79
; %bb.78:
	v_cmp_gt_u32_e32 vcc_lo, s18, v1
	v_cmp_gt_u32_e64 s0, s18, v5
	v_and_b32_e32 v5, 0xffffff00, v32
	v_cmp_gt_u32_e64 s3, s18, v6
	v_cmp_gt_u32_e64 s5, s18, v3
	v_cndmask_b32_e32 v1, 0, v31, vcc_lo
	v_cmp_gt_u32_e32 vcc_lo, s18, v33
	v_cmp_gt_u32_e64 s1, s18, v11
	v_cmp_gt_u32_e64 s4, s18, v10
	s_delay_alu instid0(VALU_DEP_4) | instskip(NEXT) | instid1(VALU_DEP_1)
	v_and_b32_e32 v1, 0xff, v1
	v_cndmask_b32_e64 v1, v1, v31, s0
	v_cmp_gt_u32_e64 s0, s18, v8
	s_delay_alu instid0(VALU_DEP_2) | instskip(NEXT) | instid1(VALU_DEP_2)
	v_and_b32_e32 v1, 0xffff, v1
	v_cndmask_b32_e64 v5, v5, v32, s0
	s_delay_alu instid0(VALU_DEP_2) | instskip(NEXT) | instid1(VALU_DEP_2)
	v_cndmask_b32_e64 v1, v1, v31, s3
	v_and_b32_e32 v5, 0xffff00ff, v5
	v_cmp_gt_u32_e64 s3, s18, v7
	s_delay_alu instid0(VALU_DEP_3) | instskip(NEXT) | instid1(VALU_DEP_2)
	v_and_b32_e32 v1, 0xffffff, v1
	v_cndmask_b32_e64 v5, v5, v32, s3
	s_delay_alu instid0(VALU_DEP_2) | instskip(NEXT) | instid1(VALU_DEP_2)
	v_cndmask_b32_e64 v1, v1, v31, s5
	v_and_b32_e32 v3, 0xff00ffff, v5
	s_delay_alu instid0(VALU_DEP_2) | instskip(SKIP_1) | instid1(VALU_DEP_2)
	v_cndmask_b32_e64 v1, v1, v31, s0
	v_cmp_gt_u32_e64 s0, s18, v4
	v_cndmask_b32_e64 v1, v1, v31, s3
	s_delay_alu instid0(VALU_DEP_2) | instskip(SKIP_1) | instid1(VALU_DEP_3)
	v_cndmask_b32_e64 v3, v3, v32, s0
	v_cmp_gt_u32_e64 s3, s18, v2
	v_cndmask_b32_e64 v1, v1, v31, s0
	s_delay_alu instid0(VALU_DEP_3) | instskip(SKIP_1) | instid1(VALU_DEP_1)
	v_and_b32_e32 v2, 0xffffff, v3
	v_and_b32_e32 v9, 0xff000000, v18
	v_cndmask_b32_e32 v9, v9, v18, vcc_lo
	s_delay_alu instid0(VALU_DEP_1) | instskip(NEXT) | instid1(VALU_DEP_1)
	v_and_b32_e32 v9, 0xff0000ff, v9
	v_cndmask_b32_e64 v8, v9, v18, s1
	s_or_b32 s1, s4, s1
	s_delay_alu instid0(SALU_CYCLE_1) | instskip(NEXT) | instid1(VALU_DEP_1)
	s_or_b32 s0, s1, vcc_lo
	v_and_b32_e32 v6, 0xff00ffff, v8
	s_or_b32 vcc_lo, s0, s3
	v_dual_cndmask_b32 v32, v2, v32 :: v_dual_cndmask_b32 v1, v1, v31
	s_delay_alu instid0(VALU_DEP_2) | instskip(NEXT) | instid1(VALU_DEP_2)
	v_cndmask_b32_e64 v6, v6, v18, s4
	v_perm_b32 v31, v1, v1, 0x3020104
	s_delay_alu instid0(VALU_DEP_2) | instskip(SKIP_1) | instid1(VALU_DEP_2)
	v_lshrrev_b32_e32 v5, 8, v6
	v_and_b32_e32 v4, 0xff, v6
	v_lshlrev_b16 v5, 8, v5
	s_delay_alu instid0(VALU_DEP_1) | instskip(NEXT) | instid1(VALU_DEP_1)
	v_or_b32_e32 v3, v4, v5
	v_and_b32_e32 v2, 0xffff, v3
	s_delay_alu instid0(VALU_DEP_1)
	v_and_or_b32 v18, 0xff0000, v6, v2
.LBB1203_79:
	s_delay_alu instid0(VALU_DEP_1)
	v_and_b32_e32 v45, 0xff, v31
	v_bfe_u32 v46, v31, 8, 8
	v_alignbit_b32 v1, v32, v31, 24
	v_bfe_u32 v47, v31, 16, 8
	v_and_b32_e32 v48, 0xff, v32
	v_bfe_u32 v50, v32, 8, 8
	v_bfe_u32 v51, v32, 16, 8
	v_and_b32_e32 v49, 0xff, v1
	v_add3_u32 v1, v46, v45, v47
	v_lshrrev_b32_e32 v44, 24, v32
	v_mbcnt_lo_u32_b32 v54, -1, 0
	v_and_b32_e32 v52, 0xff, v18
	v_bfe_u32 v53, v18, 8, 8
	v_add3_u32 v1, v1, v49, v48
	v_bfe_u32 v3, v18, 16, 8
	v_and_b32_e32 v2, 15, v54
	v_or_b32_e32 v4, 31, v0
	v_and_b32_e32 v5, 16, v54
	v_add3_u32 v1, v1, v50, v51
	v_lshrrev_b32_e32 v55, 5, v0
	v_cmp_eq_u32_e64 s6, 0, v2
	v_cmp_lt_u32_e64 s5, 1, v2
	v_cmp_lt_u32_e64 s4, 3, v2
	v_add3_u32 v1, v1, v44, v52
	v_cmp_lt_u32_e64 s3, 7, v2
	v_cmp_eq_u32_e64 s1, 0, v5
	v_cmp_eq_u32_e64 s0, v4, v0
	s_and_b32 vcc_lo, exec_lo, s20
	v_add3_u32 v56, v1, v53, v3
	s_mov_b32 s7, -1
	s_waitcnt vmcnt(0) lgkmcnt(0)
	s_barrier
	buffer_gl0_inv
	s_cbranch_vccz .LBB1203_105
; %bb.80:
	v_mov_b32_dpp v1, v56 row_shr:1 row_mask:0xf bank_mask:0xf
	s_delay_alu instid0(VALU_DEP_1) | instskip(NEXT) | instid1(VALU_DEP_1)
	v_cndmask_b32_e64 v1, v1, 0, s6
	v_add_nc_u32_e32 v1, v1, v56
	s_delay_alu instid0(VALU_DEP_1) | instskip(NEXT) | instid1(VALU_DEP_1)
	v_mov_b32_dpp v2, v1 row_shr:2 row_mask:0xf bank_mask:0xf
	v_cndmask_b32_e64 v2, 0, v2, s5
	s_delay_alu instid0(VALU_DEP_1) | instskip(NEXT) | instid1(VALU_DEP_1)
	v_add_nc_u32_e32 v1, v1, v2
	v_mov_b32_dpp v2, v1 row_shr:4 row_mask:0xf bank_mask:0xf
	s_delay_alu instid0(VALU_DEP_1) | instskip(NEXT) | instid1(VALU_DEP_1)
	v_cndmask_b32_e64 v2, 0, v2, s4
	v_add_nc_u32_e32 v1, v1, v2
	s_delay_alu instid0(VALU_DEP_1) | instskip(NEXT) | instid1(VALU_DEP_1)
	v_mov_b32_dpp v2, v1 row_shr:8 row_mask:0xf bank_mask:0xf
	v_cndmask_b32_e64 v2, 0, v2, s3
	s_delay_alu instid0(VALU_DEP_1) | instskip(SKIP_3) | instid1(VALU_DEP_1)
	v_add_nc_u32_e32 v1, v1, v2
	ds_swizzle_b32 v2, v1 offset:swizzle(BROADCAST,32,15)
	s_waitcnt lgkmcnt(0)
	v_cndmask_b32_e64 v2, v2, 0, s1
	v_add_nc_u32_e32 v1, v1, v2
	s_and_saveexec_b32 s7, s0
	s_cbranch_execz .LBB1203_82
; %bb.81:
	v_lshlrev_b32_e32 v2, 2, v55
	ds_store_b32 v2, v1
.LBB1203_82:
	s_or_b32 exec_lo, exec_lo, s7
	s_delay_alu instid0(SALU_CYCLE_1)
	s_mov_b32 s7, exec_lo
	s_waitcnt lgkmcnt(0)
	s_barrier
	buffer_gl0_inv
	v_cmpx_gt_u32_e32 4, v0
	s_cbranch_execz .LBB1203_84
; %bb.83:
	v_and_b32_e32 v4, 3, v54
	s_delay_alu instid0(VALU_DEP_1) | instskip(SKIP_4) | instid1(VALU_DEP_1)
	v_cmp_ne_u32_e32 vcc_lo, 0, v4
	v_lshlrev_b32_e32 v2, 2, v0
	ds_load_b32 v3, v2
	s_waitcnt lgkmcnt(0)
	v_mov_b32_dpp v5, v3 row_shr:1 row_mask:0xf bank_mask:0xf
	v_cndmask_b32_e32 v5, 0, v5, vcc_lo
	v_cmp_lt_u32_e32 vcc_lo, 1, v4
	s_delay_alu instid0(VALU_DEP_2) | instskip(NEXT) | instid1(VALU_DEP_1)
	v_add_nc_u32_e32 v3, v5, v3
	v_mov_b32_dpp v5, v3 row_shr:2 row_mask:0xf bank_mask:0xf
	s_delay_alu instid0(VALU_DEP_1) | instskip(NEXT) | instid1(VALU_DEP_1)
	v_cndmask_b32_e32 v4, 0, v5, vcc_lo
	v_add_nc_u32_e32 v3, v3, v4
	ds_store_b32 v2, v3
.LBB1203_84:
	s_or_b32 exec_lo, exec_lo, s7
	v_cmp_gt_u32_e32 vcc_lo, 32, v0
	s_mov_b32 s8, exec_lo
	s_waitcnt lgkmcnt(0)
	s_barrier
	buffer_gl0_inv
                                        ; implicit-def: $vgpr9
	v_cmpx_lt_u32_e32 31, v0
	s_cbranch_execz .LBB1203_86
; %bb.85:
	v_lshl_add_u32 v2, v55, 2, -4
	ds_load_b32 v9, v2
	s_waitcnt lgkmcnt(0)
	v_add_nc_u32_e32 v1, v9, v1
.LBB1203_86:
	s_or_b32 exec_lo, exec_lo, s8
	v_add_nc_u32_e32 v2, -1, v54
	s_delay_alu instid0(VALU_DEP_1) | instskip(NEXT) | instid1(VALU_DEP_1)
	v_cmp_gt_i32_e64 s7, 0, v2
	v_cndmask_b32_e64 v2, v2, v54, s7
	v_cmp_eq_u32_e64 s7, 0, v54
	s_delay_alu instid0(VALU_DEP_2)
	v_lshlrev_b32_e32 v2, 2, v2
	ds_bpermute_b32 v10, v2, v1
	s_and_saveexec_b32 s8, vcc_lo
	s_cbranch_execz .LBB1203_104
; %bb.87:
	v_mov_b32_e32 v5, 0
	ds_load_b32 v1, v5 offset:12
	s_and_saveexec_b32 s9, s7
	s_cbranch_execz .LBB1203_89
; %bb.88:
	s_add_i32 s10, s15, 32
	s_mov_b32 s11, 0
	v_mov_b32_e32 v2, 1
	s_lshl_b64 s[10:11], s[10:11], 3
	s_delay_alu instid0(SALU_CYCLE_1)
	s_add_u32 s10, s16, s10
	s_addc_u32 s11, s17, s11
	s_waitcnt lgkmcnt(0)
	global_store_b64 v5, v[1:2], s[10:11]
.LBB1203_89:
	s_or_b32 exec_lo, exec_lo, s9
	v_xad_u32 v3, v54, -1, s15
	s_mov_b32 s10, 0
	s_mov_b32 s9, exec_lo
	s_delay_alu instid0(VALU_DEP_1) | instskip(NEXT) | instid1(VALU_DEP_1)
	v_add_nc_u32_e32 v4, 32, v3
	v_lshlrev_b64 v[4:5], 3, v[4:5]
	s_delay_alu instid0(VALU_DEP_1) | instskip(NEXT) | instid1(VALU_DEP_2)
	v_add_co_u32 v7, vcc_lo, s16, v4
	v_add_co_ci_u32_e32 v8, vcc_lo, s17, v5, vcc_lo
	global_load_b64 v[5:6], v[7:8], off glc
	s_waitcnt vmcnt(0)
	v_and_b32_e32 v2, 0xff, v6
	s_delay_alu instid0(VALU_DEP_1)
	v_cmpx_eq_u16_e32 0, v2
	s_cbranch_execz .LBB1203_92
.LBB1203_90:                            ; =>This Inner Loop Header: Depth=1
	global_load_b64 v[5:6], v[7:8], off glc
	s_waitcnt vmcnt(0)
	v_and_b32_e32 v2, 0xff, v6
	s_delay_alu instid0(VALU_DEP_1) | instskip(SKIP_1) | instid1(SALU_CYCLE_1)
	v_cmp_ne_u16_e32 vcc_lo, 0, v2
	s_or_b32 s10, vcc_lo, s10
	s_and_not1_b32 exec_lo, exec_lo, s10
	s_cbranch_execnz .LBB1203_90
; %bb.91:
	s_or_b32 exec_lo, exec_lo, s10
.LBB1203_92:
	s_delay_alu instid0(SALU_CYCLE_1)
	s_or_b32 exec_lo, exec_lo, s9
	v_cmp_ne_u32_e32 vcc_lo, 31, v54
	v_lshlrev_b32_e64 v16, v54, -1
	v_add_nc_u32_e32 v33, 2, v54
	v_add_nc_u32_e32 v57, 4, v54
	;; [unrolled: 1-line block ×3, first 2 shown]
	v_add_co_ci_u32_e32 v2, vcc_lo, 0, v54, vcc_lo
	v_add_nc_u32_e32 v61, 16, v54
	s_delay_alu instid0(VALU_DEP_2)
	v_lshlrev_b32_e32 v11, 2, v2
	v_and_b32_e32 v2, 0xff, v6
	ds_bpermute_b32 v4, v11, v5
	v_cmp_eq_u16_e32 vcc_lo, 2, v2
	v_and_or_b32 v2, vcc_lo, v16, 0x80000000
	v_cmp_gt_u32_e32 vcc_lo, 30, v54
	s_delay_alu instid0(VALU_DEP_2) | instskip(SKIP_1) | instid1(VALU_DEP_2)
	v_ctz_i32_b32_e32 v2, v2
	v_cndmask_b32_e64 v7, 0, 1, vcc_lo
	v_cmp_lt_u32_e32 vcc_lo, v54, v2
	s_waitcnt lgkmcnt(0)
	s_delay_alu instid0(VALU_DEP_2) | instskip(NEXT) | instid1(VALU_DEP_1)
	v_dual_cndmask_b32 v4, 0, v4 :: v_dual_lshlrev_b32 v7, 1, v7
	v_add_lshl_u32 v17, v7, v54, 2
	v_cmp_gt_u32_e32 vcc_lo, 28, v54
	s_delay_alu instid0(VALU_DEP_3) | instskip(SKIP_4) | instid1(VALU_DEP_1)
	v_add_nc_u32_e32 v4, v4, v5
	v_cndmask_b32_e64 v7, 0, 1, vcc_lo
	v_cmp_le_u32_e32 vcc_lo, v33, v2
	ds_bpermute_b32 v5, v17, v4
	v_lshlrev_b32_e32 v7, 2, v7
	v_add_lshl_u32 v34, v7, v54, 2
	s_waitcnt lgkmcnt(0)
	v_cndmask_b32_e32 v5, 0, v5, vcc_lo
	v_cmp_gt_u32_e32 vcc_lo, 24, v54
	s_delay_alu instid0(VALU_DEP_2) | instskip(SKIP_4) | instid1(VALU_DEP_1)
	v_add_nc_u32_e32 v4, v4, v5
	v_cndmask_b32_e64 v7, 0, 1, vcc_lo
	v_cmp_le_u32_e32 vcc_lo, v57, v2
	ds_bpermute_b32 v5, v34, v4
	v_lshlrev_b32_e32 v7, 3, v7
	v_add_lshl_u32 v58, v7, v54, 2
	s_waitcnt lgkmcnt(0)
	v_cndmask_b32_e32 v5, 0, v5, vcc_lo
	v_cmp_gt_u32_e32 vcc_lo, 16, v54
	s_delay_alu instid0(VALU_DEP_2) | instskip(SKIP_4) | instid1(VALU_DEP_1)
	v_add_nc_u32_e32 v4, v4, v5
	v_cndmask_b32_e64 v7, 0, 1, vcc_lo
	v_cmp_le_u32_e32 vcc_lo, v59, v2
	ds_bpermute_b32 v5, v58, v4
	v_lshlrev_b32_e32 v7, 4, v7
	v_add_lshl_u32 v60, v7, v54, 2
	s_waitcnt lgkmcnt(0)
	v_cndmask_b32_e32 v5, 0, v5, vcc_lo
	v_cmp_le_u32_e32 vcc_lo, v61, v2
	s_delay_alu instid0(VALU_DEP_2) | instskip(SKIP_3) | instid1(VALU_DEP_1)
	v_add_nc_u32_e32 v4, v4, v5
	ds_bpermute_b32 v5, v60, v4
	s_waitcnt lgkmcnt(0)
	v_cndmask_b32_e32 v2, 0, v5, vcc_lo
	v_dual_mov_b32 v4, 0 :: v_dual_add_nc_u32 v5, v4, v2
	s_branch .LBB1203_94
.LBB1203_93:                            ;   in Loop: Header=BB1203_94 Depth=1
	s_or_b32 exec_lo, exec_lo, s9
	ds_bpermute_b32 v8, v11, v5
	v_and_b32_e32 v7, 0xff, v6
	v_subrev_nc_u32_e32 v3, 32, v3
	s_delay_alu instid0(VALU_DEP_2) | instskip(SKIP_1) | instid1(VALU_DEP_1)
	v_cmp_eq_u16_e32 vcc_lo, 2, v7
	v_and_or_b32 v7, vcc_lo, v16, 0x80000000
	v_ctz_i32_b32_e32 v7, v7
	s_delay_alu instid0(VALU_DEP_1) | instskip(SKIP_3) | instid1(VALU_DEP_2)
	v_cmp_lt_u32_e32 vcc_lo, v54, v7
	s_waitcnt lgkmcnt(0)
	v_cndmask_b32_e32 v8, 0, v8, vcc_lo
	v_cmp_le_u32_e32 vcc_lo, v33, v7
	v_add_nc_u32_e32 v5, v8, v5
	ds_bpermute_b32 v8, v17, v5
	s_waitcnt lgkmcnt(0)
	v_cndmask_b32_e32 v8, 0, v8, vcc_lo
	v_cmp_le_u32_e32 vcc_lo, v57, v7
	s_delay_alu instid0(VALU_DEP_2) | instskip(SKIP_4) | instid1(VALU_DEP_2)
	v_add_nc_u32_e32 v5, v5, v8
	ds_bpermute_b32 v8, v34, v5
	s_waitcnt lgkmcnt(0)
	v_cndmask_b32_e32 v8, 0, v8, vcc_lo
	v_cmp_le_u32_e32 vcc_lo, v59, v7
	v_add_nc_u32_e32 v5, v5, v8
	ds_bpermute_b32 v8, v58, v5
	s_waitcnt lgkmcnt(0)
	v_cndmask_b32_e32 v8, 0, v8, vcc_lo
	v_cmp_le_u32_e32 vcc_lo, v61, v7
	s_delay_alu instid0(VALU_DEP_2) | instskip(SKIP_3) | instid1(VALU_DEP_1)
	v_add_nc_u32_e32 v5, v5, v8
	ds_bpermute_b32 v8, v60, v5
	s_waitcnt lgkmcnt(0)
	v_cndmask_b32_e32 v7, 0, v8, vcc_lo
	v_add3_u32 v5, v7, v2, v5
.LBB1203_94:                            ; =>This Loop Header: Depth=1
                                        ;     Child Loop BB1203_97 Depth 2
	v_and_b32_e32 v2, 0xff, v6
	s_delay_alu instid0(VALU_DEP_1) | instskip(SKIP_2) | instid1(VALU_DEP_1)
	v_cmp_ne_u16_e32 vcc_lo, 2, v2
	v_cndmask_b32_e64 v2, 0, 1, vcc_lo
	;;#ASMSTART
	;;#ASMEND
	v_cmp_ne_u32_e32 vcc_lo, 0, v2
	v_mov_b32_e32 v2, v5
	s_cmp_lg_u32 vcc_lo, exec_lo
	s_cbranch_scc1 .LBB1203_99
; %bb.95:                               ;   in Loop: Header=BB1203_94 Depth=1
	v_lshlrev_b64 v[5:6], 3, v[3:4]
	s_mov_b32 s9, exec_lo
	s_delay_alu instid0(VALU_DEP_1) | instskip(NEXT) | instid1(VALU_DEP_2)
	v_add_co_u32 v7, vcc_lo, s16, v5
	v_add_co_ci_u32_e32 v8, vcc_lo, s17, v6, vcc_lo
	global_load_b64 v[5:6], v[7:8], off glc
	s_waitcnt vmcnt(0)
	v_and_b32_e32 v62, 0xff, v6
	s_delay_alu instid0(VALU_DEP_1)
	v_cmpx_eq_u16_e32 0, v62
	s_cbranch_execz .LBB1203_93
; %bb.96:                               ;   in Loop: Header=BB1203_94 Depth=1
	s_mov_b32 s10, 0
.LBB1203_97:                            ;   Parent Loop BB1203_94 Depth=1
                                        ; =>  This Inner Loop Header: Depth=2
	global_load_b64 v[5:6], v[7:8], off glc
	s_waitcnt vmcnt(0)
	v_and_b32_e32 v62, 0xff, v6
	s_delay_alu instid0(VALU_DEP_1) | instskip(SKIP_1) | instid1(SALU_CYCLE_1)
	v_cmp_ne_u16_e32 vcc_lo, 0, v62
	s_or_b32 s10, vcc_lo, s10
	s_and_not1_b32 exec_lo, exec_lo, s10
	s_cbranch_execnz .LBB1203_97
; %bb.98:                               ;   in Loop: Header=BB1203_94 Depth=1
	s_or_b32 exec_lo, exec_lo, s10
	s_branch .LBB1203_93
.LBB1203_99:                            ;   in Loop: Header=BB1203_94 Depth=1
                                        ; implicit-def: $vgpr5
                                        ; implicit-def: $vgpr6
	s_cbranch_execz .LBB1203_94
; %bb.100:
	s_and_saveexec_b32 s9, s7
	s_cbranch_execz .LBB1203_102
; %bb.101:
	s_add_i32 s10, s15, 32
	s_mov_b32 s11, 0
	v_dual_mov_b32 v4, 2 :: v_dual_add_nc_u32 v3, v2, v1
	s_lshl_b64 s[10:11], s[10:11], 3
	v_mov_b32_e32 v5, 0
	s_add_u32 s10, s16, s10
	s_addc_u32 s11, s17, s11
	global_store_b64 v5, v[3:4], s[10:11]
	ds_store_b64 v5, v[1:2] offset:5632
.LBB1203_102:
	s_or_b32 exec_lo, exec_lo, s9
	s_delay_alu instid0(SALU_CYCLE_1)
	s_and_b32 exec_lo, exec_lo, s2
	s_cbranch_execz .LBB1203_104
; %bb.103:
	v_mov_b32_e32 v1, 0
	ds_store_b32 v1, v2 offset:12
.LBB1203_104:
	s_or_b32 exec_lo, exec_lo, s8
	v_mov_b32_e32 v11, 0
	s_waitcnt lgkmcnt(0)
	s_waitcnt_vscnt null, 0x0
	s_barrier
	buffer_gl0_inv
	v_cndmask_b32_e64 v2, v10, v9, s7
	ds_load_b32 v1, v11 offset:12
	s_waitcnt lgkmcnt(0)
	s_barrier
	buffer_gl0_inv
	v_cndmask_b32_e64 v2, v2, 0, s2
	s_delay_alu instid0(VALU_DEP_1) | instskip(NEXT) | instid1(VALU_DEP_1)
	v_add_nc_u32_e32 v1, v1, v2
	v_add_nc_u32_e32 v2, v1, v45
	ds_load_b64 v[16:17], v11 offset:5632
	v_add_nc_u32_e32 v3, v2, v46
	s_delay_alu instid0(VALU_DEP_1) | instskip(NEXT) | instid1(VALU_DEP_1)
	v_add_nc_u32_e32 v4, v3, v47
	v_add_nc_u32_e32 v5, v4, v49
	s_delay_alu instid0(VALU_DEP_1) | instskip(NEXT) | instid1(VALU_DEP_1)
	v_add_nc_u32_e32 v6, v5, v48
	v_add_nc_u32_e32 v7, v6, v50
	s_delay_alu instid0(VALU_DEP_1) | instskip(NEXT) | instid1(VALU_DEP_1)
	v_add_nc_u32_e32 v8, v7, v51
	v_add_nc_u32_e32 v9, v8, v44
	s_delay_alu instid0(VALU_DEP_1) | instskip(NEXT) | instid1(VALU_DEP_1)
	v_add_nc_u32_e32 v10, v9, v52
	v_add_nc_u32_e32 v11, v10, v53
	v_lshrrev_b64 v[33:34], 24, v[31:32]
	s_branch .LBB1203_115
.LBB1203_105:
                                        ; implicit-def: $vgpr17
                                        ; implicit-def: $vgpr1_vgpr2_vgpr3_vgpr4_vgpr5_vgpr6_vgpr7_vgpr8_vgpr9_vgpr10_vgpr11
	v_lshrrev_b64 v[33:34], 24, v[31:32]
	s_and_b32 vcc_lo, exec_lo, s7
	s_cbranch_vccz .LBB1203_115
; %bb.106:
	v_mov_b32_dpp v1, v56 row_shr:1 row_mask:0xf bank_mask:0xf
	s_delay_alu instid0(VALU_DEP_1) | instskip(NEXT) | instid1(VALU_DEP_1)
	v_cndmask_b32_e64 v1, v1, 0, s6
	v_add_nc_u32_e32 v1, v1, v56
	s_delay_alu instid0(VALU_DEP_1) | instskip(NEXT) | instid1(VALU_DEP_1)
	v_mov_b32_dpp v2, v1 row_shr:2 row_mask:0xf bank_mask:0xf
	v_cndmask_b32_e64 v2, 0, v2, s5
	s_delay_alu instid0(VALU_DEP_1) | instskip(NEXT) | instid1(VALU_DEP_1)
	v_add_nc_u32_e32 v1, v1, v2
	v_mov_b32_dpp v2, v1 row_shr:4 row_mask:0xf bank_mask:0xf
	s_delay_alu instid0(VALU_DEP_1) | instskip(NEXT) | instid1(VALU_DEP_1)
	v_cndmask_b32_e64 v2, 0, v2, s4
	v_add_nc_u32_e32 v1, v1, v2
	s_delay_alu instid0(VALU_DEP_1) | instskip(NEXT) | instid1(VALU_DEP_1)
	v_mov_b32_dpp v2, v1 row_shr:8 row_mask:0xf bank_mask:0xf
	v_cndmask_b32_e64 v2, 0, v2, s3
	s_delay_alu instid0(VALU_DEP_1) | instskip(SKIP_3) | instid1(VALU_DEP_1)
	v_add_nc_u32_e32 v1, v1, v2
	ds_swizzle_b32 v2, v1 offset:swizzle(BROADCAST,32,15)
	s_waitcnt lgkmcnt(0)
	v_cndmask_b32_e64 v2, v2, 0, s1
	v_add_nc_u32_e32 v1, v1, v2
	s_and_saveexec_b32 s1, s0
	s_cbranch_execz .LBB1203_108
; %bb.107:
	v_lshlrev_b32_e32 v2, 2, v55
	ds_store_b32 v2, v1
.LBB1203_108:
	s_or_b32 exec_lo, exec_lo, s1
	s_delay_alu instid0(SALU_CYCLE_1)
	s_mov_b32 s0, exec_lo
	s_waitcnt lgkmcnt(0)
	s_barrier
	buffer_gl0_inv
	v_cmpx_gt_u32_e32 4, v0
	s_cbranch_execz .LBB1203_110
; %bb.109:
	v_mad_i32_i24 v2, 0xffffffd8, v0, v43
	ds_load_b32 v3, v2
	s_waitcnt lgkmcnt(0)
	v_mov_b32_dpp v5, v3 row_shr:1 row_mask:0xf bank_mask:0xf
	v_and_b32_e32 v4, 3, v54
	s_delay_alu instid0(VALU_DEP_1) | instskip(NEXT) | instid1(VALU_DEP_3)
	v_cmp_ne_u32_e32 vcc_lo, 0, v4
	v_cndmask_b32_e32 v5, 0, v5, vcc_lo
	v_cmp_lt_u32_e32 vcc_lo, 1, v4
	s_delay_alu instid0(VALU_DEP_2) | instskip(NEXT) | instid1(VALU_DEP_1)
	v_add_nc_u32_e32 v3, v5, v3
	v_mov_b32_dpp v5, v3 row_shr:2 row_mask:0xf bank_mask:0xf
	s_delay_alu instid0(VALU_DEP_1) | instskip(NEXT) | instid1(VALU_DEP_1)
	v_cndmask_b32_e32 v4, 0, v5, vcc_lo
	v_add_nc_u32_e32 v3, v3, v4
	ds_store_b32 v2, v3
.LBB1203_110:
	s_or_b32 exec_lo, exec_lo, s0
	v_cmp_lt_u32_e32 vcc_lo, 31, v0
	v_mov_b32_e32 v2, 0
	v_mov_b32_e32 v0, 0
	s_waitcnt lgkmcnt(0)
	s_barrier
	buffer_gl0_inv
	s_and_saveexec_b32 s0, vcc_lo
	s_cbranch_execz .LBB1203_112
; %bb.111:
	v_lshl_add_u32 v0, v55, 2, -4
	ds_load_b32 v0, v0
.LBB1203_112:
	s_or_b32 exec_lo, exec_lo, s0
	v_add_nc_u32_e32 v3, -1, v54
	s_waitcnt lgkmcnt(0)
	v_add_nc_u32_e32 v1, v0, v1
	ds_load_b32 v16, v2 offset:12
	v_cmp_gt_i32_e32 vcc_lo, 0, v3
	v_cndmask_b32_e32 v3, v3, v54, vcc_lo
	s_delay_alu instid0(VALU_DEP_1)
	v_lshlrev_b32_e32 v3, 2, v3
	ds_bpermute_b32 v1, v3, v1
	s_and_saveexec_b32 s0, s2
	s_cbranch_execz .LBB1203_114
; %bb.113:
	v_dual_mov_b32 v2, 0 :: v_dual_mov_b32 v17, 2
	s_waitcnt lgkmcnt(1)
	global_store_b64 v2, v[16:17], s[16:17] offset:256
.LBB1203_114:
	s_or_b32 exec_lo, exec_lo, s0
	v_cmp_eq_u32_e32 vcc_lo, 0, v54
	s_waitcnt lgkmcnt(0)
	s_waitcnt_vscnt null, 0x0
	s_barrier
	buffer_gl0_inv
	v_dual_mov_b32 v17, 0 :: v_dual_cndmask_b32 v0, v1, v0
	s_delay_alu instid0(VALU_DEP_1) | instskip(NEXT) | instid1(VALU_DEP_1)
	v_cndmask_b32_e64 v1, v0, 0, s2
	v_add_nc_u32_e32 v2, v1, v45
	s_delay_alu instid0(VALU_DEP_1) | instskip(NEXT) | instid1(VALU_DEP_1)
	v_add_nc_u32_e32 v3, v2, v46
	v_add_nc_u32_e32 v4, v3, v47
	s_delay_alu instid0(VALU_DEP_1) | instskip(NEXT) | instid1(VALU_DEP_1)
	v_add_nc_u32_e32 v5, v4, v49
	v_add_nc_u32_e32 v6, v5, v48
	s_delay_alu instid0(VALU_DEP_1) | instskip(NEXT) | instid1(VALU_DEP_1)
	v_add_nc_u32_e32 v7, v6, v50
	v_add_nc_u32_e32 v8, v7, v51
	s_delay_alu instid0(VALU_DEP_1) | instskip(NEXT) | instid1(VALU_DEP_1)
	v_add_nc_u32_e32 v9, v8, v44
	v_add_nc_u32_e32 v10, v9, v52
	s_delay_alu instid0(VALU_DEP_1)
	v_add_nc_u32_e32 v11, v10, v53
.LBB1203_115:
	v_lshrrev_b32_e32 v46, 16, v31
	v_lshrrev_b32_e32 v47, 8, v31
	v_and_b32_e32 v31, 1, v31
	s_waitcnt lgkmcnt(0)
	v_cmp_gt_u32_e32 vcc_lo, 0x81, v16
	v_lshrrev_b32_e32 v0, 16, v18
	v_lshrrev_b32_e32 v45, 8, v32
	;; [unrolled: 1-line block ×4, first 2 shown]
	v_cmp_lt_u32_e64 s0, 0x80, v16
	v_cmp_eq_u32_e64 s1, 1, v31
	s_cbranch_vccnz .LBB1203_139
; %bb.116:
	s_delay_alu instid0(VALU_DEP_1)
	s_and_saveexec_b32 s3, s1
	s_cbranch_execz .LBB1203_118
; %bb.117:
	v_sub_nc_u32_e32 v48, v1, v17
	s_delay_alu instid0(VALU_DEP_1)
	v_lshlrev_b32_e32 v48, 1, v48
	ds_store_b16 v48, v12
.LBB1203_118:
	s_or_b32 exec_lo, exec_lo, s3
	v_and_b32_e32 v12, 1, v47
	s_mov_b32 s1, exec_lo
	s_delay_alu instid0(VALU_DEP_1)
	v_cmpx_eq_u32_e32 1, v12
	s_cbranch_execz .LBB1203_120
; %bb.119:
	v_sub_nc_u32_e32 v12, v2, v17
	s_delay_alu instid0(VALU_DEP_1)
	v_lshlrev_b32_e32 v12, 1, v12
	ds_store_b16 v12, v42
.LBB1203_120:
	s_or_b32 exec_lo, exec_lo, s1
	v_and_b32_e32 v12, 1, v46
	s_mov_b32 s1, exec_lo
	s_delay_alu instid0(VALU_DEP_1)
	v_cmpx_eq_u32_e32 1, v12
	;; [unrolled: 12-line block ×10, first 2 shown]
	s_cbranch_execz .LBB1203_138
; %bb.137:
	v_sub_nc_u32_e32 v12, v11, v17
	s_delay_alu instid0(VALU_DEP_1)
	v_lshlrev_b32_e32 v12, 1, v12
	ds_store_b16 v12, v35
.LBB1203_138:
	s_or_b32 exec_lo, exec_lo, s1
	s_waitcnt lgkmcnt(0)
	s_barrier
	buffer_gl0_inv
.LBB1203_139:
	s_delay_alu instid0(VALU_DEP_2)
	s_and_not1_b32 vcc_lo, exec_lo, s0
	s_barrier
	buffer_gl0_inv
	s_cbranch_vccz .LBB1203_142
; %bb.140:
	s_and_b32 s0, s2, s14
	s_delay_alu instid0(SALU_CYCLE_1)
	s_and_saveexec_b32 s1, s0
	s_cbranch_execnz .LBB1203_165
.LBB1203_141:
	s_endpgm
.LBB1203_142:
	s_mov_b32 s0, exec_lo
	v_cmpx_eq_u32_e32 1, v31
	s_cbranch_execz .LBB1203_144
; %bb.143:
	v_sub_nc_u32_e32 v1, v1, v17
	s_delay_alu instid0(VALU_DEP_1)
	v_lshlrev_b32_e32 v1, 2, v1
	ds_store_b32 v1, v29
.LBB1203_144:
	s_or_b32 exec_lo, exec_lo, s0
	v_and_b32_e32 v1, 1, v47
	s_mov_b32 s0, exec_lo
	s_delay_alu instid0(VALU_DEP_1)
	v_cmpx_eq_u32_e32 1, v1
	s_cbranch_execz .LBB1203_146
; %bb.145:
	v_sub_nc_u32_e32 v1, v2, v17
	s_delay_alu instid0(VALU_DEP_1)
	v_lshlrev_b32_e32 v1, 2, v1
	ds_store_b32 v1, v30
.LBB1203_146:
	s_or_b32 exec_lo, exec_lo, s0
	v_and_b32_e32 v1, 1, v46
	s_mov_b32 s0, exec_lo
	s_delay_alu instid0(VALU_DEP_1)
	;; [unrolled: 12-line block ×10, first 2 shown]
	v_cmpx_eq_u32_e32 1, v0
	s_cbranch_execz .LBB1203_164
; %bb.163:
	v_sub_nc_u32_e32 v0, v11, v17
	s_delay_alu instid0(VALU_DEP_1)
	v_lshlrev_b32_e32 v0, 2, v0
	ds_store_b32 v0, v38
.LBB1203_164:
	s_or_b32 exec_lo, exec_lo, s0
	s_waitcnt lgkmcnt(0)
	s_barrier
	buffer_gl0_inv
	s_and_b32 s0, s2, s14
	s_delay_alu instid0(SALU_CYCLE_1)
	s_and_saveexec_b32 s1, s0
	s_cbranch_execz .LBB1203_141
.LBB1203_165:
	v_add_co_u32 v0, vcc_lo, v19, v16
	v_add_co_ci_u32_e32 v1, vcc_lo, 0, v20, vcc_lo
	v_mov_b32_e32 v2, 0
	s_delay_alu instid0(VALU_DEP_3) | instskip(NEXT) | instid1(VALU_DEP_3)
	v_add_co_u32 v0, vcc_lo, v0, v17
	v_add_co_ci_u32_e32 v1, vcc_lo, 0, v1, vcc_lo
	global_store_b64 v2, v[0:1], s[12:13]
	s_nop 0
	s_sendmsg sendmsg(MSG_DEALLOC_VGPRS)
	s_endpgm
.LBB1203_166:
	s_or_b32 exec_lo, exec_lo, s1
	s_and_saveexec_b32 s1, s21
	s_cbranch_execnz .LBB1203_76
	s_branch .LBB1203_77
	.section	.rodata,"a",@progbits
	.p2align	6, 0x0
	.amdhsa_kernel _ZN7rocprim17ROCPRIM_400000_NS6detail17trampoline_kernelINS0_14default_configENS1_25partition_config_selectorILNS1_17partition_subalgoE9EsjbEEZZNS1_14partition_implILS5_9ELb0ES3_jN6thrust23THRUST_200600_302600_NS6detail15normal_iteratorINS9_10device_ptrIsEEEENSB_INSC_IjEEEEPNS0_10empty_typeENS0_5tupleIJNS9_16discard_iteratorINS9_11use_defaultEEESH_EEENSJ_IJSM_SI_EEENS0_18inequality_wrapperINS9_8equal_toIsEEEEPmJSH_EEE10hipError_tPvRmT3_T4_T5_T6_T7_T9_mT8_P12ihipStream_tbDpT10_ENKUlT_T0_E_clISt17integral_constantIbLb0EES1C_IbLb1EEEEDaS18_S19_EUlS18_E_NS1_11comp_targetILNS1_3genE9ELNS1_11target_archE1100ELNS1_3gpuE3ELNS1_3repE0EEENS1_30default_config_static_selectorELNS0_4arch9wavefront6targetE0EEEvT1_
		.amdhsa_group_segment_fixed_size 5640
		.amdhsa_private_segment_fixed_size 0
		.amdhsa_kernarg_size 144
		.amdhsa_user_sgpr_count 15
		.amdhsa_user_sgpr_dispatch_ptr 0
		.amdhsa_user_sgpr_queue_ptr 0
		.amdhsa_user_sgpr_kernarg_segment_ptr 1
		.amdhsa_user_sgpr_dispatch_id 0
		.amdhsa_user_sgpr_private_segment_size 0
		.amdhsa_wavefront_size32 1
		.amdhsa_uses_dynamic_stack 0
		.amdhsa_enable_private_segment 0
		.amdhsa_system_sgpr_workgroup_id_x 1
		.amdhsa_system_sgpr_workgroup_id_y 0
		.amdhsa_system_sgpr_workgroup_id_z 0
		.amdhsa_system_sgpr_workgroup_info 0
		.amdhsa_system_vgpr_workitem_id 0
		.amdhsa_next_free_vgpr 63
		.amdhsa_next_free_sgpr 24
		.amdhsa_reserve_vcc 1
		.amdhsa_float_round_mode_32 0
		.amdhsa_float_round_mode_16_64 0
		.amdhsa_float_denorm_mode_32 3
		.amdhsa_float_denorm_mode_16_64 3
		.amdhsa_dx10_clamp 1
		.amdhsa_ieee_mode 1
		.amdhsa_fp16_overflow 0
		.amdhsa_workgroup_processor_mode 1
		.amdhsa_memory_ordered 1
		.amdhsa_forward_progress 0
		.amdhsa_shared_vgpr_count 0
		.amdhsa_exception_fp_ieee_invalid_op 0
		.amdhsa_exception_fp_denorm_src 0
		.amdhsa_exception_fp_ieee_div_zero 0
		.amdhsa_exception_fp_ieee_overflow 0
		.amdhsa_exception_fp_ieee_underflow 0
		.amdhsa_exception_fp_ieee_inexact 0
		.amdhsa_exception_int_div_zero 0
	.end_amdhsa_kernel
	.section	.text._ZN7rocprim17ROCPRIM_400000_NS6detail17trampoline_kernelINS0_14default_configENS1_25partition_config_selectorILNS1_17partition_subalgoE9EsjbEEZZNS1_14partition_implILS5_9ELb0ES3_jN6thrust23THRUST_200600_302600_NS6detail15normal_iteratorINS9_10device_ptrIsEEEENSB_INSC_IjEEEEPNS0_10empty_typeENS0_5tupleIJNS9_16discard_iteratorINS9_11use_defaultEEESH_EEENSJ_IJSM_SI_EEENS0_18inequality_wrapperINS9_8equal_toIsEEEEPmJSH_EEE10hipError_tPvRmT3_T4_T5_T6_T7_T9_mT8_P12ihipStream_tbDpT10_ENKUlT_T0_E_clISt17integral_constantIbLb0EES1C_IbLb1EEEEDaS18_S19_EUlS18_E_NS1_11comp_targetILNS1_3genE9ELNS1_11target_archE1100ELNS1_3gpuE3ELNS1_3repE0EEENS1_30default_config_static_selectorELNS0_4arch9wavefront6targetE0EEEvT1_,"axG",@progbits,_ZN7rocprim17ROCPRIM_400000_NS6detail17trampoline_kernelINS0_14default_configENS1_25partition_config_selectorILNS1_17partition_subalgoE9EsjbEEZZNS1_14partition_implILS5_9ELb0ES3_jN6thrust23THRUST_200600_302600_NS6detail15normal_iteratorINS9_10device_ptrIsEEEENSB_INSC_IjEEEEPNS0_10empty_typeENS0_5tupleIJNS9_16discard_iteratorINS9_11use_defaultEEESH_EEENSJ_IJSM_SI_EEENS0_18inequality_wrapperINS9_8equal_toIsEEEEPmJSH_EEE10hipError_tPvRmT3_T4_T5_T6_T7_T9_mT8_P12ihipStream_tbDpT10_ENKUlT_T0_E_clISt17integral_constantIbLb0EES1C_IbLb1EEEEDaS18_S19_EUlS18_E_NS1_11comp_targetILNS1_3genE9ELNS1_11target_archE1100ELNS1_3gpuE3ELNS1_3repE0EEENS1_30default_config_static_selectorELNS0_4arch9wavefront6targetE0EEEvT1_,comdat
.Lfunc_end1203:
	.size	_ZN7rocprim17ROCPRIM_400000_NS6detail17trampoline_kernelINS0_14default_configENS1_25partition_config_selectorILNS1_17partition_subalgoE9EsjbEEZZNS1_14partition_implILS5_9ELb0ES3_jN6thrust23THRUST_200600_302600_NS6detail15normal_iteratorINS9_10device_ptrIsEEEENSB_INSC_IjEEEEPNS0_10empty_typeENS0_5tupleIJNS9_16discard_iteratorINS9_11use_defaultEEESH_EEENSJ_IJSM_SI_EEENS0_18inequality_wrapperINS9_8equal_toIsEEEEPmJSH_EEE10hipError_tPvRmT3_T4_T5_T6_T7_T9_mT8_P12ihipStream_tbDpT10_ENKUlT_T0_E_clISt17integral_constantIbLb0EES1C_IbLb1EEEEDaS18_S19_EUlS18_E_NS1_11comp_targetILNS1_3genE9ELNS1_11target_archE1100ELNS1_3gpuE3ELNS1_3repE0EEENS1_30default_config_static_selectorELNS0_4arch9wavefront6targetE0EEEvT1_, .Lfunc_end1203-_ZN7rocprim17ROCPRIM_400000_NS6detail17trampoline_kernelINS0_14default_configENS1_25partition_config_selectorILNS1_17partition_subalgoE9EsjbEEZZNS1_14partition_implILS5_9ELb0ES3_jN6thrust23THRUST_200600_302600_NS6detail15normal_iteratorINS9_10device_ptrIsEEEENSB_INSC_IjEEEEPNS0_10empty_typeENS0_5tupleIJNS9_16discard_iteratorINS9_11use_defaultEEESH_EEENSJ_IJSM_SI_EEENS0_18inequality_wrapperINS9_8equal_toIsEEEEPmJSH_EEE10hipError_tPvRmT3_T4_T5_T6_T7_T9_mT8_P12ihipStream_tbDpT10_ENKUlT_T0_E_clISt17integral_constantIbLb0EES1C_IbLb1EEEEDaS18_S19_EUlS18_E_NS1_11comp_targetILNS1_3genE9ELNS1_11target_archE1100ELNS1_3gpuE3ELNS1_3repE0EEENS1_30default_config_static_selectorELNS0_4arch9wavefront6targetE0EEEvT1_
                                        ; -- End function
	.section	.AMDGPU.csdata,"",@progbits
; Kernel info:
; codeLenInByte = 8156
; NumSgprs: 26
; NumVgprs: 63
; ScratchSize: 0
; MemoryBound: 0
; FloatMode: 240
; IeeeMode: 1
; LDSByteSize: 5640 bytes/workgroup (compile time only)
; SGPRBlocks: 3
; VGPRBlocks: 7
; NumSGPRsForWavesPerEU: 26
; NumVGPRsForWavesPerEU: 63
; Occupancy: 16
; WaveLimiterHint : 1
; COMPUTE_PGM_RSRC2:SCRATCH_EN: 0
; COMPUTE_PGM_RSRC2:USER_SGPR: 15
; COMPUTE_PGM_RSRC2:TRAP_HANDLER: 0
; COMPUTE_PGM_RSRC2:TGID_X_EN: 1
; COMPUTE_PGM_RSRC2:TGID_Y_EN: 0
; COMPUTE_PGM_RSRC2:TGID_Z_EN: 0
; COMPUTE_PGM_RSRC2:TIDIG_COMP_CNT: 0
	.section	.text._ZN7rocprim17ROCPRIM_400000_NS6detail17trampoline_kernelINS0_14default_configENS1_25partition_config_selectorILNS1_17partition_subalgoE9EsjbEEZZNS1_14partition_implILS5_9ELb0ES3_jN6thrust23THRUST_200600_302600_NS6detail15normal_iteratorINS9_10device_ptrIsEEEENSB_INSC_IjEEEEPNS0_10empty_typeENS0_5tupleIJNS9_16discard_iteratorINS9_11use_defaultEEESH_EEENSJ_IJSM_SI_EEENS0_18inequality_wrapperINS9_8equal_toIsEEEEPmJSH_EEE10hipError_tPvRmT3_T4_T5_T6_T7_T9_mT8_P12ihipStream_tbDpT10_ENKUlT_T0_E_clISt17integral_constantIbLb0EES1C_IbLb1EEEEDaS18_S19_EUlS18_E_NS1_11comp_targetILNS1_3genE8ELNS1_11target_archE1030ELNS1_3gpuE2ELNS1_3repE0EEENS1_30default_config_static_selectorELNS0_4arch9wavefront6targetE0EEEvT1_,"axG",@progbits,_ZN7rocprim17ROCPRIM_400000_NS6detail17trampoline_kernelINS0_14default_configENS1_25partition_config_selectorILNS1_17partition_subalgoE9EsjbEEZZNS1_14partition_implILS5_9ELb0ES3_jN6thrust23THRUST_200600_302600_NS6detail15normal_iteratorINS9_10device_ptrIsEEEENSB_INSC_IjEEEEPNS0_10empty_typeENS0_5tupleIJNS9_16discard_iteratorINS9_11use_defaultEEESH_EEENSJ_IJSM_SI_EEENS0_18inequality_wrapperINS9_8equal_toIsEEEEPmJSH_EEE10hipError_tPvRmT3_T4_T5_T6_T7_T9_mT8_P12ihipStream_tbDpT10_ENKUlT_T0_E_clISt17integral_constantIbLb0EES1C_IbLb1EEEEDaS18_S19_EUlS18_E_NS1_11comp_targetILNS1_3genE8ELNS1_11target_archE1030ELNS1_3gpuE2ELNS1_3repE0EEENS1_30default_config_static_selectorELNS0_4arch9wavefront6targetE0EEEvT1_,comdat
	.protected	_ZN7rocprim17ROCPRIM_400000_NS6detail17trampoline_kernelINS0_14default_configENS1_25partition_config_selectorILNS1_17partition_subalgoE9EsjbEEZZNS1_14partition_implILS5_9ELb0ES3_jN6thrust23THRUST_200600_302600_NS6detail15normal_iteratorINS9_10device_ptrIsEEEENSB_INSC_IjEEEEPNS0_10empty_typeENS0_5tupleIJNS9_16discard_iteratorINS9_11use_defaultEEESH_EEENSJ_IJSM_SI_EEENS0_18inequality_wrapperINS9_8equal_toIsEEEEPmJSH_EEE10hipError_tPvRmT3_T4_T5_T6_T7_T9_mT8_P12ihipStream_tbDpT10_ENKUlT_T0_E_clISt17integral_constantIbLb0EES1C_IbLb1EEEEDaS18_S19_EUlS18_E_NS1_11comp_targetILNS1_3genE8ELNS1_11target_archE1030ELNS1_3gpuE2ELNS1_3repE0EEENS1_30default_config_static_selectorELNS0_4arch9wavefront6targetE0EEEvT1_ ; -- Begin function _ZN7rocprim17ROCPRIM_400000_NS6detail17trampoline_kernelINS0_14default_configENS1_25partition_config_selectorILNS1_17partition_subalgoE9EsjbEEZZNS1_14partition_implILS5_9ELb0ES3_jN6thrust23THRUST_200600_302600_NS6detail15normal_iteratorINS9_10device_ptrIsEEEENSB_INSC_IjEEEEPNS0_10empty_typeENS0_5tupleIJNS9_16discard_iteratorINS9_11use_defaultEEESH_EEENSJ_IJSM_SI_EEENS0_18inequality_wrapperINS9_8equal_toIsEEEEPmJSH_EEE10hipError_tPvRmT3_T4_T5_T6_T7_T9_mT8_P12ihipStream_tbDpT10_ENKUlT_T0_E_clISt17integral_constantIbLb0EES1C_IbLb1EEEEDaS18_S19_EUlS18_E_NS1_11comp_targetILNS1_3genE8ELNS1_11target_archE1030ELNS1_3gpuE2ELNS1_3repE0EEENS1_30default_config_static_selectorELNS0_4arch9wavefront6targetE0EEEvT1_
	.globl	_ZN7rocprim17ROCPRIM_400000_NS6detail17trampoline_kernelINS0_14default_configENS1_25partition_config_selectorILNS1_17partition_subalgoE9EsjbEEZZNS1_14partition_implILS5_9ELb0ES3_jN6thrust23THRUST_200600_302600_NS6detail15normal_iteratorINS9_10device_ptrIsEEEENSB_INSC_IjEEEEPNS0_10empty_typeENS0_5tupleIJNS9_16discard_iteratorINS9_11use_defaultEEESH_EEENSJ_IJSM_SI_EEENS0_18inequality_wrapperINS9_8equal_toIsEEEEPmJSH_EEE10hipError_tPvRmT3_T4_T5_T6_T7_T9_mT8_P12ihipStream_tbDpT10_ENKUlT_T0_E_clISt17integral_constantIbLb0EES1C_IbLb1EEEEDaS18_S19_EUlS18_E_NS1_11comp_targetILNS1_3genE8ELNS1_11target_archE1030ELNS1_3gpuE2ELNS1_3repE0EEENS1_30default_config_static_selectorELNS0_4arch9wavefront6targetE0EEEvT1_
	.p2align	8
	.type	_ZN7rocprim17ROCPRIM_400000_NS6detail17trampoline_kernelINS0_14default_configENS1_25partition_config_selectorILNS1_17partition_subalgoE9EsjbEEZZNS1_14partition_implILS5_9ELb0ES3_jN6thrust23THRUST_200600_302600_NS6detail15normal_iteratorINS9_10device_ptrIsEEEENSB_INSC_IjEEEEPNS0_10empty_typeENS0_5tupleIJNS9_16discard_iteratorINS9_11use_defaultEEESH_EEENSJ_IJSM_SI_EEENS0_18inequality_wrapperINS9_8equal_toIsEEEEPmJSH_EEE10hipError_tPvRmT3_T4_T5_T6_T7_T9_mT8_P12ihipStream_tbDpT10_ENKUlT_T0_E_clISt17integral_constantIbLb0EES1C_IbLb1EEEEDaS18_S19_EUlS18_E_NS1_11comp_targetILNS1_3genE8ELNS1_11target_archE1030ELNS1_3gpuE2ELNS1_3repE0EEENS1_30default_config_static_selectorELNS0_4arch9wavefront6targetE0EEEvT1_,@function
_ZN7rocprim17ROCPRIM_400000_NS6detail17trampoline_kernelINS0_14default_configENS1_25partition_config_selectorILNS1_17partition_subalgoE9EsjbEEZZNS1_14partition_implILS5_9ELb0ES3_jN6thrust23THRUST_200600_302600_NS6detail15normal_iteratorINS9_10device_ptrIsEEEENSB_INSC_IjEEEEPNS0_10empty_typeENS0_5tupleIJNS9_16discard_iteratorINS9_11use_defaultEEESH_EEENSJ_IJSM_SI_EEENS0_18inequality_wrapperINS9_8equal_toIsEEEEPmJSH_EEE10hipError_tPvRmT3_T4_T5_T6_T7_T9_mT8_P12ihipStream_tbDpT10_ENKUlT_T0_E_clISt17integral_constantIbLb0EES1C_IbLb1EEEEDaS18_S19_EUlS18_E_NS1_11comp_targetILNS1_3genE8ELNS1_11target_archE1030ELNS1_3gpuE2ELNS1_3repE0EEENS1_30default_config_static_selectorELNS0_4arch9wavefront6targetE0EEEvT1_: ; @_ZN7rocprim17ROCPRIM_400000_NS6detail17trampoline_kernelINS0_14default_configENS1_25partition_config_selectorILNS1_17partition_subalgoE9EsjbEEZZNS1_14partition_implILS5_9ELb0ES3_jN6thrust23THRUST_200600_302600_NS6detail15normal_iteratorINS9_10device_ptrIsEEEENSB_INSC_IjEEEEPNS0_10empty_typeENS0_5tupleIJNS9_16discard_iteratorINS9_11use_defaultEEESH_EEENSJ_IJSM_SI_EEENS0_18inequality_wrapperINS9_8equal_toIsEEEEPmJSH_EEE10hipError_tPvRmT3_T4_T5_T6_T7_T9_mT8_P12ihipStream_tbDpT10_ENKUlT_T0_E_clISt17integral_constantIbLb0EES1C_IbLb1EEEEDaS18_S19_EUlS18_E_NS1_11comp_targetILNS1_3genE8ELNS1_11target_archE1030ELNS1_3gpuE2ELNS1_3repE0EEENS1_30default_config_static_selectorELNS0_4arch9wavefront6targetE0EEEvT1_
; %bb.0:
	.section	.rodata,"a",@progbits
	.p2align	6, 0x0
	.amdhsa_kernel _ZN7rocprim17ROCPRIM_400000_NS6detail17trampoline_kernelINS0_14default_configENS1_25partition_config_selectorILNS1_17partition_subalgoE9EsjbEEZZNS1_14partition_implILS5_9ELb0ES3_jN6thrust23THRUST_200600_302600_NS6detail15normal_iteratorINS9_10device_ptrIsEEEENSB_INSC_IjEEEEPNS0_10empty_typeENS0_5tupleIJNS9_16discard_iteratorINS9_11use_defaultEEESH_EEENSJ_IJSM_SI_EEENS0_18inequality_wrapperINS9_8equal_toIsEEEEPmJSH_EEE10hipError_tPvRmT3_T4_T5_T6_T7_T9_mT8_P12ihipStream_tbDpT10_ENKUlT_T0_E_clISt17integral_constantIbLb0EES1C_IbLb1EEEEDaS18_S19_EUlS18_E_NS1_11comp_targetILNS1_3genE8ELNS1_11target_archE1030ELNS1_3gpuE2ELNS1_3repE0EEENS1_30default_config_static_selectorELNS0_4arch9wavefront6targetE0EEEvT1_
		.amdhsa_group_segment_fixed_size 0
		.amdhsa_private_segment_fixed_size 0
		.amdhsa_kernarg_size 144
		.amdhsa_user_sgpr_count 15
		.amdhsa_user_sgpr_dispatch_ptr 0
		.amdhsa_user_sgpr_queue_ptr 0
		.amdhsa_user_sgpr_kernarg_segment_ptr 1
		.amdhsa_user_sgpr_dispatch_id 0
		.amdhsa_user_sgpr_private_segment_size 0
		.amdhsa_wavefront_size32 1
		.amdhsa_uses_dynamic_stack 0
		.amdhsa_enable_private_segment 0
		.amdhsa_system_sgpr_workgroup_id_x 1
		.amdhsa_system_sgpr_workgroup_id_y 0
		.amdhsa_system_sgpr_workgroup_id_z 0
		.amdhsa_system_sgpr_workgroup_info 0
		.amdhsa_system_vgpr_workitem_id 0
		.amdhsa_next_free_vgpr 1
		.amdhsa_next_free_sgpr 1
		.amdhsa_reserve_vcc 0
		.amdhsa_float_round_mode_32 0
		.amdhsa_float_round_mode_16_64 0
		.amdhsa_float_denorm_mode_32 3
		.amdhsa_float_denorm_mode_16_64 3
		.amdhsa_dx10_clamp 1
		.amdhsa_ieee_mode 1
		.amdhsa_fp16_overflow 0
		.amdhsa_workgroup_processor_mode 1
		.amdhsa_memory_ordered 1
		.amdhsa_forward_progress 0
		.amdhsa_shared_vgpr_count 0
		.amdhsa_exception_fp_ieee_invalid_op 0
		.amdhsa_exception_fp_denorm_src 0
		.amdhsa_exception_fp_ieee_div_zero 0
		.amdhsa_exception_fp_ieee_overflow 0
		.amdhsa_exception_fp_ieee_underflow 0
		.amdhsa_exception_fp_ieee_inexact 0
		.amdhsa_exception_int_div_zero 0
	.end_amdhsa_kernel
	.section	.text._ZN7rocprim17ROCPRIM_400000_NS6detail17trampoline_kernelINS0_14default_configENS1_25partition_config_selectorILNS1_17partition_subalgoE9EsjbEEZZNS1_14partition_implILS5_9ELb0ES3_jN6thrust23THRUST_200600_302600_NS6detail15normal_iteratorINS9_10device_ptrIsEEEENSB_INSC_IjEEEEPNS0_10empty_typeENS0_5tupleIJNS9_16discard_iteratorINS9_11use_defaultEEESH_EEENSJ_IJSM_SI_EEENS0_18inequality_wrapperINS9_8equal_toIsEEEEPmJSH_EEE10hipError_tPvRmT3_T4_T5_T6_T7_T9_mT8_P12ihipStream_tbDpT10_ENKUlT_T0_E_clISt17integral_constantIbLb0EES1C_IbLb1EEEEDaS18_S19_EUlS18_E_NS1_11comp_targetILNS1_3genE8ELNS1_11target_archE1030ELNS1_3gpuE2ELNS1_3repE0EEENS1_30default_config_static_selectorELNS0_4arch9wavefront6targetE0EEEvT1_,"axG",@progbits,_ZN7rocprim17ROCPRIM_400000_NS6detail17trampoline_kernelINS0_14default_configENS1_25partition_config_selectorILNS1_17partition_subalgoE9EsjbEEZZNS1_14partition_implILS5_9ELb0ES3_jN6thrust23THRUST_200600_302600_NS6detail15normal_iteratorINS9_10device_ptrIsEEEENSB_INSC_IjEEEEPNS0_10empty_typeENS0_5tupleIJNS9_16discard_iteratorINS9_11use_defaultEEESH_EEENSJ_IJSM_SI_EEENS0_18inequality_wrapperINS9_8equal_toIsEEEEPmJSH_EEE10hipError_tPvRmT3_T4_T5_T6_T7_T9_mT8_P12ihipStream_tbDpT10_ENKUlT_T0_E_clISt17integral_constantIbLb0EES1C_IbLb1EEEEDaS18_S19_EUlS18_E_NS1_11comp_targetILNS1_3genE8ELNS1_11target_archE1030ELNS1_3gpuE2ELNS1_3repE0EEENS1_30default_config_static_selectorELNS0_4arch9wavefront6targetE0EEEvT1_,comdat
.Lfunc_end1204:
	.size	_ZN7rocprim17ROCPRIM_400000_NS6detail17trampoline_kernelINS0_14default_configENS1_25partition_config_selectorILNS1_17partition_subalgoE9EsjbEEZZNS1_14partition_implILS5_9ELb0ES3_jN6thrust23THRUST_200600_302600_NS6detail15normal_iteratorINS9_10device_ptrIsEEEENSB_INSC_IjEEEEPNS0_10empty_typeENS0_5tupleIJNS9_16discard_iteratorINS9_11use_defaultEEESH_EEENSJ_IJSM_SI_EEENS0_18inequality_wrapperINS9_8equal_toIsEEEEPmJSH_EEE10hipError_tPvRmT3_T4_T5_T6_T7_T9_mT8_P12ihipStream_tbDpT10_ENKUlT_T0_E_clISt17integral_constantIbLb0EES1C_IbLb1EEEEDaS18_S19_EUlS18_E_NS1_11comp_targetILNS1_3genE8ELNS1_11target_archE1030ELNS1_3gpuE2ELNS1_3repE0EEENS1_30default_config_static_selectorELNS0_4arch9wavefront6targetE0EEEvT1_, .Lfunc_end1204-_ZN7rocprim17ROCPRIM_400000_NS6detail17trampoline_kernelINS0_14default_configENS1_25partition_config_selectorILNS1_17partition_subalgoE9EsjbEEZZNS1_14partition_implILS5_9ELb0ES3_jN6thrust23THRUST_200600_302600_NS6detail15normal_iteratorINS9_10device_ptrIsEEEENSB_INSC_IjEEEEPNS0_10empty_typeENS0_5tupleIJNS9_16discard_iteratorINS9_11use_defaultEEESH_EEENSJ_IJSM_SI_EEENS0_18inequality_wrapperINS9_8equal_toIsEEEEPmJSH_EEE10hipError_tPvRmT3_T4_T5_T6_T7_T9_mT8_P12ihipStream_tbDpT10_ENKUlT_T0_E_clISt17integral_constantIbLb0EES1C_IbLb1EEEEDaS18_S19_EUlS18_E_NS1_11comp_targetILNS1_3genE8ELNS1_11target_archE1030ELNS1_3gpuE2ELNS1_3repE0EEENS1_30default_config_static_selectorELNS0_4arch9wavefront6targetE0EEEvT1_
                                        ; -- End function
	.section	.AMDGPU.csdata,"",@progbits
; Kernel info:
; codeLenInByte = 0
; NumSgprs: 0
; NumVgprs: 0
; ScratchSize: 0
; MemoryBound: 0
; FloatMode: 240
; IeeeMode: 1
; LDSByteSize: 0 bytes/workgroup (compile time only)
; SGPRBlocks: 0
; VGPRBlocks: 0
; NumSGPRsForWavesPerEU: 1
; NumVGPRsForWavesPerEU: 1
; Occupancy: 16
; WaveLimiterHint : 0
; COMPUTE_PGM_RSRC2:SCRATCH_EN: 0
; COMPUTE_PGM_RSRC2:USER_SGPR: 15
; COMPUTE_PGM_RSRC2:TRAP_HANDLER: 0
; COMPUTE_PGM_RSRC2:TGID_X_EN: 1
; COMPUTE_PGM_RSRC2:TGID_Y_EN: 0
; COMPUTE_PGM_RSRC2:TGID_Z_EN: 0
; COMPUTE_PGM_RSRC2:TIDIG_COMP_CNT: 0
	.section	.text._ZN7rocprim17ROCPRIM_400000_NS6detail17trampoline_kernelINS0_14default_configENS1_25partition_config_selectorILNS1_17partition_subalgoE9EsjbEEZZNS1_14partition_implILS5_9ELb0ES3_jN6thrust23THRUST_200600_302600_NS6detail15normal_iteratorINS9_10device_ptrIsEEEENSB_INSC_IjEEEEPNS0_10empty_typeENS0_5tupleIJSE_SH_EEENSJ_IJNS9_16discard_iteratorINS9_11use_defaultEEESI_EEENS0_18inequality_wrapperINS9_8equal_toIsEEEEPmJSH_EEE10hipError_tPvRmT3_T4_T5_T6_T7_T9_mT8_P12ihipStream_tbDpT10_ENKUlT_T0_E_clISt17integral_constantIbLb0EES1D_EEDaS18_S19_EUlS18_E_NS1_11comp_targetILNS1_3genE0ELNS1_11target_archE4294967295ELNS1_3gpuE0ELNS1_3repE0EEENS1_30default_config_static_selectorELNS0_4arch9wavefront6targetE0EEEvT1_,"axG",@progbits,_ZN7rocprim17ROCPRIM_400000_NS6detail17trampoline_kernelINS0_14default_configENS1_25partition_config_selectorILNS1_17partition_subalgoE9EsjbEEZZNS1_14partition_implILS5_9ELb0ES3_jN6thrust23THRUST_200600_302600_NS6detail15normal_iteratorINS9_10device_ptrIsEEEENSB_INSC_IjEEEEPNS0_10empty_typeENS0_5tupleIJSE_SH_EEENSJ_IJNS9_16discard_iteratorINS9_11use_defaultEEESI_EEENS0_18inequality_wrapperINS9_8equal_toIsEEEEPmJSH_EEE10hipError_tPvRmT3_T4_T5_T6_T7_T9_mT8_P12ihipStream_tbDpT10_ENKUlT_T0_E_clISt17integral_constantIbLb0EES1D_EEDaS18_S19_EUlS18_E_NS1_11comp_targetILNS1_3genE0ELNS1_11target_archE4294967295ELNS1_3gpuE0ELNS1_3repE0EEENS1_30default_config_static_selectorELNS0_4arch9wavefront6targetE0EEEvT1_,comdat
	.protected	_ZN7rocprim17ROCPRIM_400000_NS6detail17trampoline_kernelINS0_14default_configENS1_25partition_config_selectorILNS1_17partition_subalgoE9EsjbEEZZNS1_14partition_implILS5_9ELb0ES3_jN6thrust23THRUST_200600_302600_NS6detail15normal_iteratorINS9_10device_ptrIsEEEENSB_INSC_IjEEEEPNS0_10empty_typeENS0_5tupleIJSE_SH_EEENSJ_IJNS9_16discard_iteratorINS9_11use_defaultEEESI_EEENS0_18inequality_wrapperINS9_8equal_toIsEEEEPmJSH_EEE10hipError_tPvRmT3_T4_T5_T6_T7_T9_mT8_P12ihipStream_tbDpT10_ENKUlT_T0_E_clISt17integral_constantIbLb0EES1D_EEDaS18_S19_EUlS18_E_NS1_11comp_targetILNS1_3genE0ELNS1_11target_archE4294967295ELNS1_3gpuE0ELNS1_3repE0EEENS1_30default_config_static_selectorELNS0_4arch9wavefront6targetE0EEEvT1_ ; -- Begin function _ZN7rocprim17ROCPRIM_400000_NS6detail17trampoline_kernelINS0_14default_configENS1_25partition_config_selectorILNS1_17partition_subalgoE9EsjbEEZZNS1_14partition_implILS5_9ELb0ES3_jN6thrust23THRUST_200600_302600_NS6detail15normal_iteratorINS9_10device_ptrIsEEEENSB_INSC_IjEEEEPNS0_10empty_typeENS0_5tupleIJSE_SH_EEENSJ_IJNS9_16discard_iteratorINS9_11use_defaultEEESI_EEENS0_18inequality_wrapperINS9_8equal_toIsEEEEPmJSH_EEE10hipError_tPvRmT3_T4_T5_T6_T7_T9_mT8_P12ihipStream_tbDpT10_ENKUlT_T0_E_clISt17integral_constantIbLb0EES1D_EEDaS18_S19_EUlS18_E_NS1_11comp_targetILNS1_3genE0ELNS1_11target_archE4294967295ELNS1_3gpuE0ELNS1_3repE0EEENS1_30default_config_static_selectorELNS0_4arch9wavefront6targetE0EEEvT1_
	.globl	_ZN7rocprim17ROCPRIM_400000_NS6detail17trampoline_kernelINS0_14default_configENS1_25partition_config_selectorILNS1_17partition_subalgoE9EsjbEEZZNS1_14partition_implILS5_9ELb0ES3_jN6thrust23THRUST_200600_302600_NS6detail15normal_iteratorINS9_10device_ptrIsEEEENSB_INSC_IjEEEEPNS0_10empty_typeENS0_5tupleIJSE_SH_EEENSJ_IJNS9_16discard_iteratorINS9_11use_defaultEEESI_EEENS0_18inequality_wrapperINS9_8equal_toIsEEEEPmJSH_EEE10hipError_tPvRmT3_T4_T5_T6_T7_T9_mT8_P12ihipStream_tbDpT10_ENKUlT_T0_E_clISt17integral_constantIbLb0EES1D_EEDaS18_S19_EUlS18_E_NS1_11comp_targetILNS1_3genE0ELNS1_11target_archE4294967295ELNS1_3gpuE0ELNS1_3repE0EEENS1_30default_config_static_selectorELNS0_4arch9wavefront6targetE0EEEvT1_
	.p2align	8
	.type	_ZN7rocprim17ROCPRIM_400000_NS6detail17trampoline_kernelINS0_14default_configENS1_25partition_config_selectorILNS1_17partition_subalgoE9EsjbEEZZNS1_14partition_implILS5_9ELb0ES3_jN6thrust23THRUST_200600_302600_NS6detail15normal_iteratorINS9_10device_ptrIsEEEENSB_INSC_IjEEEEPNS0_10empty_typeENS0_5tupleIJSE_SH_EEENSJ_IJNS9_16discard_iteratorINS9_11use_defaultEEESI_EEENS0_18inequality_wrapperINS9_8equal_toIsEEEEPmJSH_EEE10hipError_tPvRmT3_T4_T5_T6_T7_T9_mT8_P12ihipStream_tbDpT10_ENKUlT_T0_E_clISt17integral_constantIbLb0EES1D_EEDaS18_S19_EUlS18_E_NS1_11comp_targetILNS1_3genE0ELNS1_11target_archE4294967295ELNS1_3gpuE0ELNS1_3repE0EEENS1_30default_config_static_selectorELNS0_4arch9wavefront6targetE0EEEvT1_,@function
_ZN7rocprim17ROCPRIM_400000_NS6detail17trampoline_kernelINS0_14default_configENS1_25partition_config_selectorILNS1_17partition_subalgoE9EsjbEEZZNS1_14partition_implILS5_9ELb0ES3_jN6thrust23THRUST_200600_302600_NS6detail15normal_iteratorINS9_10device_ptrIsEEEENSB_INSC_IjEEEEPNS0_10empty_typeENS0_5tupleIJSE_SH_EEENSJ_IJNS9_16discard_iteratorINS9_11use_defaultEEESI_EEENS0_18inequality_wrapperINS9_8equal_toIsEEEEPmJSH_EEE10hipError_tPvRmT3_T4_T5_T6_T7_T9_mT8_P12ihipStream_tbDpT10_ENKUlT_T0_E_clISt17integral_constantIbLb0EES1D_EEDaS18_S19_EUlS18_E_NS1_11comp_targetILNS1_3genE0ELNS1_11target_archE4294967295ELNS1_3gpuE0ELNS1_3repE0EEENS1_30default_config_static_selectorELNS0_4arch9wavefront6targetE0EEEvT1_: ; @_ZN7rocprim17ROCPRIM_400000_NS6detail17trampoline_kernelINS0_14default_configENS1_25partition_config_selectorILNS1_17partition_subalgoE9EsjbEEZZNS1_14partition_implILS5_9ELb0ES3_jN6thrust23THRUST_200600_302600_NS6detail15normal_iteratorINS9_10device_ptrIsEEEENSB_INSC_IjEEEEPNS0_10empty_typeENS0_5tupleIJSE_SH_EEENSJ_IJNS9_16discard_iteratorINS9_11use_defaultEEESI_EEENS0_18inequality_wrapperINS9_8equal_toIsEEEEPmJSH_EEE10hipError_tPvRmT3_T4_T5_T6_T7_T9_mT8_P12ihipStream_tbDpT10_ENKUlT_T0_E_clISt17integral_constantIbLb0EES1D_EEDaS18_S19_EUlS18_E_NS1_11comp_targetILNS1_3genE0ELNS1_11target_archE4294967295ELNS1_3gpuE0ELNS1_3repE0EEENS1_30default_config_static_selectorELNS0_4arch9wavefront6targetE0EEEvT1_
; %bb.0:
	.section	.rodata,"a",@progbits
	.p2align	6, 0x0
	.amdhsa_kernel _ZN7rocprim17ROCPRIM_400000_NS6detail17trampoline_kernelINS0_14default_configENS1_25partition_config_selectorILNS1_17partition_subalgoE9EsjbEEZZNS1_14partition_implILS5_9ELb0ES3_jN6thrust23THRUST_200600_302600_NS6detail15normal_iteratorINS9_10device_ptrIsEEEENSB_INSC_IjEEEEPNS0_10empty_typeENS0_5tupleIJSE_SH_EEENSJ_IJNS9_16discard_iteratorINS9_11use_defaultEEESI_EEENS0_18inequality_wrapperINS9_8equal_toIsEEEEPmJSH_EEE10hipError_tPvRmT3_T4_T5_T6_T7_T9_mT8_P12ihipStream_tbDpT10_ENKUlT_T0_E_clISt17integral_constantIbLb0EES1D_EEDaS18_S19_EUlS18_E_NS1_11comp_targetILNS1_3genE0ELNS1_11target_archE4294967295ELNS1_3gpuE0ELNS1_3repE0EEENS1_30default_config_static_selectorELNS0_4arch9wavefront6targetE0EEEvT1_
		.amdhsa_group_segment_fixed_size 0
		.amdhsa_private_segment_fixed_size 0
		.amdhsa_kernarg_size 120
		.amdhsa_user_sgpr_count 15
		.amdhsa_user_sgpr_dispatch_ptr 0
		.amdhsa_user_sgpr_queue_ptr 0
		.amdhsa_user_sgpr_kernarg_segment_ptr 1
		.amdhsa_user_sgpr_dispatch_id 0
		.amdhsa_user_sgpr_private_segment_size 0
		.amdhsa_wavefront_size32 1
		.amdhsa_uses_dynamic_stack 0
		.amdhsa_enable_private_segment 0
		.amdhsa_system_sgpr_workgroup_id_x 1
		.amdhsa_system_sgpr_workgroup_id_y 0
		.amdhsa_system_sgpr_workgroup_id_z 0
		.amdhsa_system_sgpr_workgroup_info 0
		.amdhsa_system_vgpr_workitem_id 0
		.amdhsa_next_free_vgpr 1
		.amdhsa_next_free_sgpr 1
		.amdhsa_reserve_vcc 0
		.amdhsa_float_round_mode_32 0
		.amdhsa_float_round_mode_16_64 0
		.amdhsa_float_denorm_mode_32 3
		.amdhsa_float_denorm_mode_16_64 3
		.amdhsa_dx10_clamp 1
		.amdhsa_ieee_mode 1
		.amdhsa_fp16_overflow 0
		.amdhsa_workgroup_processor_mode 1
		.amdhsa_memory_ordered 1
		.amdhsa_forward_progress 0
		.amdhsa_shared_vgpr_count 0
		.amdhsa_exception_fp_ieee_invalid_op 0
		.amdhsa_exception_fp_denorm_src 0
		.amdhsa_exception_fp_ieee_div_zero 0
		.amdhsa_exception_fp_ieee_overflow 0
		.amdhsa_exception_fp_ieee_underflow 0
		.amdhsa_exception_fp_ieee_inexact 0
		.amdhsa_exception_int_div_zero 0
	.end_amdhsa_kernel
	.section	.text._ZN7rocprim17ROCPRIM_400000_NS6detail17trampoline_kernelINS0_14default_configENS1_25partition_config_selectorILNS1_17partition_subalgoE9EsjbEEZZNS1_14partition_implILS5_9ELb0ES3_jN6thrust23THRUST_200600_302600_NS6detail15normal_iteratorINS9_10device_ptrIsEEEENSB_INSC_IjEEEEPNS0_10empty_typeENS0_5tupleIJSE_SH_EEENSJ_IJNS9_16discard_iteratorINS9_11use_defaultEEESI_EEENS0_18inequality_wrapperINS9_8equal_toIsEEEEPmJSH_EEE10hipError_tPvRmT3_T4_T5_T6_T7_T9_mT8_P12ihipStream_tbDpT10_ENKUlT_T0_E_clISt17integral_constantIbLb0EES1D_EEDaS18_S19_EUlS18_E_NS1_11comp_targetILNS1_3genE0ELNS1_11target_archE4294967295ELNS1_3gpuE0ELNS1_3repE0EEENS1_30default_config_static_selectorELNS0_4arch9wavefront6targetE0EEEvT1_,"axG",@progbits,_ZN7rocprim17ROCPRIM_400000_NS6detail17trampoline_kernelINS0_14default_configENS1_25partition_config_selectorILNS1_17partition_subalgoE9EsjbEEZZNS1_14partition_implILS5_9ELb0ES3_jN6thrust23THRUST_200600_302600_NS6detail15normal_iteratorINS9_10device_ptrIsEEEENSB_INSC_IjEEEEPNS0_10empty_typeENS0_5tupleIJSE_SH_EEENSJ_IJNS9_16discard_iteratorINS9_11use_defaultEEESI_EEENS0_18inequality_wrapperINS9_8equal_toIsEEEEPmJSH_EEE10hipError_tPvRmT3_T4_T5_T6_T7_T9_mT8_P12ihipStream_tbDpT10_ENKUlT_T0_E_clISt17integral_constantIbLb0EES1D_EEDaS18_S19_EUlS18_E_NS1_11comp_targetILNS1_3genE0ELNS1_11target_archE4294967295ELNS1_3gpuE0ELNS1_3repE0EEENS1_30default_config_static_selectorELNS0_4arch9wavefront6targetE0EEEvT1_,comdat
.Lfunc_end1205:
	.size	_ZN7rocprim17ROCPRIM_400000_NS6detail17trampoline_kernelINS0_14default_configENS1_25partition_config_selectorILNS1_17partition_subalgoE9EsjbEEZZNS1_14partition_implILS5_9ELb0ES3_jN6thrust23THRUST_200600_302600_NS6detail15normal_iteratorINS9_10device_ptrIsEEEENSB_INSC_IjEEEEPNS0_10empty_typeENS0_5tupleIJSE_SH_EEENSJ_IJNS9_16discard_iteratorINS9_11use_defaultEEESI_EEENS0_18inequality_wrapperINS9_8equal_toIsEEEEPmJSH_EEE10hipError_tPvRmT3_T4_T5_T6_T7_T9_mT8_P12ihipStream_tbDpT10_ENKUlT_T0_E_clISt17integral_constantIbLb0EES1D_EEDaS18_S19_EUlS18_E_NS1_11comp_targetILNS1_3genE0ELNS1_11target_archE4294967295ELNS1_3gpuE0ELNS1_3repE0EEENS1_30default_config_static_selectorELNS0_4arch9wavefront6targetE0EEEvT1_, .Lfunc_end1205-_ZN7rocprim17ROCPRIM_400000_NS6detail17trampoline_kernelINS0_14default_configENS1_25partition_config_selectorILNS1_17partition_subalgoE9EsjbEEZZNS1_14partition_implILS5_9ELb0ES3_jN6thrust23THRUST_200600_302600_NS6detail15normal_iteratorINS9_10device_ptrIsEEEENSB_INSC_IjEEEEPNS0_10empty_typeENS0_5tupleIJSE_SH_EEENSJ_IJNS9_16discard_iteratorINS9_11use_defaultEEESI_EEENS0_18inequality_wrapperINS9_8equal_toIsEEEEPmJSH_EEE10hipError_tPvRmT3_T4_T5_T6_T7_T9_mT8_P12ihipStream_tbDpT10_ENKUlT_T0_E_clISt17integral_constantIbLb0EES1D_EEDaS18_S19_EUlS18_E_NS1_11comp_targetILNS1_3genE0ELNS1_11target_archE4294967295ELNS1_3gpuE0ELNS1_3repE0EEENS1_30default_config_static_selectorELNS0_4arch9wavefront6targetE0EEEvT1_
                                        ; -- End function
	.section	.AMDGPU.csdata,"",@progbits
; Kernel info:
; codeLenInByte = 0
; NumSgprs: 0
; NumVgprs: 0
; ScratchSize: 0
; MemoryBound: 0
; FloatMode: 240
; IeeeMode: 1
; LDSByteSize: 0 bytes/workgroup (compile time only)
; SGPRBlocks: 0
; VGPRBlocks: 0
; NumSGPRsForWavesPerEU: 1
; NumVGPRsForWavesPerEU: 1
; Occupancy: 16
; WaveLimiterHint : 0
; COMPUTE_PGM_RSRC2:SCRATCH_EN: 0
; COMPUTE_PGM_RSRC2:USER_SGPR: 15
; COMPUTE_PGM_RSRC2:TRAP_HANDLER: 0
; COMPUTE_PGM_RSRC2:TGID_X_EN: 1
; COMPUTE_PGM_RSRC2:TGID_Y_EN: 0
; COMPUTE_PGM_RSRC2:TGID_Z_EN: 0
; COMPUTE_PGM_RSRC2:TIDIG_COMP_CNT: 0
	.section	.text._ZN7rocprim17ROCPRIM_400000_NS6detail17trampoline_kernelINS0_14default_configENS1_25partition_config_selectorILNS1_17partition_subalgoE9EsjbEEZZNS1_14partition_implILS5_9ELb0ES3_jN6thrust23THRUST_200600_302600_NS6detail15normal_iteratorINS9_10device_ptrIsEEEENSB_INSC_IjEEEEPNS0_10empty_typeENS0_5tupleIJSE_SH_EEENSJ_IJNS9_16discard_iteratorINS9_11use_defaultEEESI_EEENS0_18inequality_wrapperINS9_8equal_toIsEEEEPmJSH_EEE10hipError_tPvRmT3_T4_T5_T6_T7_T9_mT8_P12ihipStream_tbDpT10_ENKUlT_T0_E_clISt17integral_constantIbLb0EES1D_EEDaS18_S19_EUlS18_E_NS1_11comp_targetILNS1_3genE5ELNS1_11target_archE942ELNS1_3gpuE9ELNS1_3repE0EEENS1_30default_config_static_selectorELNS0_4arch9wavefront6targetE0EEEvT1_,"axG",@progbits,_ZN7rocprim17ROCPRIM_400000_NS6detail17trampoline_kernelINS0_14default_configENS1_25partition_config_selectorILNS1_17partition_subalgoE9EsjbEEZZNS1_14partition_implILS5_9ELb0ES3_jN6thrust23THRUST_200600_302600_NS6detail15normal_iteratorINS9_10device_ptrIsEEEENSB_INSC_IjEEEEPNS0_10empty_typeENS0_5tupleIJSE_SH_EEENSJ_IJNS9_16discard_iteratorINS9_11use_defaultEEESI_EEENS0_18inequality_wrapperINS9_8equal_toIsEEEEPmJSH_EEE10hipError_tPvRmT3_T4_T5_T6_T7_T9_mT8_P12ihipStream_tbDpT10_ENKUlT_T0_E_clISt17integral_constantIbLb0EES1D_EEDaS18_S19_EUlS18_E_NS1_11comp_targetILNS1_3genE5ELNS1_11target_archE942ELNS1_3gpuE9ELNS1_3repE0EEENS1_30default_config_static_selectorELNS0_4arch9wavefront6targetE0EEEvT1_,comdat
	.protected	_ZN7rocprim17ROCPRIM_400000_NS6detail17trampoline_kernelINS0_14default_configENS1_25partition_config_selectorILNS1_17partition_subalgoE9EsjbEEZZNS1_14partition_implILS5_9ELb0ES3_jN6thrust23THRUST_200600_302600_NS6detail15normal_iteratorINS9_10device_ptrIsEEEENSB_INSC_IjEEEEPNS0_10empty_typeENS0_5tupleIJSE_SH_EEENSJ_IJNS9_16discard_iteratorINS9_11use_defaultEEESI_EEENS0_18inequality_wrapperINS9_8equal_toIsEEEEPmJSH_EEE10hipError_tPvRmT3_T4_T5_T6_T7_T9_mT8_P12ihipStream_tbDpT10_ENKUlT_T0_E_clISt17integral_constantIbLb0EES1D_EEDaS18_S19_EUlS18_E_NS1_11comp_targetILNS1_3genE5ELNS1_11target_archE942ELNS1_3gpuE9ELNS1_3repE0EEENS1_30default_config_static_selectorELNS0_4arch9wavefront6targetE0EEEvT1_ ; -- Begin function _ZN7rocprim17ROCPRIM_400000_NS6detail17trampoline_kernelINS0_14default_configENS1_25partition_config_selectorILNS1_17partition_subalgoE9EsjbEEZZNS1_14partition_implILS5_9ELb0ES3_jN6thrust23THRUST_200600_302600_NS6detail15normal_iteratorINS9_10device_ptrIsEEEENSB_INSC_IjEEEEPNS0_10empty_typeENS0_5tupleIJSE_SH_EEENSJ_IJNS9_16discard_iteratorINS9_11use_defaultEEESI_EEENS0_18inequality_wrapperINS9_8equal_toIsEEEEPmJSH_EEE10hipError_tPvRmT3_T4_T5_T6_T7_T9_mT8_P12ihipStream_tbDpT10_ENKUlT_T0_E_clISt17integral_constantIbLb0EES1D_EEDaS18_S19_EUlS18_E_NS1_11comp_targetILNS1_3genE5ELNS1_11target_archE942ELNS1_3gpuE9ELNS1_3repE0EEENS1_30default_config_static_selectorELNS0_4arch9wavefront6targetE0EEEvT1_
	.globl	_ZN7rocprim17ROCPRIM_400000_NS6detail17trampoline_kernelINS0_14default_configENS1_25partition_config_selectorILNS1_17partition_subalgoE9EsjbEEZZNS1_14partition_implILS5_9ELb0ES3_jN6thrust23THRUST_200600_302600_NS6detail15normal_iteratorINS9_10device_ptrIsEEEENSB_INSC_IjEEEEPNS0_10empty_typeENS0_5tupleIJSE_SH_EEENSJ_IJNS9_16discard_iteratorINS9_11use_defaultEEESI_EEENS0_18inequality_wrapperINS9_8equal_toIsEEEEPmJSH_EEE10hipError_tPvRmT3_T4_T5_T6_T7_T9_mT8_P12ihipStream_tbDpT10_ENKUlT_T0_E_clISt17integral_constantIbLb0EES1D_EEDaS18_S19_EUlS18_E_NS1_11comp_targetILNS1_3genE5ELNS1_11target_archE942ELNS1_3gpuE9ELNS1_3repE0EEENS1_30default_config_static_selectorELNS0_4arch9wavefront6targetE0EEEvT1_
	.p2align	8
	.type	_ZN7rocprim17ROCPRIM_400000_NS6detail17trampoline_kernelINS0_14default_configENS1_25partition_config_selectorILNS1_17partition_subalgoE9EsjbEEZZNS1_14partition_implILS5_9ELb0ES3_jN6thrust23THRUST_200600_302600_NS6detail15normal_iteratorINS9_10device_ptrIsEEEENSB_INSC_IjEEEEPNS0_10empty_typeENS0_5tupleIJSE_SH_EEENSJ_IJNS9_16discard_iteratorINS9_11use_defaultEEESI_EEENS0_18inequality_wrapperINS9_8equal_toIsEEEEPmJSH_EEE10hipError_tPvRmT3_T4_T5_T6_T7_T9_mT8_P12ihipStream_tbDpT10_ENKUlT_T0_E_clISt17integral_constantIbLb0EES1D_EEDaS18_S19_EUlS18_E_NS1_11comp_targetILNS1_3genE5ELNS1_11target_archE942ELNS1_3gpuE9ELNS1_3repE0EEENS1_30default_config_static_selectorELNS0_4arch9wavefront6targetE0EEEvT1_,@function
_ZN7rocprim17ROCPRIM_400000_NS6detail17trampoline_kernelINS0_14default_configENS1_25partition_config_selectorILNS1_17partition_subalgoE9EsjbEEZZNS1_14partition_implILS5_9ELb0ES3_jN6thrust23THRUST_200600_302600_NS6detail15normal_iteratorINS9_10device_ptrIsEEEENSB_INSC_IjEEEEPNS0_10empty_typeENS0_5tupleIJSE_SH_EEENSJ_IJNS9_16discard_iteratorINS9_11use_defaultEEESI_EEENS0_18inequality_wrapperINS9_8equal_toIsEEEEPmJSH_EEE10hipError_tPvRmT3_T4_T5_T6_T7_T9_mT8_P12ihipStream_tbDpT10_ENKUlT_T0_E_clISt17integral_constantIbLb0EES1D_EEDaS18_S19_EUlS18_E_NS1_11comp_targetILNS1_3genE5ELNS1_11target_archE942ELNS1_3gpuE9ELNS1_3repE0EEENS1_30default_config_static_selectorELNS0_4arch9wavefront6targetE0EEEvT1_: ; @_ZN7rocprim17ROCPRIM_400000_NS6detail17trampoline_kernelINS0_14default_configENS1_25partition_config_selectorILNS1_17partition_subalgoE9EsjbEEZZNS1_14partition_implILS5_9ELb0ES3_jN6thrust23THRUST_200600_302600_NS6detail15normal_iteratorINS9_10device_ptrIsEEEENSB_INSC_IjEEEEPNS0_10empty_typeENS0_5tupleIJSE_SH_EEENSJ_IJNS9_16discard_iteratorINS9_11use_defaultEEESI_EEENS0_18inequality_wrapperINS9_8equal_toIsEEEEPmJSH_EEE10hipError_tPvRmT3_T4_T5_T6_T7_T9_mT8_P12ihipStream_tbDpT10_ENKUlT_T0_E_clISt17integral_constantIbLb0EES1D_EEDaS18_S19_EUlS18_E_NS1_11comp_targetILNS1_3genE5ELNS1_11target_archE942ELNS1_3gpuE9ELNS1_3repE0EEENS1_30default_config_static_selectorELNS0_4arch9wavefront6targetE0EEEvT1_
; %bb.0:
	.section	.rodata,"a",@progbits
	.p2align	6, 0x0
	.amdhsa_kernel _ZN7rocprim17ROCPRIM_400000_NS6detail17trampoline_kernelINS0_14default_configENS1_25partition_config_selectorILNS1_17partition_subalgoE9EsjbEEZZNS1_14partition_implILS5_9ELb0ES3_jN6thrust23THRUST_200600_302600_NS6detail15normal_iteratorINS9_10device_ptrIsEEEENSB_INSC_IjEEEEPNS0_10empty_typeENS0_5tupleIJSE_SH_EEENSJ_IJNS9_16discard_iteratorINS9_11use_defaultEEESI_EEENS0_18inequality_wrapperINS9_8equal_toIsEEEEPmJSH_EEE10hipError_tPvRmT3_T4_T5_T6_T7_T9_mT8_P12ihipStream_tbDpT10_ENKUlT_T0_E_clISt17integral_constantIbLb0EES1D_EEDaS18_S19_EUlS18_E_NS1_11comp_targetILNS1_3genE5ELNS1_11target_archE942ELNS1_3gpuE9ELNS1_3repE0EEENS1_30default_config_static_selectorELNS0_4arch9wavefront6targetE0EEEvT1_
		.amdhsa_group_segment_fixed_size 0
		.amdhsa_private_segment_fixed_size 0
		.amdhsa_kernarg_size 120
		.amdhsa_user_sgpr_count 15
		.amdhsa_user_sgpr_dispatch_ptr 0
		.amdhsa_user_sgpr_queue_ptr 0
		.amdhsa_user_sgpr_kernarg_segment_ptr 1
		.amdhsa_user_sgpr_dispatch_id 0
		.amdhsa_user_sgpr_private_segment_size 0
		.amdhsa_wavefront_size32 1
		.amdhsa_uses_dynamic_stack 0
		.amdhsa_enable_private_segment 0
		.amdhsa_system_sgpr_workgroup_id_x 1
		.amdhsa_system_sgpr_workgroup_id_y 0
		.amdhsa_system_sgpr_workgroup_id_z 0
		.amdhsa_system_sgpr_workgroup_info 0
		.amdhsa_system_vgpr_workitem_id 0
		.amdhsa_next_free_vgpr 1
		.amdhsa_next_free_sgpr 1
		.amdhsa_reserve_vcc 0
		.amdhsa_float_round_mode_32 0
		.amdhsa_float_round_mode_16_64 0
		.amdhsa_float_denorm_mode_32 3
		.amdhsa_float_denorm_mode_16_64 3
		.amdhsa_dx10_clamp 1
		.amdhsa_ieee_mode 1
		.amdhsa_fp16_overflow 0
		.amdhsa_workgroup_processor_mode 1
		.amdhsa_memory_ordered 1
		.amdhsa_forward_progress 0
		.amdhsa_shared_vgpr_count 0
		.amdhsa_exception_fp_ieee_invalid_op 0
		.amdhsa_exception_fp_denorm_src 0
		.amdhsa_exception_fp_ieee_div_zero 0
		.amdhsa_exception_fp_ieee_overflow 0
		.amdhsa_exception_fp_ieee_underflow 0
		.amdhsa_exception_fp_ieee_inexact 0
		.amdhsa_exception_int_div_zero 0
	.end_amdhsa_kernel
	.section	.text._ZN7rocprim17ROCPRIM_400000_NS6detail17trampoline_kernelINS0_14default_configENS1_25partition_config_selectorILNS1_17partition_subalgoE9EsjbEEZZNS1_14partition_implILS5_9ELb0ES3_jN6thrust23THRUST_200600_302600_NS6detail15normal_iteratorINS9_10device_ptrIsEEEENSB_INSC_IjEEEEPNS0_10empty_typeENS0_5tupleIJSE_SH_EEENSJ_IJNS9_16discard_iteratorINS9_11use_defaultEEESI_EEENS0_18inequality_wrapperINS9_8equal_toIsEEEEPmJSH_EEE10hipError_tPvRmT3_T4_T5_T6_T7_T9_mT8_P12ihipStream_tbDpT10_ENKUlT_T0_E_clISt17integral_constantIbLb0EES1D_EEDaS18_S19_EUlS18_E_NS1_11comp_targetILNS1_3genE5ELNS1_11target_archE942ELNS1_3gpuE9ELNS1_3repE0EEENS1_30default_config_static_selectorELNS0_4arch9wavefront6targetE0EEEvT1_,"axG",@progbits,_ZN7rocprim17ROCPRIM_400000_NS6detail17trampoline_kernelINS0_14default_configENS1_25partition_config_selectorILNS1_17partition_subalgoE9EsjbEEZZNS1_14partition_implILS5_9ELb0ES3_jN6thrust23THRUST_200600_302600_NS6detail15normal_iteratorINS9_10device_ptrIsEEEENSB_INSC_IjEEEEPNS0_10empty_typeENS0_5tupleIJSE_SH_EEENSJ_IJNS9_16discard_iteratorINS9_11use_defaultEEESI_EEENS0_18inequality_wrapperINS9_8equal_toIsEEEEPmJSH_EEE10hipError_tPvRmT3_T4_T5_T6_T7_T9_mT8_P12ihipStream_tbDpT10_ENKUlT_T0_E_clISt17integral_constantIbLb0EES1D_EEDaS18_S19_EUlS18_E_NS1_11comp_targetILNS1_3genE5ELNS1_11target_archE942ELNS1_3gpuE9ELNS1_3repE0EEENS1_30default_config_static_selectorELNS0_4arch9wavefront6targetE0EEEvT1_,comdat
.Lfunc_end1206:
	.size	_ZN7rocprim17ROCPRIM_400000_NS6detail17trampoline_kernelINS0_14default_configENS1_25partition_config_selectorILNS1_17partition_subalgoE9EsjbEEZZNS1_14partition_implILS5_9ELb0ES3_jN6thrust23THRUST_200600_302600_NS6detail15normal_iteratorINS9_10device_ptrIsEEEENSB_INSC_IjEEEEPNS0_10empty_typeENS0_5tupleIJSE_SH_EEENSJ_IJNS9_16discard_iteratorINS9_11use_defaultEEESI_EEENS0_18inequality_wrapperINS9_8equal_toIsEEEEPmJSH_EEE10hipError_tPvRmT3_T4_T5_T6_T7_T9_mT8_P12ihipStream_tbDpT10_ENKUlT_T0_E_clISt17integral_constantIbLb0EES1D_EEDaS18_S19_EUlS18_E_NS1_11comp_targetILNS1_3genE5ELNS1_11target_archE942ELNS1_3gpuE9ELNS1_3repE0EEENS1_30default_config_static_selectorELNS0_4arch9wavefront6targetE0EEEvT1_, .Lfunc_end1206-_ZN7rocprim17ROCPRIM_400000_NS6detail17trampoline_kernelINS0_14default_configENS1_25partition_config_selectorILNS1_17partition_subalgoE9EsjbEEZZNS1_14partition_implILS5_9ELb0ES3_jN6thrust23THRUST_200600_302600_NS6detail15normal_iteratorINS9_10device_ptrIsEEEENSB_INSC_IjEEEEPNS0_10empty_typeENS0_5tupleIJSE_SH_EEENSJ_IJNS9_16discard_iteratorINS9_11use_defaultEEESI_EEENS0_18inequality_wrapperINS9_8equal_toIsEEEEPmJSH_EEE10hipError_tPvRmT3_T4_T5_T6_T7_T9_mT8_P12ihipStream_tbDpT10_ENKUlT_T0_E_clISt17integral_constantIbLb0EES1D_EEDaS18_S19_EUlS18_E_NS1_11comp_targetILNS1_3genE5ELNS1_11target_archE942ELNS1_3gpuE9ELNS1_3repE0EEENS1_30default_config_static_selectorELNS0_4arch9wavefront6targetE0EEEvT1_
                                        ; -- End function
	.section	.AMDGPU.csdata,"",@progbits
; Kernel info:
; codeLenInByte = 0
; NumSgprs: 0
; NumVgprs: 0
; ScratchSize: 0
; MemoryBound: 0
; FloatMode: 240
; IeeeMode: 1
; LDSByteSize: 0 bytes/workgroup (compile time only)
; SGPRBlocks: 0
; VGPRBlocks: 0
; NumSGPRsForWavesPerEU: 1
; NumVGPRsForWavesPerEU: 1
; Occupancy: 16
; WaveLimiterHint : 0
; COMPUTE_PGM_RSRC2:SCRATCH_EN: 0
; COMPUTE_PGM_RSRC2:USER_SGPR: 15
; COMPUTE_PGM_RSRC2:TRAP_HANDLER: 0
; COMPUTE_PGM_RSRC2:TGID_X_EN: 1
; COMPUTE_PGM_RSRC2:TGID_Y_EN: 0
; COMPUTE_PGM_RSRC2:TGID_Z_EN: 0
; COMPUTE_PGM_RSRC2:TIDIG_COMP_CNT: 0
	.section	.text._ZN7rocprim17ROCPRIM_400000_NS6detail17trampoline_kernelINS0_14default_configENS1_25partition_config_selectorILNS1_17partition_subalgoE9EsjbEEZZNS1_14partition_implILS5_9ELb0ES3_jN6thrust23THRUST_200600_302600_NS6detail15normal_iteratorINS9_10device_ptrIsEEEENSB_INSC_IjEEEEPNS0_10empty_typeENS0_5tupleIJSE_SH_EEENSJ_IJNS9_16discard_iteratorINS9_11use_defaultEEESI_EEENS0_18inequality_wrapperINS9_8equal_toIsEEEEPmJSH_EEE10hipError_tPvRmT3_T4_T5_T6_T7_T9_mT8_P12ihipStream_tbDpT10_ENKUlT_T0_E_clISt17integral_constantIbLb0EES1D_EEDaS18_S19_EUlS18_E_NS1_11comp_targetILNS1_3genE4ELNS1_11target_archE910ELNS1_3gpuE8ELNS1_3repE0EEENS1_30default_config_static_selectorELNS0_4arch9wavefront6targetE0EEEvT1_,"axG",@progbits,_ZN7rocprim17ROCPRIM_400000_NS6detail17trampoline_kernelINS0_14default_configENS1_25partition_config_selectorILNS1_17partition_subalgoE9EsjbEEZZNS1_14partition_implILS5_9ELb0ES3_jN6thrust23THRUST_200600_302600_NS6detail15normal_iteratorINS9_10device_ptrIsEEEENSB_INSC_IjEEEEPNS0_10empty_typeENS0_5tupleIJSE_SH_EEENSJ_IJNS9_16discard_iteratorINS9_11use_defaultEEESI_EEENS0_18inequality_wrapperINS9_8equal_toIsEEEEPmJSH_EEE10hipError_tPvRmT3_T4_T5_T6_T7_T9_mT8_P12ihipStream_tbDpT10_ENKUlT_T0_E_clISt17integral_constantIbLb0EES1D_EEDaS18_S19_EUlS18_E_NS1_11comp_targetILNS1_3genE4ELNS1_11target_archE910ELNS1_3gpuE8ELNS1_3repE0EEENS1_30default_config_static_selectorELNS0_4arch9wavefront6targetE0EEEvT1_,comdat
	.protected	_ZN7rocprim17ROCPRIM_400000_NS6detail17trampoline_kernelINS0_14default_configENS1_25partition_config_selectorILNS1_17partition_subalgoE9EsjbEEZZNS1_14partition_implILS5_9ELb0ES3_jN6thrust23THRUST_200600_302600_NS6detail15normal_iteratorINS9_10device_ptrIsEEEENSB_INSC_IjEEEEPNS0_10empty_typeENS0_5tupleIJSE_SH_EEENSJ_IJNS9_16discard_iteratorINS9_11use_defaultEEESI_EEENS0_18inequality_wrapperINS9_8equal_toIsEEEEPmJSH_EEE10hipError_tPvRmT3_T4_T5_T6_T7_T9_mT8_P12ihipStream_tbDpT10_ENKUlT_T0_E_clISt17integral_constantIbLb0EES1D_EEDaS18_S19_EUlS18_E_NS1_11comp_targetILNS1_3genE4ELNS1_11target_archE910ELNS1_3gpuE8ELNS1_3repE0EEENS1_30default_config_static_selectorELNS0_4arch9wavefront6targetE0EEEvT1_ ; -- Begin function _ZN7rocprim17ROCPRIM_400000_NS6detail17trampoline_kernelINS0_14default_configENS1_25partition_config_selectorILNS1_17partition_subalgoE9EsjbEEZZNS1_14partition_implILS5_9ELb0ES3_jN6thrust23THRUST_200600_302600_NS6detail15normal_iteratorINS9_10device_ptrIsEEEENSB_INSC_IjEEEEPNS0_10empty_typeENS0_5tupleIJSE_SH_EEENSJ_IJNS9_16discard_iteratorINS9_11use_defaultEEESI_EEENS0_18inequality_wrapperINS9_8equal_toIsEEEEPmJSH_EEE10hipError_tPvRmT3_T4_T5_T6_T7_T9_mT8_P12ihipStream_tbDpT10_ENKUlT_T0_E_clISt17integral_constantIbLb0EES1D_EEDaS18_S19_EUlS18_E_NS1_11comp_targetILNS1_3genE4ELNS1_11target_archE910ELNS1_3gpuE8ELNS1_3repE0EEENS1_30default_config_static_selectorELNS0_4arch9wavefront6targetE0EEEvT1_
	.globl	_ZN7rocprim17ROCPRIM_400000_NS6detail17trampoline_kernelINS0_14default_configENS1_25partition_config_selectorILNS1_17partition_subalgoE9EsjbEEZZNS1_14partition_implILS5_9ELb0ES3_jN6thrust23THRUST_200600_302600_NS6detail15normal_iteratorINS9_10device_ptrIsEEEENSB_INSC_IjEEEEPNS0_10empty_typeENS0_5tupleIJSE_SH_EEENSJ_IJNS9_16discard_iteratorINS9_11use_defaultEEESI_EEENS0_18inequality_wrapperINS9_8equal_toIsEEEEPmJSH_EEE10hipError_tPvRmT3_T4_T5_T6_T7_T9_mT8_P12ihipStream_tbDpT10_ENKUlT_T0_E_clISt17integral_constantIbLb0EES1D_EEDaS18_S19_EUlS18_E_NS1_11comp_targetILNS1_3genE4ELNS1_11target_archE910ELNS1_3gpuE8ELNS1_3repE0EEENS1_30default_config_static_selectorELNS0_4arch9wavefront6targetE0EEEvT1_
	.p2align	8
	.type	_ZN7rocprim17ROCPRIM_400000_NS6detail17trampoline_kernelINS0_14default_configENS1_25partition_config_selectorILNS1_17partition_subalgoE9EsjbEEZZNS1_14partition_implILS5_9ELb0ES3_jN6thrust23THRUST_200600_302600_NS6detail15normal_iteratorINS9_10device_ptrIsEEEENSB_INSC_IjEEEEPNS0_10empty_typeENS0_5tupleIJSE_SH_EEENSJ_IJNS9_16discard_iteratorINS9_11use_defaultEEESI_EEENS0_18inequality_wrapperINS9_8equal_toIsEEEEPmJSH_EEE10hipError_tPvRmT3_T4_T5_T6_T7_T9_mT8_P12ihipStream_tbDpT10_ENKUlT_T0_E_clISt17integral_constantIbLb0EES1D_EEDaS18_S19_EUlS18_E_NS1_11comp_targetILNS1_3genE4ELNS1_11target_archE910ELNS1_3gpuE8ELNS1_3repE0EEENS1_30default_config_static_selectorELNS0_4arch9wavefront6targetE0EEEvT1_,@function
_ZN7rocprim17ROCPRIM_400000_NS6detail17trampoline_kernelINS0_14default_configENS1_25partition_config_selectorILNS1_17partition_subalgoE9EsjbEEZZNS1_14partition_implILS5_9ELb0ES3_jN6thrust23THRUST_200600_302600_NS6detail15normal_iteratorINS9_10device_ptrIsEEEENSB_INSC_IjEEEEPNS0_10empty_typeENS0_5tupleIJSE_SH_EEENSJ_IJNS9_16discard_iteratorINS9_11use_defaultEEESI_EEENS0_18inequality_wrapperINS9_8equal_toIsEEEEPmJSH_EEE10hipError_tPvRmT3_T4_T5_T6_T7_T9_mT8_P12ihipStream_tbDpT10_ENKUlT_T0_E_clISt17integral_constantIbLb0EES1D_EEDaS18_S19_EUlS18_E_NS1_11comp_targetILNS1_3genE4ELNS1_11target_archE910ELNS1_3gpuE8ELNS1_3repE0EEENS1_30default_config_static_selectorELNS0_4arch9wavefront6targetE0EEEvT1_: ; @_ZN7rocprim17ROCPRIM_400000_NS6detail17trampoline_kernelINS0_14default_configENS1_25partition_config_selectorILNS1_17partition_subalgoE9EsjbEEZZNS1_14partition_implILS5_9ELb0ES3_jN6thrust23THRUST_200600_302600_NS6detail15normal_iteratorINS9_10device_ptrIsEEEENSB_INSC_IjEEEEPNS0_10empty_typeENS0_5tupleIJSE_SH_EEENSJ_IJNS9_16discard_iteratorINS9_11use_defaultEEESI_EEENS0_18inequality_wrapperINS9_8equal_toIsEEEEPmJSH_EEE10hipError_tPvRmT3_T4_T5_T6_T7_T9_mT8_P12ihipStream_tbDpT10_ENKUlT_T0_E_clISt17integral_constantIbLb0EES1D_EEDaS18_S19_EUlS18_E_NS1_11comp_targetILNS1_3genE4ELNS1_11target_archE910ELNS1_3gpuE8ELNS1_3repE0EEENS1_30default_config_static_selectorELNS0_4arch9wavefront6targetE0EEEvT1_
; %bb.0:
	.section	.rodata,"a",@progbits
	.p2align	6, 0x0
	.amdhsa_kernel _ZN7rocprim17ROCPRIM_400000_NS6detail17trampoline_kernelINS0_14default_configENS1_25partition_config_selectorILNS1_17partition_subalgoE9EsjbEEZZNS1_14partition_implILS5_9ELb0ES3_jN6thrust23THRUST_200600_302600_NS6detail15normal_iteratorINS9_10device_ptrIsEEEENSB_INSC_IjEEEEPNS0_10empty_typeENS0_5tupleIJSE_SH_EEENSJ_IJNS9_16discard_iteratorINS9_11use_defaultEEESI_EEENS0_18inequality_wrapperINS9_8equal_toIsEEEEPmJSH_EEE10hipError_tPvRmT3_T4_T5_T6_T7_T9_mT8_P12ihipStream_tbDpT10_ENKUlT_T0_E_clISt17integral_constantIbLb0EES1D_EEDaS18_S19_EUlS18_E_NS1_11comp_targetILNS1_3genE4ELNS1_11target_archE910ELNS1_3gpuE8ELNS1_3repE0EEENS1_30default_config_static_selectorELNS0_4arch9wavefront6targetE0EEEvT1_
		.amdhsa_group_segment_fixed_size 0
		.amdhsa_private_segment_fixed_size 0
		.amdhsa_kernarg_size 120
		.amdhsa_user_sgpr_count 15
		.amdhsa_user_sgpr_dispatch_ptr 0
		.amdhsa_user_sgpr_queue_ptr 0
		.amdhsa_user_sgpr_kernarg_segment_ptr 1
		.amdhsa_user_sgpr_dispatch_id 0
		.amdhsa_user_sgpr_private_segment_size 0
		.amdhsa_wavefront_size32 1
		.amdhsa_uses_dynamic_stack 0
		.amdhsa_enable_private_segment 0
		.amdhsa_system_sgpr_workgroup_id_x 1
		.amdhsa_system_sgpr_workgroup_id_y 0
		.amdhsa_system_sgpr_workgroup_id_z 0
		.amdhsa_system_sgpr_workgroup_info 0
		.amdhsa_system_vgpr_workitem_id 0
		.amdhsa_next_free_vgpr 1
		.amdhsa_next_free_sgpr 1
		.amdhsa_reserve_vcc 0
		.amdhsa_float_round_mode_32 0
		.amdhsa_float_round_mode_16_64 0
		.amdhsa_float_denorm_mode_32 3
		.amdhsa_float_denorm_mode_16_64 3
		.amdhsa_dx10_clamp 1
		.amdhsa_ieee_mode 1
		.amdhsa_fp16_overflow 0
		.amdhsa_workgroup_processor_mode 1
		.amdhsa_memory_ordered 1
		.amdhsa_forward_progress 0
		.amdhsa_shared_vgpr_count 0
		.amdhsa_exception_fp_ieee_invalid_op 0
		.amdhsa_exception_fp_denorm_src 0
		.amdhsa_exception_fp_ieee_div_zero 0
		.amdhsa_exception_fp_ieee_overflow 0
		.amdhsa_exception_fp_ieee_underflow 0
		.amdhsa_exception_fp_ieee_inexact 0
		.amdhsa_exception_int_div_zero 0
	.end_amdhsa_kernel
	.section	.text._ZN7rocprim17ROCPRIM_400000_NS6detail17trampoline_kernelINS0_14default_configENS1_25partition_config_selectorILNS1_17partition_subalgoE9EsjbEEZZNS1_14partition_implILS5_9ELb0ES3_jN6thrust23THRUST_200600_302600_NS6detail15normal_iteratorINS9_10device_ptrIsEEEENSB_INSC_IjEEEEPNS0_10empty_typeENS0_5tupleIJSE_SH_EEENSJ_IJNS9_16discard_iteratorINS9_11use_defaultEEESI_EEENS0_18inequality_wrapperINS9_8equal_toIsEEEEPmJSH_EEE10hipError_tPvRmT3_T4_T5_T6_T7_T9_mT8_P12ihipStream_tbDpT10_ENKUlT_T0_E_clISt17integral_constantIbLb0EES1D_EEDaS18_S19_EUlS18_E_NS1_11comp_targetILNS1_3genE4ELNS1_11target_archE910ELNS1_3gpuE8ELNS1_3repE0EEENS1_30default_config_static_selectorELNS0_4arch9wavefront6targetE0EEEvT1_,"axG",@progbits,_ZN7rocprim17ROCPRIM_400000_NS6detail17trampoline_kernelINS0_14default_configENS1_25partition_config_selectorILNS1_17partition_subalgoE9EsjbEEZZNS1_14partition_implILS5_9ELb0ES3_jN6thrust23THRUST_200600_302600_NS6detail15normal_iteratorINS9_10device_ptrIsEEEENSB_INSC_IjEEEEPNS0_10empty_typeENS0_5tupleIJSE_SH_EEENSJ_IJNS9_16discard_iteratorINS9_11use_defaultEEESI_EEENS0_18inequality_wrapperINS9_8equal_toIsEEEEPmJSH_EEE10hipError_tPvRmT3_T4_T5_T6_T7_T9_mT8_P12ihipStream_tbDpT10_ENKUlT_T0_E_clISt17integral_constantIbLb0EES1D_EEDaS18_S19_EUlS18_E_NS1_11comp_targetILNS1_3genE4ELNS1_11target_archE910ELNS1_3gpuE8ELNS1_3repE0EEENS1_30default_config_static_selectorELNS0_4arch9wavefront6targetE0EEEvT1_,comdat
.Lfunc_end1207:
	.size	_ZN7rocprim17ROCPRIM_400000_NS6detail17trampoline_kernelINS0_14default_configENS1_25partition_config_selectorILNS1_17partition_subalgoE9EsjbEEZZNS1_14partition_implILS5_9ELb0ES3_jN6thrust23THRUST_200600_302600_NS6detail15normal_iteratorINS9_10device_ptrIsEEEENSB_INSC_IjEEEEPNS0_10empty_typeENS0_5tupleIJSE_SH_EEENSJ_IJNS9_16discard_iteratorINS9_11use_defaultEEESI_EEENS0_18inequality_wrapperINS9_8equal_toIsEEEEPmJSH_EEE10hipError_tPvRmT3_T4_T5_T6_T7_T9_mT8_P12ihipStream_tbDpT10_ENKUlT_T0_E_clISt17integral_constantIbLb0EES1D_EEDaS18_S19_EUlS18_E_NS1_11comp_targetILNS1_3genE4ELNS1_11target_archE910ELNS1_3gpuE8ELNS1_3repE0EEENS1_30default_config_static_selectorELNS0_4arch9wavefront6targetE0EEEvT1_, .Lfunc_end1207-_ZN7rocprim17ROCPRIM_400000_NS6detail17trampoline_kernelINS0_14default_configENS1_25partition_config_selectorILNS1_17partition_subalgoE9EsjbEEZZNS1_14partition_implILS5_9ELb0ES3_jN6thrust23THRUST_200600_302600_NS6detail15normal_iteratorINS9_10device_ptrIsEEEENSB_INSC_IjEEEEPNS0_10empty_typeENS0_5tupleIJSE_SH_EEENSJ_IJNS9_16discard_iteratorINS9_11use_defaultEEESI_EEENS0_18inequality_wrapperINS9_8equal_toIsEEEEPmJSH_EEE10hipError_tPvRmT3_T4_T5_T6_T7_T9_mT8_P12ihipStream_tbDpT10_ENKUlT_T0_E_clISt17integral_constantIbLb0EES1D_EEDaS18_S19_EUlS18_E_NS1_11comp_targetILNS1_3genE4ELNS1_11target_archE910ELNS1_3gpuE8ELNS1_3repE0EEENS1_30default_config_static_selectorELNS0_4arch9wavefront6targetE0EEEvT1_
                                        ; -- End function
	.section	.AMDGPU.csdata,"",@progbits
; Kernel info:
; codeLenInByte = 0
; NumSgprs: 0
; NumVgprs: 0
; ScratchSize: 0
; MemoryBound: 0
; FloatMode: 240
; IeeeMode: 1
; LDSByteSize: 0 bytes/workgroup (compile time only)
; SGPRBlocks: 0
; VGPRBlocks: 0
; NumSGPRsForWavesPerEU: 1
; NumVGPRsForWavesPerEU: 1
; Occupancy: 15
; WaveLimiterHint : 0
; COMPUTE_PGM_RSRC2:SCRATCH_EN: 0
; COMPUTE_PGM_RSRC2:USER_SGPR: 15
; COMPUTE_PGM_RSRC2:TRAP_HANDLER: 0
; COMPUTE_PGM_RSRC2:TGID_X_EN: 1
; COMPUTE_PGM_RSRC2:TGID_Y_EN: 0
; COMPUTE_PGM_RSRC2:TGID_Z_EN: 0
; COMPUTE_PGM_RSRC2:TIDIG_COMP_CNT: 0
	.section	.text._ZN7rocprim17ROCPRIM_400000_NS6detail17trampoline_kernelINS0_14default_configENS1_25partition_config_selectorILNS1_17partition_subalgoE9EsjbEEZZNS1_14partition_implILS5_9ELb0ES3_jN6thrust23THRUST_200600_302600_NS6detail15normal_iteratorINS9_10device_ptrIsEEEENSB_INSC_IjEEEEPNS0_10empty_typeENS0_5tupleIJSE_SH_EEENSJ_IJNS9_16discard_iteratorINS9_11use_defaultEEESI_EEENS0_18inequality_wrapperINS9_8equal_toIsEEEEPmJSH_EEE10hipError_tPvRmT3_T4_T5_T6_T7_T9_mT8_P12ihipStream_tbDpT10_ENKUlT_T0_E_clISt17integral_constantIbLb0EES1D_EEDaS18_S19_EUlS18_E_NS1_11comp_targetILNS1_3genE3ELNS1_11target_archE908ELNS1_3gpuE7ELNS1_3repE0EEENS1_30default_config_static_selectorELNS0_4arch9wavefront6targetE0EEEvT1_,"axG",@progbits,_ZN7rocprim17ROCPRIM_400000_NS6detail17trampoline_kernelINS0_14default_configENS1_25partition_config_selectorILNS1_17partition_subalgoE9EsjbEEZZNS1_14partition_implILS5_9ELb0ES3_jN6thrust23THRUST_200600_302600_NS6detail15normal_iteratorINS9_10device_ptrIsEEEENSB_INSC_IjEEEEPNS0_10empty_typeENS0_5tupleIJSE_SH_EEENSJ_IJNS9_16discard_iteratorINS9_11use_defaultEEESI_EEENS0_18inequality_wrapperINS9_8equal_toIsEEEEPmJSH_EEE10hipError_tPvRmT3_T4_T5_T6_T7_T9_mT8_P12ihipStream_tbDpT10_ENKUlT_T0_E_clISt17integral_constantIbLb0EES1D_EEDaS18_S19_EUlS18_E_NS1_11comp_targetILNS1_3genE3ELNS1_11target_archE908ELNS1_3gpuE7ELNS1_3repE0EEENS1_30default_config_static_selectorELNS0_4arch9wavefront6targetE0EEEvT1_,comdat
	.protected	_ZN7rocprim17ROCPRIM_400000_NS6detail17trampoline_kernelINS0_14default_configENS1_25partition_config_selectorILNS1_17partition_subalgoE9EsjbEEZZNS1_14partition_implILS5_9ELb0ES3_jN6thrust23THRUST_200600_302600_NS6detail15normal_iteratorINS9_10device_ptrIsEEEENSB_INSC_IjEEEEPNS0_10empty_typeENS0_5tupleIJSE_SH_EEENSJ_IJNS9_16discard_iteratorINS9_11use_defaultEEESI_EEENS0_18inequality_wrapperINS9_8equal_toIsEEEEPmJSH_EEE10hipError_tPvRmT3_T4_T5_T6_T7_T9_mT8_P12ihipStream_tbDpT10_ENKUlT_T0_E_clISt17integral_constantIbLb0EES1D_EEDaS18_S19_EUlS18_E_NS1_11comp_targetILNS1_3genE3ELNS1_11target_archE908ELNS1_3gpuE7ELNS1_3repE0EEENS1_30default_config_static_selectorELNS0_4arch9wavefront6targetE0EEEvT1_ ; -- Begin function _ZN7rocprim17ROCPRIM_400000_NS6detail17trampoline_kernelINS0_14default_configENS1_25partition_config_selectorILNS1_17partition_subalgoE9EsjbEEZZNS1_14partition_implILS5_9ELb0ES3_jN6thrust23THRUST_200600_302600_NS6detail15normal_iteratorINS9_10device_ptrIsEEEENSB_INSC_IjEEEEPNS0_10empty_typeENS0_5tupleIJSE_SH_EEENSJ_IJNS9_16discard_iteratorINS9_11use_defaultEEESI_EEENS0_18inequality_wrapperINS9_8equal_toIsEEEEPmJSH_EEE10hipError_tPvRmT3_T4_T5_T6_T7_T9_mT8_P12ihipStream_tbDpT10_ENKUlT_T0_E_clISt17integral_constantIbLb0EES1D_EEDaS18_S19_EUlS18_E_NS1_11comp_targetILNS1_3genE3ELNS1_11target_archE908ELNS1_3gpuE7ELNS1_3repE0EEENS1_30default_config_static_selectorELNS0_4arch9wavefront6targetE0EEEvT1_
	.globl	_ZN7rocprim17ROCPRIM_400000_NS6detail17trampoline_kernelINS0_14default_configENS1_25partition_config_selectorILNS1_17partition_subalgoE9EsjbEEZZNS1_14partition_implILS5_9ELb0ES3_jN6thrust23THRUST_200600_302600_NS6detail15normal_iteratorINS9_10device_ptrIsEEEENSB_INSC_IjEEEEPNS0_10empty_typeENS0_5tupleIJSE_SH_EEENSJ_IJNS9_16discard_iteratorINS9_11use_defaultEEESI_EEENS0_18inequality_wrapperINS9_8equal_toIsEEEEPmJSH_EEE10hipError_tPvRmT3_T4_T5_T6_T7_T9_mT8_P12ihipStream_tbDpT10_ENKUlT_T0_E_clISt17integral_constantIbLb0EES1D_EEDaS18_S19_EUlS18_E_NS1_11comp_targetILNS1_3genE3ELNS1_11target_archE908ELNS1_3gpuE7ELNS1_3repE0EEENS1_30default_config_static_selectorELNS0_4arch9wavefront6targetE0EEEvT1_
	.p2align	8
	.type	_ZN7rocprim17ROCPRIM_400000_NS6detail17trampoline_kernelINS0_14default_configENS1_25partition_config_selectorILNS1_17partition_subalgoE9EsjbEEZZNS1_14partition_implILS5_9ELb0ES3_jN6thrust23THRUST_200600_302600_NS6detail15normal_iteratorINS9_10device_ptrIsEEEENSB_INSC_IjEEEEPNS0_10empty_typeENS0_5tupleIJSE_SH_EEENSJ_IJNS9_16discard_iteratorINS9_11use_defaultEEESI_EEENS0_18inequality_wrapperINS9_8equal_toIsEEEEPmJSH_EEE10hipError_tPvRmT3_T4_T5_T6_T7_T9_mT8_P12ihipStream_tbDpT10_ENKUlT_T0_E_clISt17integral_constantIbLb0EES1D_EEDaS18_S19_EUlS18_E_NS1_11comp_targetILNS1_3genE3ELNS1_11target_archE908ELNS1_3gpuE7ELNS1_3repE0EEENS1_30default_config_static_selectorELNS0_4arch9wavefront6targetE0EEEvT1_,@function
_ZN7rocprim17ROCPRIM_400000_NS6detail17trampoline_kernelINS0_14default_configENS1_25partition_config_selectorILNS1_17partition_subalgoE9EsjbEEZZNS1_14partition_implILS5_9ELb0ES3_jN6thrust23THRUST_200600_302600_NS6detail15normal_iteratorINS9_10device_ptrIsEEEENSB_INSC_IjEEEEPNS0_10empty_typeENS0_5tupleIJSE_SH_EEENSJ_IJNS9_16discard_iteratorINS9_11use_defaultEEESI_EEENS0_18inequality_wrapperINS9_8equal_toIsEEEEPmJSH_EEE10hipError_tPvRmT3_T4_T5_T6_T7_T9_mT8_P12ihipStream_tbDpT10_ENKUlT_T0_E_clISt17integral_constantIbLb0EES1D_EEDaS18_S19_EUlS18_E_NS1_11comp_targetILNS1_3genE3ELNS1_11target_archE908ELNS1_3gpuE7ELNS1_3repE0EEENS1_30default_config_static_selectorELNS0_4arch9wavefront6targetE0EEEvT1_: ; @_ZN7rocprim17ROCPRIM_400000_NS6detail17trampoline_kernelINS0_14default_configENS1_25partition_config_selectorILNS1_17partition_subalgoE9EsjbEEZZNS1_14partition_implILS5_9ELb0ES3_jN6thrust23THRUST_200600_302600_NS6detail15normal_iteratorINS9_10device_ptrIsEEEENSB_INSC_IjEEEEPNS0_10empty_typeENS0_5tupleIJSE_SH_EEENSJ_IJNS9_16discard_iteratorINS9_11use_defaultEEESI_EEENS0_18inequality_wrapperINS9_8equal_toIsEEEEPmJSH_EEE10hipError_tPvRmT3_T4_T5_T6_T7_T9_mT8_P12ihipStream_tbDpT10_ENKUlT_T0_E_clISt17integral_constantIbLb0EES1D_EEDaS18_S19_EUlS18_E_NS1_11comp_targetILNS1_3genE3ELNS1_11target_archE908ELNS1_3gpuE7ELNS1_3repE0EEENS1_30default_config_static_selectorELNS0_4arch9wavefront6targetE0EEEvT1_
; %bb.0:
	.section	.rodata,"a",@progbits
	.p2align	6, 0x0
	.amdhsa_kernel _ZN7rocprim17ROCPRIM_400000_NS6detail17trampoline_kernelINS0_14default_configENS1_25partition_config_selectorILNS1_17partition_subalgoE9EsjbEEZZNS1_14partition_implILS5_9ELb0ES3_jN6thrust23THRUST_200600_302600_NS6detail15normal_iteratorINS9_10device_ptrIsEEEENSB_INSC_IjEEEEPNS0_10empty_typeENS0_5tupleIJSE_SH_EEENSJ_IJNS9_16discard_iteratorINS9_11use_defaultEEESI_EEENS0_18inequality_wrapperINS9_8equal_toIsEEEEPmJSH_EEE10hipError_tPvRmT3_T4_T5_T6_T7_T9_mT8_P12ihipStream_tbDpT10_ENKUlT_T0_E_clISt17integral_constantIbLb0EES1D_EEDaS18_S19_EUlS18_E_NS1_11comp_targetILNS1_3genE3ELNS1_11target_archE908ELNS1_3gpuE7ELNS1_3repE0EEENS1_30default_config_static_selectorELNS0_4arch9wavefront6targetE0EEEvT1_
		.amdhsa_group_segment_fixed_size 0
		.amdhsa_private_segment_fixed_size 0
		.amdhsa_kernarg_size 120
		.amdhsa_user_sgpr_count 15
		.amdhsa_user_sgpr_dispatch_ptr 0
		.amdhsa_user_sgpr_queue_ptr 0
		.amdhsa_user_sgpr_kernarg_segment_ptr 1
		.amdhsa_user_sgpr_dispatch_id 0
		.amdhsa_user_sgpr_private_segment_size 0
		.amdhsa_wavefront_size32 1
		.amdhsa_uses_dynamic_stack 0
		.amdhsa_enable_private_segment 0
		.amdhsa_system_sgpr_workgroup_id_x 1
		.amdhsa_system_sgpr_workgroup_id_y 0
		.amdhsa_system_sgpr_workgroup_id_z 0
		.amdhsa_system_sgpr_workgroup_info 0
		.amdhsa_system_vgpr_workitem_id 0
		.amdhsa_next_free_vgpr 1
		.amdhsa_next_free_sgpr 1
		.amdhsa_reserve_vcc 0
		.amdhsa_float_round_mode_32 0
		.amdhsa_float_round_mode_16_64 0
		.amdhsa_float_denorm_mode_32 3
		.amdhsa_float_denorm_mode_16_64 3
		.amdhsa_dx10_clamp 1
		.amdhsa_ieee_mode 1
		.amdhsa_fp16_overflow 0
		.amdhsa_workgroup_processor_mode 1
		.amdhsa_memory_ordered 1
		.amdhsa_forward_progress 0
		.amdhsa_shared_vgpr_count 0
		.amdhsa_exception_fp_ieee_invalid_op 0
		.amdhsa_exception_fp_denorm_src 0
		.amdhsa_exception_fp_ieee_div_zero 0
		.amdhsa_exception_fp_ieee_overflow 0
		.amdhsa_exception_fp_ieee_underflow 0
		.amdhsa_exception_fp_ieee_inexact 0
		.amdhsa_exception_int_div_zero 0
	.end_amdhsa_kernel
	.section	.text._ZN7rocprim17ROCPRIM_400000_NS6detail17trampoline_kernelINS0_14default_configENS1_25partition_config_selectorILNS1_17partition_subalgoE9EsjbEEZZNS1_14partition_implILS5_9ELb0ES3_jN6thrust23THRUST_200600_302600_NS6detail15normal_iteratorINS9_10device_ptrIsEEEENSB_INSC_IjEEEEPNS0_10empty_typeENS0_5tupleIJSE_SH_EEENSJ_IJNS9_16discard_iteratorINS9_11use_defaultEEESI_EEENS0_18inequality_wrapperINS9_8equal_toIsEEEEPmJSH_EEE10hipError_tPvRmT3_T4_T5_T6_T7_T9_mT8_P12ihipStream_tbDpT10_ENKUlT_T0_E_clISt17integral_constantIbLb0EES1D_EEDaS18_S19_EUlS18_E_NS1_11comp_targetILNS1_3genE3ELNS1_11target_archE908ELNS1_3gpuE7ELNS1_3repE0EEENS1_30default_config_static_selectorELNS0_4arch9wavefront6targetE0EEEvT1_,"axG",@progbits,_ZN7rocprim17ROCPRIM_400000_NS6detail17trampoline_kernelINS0_14default_configENS1_25partition_config_selectorILNS1_17partition_subalgoE9EsjbEEZZNS1_14partition_implILS5_9ELb0ES3_jN6thrust23THRUST_200600_302600_NS6detail15normal_iteratorINS9_10device_ptrIsEEEENSB_INSC_IjEEEEPNS0_10empty_typeENS0_5tupleIJSE_SH_EEENSJ_IJNS9_16discard_iteratorINS9_11use_defaultEEESI_EEENS0_18inequality_wrapperINS9_8equal_toIsEEEEPmJSH_EEE10hipError_tPvRmT3_T4_T5_T6_T7_T9_mT8_P12ihipStream_tbDpT10_ENKUlT_T0_E_clISt17integral_constantIbLb0EES1D_EEDaS18_S19_EUlS18_E_NS1_11comp_targetILNS1_3genE3ELNS1_11target_archE908ELNS1_3gpuE7ELNS1_3repE0EEENS1_30default_config_static_selectorELNS0_4arch9wavefront6targetE0EEEvT1_,comdat
.Lfunc_end1208:
	.size	_ZN7rocprim17ROCPRIM_400000_NS6detail17trampoline_kernelINS0_14default_configENS1_25partition_config_selectorILNS1_17partition_subalgoE9EsjbEEZZNS1_14partition_implILS5_9ELb0ES3_jN6thrust23THRUST_200600_302600_NS6detail15normal_iteratorINS9_10device_ptrIsEEEENSB_INSC_IjEEEEPNS0_10empty_typeENS0_5tupleIJSE_SH_EEENSJ_IJNS9_16discard_iteratorINS9_11use_defaultEEESI_EEENS0_18inequality_wrapperINS9_8equal_toIsEEEEPmJSH_EEE10hipError_tPvRmT3_T4_T5_T6_T7_T9_mT8_P12ihipStream_tbDpT10_ENKUlT_T0_E_clISt17integral_constantIbLb0EES1D_EEDaS18_S19_EUlS18_E_NS1_11comp_targetILNS1_3genE3ELNS1_11target_archE908ELNS1_3gpuE7ELNS1_3repE0EEENS1_30default_config_static_selectorELNS0_4arch9wavefront6targetE0EEEvT1_, .Lfunc_end1208-_ZN7rocprim17ROCPRIM_400000_NS6detail17trampoline_kernelINS0_14default_configENS1_25partition_config_selectorILNS1_17partition_subalgoE9EsjbEEZZNS1_14partition_implILS5_9ELb0ES3_jN6thrust23THRUST_200600_302600_NS6detail15normal_iteratorINS9_10device_ptrIsEEEENSB_INSC_IjEEEEPNS0_10empty_typeENS0_5tupleIJSE_SH_EEENSJ_IJNS9_16discard_iteratorINS9_11use_defaultEEESI_EEENS0_18inequality_wrapperINS9_8equal_toIsEEEEPmJSH_EEE10hipError_tPvRmT3_T4_T5_T6_T7_T9_mT8_P12ihipStream_tbDpT10_ENKUlT_T0_E_clISt17integral_constantIbLb0EES1D_EEDaS18_S19_EUlS18_E_NS1_11comp_targetILNS1_3genE3ELNS1_11target_archE908ELNS1_3gpuE7ELNS1_3repE0EEENS1_30default_config_static_selectorELNS0_4arch9wavefront6targetE0EEEvT1_
                                        ; -- End function
	.section	.AMDGPU.csdata,"",@progbits
; Kernel info:
; codeLenInByte = 0
; NumSgprs: 0
; NumVgprs: 0
; ScratchSize: 0
; MemoryBound: 0
; FloatMode: 240
; IeeeMode: 1
; LDSByteSize: 0 bytes/workgroup (compile time only)
; SGPRBlocks: 0
; VGPRBlocks: 0
; NumSGPRsForWavesPerEU: 1
; NumVGPRsForWavesPerEU: 1
; Occupancy: 16
; WaveLimiterHint : 0
; COMPUTE_PGM_RSRC2:SCRATCH_EN: 0
; COMPUTE_PGM_RSRC2:USER_SGPR: 15
; COMPUTE_PGM_RSRC2:TRAP_HANDLER: 0
; COMPUTE_PGM_RSRC2:TGID_X_EN: 1
; COMPUTE_PGM_RSRC2:TGID_Y_EN: 0
; COMPUTE_PGM_RSRC2:TGID_Z_EN: 0
; COMPUTE_PGM_RSRC2:TIDIG_COMP_CNT: 0
	.section	.text._ZN7rocprim17ROCPRIM_400000_NS6detail17trampoline_kernelINS0_14default_configENS1_25partition_config_selectorILNS1_17partition_subalgoE9EsjbEEZZNS1_14partition_implILS5_9ELb0ES3_jN6thrust23THRUST_200600_302600_NS6detail15normal_iteratorINS9_10device_ptrIsEEEENSB_INSC_IjEEEEPNS0_10empty_typeENS0_5tupleIJSE_SH_EEENSJ_IJNS9_16discard_iteratorINS9_11use_defaultEEESI_EEENS0_18inequality_wrapperINS9_8equal_toIsEEEEPmJSH_EEE10hipError_tPvRmT3_T4_T5_T6_T7_T9_mT8_P12ihipStream_tbDpT10_ENKUlT_T0_E_clISt17integral_constantIbLb0EES1D_EEDaS18_S19_EUlS18_E_NS1_11comp_targetILNS1_3genE2ELNS1_11target_archE906ELNS1_3gpuE6ELNS1_3repE0EEENS1_30default_config_static_selectorELNS0_4arch9wavefront6targetE0EEEvT1_,"axG",@progbits,_ZN7rocprim17ROCPRIM_400000_NS6detail17trampoline_kernelINS0_14default_configENS1_25partition_config_selectorILNS1_17partition_subalgoE9EsjbEEZZNS1_14partition_implILS5_9ELb0ES3_jN6thrust23THRUST_200600_302600_NS6detail15normal_iteratorINS9_10device_ptrIsEEEENSB_INSC_IjEEEEPNS0_10empty_typeENS0_5tupleIJSE_SH_EEENSJ_IJNS9_16discard_iteratorINS9_11use_defaultEEESI_EEENS0_18inequality_wrapperINS9_8equal_toIsEEEEPmJSH_EEE10hipError_tPvRmT3_T4_T5_T6_T7_T9_mT8_P12ihipStream_tbDpT10_ENKUlT_T0_E_clISt17integral_constantIbLb0EES1D_EEDaS18_S19_EUlS18_E_NS1_11comp_targetILNS1_3genE2ELNS1_11target_archE906ELNS1_3gpuE6ELNS1_3repE0EEENS1_30default_config_static_selectorELNS0_4arch9wavefront6targetE0EEEvT1_,comdat
	.protected	_ZN7rocprim17ROCPRIM_400000_NS6detail17trampoline_kernelINS0_14default_configENS1_25partition_config_selectorILNS1_17partition_subalgoE9EsjbEEZZNS1_14partition_implILS5_9ELb0ES3_jN6thrust23THRUST_200600_302600_NS6detail15normal_iteratorINS9_10device_ptrIsEEEENSB_INSC_IjEEEEPNS0_10empty_typeENS0_5tupleIJSE_SH_EEENSJ_IJNS9_16discard_iteratorINS9_11use_defaultEEESI_EEENS0_18inequality_wrapperINS9_8equal_toIsEEEEPmJSH_EEE10hipError_tPvRmT3_T4_T5_T6_T7_T9_mT8_P12ihipStream_tbDpT10_ENKUlT_T0_E_clISt17integral_constantIbLb0EES1D_EEDaS18_S19_EUlS18_E_NS1_11comp_targetILNS1_3genE2ELNS1_11target_archE906ELNS1_3gpuE6ELNS1_3repE0EEENS1_30default_config_static_selectorELNS0_4arch9wavefront6targetE0EEEvT1_ ; -- Begin function _ZN7rocprim17ROCPRIM_400000_NS6detail17trampoline_kernelINS0_14default_configENS1_25partition_config_selectorILNS1_17partition_subalgoE9EsjbEEZZNS1_14partition_implILS5_9ELb0ES3_jN6thrust23THRUST_200600_302600_NS6detail15normal_iteratorINS9_10device_ptrIsEEEENSB_INSC_IjEEEEPNS0_10empty_typeENS0_5tupleIJSE_SH_EEENSJ_IJNS9_16discard_iteratorINS9_11use_defaultEEESI_EEENS0_18inequality_wrapperINS9_8equal_toIsEEEEPmJSH_EEE10hipError_tPvRmT3_T4_T5_T6_T7_T9_mT8_P12ihipStream_tbDpT10_ENKUlT_T0_E_clISt17integral_constantIbLb0EES1D_EEDaS18_S19_EUlS18_E_NS1_11comp_targetILNS1_3genE2ELNS1_11target_archE906ELNS1_3gpuE6ELNS1_3repE0EEENS1_30default_config_static_selectorELNS0_4arch9wavefront6targetE0EEEvT1_
	.globl	_ZN7rocprim17ROCPRIM_400000_NS6detail17trampoline_kernelINS0_14default_configENS1_25partition_config_selectorILNS1_17partition_subalgoE9EsjbEEZZNS1_14partition_implILS5_9ELb0ES3_jN6thrust23THRUST_200600_302600_NS6detail15normal_iteratorINS9_10device_ptrIsEEEENSB_INSC_IjEEEEPNS0_10empty_typeENS0_5tupleIJSE_SH_EEENSJ_IJNS9_16discard_iteratorINS9_11use_defaultEEESI_EEENS0_18inequality_wrapperINS9_8equal_toIsEEEEPmJSH_EEE10hipError_tPvRmT3_T4_T5_T6_T7_T9_mT8_P12ihipStream_tbDpT10_ENKUlT_T0_E_clISt17integral_constantIbLb0EES1D_EEDaS18_S19_EUlS18_E_NS1_11comp_targetILNS1_3genE2ELNS1_11target_archE906ELNS1_3gpuE6ELNS1_3repE0EEENS1_30default_config_static_selectorELNS0_4arch9wavefront6targetE0EEEvT1_
	.p2align	8
	.type	_ZN7rocprim17ROCPRIM_400000_NS6detail17trampoline_kernelINS0_14default_configENS1_25partition_config_selectorILNS1_17partition_subalgoE9EsjbEEZZNS1_14partition_implILS5_9ELb0ES3_jN6thrust23THRUST_200600_302600_NS6detail15normal_iteratorINS9_10device_ptrIsEEEENSB_INSC_IjEEEEPNS0_10empty_typeENS0_5tupleIJSE_SH_EEENSJ_IJNS9_16discard_iteratorINS9_11use_defaultEEESI_EEENS0_18inequality_wrapperINS9_8equal_toIsEEEEPmJSH_EEE10hipError_tPvRmT3_T4_T5_T6_T7_T9_mT8_P12ihipStream_tbDpT10_ENKUlT_T0_E_clISt17integral_constantIbLb0EES1D_EEDaS18_S19_EUlS18_E_NS1_11comp_targetILNS1_3genE2ELNS1_11target_archE906ELNS1_3gpuE6ELNS1_3repE0EEENS1_30default_config_static_selectorELNS0_4arch9wavefront6targetE0EEEvT1_,@function
_ZN7rocprim17ROCPRIM_400000_NS6detail17trampoline_kernelINS0_14default_configENS1_25partition_config_selectorILNS1_17partition_subalgoE9EsjbEEZZNS1_14partition_implILS5_9ELb0ES3_jN6thrust23THRUST_200600_302600_NS6detail15normal_iteratorINS9_10device_ptrIsEEEENSB_INSC_IjEEEEPNS0_10empty_typeENS0_5tupleIJSE_SH_EEENSJ_IJNS9_16discard_iteratorINS9_11use_defaultEEESI_EEENS0_18inequality_wrapperINS9_8equal_toIsEEEEPmJSH_EEE10hipError_tPvRmT3_T4_T5_T6_T7_T9_mT8_P12ihipStream_tbDpT10_ENKUlT_T0_E_clISt17integral_constantIbLb0EES1D_EEDaS18_S19_EUlS18_E_NS1_11comp_targetILNS1_3genE2ELNS1_11target_archE906ELNS1_3gpuE6ELNS1_3repE0EEENS1_30default_config_static_selectorELNS0_4arch9wavefront6targetE0EEEvT1_: ; @_ZN7rocprim17ROCPRIM_400000_NS6detail17trampoline_kernelINS0_14default_configENS1_25partition_config_selectorILNS1_17partition_subalgoE9EsjbEEZZNS1_14partition_implILS5_9ELb0ES3_jN6thrust23THRUST_200600_302600_NS6detail15normal_iteratorINS9_10device_ptrIsEEEENSB_INSC_IjEEEEPNS0_10empty_typeENS0_5tupleIJSE_SH_EEENSJ_IJNS9_16discard_iteratorINS9_11use_defaultEEESI_EEENS0_18inequality_wrapperINS9_8equal_toIsEEEEPmJSH_EEE10hipError_tPvRmT3_T4_T5_T6_T7_T9_mT8_P12ihipStream_tbDpT10_ENKUlT_T0_E_clISt17integral_constantIbLb0EES1D_EEDaS18_S19_EUlS18_E_NS1_11comp_targetILNS1_3genE2ELNS1_11target_archE906ELNS1_3gpuE6ELNS1_3repE0EEENS1_30default_config_static_selectorELNS0_4arch9wavefront6targetE0EEEvT1_
; %bb.0:
	.section	.rodata,"a",@progbits
	.p2align	6, 0x0
	.amdhsa_kernel _ZN7rocprim17ROCPRIM_400000_NS6detail17trampoline_kernelINS0_14default_configENS1_25partition_config_selectorILNS1_17partition_subalgoE9EsjbEEZZNS1_14partition_implILS5_9ELb0ES3_jN6thrust23THRUST_200600_302600_NS6detail15normal_iteratorINS9_10device_ptrIsEEEENSB_INSC_IjEEEEPNS0_10empty_typeENS0_5tupleIJSE_SH_EEENSJ_IJNS9_16discard_iteratorINS9_11use_defaultEEESI_EEENS0_18inequality_wrapperINS9_8equal_toIsEEEEPmJSH_EEE10hipError_tPvRmT3_T4_T5_T6_T7_T9_mT8_P12ihipStream_tbDpT10_ENKUlT_T0_E_clISt17integral_constantIbLb0EES1D_EEDaS18_S19_EUlS18_E_NS1_11comp_targetILNS1_3genE2ELNS1_11target_archE906ELNS1_3gpuE6ELNS1_3repE0EEENS1_30default_config_static_selectorELNS0_4arch9wavefront6targetE0EEEvT1_
		.amdhsa_group_segment_fixed_size 0
		.amdhsa_private_segment_fixed_size 0
		.amdhsa_kernarg_size 120
		.amdhsa_user_sgpr_count 15
		.amdhsa_user_sgpr_dispatch_ptr 0
		.amdhsa_user_sgpr_queue_ptr 0
		.amdhsa_user_sgpr_kernarg_segment_ptr 1
		.amdhsa_user_sgpr_dispatch_id 0
		.amdhsa_user_sgpr_private_segment_size 0
		.amdhsa_wavefront_size32 1
		.amdhsa_uses_dynamic_stack 0
		.amdhsa_enable_private_segment 0
		.amdhsa_system_sgpr_workgroup_id_x 1
		.amdhsa_system_sgpr_workgroup_id_y 0
		.amdhsa_system_sgpr_workgroup_id_z 0
		.amdhsa_system_sgpr_workgroup_info 0
		.amdhsa_system_vgpr_workitem_id 0
		.amdhsa_next_free_vgpr 1
		.amdhsa_next_free_sgpr 1
		.amdhsa_reserve_vcc 0
		.amdhsa_float_round_mode_32 0
		.amdhsa_float_round_mode_16_64 0
		.amdhsa_float_denorm_mode_32 3
		.amdhsa_float_denorm_mode_16_64 3
		.amdhsa_dx10_clamp 1
		.amdhsa_ieee_mode 1
		.amdhsa_fp16_overflow 0
		.amdhsa_workgroup_processor_mode 1
		.amdhsa_memory_ordered 1
		.amdhsa_forward_progress 0
		.amdhsa_shared_vgpr_count 0
		.amdhsa_exception_fp_ieee_invalid_op 0
		.amdhsa_exception_fp_denorm_src 0
		.amdhsa_exception_fp_ieee_div_zero 0
		.amdhsa_exception_fp_ieee_overflow 0
		.amdhsa_exception_fp_ieee_underflow 0
		.amdhsa_exception_fp_ieee_inexact 0
		.amdhsa_exception_int_div_zero 0
	.end_amdhsa_kernel
	.section	.text._ZN7rocprim17ROCPRIM_400000_NS6detail17trampoline_kernelINS0_14default_configENS1_25partition_config_selectorILNS1_17partition_subalgoE9EsjbEEZZNS1_14partition_implILS5_9ELb0ES3_jN6thrust23THRUST_200600_302600_NS6detail15normal_iteratorINS9_10device_ptrIsEEEENSB_INSC_IjEEEEPNS0_10empty_typeENS0_5tupleIJSE_SH_EEENSJ_IJNS9_16discard_iteratorINS9_11use_defaultEEESI_EEENS0_18inequality_wrapperINS9_8equal_toIsEEEEPmJSH_EEE10hipError_tPvRmT3_T4_T5_T6_T7_T9_mT8_P12ihipStream_tbDpT10_ENKUlT_T0_E_clISt17integral_constantIbLb0EES1D_EEDaS18_S19_EUlS18_E_NS1_11comp_targetILNS1_3genE2ELNS1_11target_archE906ELNS1_3gpuE6ELNS1_3repE0EEENS1_30default_config_static_selectorELNS0_4arch9wavefront6targetE0EEEvT1_,"axG",@progbits,_ZN7rocprim17ROCPRIM_400000_NS6detail17trampoline_kernelINS0_14default_configENS1_25partition_config_selectorILNS1_17partition_subalgoE9EsjbEEZZNS1_14partition_implILS5_9ELb0ES3_jN6thrust23THRUST_200600_302600_NS6detail15normal_iteratorINS9_10device_ptrIsEEEENSB_INSC_IjEEEEPNS0_10empty_typeENS0_5tupleIJSE_SH_EEENSJ_IJNS9_16discard_iteratorINS9_11use_defaultEEESI_EEENS0_18inequality_wrapperINS9_8equal_toIsEEEEPmJSH_EEE10hipError_tPvRmT3_T4_T5_T6_T7_T9_mT8_P12ihipStream_tbDpT10_ENKUlT_T0_E_clISt17integral_constantIbLb0EES1D_EEDaS18_S19_EUlS18_E_NS1_11comp_targetILNS1_3genE2ELNS1_11target_archE906ELNS1_3gpuE6ELNS1_3repE0EEENS1_30default_config_static_selectorELNS0_4arch9wavefront6targetE0EEEvT1_,comdat
.Lfunc_end1209:
	.size	_ZN7rocprim17ROCPRIM_400000_NS6detail17trampoline_kernelINS0_14default_configENS1_25partition_config_selectorILNS1_17partition_subalgoE9EsjbEEZZNS1_14partition_implILS5_9ELb0ES3_jN6thrust23THRUST_200600_302600_NS6detail15normal_iteratorINS9_10device_ptrIsEEEENSB_INSC_IjEEEEPNS0_10empty_typeENS0_5tupleIJSE_SH_EEENSJ_IJNS9_16discard_iteratorINS9_11use_defaultEEESI_EEENS0_18inequality_wrapperINS9_8equal_toIsEEEEPmJSH_EEE10hipError_tPvRmT3_T4_T5_T6_T7_T9_mT8_P12ihipStream_tbDpT10_ENKUlT_T0_E_clISt17integral_constantIbLb0EES1D_EEDaS18_S19_EUlS18_E_NS1_11comp_targetILNS1_3genE2ELNS1_11target_archE906ELNS1_3gpuE6ELNS1_3repE0EEENS1_30default_config_static_selectorELNS0_4arch9wavefront6targetE0EEEvT1_, .Lfunc_end1209-_ZN7rocprim17ROCPRIM_400000_NS6detail17trampoline_kernelINS0_14default_configENS1_25partition_config_selectorILNS1_17partition_subalgoE9EsjbEEZZNS1_14partition_implILS5_9ELb0ES3_jN6thrust23THRUST_200600_302600_NS6detail15normal_iteratorINS9_10device_ptrIsEEEENSB_INSC_IjEEEEPNS0_10empty_typeENS0_5tupleIJSE_SH_EEENSJ_IJNS9_16discard_iteratorINS9_11use_defaultEEESI_EEENS0_18inequality_wrapperINS9_8equal_toIsEEEEPmJSH_EEE10hipError_tPvRmT3_T4_T5_T6_T7_T9_mT8_P12ihipStream_tbDpT10_ENKUlT_T0_E_clISt17integral_constantIbLb0EES1D_EEDaS18_S19_EUlS18_E_NS1_11comp_targetILNS1_3genE2ELNS1_11target_archE906ELNS1_3gpuE6ELNS1_3repE0EEENS1_30default_config_static_selectorELNS0_4arch9wavefront6targetE0EEEvT1_
                                        ; -- End function
	.section	.AMDGPU.csdata,"",@progbits
; Kernel info:
; codeLenInByte = 0
; NumSgprs: 0
; NumVgprs: 0
; ScratchSize: 0
; MemoryBound: 0
; FloatMode: 240
; IeeeMode: 1
; LDSByteSize: 0 bytes/workgroup (compile time only)
; SGPRBlocks: 0
; VGPRBlocks: 0
; NumSGPRsForWavesPerEU: 1
; NumVGPRsForWavesPerEU: 1
; Occupancy: 16
; WaveLimiterHint : 0
; COMPUTE_PGM_RSRC2:SCRATCH_EN: 0
; COMPUTE_PGM_RSRC2:USER_SGPR: 15
; COMPUTE_PGM_RSRC2:TRAP_HANDLER: 0
; COMPUTE_PGM_RSRC2:TGID_X_EN: 1
; COMPUTE_PGM_RSRC2:TGID_Y_EN: 0
; COMPUTE_PGM_RSRC2:TGID_Z_EN: 0
; COMPUTE_PGM_RSRC2:TIDIG_COMP_CNT: 0
	.section	.text._ZN7rocprim17ROCPRIM_400000_NS6detail17trampoline_kernelINS0_14default_configENS1_25partition_config_selectorILNS1_17partition_subalgoE9EsjbEEZZNS1_14partition_implILS5_9ELb0ES3_jN6thrust23THRUST_200600_302600_NS6detail15normal_iteratorINS9_10device_ptrIsEEEENSB_INSC_IjEEEEPNS0_10empty_typeENS0_5tupleIJSE_SH_EEENSJ_IJNS9_16discard_iteratorINS9_11use_defaultEEESI_EEENS0_18inequality_wrapperINS9_8equal_toIsEEEEPmJSH_EEE10hipError_tPvRmT3_T4_T5_T6_T7_T9_mT8_P12ihipStream_tbDpT10_ENKUlT_T0_E_clISt17integral_constantIbLb0EES1D_EEDaS18_S19_EUlS18_E_NS1_11comp_targetILNS1_3genE10ELNS1_11target_archE1200ELNS1_3gpuE4ELNS1_3repE0EEENS1_30default_config_static_selectorELNS0_4arch9wavefront6targetE0EEEvT1_,"axG",@progbits,_ZN7rocprim17ROCPRIM_400000_NS6detail17trampoline_kernelINS0_14default_configENS1_25partition_config_selectorILNS1_17partition_subalgoE9EsjbEEZZNS1_14partition_implILS5_9ELb0ES3_jN6thrust23THRUST_200600_302600_NS6detail15normal_iteratorINS9_10device_ptrIsEEEENSB_INSC_IjEEEEPNS0_10empty_typeENS0_5tupleIJSE_SH_EEENSJ_IJNS9_16discard_iteratorINS9_11use_defaultEEESI_EEENS0_18inequality_wrapperINS9_8equal_toIsEEEEPmJSH_EEE10hipError_tPvRmT3_T4_T5_T6_T7_T9_mT8_P12ihipStream_tbDpT10_ENKUlT_T0_E_clISt17integral_constantIbLb0EES1D_EEDaS18_S19_EUlS18_E_NS1_11comp_targetILNS1_3genE10ELNS1_11target_archE1200ELNS1_3gpuE4ELNS1_3repE0EEENS1_30default_config_static_selectorELNS0_4arch9wavefront6targetE0EEEvT1_,comdat
	.protected	_ZN7rocprim17ROCPRIM_400000_NS6detail17trampoline_kernelINS0_14default_configENS1_25partition_config_selectorILNS1_17partition_subalgoE9EsjbEEZZNS1_14partition_implILS5_9ELb0ES3_jN6thrust23THRUST_200600_302600_NS6detail15normal_iteratorINS9_10device_ptrIsEEEENSB_INSC_IjEEEEPNS0_10empty_typeENS0_5tupleIJSE_SH_EEENSJ_IJNS9_16discard_iteratorINS9_11use_defaultEEESI_EEENS0_18inequality_wrapperINS9_8equal_toIsEEEEPmJSH_EEE10hipError_tPvRmT3_T4_T5_T6_T7_T9_mT8_P12ihipStream_tbDpT10_ENKUlT_T0_E_clISt17integral_constantIbLb0EES1D_EEDaS18_S19_EUlS18_E_NS1_11comp_targetILNS1_3genE10ELNS1_11target_archE1200ELNS1_3gpuE4ELNS1_3repE0EEENS1_30default_config_static_selectorELNS0_4arch9wavefront6targetE0EEEvT1_ ; -- Begin function _ZN7rocprim17ROCPRIM_400000_NS6detail17trampoline_kernelINS0_14default_configENS1_25partition_config_selectorILNS1_17partition_subalgoE9EsjbEEZZNS1_14partition_implILS5_9ELb0ES3_jN6thrust23THRUST_200600_302600_NS6detail15normal_iteratorINS9_10device_ptrIsEEEENSB_INSC_IjEEEEPNS0_10empty_typeENS0_5tupleIJSE_SH_EEENSJ_IJNS9_16discard_iteratorINS9_11use_defaultEEESI_EEENS0_18inequality_wrapperINS9_8equal_toIsEEEEPmJSH_EEE10hipError_tPvRmT3_T4_T5_T6_T7_T9_mT8_P12ihipStream_tbDpT10_ENKUlT_T0_E_clISt17integral_constantIbLb0EES1D_EEDaS18_S19_EUlS18_E_NS1_11comp_targetILNS1_3genE10ELNS1_11target_archE1200ELNS1_3gpuE4ELNS1_3repE0EEENS1_30default_config_static_selectorELNS0_4arch9wavefront6targetE0EEEvT1_
	.globl	_ZN7rocprim17ROCPRIM_400000_NS6detail17trampoline_kernelINS0_14default_configENS1_25partition_config_selectorILNS1_17partition_subalgoE9EsjbEEZZNS1_14partition_implILS5_9ELb0ES3_jN6thrust23THRUST_200600_302600_NS6detail15normal_iteratorINS9_10device_ptrIsEEEENSB_INSC_IjEEEEPNS0_10empty_typeENS0_5tupleIJSE_SH_EEENSJ_IJNS9_16discard_iteratorINS9_11use_defaultEEESI_EEENS0_18inequality_wrapperINS9_8equal_toIsEEEEPmJSH_EEE10hipError_tPvRmT3_T4_T5_T6_T7_T9_mT8_P12ihipStream_tbDpT10_ENKUlT_T0_E_clISt17integral_constantIbLb0EES1D_EEDaS18_S19_EUlS18_E_NS1_11comp_targetILNS1_3genE10ELNS1_11target_archE1200ELNS1_3gpuE4ELNS1_3repE0EEENS1_30default_config_static_selectorELNS0_4arch9wavefront6targetE0EEEvT1_
	.p2align	8
	.type	_ZN7rocprim17ROCPRIM_400000_NS6detail17trampoline_kernelINS0_14default_configENS1_25partition_config_selectorILNS1_17partition_subalgoE9EsjbEEZZNS1_14partition_implILS5_9ELb0ES3_jN6thrust23THRUST_200600_302600_NS6detail15normal_iteratorINS9_10device_ptrIsEEEENSB_INSC_IjEEEEPNS0_10empty_typeENS0_5tupleIJSE_SH_EEENSJ_IJNS9_16discard_iteratorINS9_11use_defaultEEESI_EEENS0_18inequality_wrapperINS9_8equal_toIsEEEEPmJSH_EEE10hipError_tPvRmT3_T4_T5_T6_T7_T9_mT8_P12ihipStream_tbDpT10_ENKUlT_T0_E_clISt17integral_constantIbLb0EES1D_EEDaS18_S19_EUlS18_E_NS1_11comp_targetILNS1_3genE10ELNS1_11target_archE1200ELNS1_3gpuE4ELNS1_3repE0EEENS1_30default_config_static_selectorELNS0_4arch9wavefront6targetE0EEEvT1_,@function
_ZN7rocprim17ROCPRIM_400000_NS6detail17trampoline_kernelINS0_14default_configENS1_25partition_config_selectorILNS1_17partition_subalgoE9EsjbEEZZNS1_14partition_implILS5_9ELb0ES3_jN6thrust23THRUST_200600_302600_NS6detail15normal_iteratorINS9_10device_ptrIsEEEENSB_INSC_IjEEEEPNS0_10empty_typeENS0_5tupleIJSE_SH_EEENSJ_IJNS9_16discard_iteratorINS9_11use_defaultEEESI_EEENS0_18inequality_wrapperINS9_8equal_toIsEEEEPmJSH_EEE10hipError_tPvRmT3_T4_T5_T6_T7_T9_mT8_P12ihipStream_tbDpT10_ENKUlT_T0_E_clISt17integral_constantIbLb0EES1D_EEDaS18_S19_EUlS18_E_NS1_11comp_targetILNS1_3genE10ELNS1_11target_archE1200ELNS1_3gpuE4ELNS1_3repE0EEENS1_30default_config_static_selectorELNS0_4arch9wavefront6targetE0EEEvT1_: ; @_ZN7rocprim17ROCPRIM_400000_NS6detail17trampoline_kernelINS0_14default_configENS1_25partition_config_selectorILNS1_17partition_subalgoE9EsjbEEZZNS1_14partition_implILS5_9ELb0ES3_jN6thrust23THRUST_200600_302600_NS6detail15normal_iteratorINS9_10device_ptrIsEEEENSB_INSC_IjEEEEPNS0_10empty_typeENS0_5tupleIJSE_SH_EEENSJ_IJNS9_16discard_iteratorINS9_11use_defaultEEESI_EEENS0_18inequality_wrapperINS9_8equal_toIsEEEEPmJSH_EEE10hipError_tPvRmT3_T4_T5_T6_T7_T9_mT8_P12ihipStream_tbDpT10_ENKUlT_T0_E_clISt17integral_constantIbLb0EES1D_EEDaS18_S19_EUlS18_E_NS1_11comp_targetILNS1_3genE10ELNS1_11target_archE1200ELNS1_3gpuE4ELNS1_3repE0EEENS1_30default_config_static_selectorELNS0_4arch9wavefront6targetE0EEEvT1_
; %bb.0:
	.section	.rodata,"a",@progbits
	.p2align	6, 0x0
	.amdhsa_kernel _ZN7rocprim17ROCPRIM_400000_NS6detail17trampoline_kernelINS0_14default_configENS1_25partition_config_selectorILNS1_17partition_subalgoE9EsjbEEZZNS1_14partition_implILS5_9ELb0ES3_jN6thrust23THRUST_200600_302600_NS6detail15normal_iteratorINS9_10device_ptrIsEEEENSB_INSC_IjEEEEPNS0_10empty_typeENS0_5tupleIJSE_SH_EEENSJ_IJNS9_16discard_iteratorINS9_11use_defaultEEESI_EEENS0_18inequality_wrapperINS9_8equal_toIsEEEEPmJSH_EEE10hipError_tPvRmT3_T4_T5_T6_T7_T9_mT8_P12ihipStream_tbDpT10_ENKUlT_T0_E_clISt17integral_constantIbLb0EES1D_EEDaS18_S19_EUlS18_E_NS1_11comp_targetILNS1_3genE10ELNS1_11target_archE1200ELNS1_3gpuE4ELNS1_3repE0EEENS1_30default_config_static_selectorELNS0_4arch9wavefront6targetE0EEEvT1_
		.amdhsa_group_segment_fixed_size 0
		.amdhsa_private_segment_fixed_size 0
		.amdhsa_kernarg_size 120
		.amdhsa_user_sgpr_count 15
		.amdhsa_user_sgpr_dispatch_ptr 0
		.amdhsa_user_sgpr_queue_ptr 0
		.amdhsa_user_sgpr_kernarg_segment_ptr 1
		.amdhsa_user_sgpr_dispatch_id 0
		.amdhsa_user_sgpr_private_segment_size 0
		.amdhsa_wavefront_size32 1
		.amdhsa_uses_dynamic_stack 0
		.amdhsa_enable_private_segment 0
		.amdhsa_system_sgpr_workgroup_id_x 1
		.amdhsa_system_sgpr_workgroup_id_y 0
		.amdhsa_system_sgpr_workgroup_id_z 0
		.amdhsa_system_sgpr_workgroup_info 0
		.amdhsa_system_vgpr_workitem_id 0
		.amdhsa_next_free_vgpr 1
		.amdhsa_next_free_sgpr 1
		.amdhsa_reserve_vcc 0
		.amdhsa_float_round_mode_32 0
		.amdhsa_float_round_mode_16_64 0
		.amdhsa_float_denorm_mode_32 3
		.amdhsa_float_denorm_mode_16_64 3
		.amdhsa_dx10_clamp 1
		.amdhsa_ieee_mode 1
		.amdhsa_fp16_overflow 0
		.amdhsa_workgroup_processor_mode 1
		.amdhsa_memory_ordered 1
		.amdhsa_forward_progress 0
		.amdhsa_shared_vgpr_count 0
		.amdhsa_exception_fp_ieee_invalid_op 0
		.amdhsa_exception_fp_denorm_src 0
		.amdhsa_exception_fp_ieee_div_zero 0
		.amdhsa_exception_fp_ieee_overflow 0
		.amdhsa_exception_fp_ieee_underflow 0
		.amdhsa_exception_fp_ieee_inexact 0
		.amdhsa_exception_int_div_zero 0
	.end_amdhsa_kernel
	.section	.text._ZN7rocprim17ROCPRIM_400000_NS6detail17trampoline_kernelINS0_14default_configENS1_25partition_config_selectorILNS1_17partition_subalgoE9EsjbEEZZNS1_14partition_implILS5_9ELb0ES3_jN6thrust23THRUST_200600_302600_NS6detail15normal_iteratorINS9_10device_ptrIsEEEENSB_INSC_IjEEEEPNS0_10empty_typeENS0_5tupleIJSE_SH_EEENSJ_IJNS9_16discard_iteratorINS9_11use_defaultEEESI_EEENS0_18inequality_wrapperINS9_8equal_toIsEEEEPmJSH_EEE10hipError_tPvRmT3_T4_T5_T6_T7_T9_mT8_P12ihipStream_tbDpT10_ENKUlT_T0_E_clISt17integral_constantIbLb0EES1D_EEDaS18_S19_EUlS18_E_NS1_11comp_targetILNS1_3genE10ELNS1_11target_archE1200ELNS1_3gpuE4ELNS1_3repE0EEENS1_30default_config_static_selectorELNS0_4arch9wavefront6targetE0EEEvT1_,"axG",@progbits,_ZN7rocprim17ROCPRIM_400000_NS6detail17trampoline_kernelINS0_14default_configENS1_25partition_config_selectorILNS1_17partition_subalgoE9EsjbEEZZNS1_14partition_implILS5_9ELb0ES3_jN6thrust23THRUST_200600_302600_NS6detail15normal_iteratorINS9_10device_ptrIsEEEENSB_INSC_IjEEEEPNS0_10empty_typeENS0_5tupleIJSE_SH_EEENSJ_IJNS9_16discard_iteratorINS9_11use_defaultEEESI_EEENS0_18inequality_wrapperINS9_8equal_toIsEEEEPmJSH_EEE10hipError_tPvRmT3_T4_T5_T6_T7_T9_mT8_P12ihipStream_tbDpT10_ENKUlT_T0_E_clISt17integral_constantIbLb0EES1D_EEDaS18_S19_EUlS18_E_NS1_11comp_targetILNS1_3genE10ELNS1_11target_archE1200ELNS1_3gpuE4ELNS1_3repE0EEENS1_30default_config_static_selectorELNS0_4arch9wavefront6targetE0EEEvT1_,comdat
.Lfunc_end1210:
	.size	_ZN7rocprim17ROCPRIM_400000_NS6detail17trampoline_kernelINS0_14default_configENS1_25partition_config_selectorILNS1_17partition_subalgoE9EsjbEEZZNS1_14partition_implILS5_9ELb0ES3_jN6thrust23THRUST_200600_302600_NS6detail15normal_iteratorINS9_10device_ptrIsEEEENSB_INSC_IjEEEEPNS0_10empty_typeENS0_5tupleIJSE_SH_EEENSJ_IJNS9_16discard_iteratorINS9_11use_defaultEEESI_EEENS0_18inequality_wrapperINS9_8equal_toIsEEEEPmJSH_EEE10hipError_tPvRmT3_T4_T5_T6_T7_T9_mT8_P12ihipStream_tbDpT10_ENKUlT_T0_E_clISt17integral_constantIbLb0EES1D_EEDaS18_S19_EUlS18_E_NS1_11comp_targetILNS1_3genE10ELNS1_11target_archE1200ELNS1_3gpuE4ELNS1_3repE0EEENS1_30default_config_static_selectorELNS0_4arch9wavefront6targetE0EEEvT1_, .Lfunc_end1210-_ZN7rocprim17ROCPRIM_400000_NS6detail17trampoline_kernelINS0_14default_configENS1_25partition_config_selectorILNS1_17partition_subalgoE9EsjbEEZZNS1_14partition_implILS5_9ELb0ES3_jN6thrust23THRUST_200600_302600_NS6detail15normal_iteratorINS9_10device_ptrIsEEEENSB_INSC_IjEEEEPNS0_10empty_typeENS0_5tupleIJSE_SH_EEENSJ_IJNS9_16discard_iteratorINS9_11use_defaultEEESI_EEENS0_18inequality_wrapperINS9_8equal_toIsEEEEPmJSH_EEE10hipError_tPvRmT3_T4_T5_T6_T7_T9_mT8_P12ihipStream_tbDpT10_ENKUlT_T0_E_clISt17integral_constantIbLb0EES1D_EEDaS18_S19_EUlS18_E_NS1_11comp_targetILNS1_3genE10ELNS1_11target_archE1200ELNS1_3gpuE4ELNS1_3repE0EEENS1_30default_config_static_selectorELNS0_4arch9wavefront6targetE0EEEvT1_
                                        ; -- End function
	.section	.AMDGPU.csdata,"",@progbits
; Kernel info:
; codeLenInByte = 0
; NumSgprs: 0
; NumVgprs: 0
; ScratchSize: 0
; MemoryBound: 0
; FloatMode: 240
; IeeeMode: 1
; LDSByteSize: 0 bytes/workgroup (compile time only)
; SGPRBlocks: 0
; VGPRBlocks: 0
; NumSGPRsForWavesPerEU: 1
; NumVGPRsForWavesPerEU: 1
; Occupancy: 16
; WaveLimiterHint : 0
; COMPUTE_PGM_RSRC2:SCRATCH_EN: 0
; COMPUTE_PGM_RSRC2:USER_SGPR: 15
; COMPUTE_PGM_RSRC2:TRAP_HANDLER: 0
; COMPUTE_PGM_RSRC2:TGID_X_EN: 1
; COMPUTE_PGM_RSRC2:TGID_Y_EN: 0
; COMPUTE_PGM_RSRC2:TGID_Z_EN: 0
; COMPUTE_PGM_RSRC2:TIDIG_COMP_CNT: 0
	.section	.text._ZN7rocprim17ROCPRIM_400000_NS6detail17trampoline_kernelINS0_14default_configENS1_25partition_config_selectorILNS1_17partition_subalgoE9EsjbEEZZNS1_14partition_implILS5_9ELb0ES3_jN6thrust23THRUST_200600_302600_NS6detail15normal_iteratorINS9_10device_ptrIsEEEENSB_INSC_IjEEEEPNS0_10empty_typeENS0_5tupleIJSE_SH_EEENSJ_IJNS9_16discard_iteratorINS9_11use_defaultEEESI_EEENS0_18inequality_wrapperINS9_8equal_toIsEEEEPmJSH_EEE10hipError_tPvRmT3_T4_T5_T6_T7_T9_mT8_P12ihipStream_tbDpT10_ENKUlT_T0_E_clISt17integral_constantIbLb0EES1D_EEDaS18_S19_EUlS18_E_NS1_11comp_targetILNS1_3genE9ELNS1_11target_archE1100ELNS1_3gpuE3ELNS1_3repE0EEENS1_30default_config_static_selectorELNS0_4arch9wavefront6targetE0EEEvT1_,"axG",@progbits,_ZN7rocprim17ROCPRIM_400000_NS6detail17trampoline_kernelINS0_14default_configENS1_25partition_config_selectorILNS1_17partition_subalgoE9EsjbEEZZNS1_14partition_implILS5_9ELb0ES3_jN6thrust23THRUST_200600_302600_NS6detail15normal_iteratorINS9_10device_ptrIsEEEENSB_INSC_IjEEEEPNS0_10empty_typeENS0_5tupleIJSE_SH_EEENSJ_IJNS9_16discard_iteratorINS9_11use_defaultEEESI_EEENS0_18inequality_wrapperINS9_8equal_toIsEEEEPmJSH_EEE10hipError_tPvRmT3_T4_T5_T6_T7_T9_mT8_P12ihipStream_tbDpT10_ENKUlT_T0_E_clISt17integral_constantIbLb0EES1D_EEDaS18_S19_EUlS18_E_NS1_11comp_targetILNS1_3genE9ELNS1_11target_archE1100ELNS1_3gpuE3ELNS1_3repE0EEENS1_30default_config_static_selectorELNS0_4arch9wavefront6targetE0EEEvT1_,comdat
	.protected	_ZN7rocprim17ROCPRIM_400000_NS6detail17trampoline_kernelINS0_14default_configENS1_25partition_config_selectorILNS1_17partition_subalgoE9EsjbEEZZNS1_14partition_implILS5_9ELb0ES3_jN6thrust23THRUST_200600_302600_NS6detail15normal_iteratorINS9_10device_ptrIsEEEENSB_INSC_IjEEEEPNS0_10empty_typeENS0_5tupleIJSE_SH_EEENSJ_IJNS9_16discard_iteratorINS9_11use_defaultEEESI_EEENS0_18inequality_wrapperINS9_8equal_toIsEEEEPmJSH_EEE10hipError_tPvRmT3_T4_T5_T6_T7_T9_mT8_P12ihipStream_tbDpT10_ENKUlT_T0_E_clISt17integral_constantIbLb0EES1D_EEDaS18_S19_EUlS18_E_NS1_11comp_targetILNS1_3genE9ELNS1_11target_archE1100ELNS1_3gpuE3ELNS1_3repE0EEENS1_30default_config_static_selectorELNS0_4arch9wavefront6targetE0EEEvT1_ ; -- Begin function _ZN7rocprim17ROCPRIM_400000_NS6detail17trampoline_kernelINS0_14default_configENS1_25partition_config_selectorILNS1_17partition_subalgoE9EsjbEEZZNS1_14partition_implILS5_9ELb0ES3_jN6thrust23THRUST_200600_302600_NS6detail15normal_iteratorINS9_10device_ptrIsEEEENSB_INSC_IjEEEEPNS0_10empty_typeENS0_5tupleIJSE_SH_EEENSJ_IJNS9_16discard_iteratorINS9_11use_defaultEEESI_EEENS0_18inequality_wrapperINS9_8equal_toIsEEEEPmJSH_EEE10hipError_tPvRmT3_T4_T5_T6_T7_T9_mT8_P12ihipStream_tbDpT10_ENKUlT_T0_E_clISt17integral_constantIbLb0EES1D_EEDaS18_S19_EUlS18_E_NS1_11comp_targetILNS1_3genE9ELNS1_11target_archE1100ELNS1_3gpuE3ELNS1_3repE0EEENS1_30default_config_static_selectorELNS0_4arch9wavefront6targetE0EEEvT1_
	.globl	_ZN7rocprim17ROCPRIM_400000_NS6detail17trampoline_kernelINS0_14default_configENS1_25partition_config_selectorILNS1_17partition_subalgoE9EsjbEEZZNS1_14partition_implILS5_9ELb0ES3_jN6thrust23THRUST_200600_302600_NS6detail15normal_iteratorINS9_10device_ptrIsEEEENSB_INSC_IjEEEEPNS0_10empty_typeENS0_5tupleIJSE_SH_EEENSJ_IJNS9_16discard_iteratorINS9_11use_defaultEEESI_EEENS0_18inequality_wrapperINS9_8equal_toIsEEEEPmJSH_EEE10hipError_tPvRmT3_T4_T5_T6_T7_T9_mT8_P12ihipStream_tbDpT10_ENKUlT_T0_E_clISt17integral_constantIbLb0EES1D_EEDaS18_S19_EUlS18_E_NS1_11comp_targetILNS1_3genE9ELNS1_11target_archE1100ELNS1_3gpuE3ELNS1_3repE0EEENS1_30default_config_static_selectorELNS0_4arch9wavefront6targetE0EEEvT1_
	.p2align	8
	.type	_ZN7rocprim17ROCPRIM_400000_NS6detail17trampoline_kernelINS0_14default_configENS1_25partition_config_selectorILNS1_17partition_subalgoE9EsjbEEZZNS1_14partition_implILS5_9ELb0ES3_jN6thrust23THRUST_200600_302600_NS6detail15normal_iteratorINS9_10device_ptrIsEEEENSB_INSC_IjEEEEPNS0_10empty_typeENS0_5tupleIJSE_SH_EEENSJ_IJNS9_16discard_iteratorINS9_11use_defaultEEESI_EEENS0_18inequality_wrapperINS9_8equal_toIsEEEEPmJSH_EEE10hipError_tPvRmT3_T4_T5_T6_T7_T9_mT8_P12ihipStream_tbDpT10_ENKUlT_T0_E_clISt17integral_constantIbLb0EES1D_EEDaS18_S19_EUlS18_E_NS1_11comp_targetILNS1_3genE9ELNS1_11target_archE1100ELNS1_3gpuE3ELNS1_3repE0EEENS1_30default_config_static_selectorELNS0_4arch9wavefront6targetE0EEEvT1_,@function
_ZN7rocprim17ROCPRIM_400000_NS6detail17trampoline_kernelINS0_14default_configENS1_25partition_config_selectorILNS1_17partition_subalgoE9EsjbEEZZNS1_14partition_implILS5_9ELb0ES3_jN6thrust23THRUST_200600_302600_NS6detail15normal_iteratorINS9_10device_ptrIsEEEENSB_INSC_IjEEEEPNS0_10empty_typeENS0_5tupleIJSE_SH_EEENSJ_IJNS9_16discard_iteratorINS9_11use_defaultEEESI_EEENS0_18inequality_wrapperINS9_8equal_toIsEEEEPmJSH_EEE10hipError_tPvRmT3_T4_T5_T6_T7_T9_mT8_P12ihipStream_tbDpT10_ENKUlT_T0_E_clISt17integral_constantIbLb0EES1D_EEDaS18_S19_EUlS18_E_NS1_11comp_targetILNS1_3genE9ELNS1_11target_archE1100ELNS1_3gpuE3ELNS1_3repE0EEENS1_30default_config_static_selectorELNS0_4arch9wavefront6targetE0EEEvT1_: ; @_ZN7rocprim17ROCPRIM_400000_NS6detail17trampoline_kernelINS0_14default_configENS1_25partition_config_selectorILNS1_17partition_subalgoE9EsjbEEZZNS1_14partition_implILS5_9ELb0ES3_jN6thrust23THRUST_200600_302600_NS6detail15normal_iteratorINS9_10device_ptrIsEEEENSB_INSC_IjEEEEPNS0_10empty_typeENS0_5tupleIJSE_SH_EEENSJ_IJNS9_16discard_iteratorINS9_11use_defaultEEESI_EEENS0_18inequality_wrapperINS9_8equal_toIsEEEEPmJSH_EEE10hipError_tPvRmT3_T4_T5_T6_T7_T9_mT8_P12ihipStream_tbDpT10_ENKUlT_T0_E_clISt17integral_constantIbLb0EES1D_EEDaS18_S19_EUlS18_E_NS1_11comp_targetILNS1_3genE9ELNS1_11target_archE1100ELNS1_3gpuE3ELNS1_3repE0EEENS1_30default_config_static_selectorELNS0_4arch9wavefront6targetE0EEEvT1_
; %bb.0:
	s_clause 0x4
	s_load_b128 s[4:7], s[0:1], 0x8
	s_load_b32 s14, s[0:1], 0x70
	s_load_b128 s[16:19], s[0:1], 0x48
	s_load_b64 s[2:3], s[0:1], 0x58
	s_load_b64 s[8:9], s[0:1], 0x18
	s_waitcnt lgkmcnt(0)
	s_lshl_b64 s[10:11], s[6:7], 1
	s_mul_i32 s20, s14, 0x580
	s_add_u32 s10, s4, s10
	s_addc_u32 s11, s5, s11
	s_add_i32 s4, s20, s6
	s_load_b64 s[12:13], s[18:19], 0x0
	s_sub_i32 s19, s2, s4
	s_add_i32 s14, s14, -1
	s_addk_i32 s19, 0x580
	s_add_u32 s4, s6, s20
	s_addc_u32 s5, s7, 0
	s_cmp_eq_u32 s15, s14
	v_cmp_ge_u64_e64 s2, s[4:5], s[2:3]
	s_cselect_b32 s14, -1, 0
	s_mov_b32 s5, 0
	s_mul_i32 s4, s15, 0x580
	s_delay_alu instid0(VALU_DEP_1)
	s_and_b32 s20, s14, s2
	s_lshl_b64 s[2:3], s[4:5], 1
	s_xor_b32 s18, s20, -1
	s_add_u32 s10, s10, s2
	s_addc_u32 s3, s11, s3
	s_and_b32 vcc_lo, exec_lo, s18
	s_mov_b32 s11, -1
	s_cbranch_vccz .LBB1211_2
; %bb.1:
	v_lshlrev_b32_e32 v3, 1, v0
	s_mov_b32 s11, s5
	s_delay_alu instid0(VALU_DEP_1) | instskip(NEXT) | instid1(VALU_DEP_1)
	v_add_co_u32 v1, s2, s10, v3
	v_add_co_ci_u32_e64 v2, null, s3, 0, s2
	s_clause 0xa
	flat_load_u16 v4, v[1:2]
	flat_load_u16 v5, v[1:2] offset:256
	flat_load_u16 v6, v[1:2] offset:512
	;; [unrolled: 1-line block ×10, first 2 shown]
	s_waitcnt vmcnt(10) lgkmcnt(0)
	ds_store_b16 v3, v4
	s_waitcnt vmcnt(9)
	ds_store_b16 v3, v5 offset:256
	s_waitcnt vmcnt(8)
	ds_store_b16 v3, v6 offset:512
	;; [unrolled: 2-line block ×10, first 2 shown]
	s_waitcnt lgkmcnt(0)
	s_barrier
.LBB1211_2:
	v_cmp_gt_u32_e64 s2, s19, v0
	s_and_not1_b32 vcc_lo, exec_lo, s11
	s_cbranch_vccnz .LBB1211_26
; %bb.3:
                                        ; implicit-def: $vgpr1_vgpr2_vgpr3_vgpr4_vgpr5_vgpr6_vgpr7_vgpr8
	s_delay_alu instid0(VALU_DEP_1)
	s_and_saveexec_b32 s11, s2
	s_cbranch_execz .LBB1211_5
; %bb.4:
	v_lshlrev_b32_e32 v1, 1, v0
	s_delay_alu instid0(VALU_DEP_1) | instskip(NEXT) | instid1(VALU_DEP_1)
	v_add_co_u32 v1, s2, s10, v1
	v_add_co_ci_u32_e64 v2, null, s3, 0, s2
	flat_load_d16_b16 v1, v[1:2]
.LBB1211_5:
	s_or_b32 exec_lo, exec_lo, s11
	v_or_b32_e32 v7, 0x80, v0
	s_mov_b32 s2, exec_lo
	s_delay_alu instid0(VALU_DEP_1)
	v_cmpx_gt_u32_e64 s19, v7
	s_cbranch_execz .LBB1211_7
; %bb.6:
	v_lshlrev_b32_e32 v7, 1, v0
	s_delay_alu instid0(VALU_DEP_1) | instskip(NEXT) | instid1(VALU_DEP_1)
	v_add_co_u32 v7, s11, s10, v7
	v_add_co_ci_u32_e64 v8, null, s3, 0, s11
	s_waitcnt vmcnt(0) lgkmcnt(0)
	flat_load_d16_hi_b16 v1, v[7:8] offset:256
.LBB1211_7:
	s_or_b32 exec_lo, exec_lo, s2
	v_or_b32_e32 v7, 0x100, v0
	s_mov_b32 s2, exec_lo
	s_delay_alu instid0(VALU_DEP_1)
	v_cmpx_gt_u32_e64 s19, v7
	s_cbranch_execz .LBB1211_9
; %bb.8:
	v_lshlrev_b32_e32 v7, 1, v0
	s_delay_alu instid0(VALU_DEP_1) | instskip(NEXT) | instid1(VALU_DEP_1)
	v_add_co_u32 v7, s11, s10, v7
	v_add_co_ci_u32_e64 v8, null, s3, 0, s11
	flat_load_d16_b16 v2, v[7:8] offset:512
.LBB1211_9:
	s_or_b32 exec_lo, exec_lo, s2
	v_or_b32_e32 v7, 0x180, v0
	s_mov_b32 s2, exec_lo
	s_delay_alu instid0(VALU_DEP_1)
	v_cmpx_gt_u32_e64 s19, v7
	s_cbranch_execz .LBB1211_11
; %bb.10:
	v_lshlrev_b32_e32 v7, 1, v0
	s_delay_alu instid0(VALU_DEP_1) | instskip(NEXT) | instid1(VALU_DEP_1)
	v_add_co_u32 v7, s11, s10, v7
	v_add_co_ci_u32_e64 v8, null, s3, 0, s11
	s_waitcnt vmcnt(0) lgkmcnt(0)
	flat_load_d16_hi_b16 v2, v[7:8] offset:768
.LBB1211_11:
	s_or_b32 exec_lo, exec_lo, s2
	v_or_b32_e32 v7, 0x200, v0
	s_mov_b32 s2, exec_lo
	s_delay_alu instid0(VALU_DEP_1)
	v_cmpx_gt_u32_e64 s19, v7
	s_cbranch_execz .LBB1211_13
; %bb.12:
	v_lshlrev_b32_e32 v7, 1, v0
	s_delay_alu instid0(VALU_DEP_1) | instskip(NEXT) | instid1(VALU_DEP_1)
	v_add_co_u32 v7, s11, s10, v7
	v_add_co_ci_u32_e64 v8, null, s3, 0, s11
	flat_load_d16_b16 v3, v[7:8] offset:1024
.LBB1211_13:
	;; [unrolled: 27-line block ×5, first 2 shown]
	s_or_b32 exec_lo, exec_lo, s2
	v_lshlrev_b32_e32 v7, 1, v0
	s_waitcnt vmcnt(0) lgkmcnt(0)
	ds_store_b16 v7, v1
	ds_store_b16_d16_hi v7, v1 offset:256
	ds_store_b16 v7, v2 offset:512
	ds_store_b16_d16_hi v7, v2 offset:768
	ds_store_b16 v7, v3 offset:1024
	;; [unrolled: 2-line block ×5, first 2 shown]
	s_waitcnt lgkmcnt(0)
	s_barrier
.LBB1211_26:
	v_mul_u32_u24_e32 v1, 11, v0
	s_waitcnt lgkmcnt(0)
	buffer_gl0_inv
	s_lshl_b64 s[22:23], s[6:7], 2
	s_delay_alu instid0(SALU_CYCLE_1)
	s_add_u32 s2, s8, s22
	v_lshlrev_b32_e32 v2, 1, v1
	s_addc_u32 s8, s9, s23
	s_lshl_b64 s[4:5], s[4:5], 2
	ds_load_b128 v[13:16], v2
	ds_load_u16 v38, v2 offset:16
	ds_load_u16 v37, v2 offset:18
	ds_load_u16 v33, v2 offset:20
	s_add_u32 s2, s2, s4
	s_addc_u32 s4, s8, s5
	s_and_b32 vcc_lo, exec_lo, s18
	s_mov_b32 s5, -1
	s_waitcnt lgkmcnt(0)
	s_barrier
	buffer_gl0_inv
	s_cbranch_vccz .LBB1211_28
; %bb.27:
	v_lshlrev_b32_e32 v7, 2, v0
	s_delay_alu instid0(VALU_DEP_1) | instskip(NEXT) | instid1(VALU_DEP_1)
	v_add_co_u32 v3, s5, s2, v7
	v_add_co_ci_u32_e64 v4, null, s4, 0, s5
	s_mov_b32 s5, 0
	s_delay_alu instid0(VALU_DEP_2) | instskip(NEXT) | instid1(VALU_DEP_2)
	v_add_co_u32 v5, vcc_lo, 0x1000, v3
	v_add_co_ci_u32_e32 v6, vcc_lo, 0, v4, vcc_lo
	s_clause 0xa
	flat_load_b32 v8, v[3:4]
	flat_load_b32 v9, v[3:4] offset:512
	flat_load_b32 v10, v[3:4] offset:1024
	;; [unrolled: 1-line block ×7, first 2 shown]
	flat_load_b32 v4, v[5:6]
	flat_load_b32 v19, v[5:6] offset:512
	flat_load_b32 v5, v[5:6] offset:1024
	s_waitcnt vmcnt(9) lgkmcnt(9)
	ds_store_2addr_stride64_b32 v7, v8, v9 offset1:2
	s_waitcnt vmcnt(7) lgkmcnt(8)
	ds_store_2addr_stride64_b32 v7, v10, v11 offset0:4 offset1:6
	s_waitcnt vmcnt(5) lgkmcnt(7)
	ds_store_2addr_stride64_b32 v7, v12, v17 offset0:8 offset1:10
	;; [unrolled: 2-line block ×4, first 2 shown]
	s_waitcnt vmcnt(0) lgkmcnt(5)
	ds_store_b32 v7, v5 offset:5120
	s_waitcnt lgkmcnt(0)
	s_barrier
.LBB1211_28:
	s_and_not1_b32 vcc_lo, exec_lo, s5
	s_cbranch_vccnz .LBB1211_52
; %bb.29:
	s_mov_b32 s5, exec_lo
                                        ; implicit-def: $vgpr3
	v_cmpx_gt_u32_e64 s19, v0
	s_cbranch_execz .LBB1211_31
; %bb.30:
	v_lshlrev_b32_e32 v3, 2, v0
	s_delay_alu instid0(VALU_DEP_1) | instskip(NEXT) | instid1(VALU_DEP_1)
	v_add_co_u32 v3, s8, s2, v3
	v_add_co_ci_u32_e64 v4, null, s4, 0, s8
	flat_load_b32 v3, v[3:4]
.LBB1211_31:
	s_or_b32 exec_lo, exec_lo, s5
	v_or_b32_e32 v4, 0x80, v0
	s_delay_alu instid0(VALU_DEP_1)
	v_cmp_gt_u32_e32 vcc_lo, s19, v4
                                        ; implicit-def: $vgpr4
	s_and_saveexec_b32 s5, vcc_lo
	s_cbranch_execz .LBB1211_33
; %bb.32:
	v_lshlrev_b32_e32 v4, 2, v0
	s_delay_alu instid0(VALU_DEP_1) | instskip(NEXT) | instid1(VALU_DEP_1)
	v_add_co_u32 v4, s8, s2, v4
	v_add_co_ci_u32_e64 v5, null, s4, 0, s8
	flat_load_b32 v4, v[4:5] offset:512
.LBB1211_33:
	s_or_b32 exec_lo, exec_lo, s5
	v_or_b32_e32 v5, 0x100, v0
	s_delay_alu instid0(VALU_DEP_1)
	v_cmp_gt_u32_e32 vcc_lo, s19, v5
                                        ; implicit-def: $vgpr5
	s_and_saveexec_b32 s5, vcc_lo
	s_cbranch_execz .LBB1211_35
; %bb.34:
	v_lshlrev_b32_e32 v5, 2, v0
	s_delay_alu instid0(VALU_DEP_1) | instskip(NEXT) | instid1(VALU_DEP_1)
	v_add_co_u32 v5, s8, s2, v5
	v_add_co_ci_u32_e64 v6, null, s4, 0, s8
	flat_load_b32 v5, v[5:6] offset:1024
.LBB1211_35:
	s_or_b32 exec_lo, exec_lo, s5
	v_or_b32_e32 v6, 0x180, v0
	s_delay_alu instid0(VALU_DEP_1)
	v_cmp_gt_u32_e32 vcc_lo, s19, v6
                                        ; implicit-def: $vgpr6
	s_and_saveexec_b32 s5, vcc_lo
	s_cbranch_execz .LBB1211_37
; %bb.36:
	v_lshlrev_b32_e32 v6, 2, v0
	s_delay_alu instid0(VALU_DEP_1) | instskip(NEXT) | instid1(VALU_DEP_1)
	v_add_co_u32 v6, s8, s2, v6
	v_add_co_ci_u32_e64 v7, null, s4, 0, s8
	flat_load_b32 v6, v[6:7] offset:1536
.LBB1211_37:
	s_or_b32 exec_lo, exec_lo, s5
	v_or_b32_e32 v7, 0x200, v0
	s_delay_alu instid0(VALU_DEP_1)
	v_cmp_gt_u32_e32 vcc_lo, s19, v7
                                        ; implicit-def: $vgpr7
	s_and_saveexec_b32 s5, vcc_lo
	s_cbranch_execz .LBB1211_39
; %bb.38:
	v_lshlrev_b32_e32 v7, 2, v0
	s_delay_alu instid0(VALU_DEP_1) | instskip(NEXT) | instid1(VALU_DEP_1)
	v_add_co_u32 v7, s8, s2, v7
	v_add_co_ci_u32_e64 v8, null, s4, 0, s8
	flat_load_b32 v7, v[7:8] offset:2048
.LBB1211_39:
	s_or_b32 exec_lo, exec_lo, s5
	v_or_b32_e32 v8, 0x280, v0
	s_delay_alu instid0(VALU_DEP_1)
	v_cmp_gt_u32_e32 vcc_lo, s19, v8
                                        ; implicit-def: $vgpr8
	s_and_saveexec_b32 s5, vcc_lo
	s_cbranch_execz .LBB1211_41
; %bb.40:
	v_lshlrev_b32_e32 v8, 2, v0
	s_delay_alu instid0(VALU_DEP_1) | instskip(NEXT) | instid1(VALU_DEP_1)
	v_add_co_u32 v8, s8, s2, v8
	v_add_co_ci_u32_e64 v9, null, s4, 0, s8
	flat_load_b32 v8, v[8:9] offset:2560
.LBB1211_41:
	s_or_b32 exec_lo, exec_lo, s5
	v_or_b32_e32 v9, 0x300, v0
	s_delay_alu instid0(VALU_DEP_1)
	v_cmp_gt_u32_e32 vcc_lo, s19, v9
                                        ; implicit-def: $vgpr9
	s_and_saveexec_b32 s5, vcc_lo
	s_cbranch_execz .LBB1211_43
; %bb.42:
	v_lshlrev_b32_e32 v9, 2, v0
	s_delay_alu instid0(VALU_DEP_1) | instskip(NEXT) | instid1(VALU_DEP_1)
	v_add_co_u32 v9, s8, s2, v9
	v_add_co_ci_u32_e64 v10, null, s4, 0, s8
	flat_load_b32 v9, v[9:10] offset:3072
.LBB1211_43:
	s_or_b32 exec_lo, exec_lo, s5
	v_or_b32_e32 v10, 0x380, v0
	s_delay_alu instid0(VALU_DEP_1)
	v_cmp_gt_u32_e32 vcc_lo, s19, v10
                                        ; implicit-def: $vgpr10
	s_and_saveexec_b32 s5, vcc_lo
	s_cbranch_execz .LBB1211_45
; %bb.44:
	v_lshlrev_b32_e32 v10, 2, v0
	s_delay_alu instid0(VALU_DEP_1) | instskip(NEXT) | instid1(VALU_DEP_1)
	v_add_co_u32 v10, s8, s2, v10
	v_add_co_ci_u32_e64 v11, null, s4, 0, s8
	flat_load_b32 v10, v[10:11] offset:3584
.LBB1211_45:
	s_or_b32 exec_lo, exec_lo, s5
	v_or_b32_e32 v12, 0x400, v0
	s_mov_b32 s5, exec_lo
                                        ; implicit-def: $vgpr11
	s_delay_alu instid0(VALU_DEP_1)
	v_cmpx_gt_u32_e64 s19, v12
	s_cbranch_execz .LBB1211_47
; %bb.46:
	v_lshlrev_b32_e32 v11, 2, v12
	s_delay_alu instid0(VALU_DEP_1) | instskip(NEXT) | instid1(VALU_DEP_1)
	v_add_co_u32 v11, s8, s2, v11
	v_add_co_ci_u32_e64 v12, null, s4, 0, s8
	flat_load_b32 v11, v[11:12]
.LBB1211_47:
	s_or_b32 exec_lo, exec_lo, s5
	v_or_b32_e32 v17, 0x480, v0
	s_mov_b32 s5, exec_lo
                                        ; implicit-def: $vgpr12
	s_delay_alu instid0(VALU_DEP_1)
	v_cmpx_gt_u32_e64 s19, v17
	s_cbranch_execz .LBB1211_49
; %bb.48:
	v_lshlrev_b32_e32 v12, 2, v17
	s_delay_alu instid0(VALU_DEP_1) | instskip(NEXT) | instid1(VALU_DEP_1)
	v_add_co_u32 v17, s8, s2, v12
	v_add_co_ci_u32_e64 v18, null, s4, 0, s8
	flat_load_b32 v12, v[17:18]
.LBB1211_49:
	s_or_b32 exec_lo, exec_lo, s5
	v_or_b32_e32 v18, 0x500, v0
	s_mov_b32 s5, exec_lo
                                        ; implicit-def: $vgpr17
	s_delay_alu instid0(VALU_DEP_1)
	v_cmpx_gt_u32_e64 s19, v18
	s_cbranch_execz .LBB1211_51
; %bb.50:
	v_lshlrev_b32_e32 v17, 2, v18
	s_delay_alu instid0(VALU_DEP_1) | instskip(NEXT) | instid1(VALU_DEP_1)
	v_add_co_u32 v17, s2, s2, v17
	v_add_co_ci_u32_e64 v18, null, s4, 0, s2
	flat_load_b32 v17, v[17:18]
.LBB1211_51:
	s_or_b32 exec_lo, exec_lo, s5
	v_mad_i32_i24 v2, 0xffffffee, v0, v2
	s_waitcnt vmcnt(0) lgkmcnt(0)
	ds_store_2addr_stride64_b32 v2, v3, v4 offset1:2
	ds_store_2addr_stride64_b32 v2, v5, v6 offset0:4 offset1:6
	ds_store_2addr_stride64_b32 v2, v7, v8 offset0:8 offset1:10
	;; [unrolled: 1-line block ×4, first 2 shown]
	ds_store_b32 v2, v17 offset:5120
	s_waitcnt lgkmcnt(0)
	s_barrier
.LBB1211_52:
	v_lshlrev_b32_e32 v44, 2, v1
	buffer_gl0_inv
	s_cmp_lg_u32 s15, 0
	v_lshrrev_b32_e32 v42, 16, v13
	s_cselect_b32 s21, -1, 0
	ds_load_2addr_b32 v[28:29], v44 offset1:1
	ds_load_2addr_b32 v[26:27], v44 offset0:2 offset1:3
	ds_load_2addr_b32 v[24:25], v44 offset0:4 offset1:5
	;; [unrolled: 1-line block ×4, first 2 shown]
	ds_load_b32 v36, v44 offset:40
	s_cmp_lg_u64 s[6:7], 0
	v_lshrrev_b32_e32 v41, 16, v14
	s_cselect_b32 s2, -1, 0
	v_lshrrev_b32_e32 v40, 16, v15
	v_lshrrev_b32_e32 v39, 16, v16
	v_add_nc_u32_e32 v5, 1, v1
	v_add_nc_u32_e32 v6, 2, v1
	;; [unrolled: 1-line block ×10, first 2 shown]
	s_or_b32 s2, s21, s2
	s_mov_b32 s22, 0
	s_and_b32 vcc_lo, exec_lo, s2
	s_waitcnt lgkmcnt(0)
	s_barrier
	buffer_gl0_inv
	s_cbranch_vccz .LBB1211_57
; %bb.53:
	v_add_co_u32 v17, s2, -2, s10
	s_delay_alu instid0(VALU_DEP_1)
	v_add_co_ci_u32_e64 v18, null, -1, s3, s2
	s_mov_b32 s3, -1
	s_and_b32 vcc_lo, exec_lo, s18
	flat_load_u16 v17, v[17:18]
	v_lshlrev_b32_e32 v18, 1, v0
	ds_store_b16 v18, v33
	s_cbranch_vccz .LBB1211_59
; %bb.54:
	s_waitcnt vmcnt(0) lgkmcnt(1)
	v_mov_b32_e32 v19, v17
	s_mov_b32 s3, 0
	s_mov_b32 s2, exec_lo
	s_waitcnt lgkmcnt(0)
	s_barrier
	buffer_gl0_inv
	v_cmpx_ne_u32_e32 0, v0
	s_cbranch_execz .LBB1211_56
; %bb.55:
	v_add_nc_u32_e32 v12, -2, v18
	ds_load_u16 v19, v12
.LBB1211_56:
	s_or_b32 exec_lo, exec_lo, s2
	v_cmp_ne_u16_e32 vcc_lo, v16, v39
	s_waitcnt lgkmcnt(0)
	v_cmp_ne_u16_e64 s2, v19, v13
	v_cndmask_b32_e64 v12, 0, 1, vcc_lo
	v_cmp_ne_u16_e32 vcc_lo, v40, v16
	s_delay_alu instid0(VALU_DEP_2) | instskip(SKIP_2) | instid1(VALU_DEP_2)
	v_lshlrev_b16 v12, 8, v12
	v_cndmask_b32_e64 v30, 0, 1, vcc_lo
	v_cmp_ne_u16_e32 vcc_lo, v15, v40
	v_or_b32_e32 v30, v30, v12
	v_cndmask_b32_e64 v31, 0, 1, vcc_lo
	v_cmp_ne_u16_e32 vcc_lo, v41, v15
	s_delay_alu instid0(VALU_DEP_2) | instskip(SKIP_2) | instid1(VALU_DEP_2)
	v_lshlrev_b16 v31, 8, v31
	v_cndmask_b32_e64 v32, 0, 1, vcc_lo
	v_cmp_ne_u16_e32 vcc_lo, v14, v41
	v_or_b32_e32 v31, v32, v31
	v_cndmask_b32_e64 v34, 0, 1, vcc_lo
	v_cmp_ne_u16_e32 vcc_lo, v42, v14
	s_delay_alu instid0(VALU_DEP_3) | instskip(NEXT) | instid1(VALU_DEP_3)
	v_and_b32_e32 v31, 0xffff, v31
	v_lshlrev_b16 v45, 8, v34
	v_cndmask_b32_e64 v35, 0, 1, vcc_lo
	v_cmp_ne_u16_e32 vcc_lo, v13, v42
	s_delay_alu instid0(VALU_DEP_2) | instskip(SKIP_3) | instid1(VALU_DEP_4)
	v_or_b32_e32 v35, v35, v45
	v_cndmask_b32_e64 v43, 0, 1, vcc_lo
	v_cmp_ne_u16_e32 vcc_lo, v37, v33
	v_lshlrev_b32_e32 v45, 16, v30
	v_lshlrev_b32_e32 v35, 16, v35
	s_delay_alu instid0(VALU_DEP_4) | instskip(SKIP_3) | instid1(VALU_DEP_4)
	v_lshlrev_b16 v43, 8, v43
	v_cndmask_b32_e64 v34, 0, 1, vcc_lo
	v_cmp_ne_u16_e32 vcc_lo, v38, v37
	v_or_b32_e32 v31, v31, v45
	v_and_b32_e32 v43, 0xffff, v43
	v_cndmask_b32_e64 v12, 0, 1, vcc_lo
	v_cmp_ne_u16_e32 vcc_lo, v39, v38
	s_delay_alu instid0(VALU_DEP_3)
	v_or_b32_e32 v30, v43, v35
	v_cndmask_b32_e64 v32, 0, 1, vcc_lo
	s_and_b32 vcc_lo, exec_lo, s3
	s_cbranch_vccnz .LBB1211_60
	s_branch .LBB1211_63
.LBB1211_57:
                                        ; implicit-def: $sgpr2
                                        ; implicit-def: $vgpr34
                                        ; implicit-def: $vgpr12
                                        ; implicit-def: $vgpr32
                                        ; implicit-def: $vgpr31
	s_branch .LBB1211_64
.LBB1211_58:
                                        ; implicit-def: $vgpr17_vgpr18_vgpr19
	s_and_saveexec_b32 s3, s22
	s_cbranch_execnz .LBB1211_72
	s_branch .LBB1211_73
.LBB1211_59:
                                        ; implicit-def: $sgpr2
                                        ; implicit-def: $vgpr34
                                        ; implicit-def: $vgpr12
                                        ; implicit-def: $vgpr32
                                        ; implicit-def: $vgpr31
	s_and_b32 vcc_lo, exec_lo, s3
	s_cbranch_vccz .LBB1211_63
.LBB1211_60:
	s_mov_b32 s2, exec_lo
	s_waitcnt vmcnt(0) lgkmcnt(0)
	s_barrier
	buffer_gl0_inv
	v_cmpx_ne_u32_e32 0, v0
	s_cbranch_execz .LBB1211_62
; %bb.61:
	v_add_nc_u32_e32 v12, -2, v18
	ds_load_u16 v17, v12
.LBB1211_62:
	s_or_b32 exec_lo, exec_lo, s2
	v_cmp_gt_u32_e32 vcc_lo, s19, v9
	v_cmp_ne_u16_e64 s2, v37, v33
	v_cmp_gt_u32_e64 s3, s19, v10
	v_cmp_ne_u16_e64 s4, v38, v37
	v_cmp_gt_u32_e64 s5, s19, v5
	v_cmp_ne_u16_e64 s6, v13, v42
	s_and_b32 s2, vcc_lo, s2
	v_cmp_gt_u32_e32 vcc_lo, s19, v2
	v_cndmask_b32_e64 v34, 0, 1, s2
	v_cmp_ne_u16_e64 s2, v16, v39
	s_and_b32 s3, s3, s4
	v_cmp_ne_u16_e64 s4, v40, v16
	v_cndmask_b32_e64 v12, 0, 1, s3
	v_cmp_gt_u32_e64 s3, s19, v4
	s_and_b32 s2, vcc_lo, s2
	v_cmp_gt_u32_e32 vcc_lo, s19, v7
	v_cndmask_b32_e64 v18, 0, 1, s2
	v_cmp_ne_u16_e64 s2, v15, v40
	s_and_b32 s3, s3, s4
	v_cmp_ne_u16_e64 s4, v14, v41
	v_cndmask_b32_e64 v19, 0, 1, s3
	v_cmp_gt_u32_e64 s3, s19, v3
	;; [unrolled: 8-line block ×3, first 2 shown]
	s_and_b32 s2, vcc_lo, s2
	v_lshlrev_b16 v30, 8, v30
	v_cndmask_b32_e64 v32, 0, 1, s2
	v_lshlrev_b16 v31, 8, v31
	s_and_b32 s2, s3, s4
	v_lshlrev_b16 v18, 8, v18
	v_cndmask_b32_e64 v35, 0, 1, s2
	s_and_b32 s2, s5, s6
	v_or_b32_e32 v30, v32, v30
	v_cndmask_b32_e64 v43, 0, 1, s2
	v_or_b32_e32 v18, v19, v18
	v_or_b32_e32 v31, v35, v31
	v_cmp_gt_u32_e32 vcc_lo, s19, v11
	v_cmp_ne_u16_e64 s2, v39, v38
	v_lshlrev_b16 v35, 8, v43
	v_lshlrev_b32_e32 v18, 16, v18
	v_lshlrev_b32_e32 v19, 16, v31
	s_delay_alu instid0(VALU_DEP_4) | instskip(NEXT) | instid1(VALU_DEP_3)
	s_and_b32 s2, vcc_lo, s2
	v_and_b32_e32 v31, 0xffff, v35
	v_and_b32_e32 v35, 0xffff, v30
	v_cndmask_b32_e64 v32, 0, 1, s2
	v_cmp_gt_u32_e32 vcc_lo, s19, v1
	s_waitcnt lgkmcnt(0)
	v_cmp_ne_u16_e64 s2, v17, v13
	v_or_b32_e32 v30, v31, v19
	v_or_b32_e32 v31, v35, v18
	s_delay_alu instid0(VALU_DEP_3)
	s_and_b32 s2, vcc_lo, s2
.LBB1211_63:
	s_mov_b32 s22, -1
	s_cbranch_execnz .LBB1211_58
.LBB1211_64:
	v_mad_i32_i24 v35, 0xffffffd6, v0, v44
	v_cmp_ne_u16_e64 s2, v37, v33
	v_cmp_ne_u16_e64 s9, v38, v37
	v_cmp_ne_u16_e64 s10, v39, v38
	v_cmp_ne_u16_e64 s5, v16, v39
	v_cmp_ne_u16_e64 s6, v40, v16
	v_cmp_ne_u16_e64 s11, v15, v40
	v_cmp_ne_u16_e64 s7, v41, v15
	v_cmp_ne_u16_e64 s8, v14, v41
	v_cmp_ne_u16_e64 s3, v42, v14
	v_cmp_ne_u16_e64 s4, v13, v42
	s_and_b32 vcc_lo, exec_lo, s18
	ds_store_b16 v35, v33
	s_cbranch_vccz .LBB1211_68
; %bb.65:
	s_waitcnt vmcnt(0) lgkmcnt(2)
	v_cndmask_b32_e64 v17, 0, 1, s11
	v_cndmask_b32_e64 v12, 0, 1, s9
	;; [unrolled: 1-line block ×5, first 2 shown]
	v_lshlrev_b16 v17, 8, v17
	v_cndmask_b32_e64 v43, 0, 1, s4
	v_cndmask_b32_e64 v32, 0, 1, s10
	;; [unrolled: 1-line block ×4, first 2 shown]
	v_lshlrev_b16 v18, 8, v18
	v_lshlrev_b16 v45, 8, v12
	v_or_b32_e32 v17, v30, v17
	v_lshlrev_b16 v30, 8, v31
	v_lshlrev_b16 v31, 8, v43
	v_or_b32_e32 v18, v19, v18
	v_or_b32_e32 v19, v32, v45
	v_and_b32_e32 v17, 0xffff, v17
	v_or_b32_e32 v30, v34, v30
	v_or_b32_e32 v31, 1, v31
	v_lshlrev_b32_e32 v18, 16, v18
	v_and_b32_e32 v19, 0xffff, v19
	v_cndmask_b32_e64 v34, 0, 1, s2
	v_lshlrev_b32_e32 v30, 16, v30
	v_and_b32_e32 v43, 0xffff, v31
	v_or_b32_e32 v31, v17, v18
	s_mov_b32 s3, 0
	v_lshl_or_b32 v19, v34, 16, v19
	s_mov_b32 s4, exec_lo
	v_or_b32_e32 v30, v43, v30
	s_waitcnt lgkmcnt(0)
	s_barrier
	buffer_gl0_inv
                                        ; implicit-def: $sgpr2
	v_cmpx_ne_u32_e32 0, v0
	s_xor_b32 s4, exec_lo, s4
	s_cbranch_execz .LBB1211_67
; %bb.66:
	v_add_nc_u32_e32 v17, -2, v35
	s_or_b32 s22, s22, exec_lo
	ds_load_u16 v17, v17
	s_waitcnt lgkmcnt(0)
	v_cmp_ne_u16_e32 vcc_lo, v17, v13
                                        ; implicit-def: $vgpr17_vgpr18_vgpr19
	s_and_b32 s2, vcc_lo, exec_lo
.LBB1211_67:
	s_or_b32 exec_lo, exec_lo, s4
	s_delay_alu instid0(SALU_CYCLE_1)
	s_and_b32 vcc_lo, exec_lo, s3
	s_cbranch_vccnz .LBB1211_69
	s_branch .LBB1211_71
.LBB1211_68:
                                        ; implicit-def: $sgpr2
                                        ; implicit-def: $vgpr34
                                        ; implicit-def: $vgpr12
                                        ; implicit-def: $vgpr32
                                        ; implicit-def: $vgpr31
                                        ; implicit-def: $vgpr17_vgpr18_vgpr19
	s_cbranch_execz .LBB1211_71
.LBB1211_69:
	v_cmp_gt_u32_e32 vcc_lo, s19, v10
	v_cmp_ne_u16_e64 s2, v38, v37
	v_cmp_gt_u32_e64 s5, s19, v11
	v_cmp_ne_u16_e64 s6, v39, v38
	v_cmp_gt_u32_e64 s3, s19, v9
	v_cmp_ne_u16_e64 s4, v37, v33
	s_and_b32 s2, vcc_lo, s2
	v_cmp_gt_u32_e32 vcc_lo, s19, v2
	v_cndmask_b32_e64 v12, 0, 1, s2
	v_cmp_ne_u16_e64 s2, v16, v39
	s_and_b32 s5, s5, s6
	v_cmp_ne_u16_e64 s6, v40, v16
	v_cndmask_b32_e64 v32, 0, 1, s5
	v_cmp_gt_u32_e64 s5, s19, v4
	s_and_b32 s2, vcc_lo, s2
	v_cmp_gt_u32_e32 vcc_lo, s19, v7
	s_waitcnt vmcnt(0) lgkmcnt(2)
	v_cndmask_b32_e64 v17, 0, 1, s2
	v_cmp_ne_u16_e64 s2, v15, v40
	s_and_b32 s5, s5, s6
	v_cmp_ne_u16_e64 s6, v41, v15
	v_cndmask_b32_e64 v18, 0, 1, s5
	v_cmp_gt_u32_e64 s5, s19, v8
	s_and_b32 s2, vcc_lo, s2
	v_cmp_gt_u32_e32 vcc_lo, s19, v3
	v_cndmask_b32_e64 v19, 0, 1, s2
	v_cmp_ne_u16_e64 s2, v14, v41
	s_and_b32 s5, s5, s6
	v_cmp_ne_u16_e64 s6, v42, v14
	v_cndmask_b32_e64 v30, 0, 1, s5
	v_cmp_gt_u32_e64 s5, s19, v6
	s_and_b32 s2, vcc_lo, s2
	v_cmp_gt_u32_e32 vcc_lo, s19, v5
	v_cndmask_b32_e64 v31, 0, 1, s2
	v_cmp_ne_u16_e64 s2, v13, v42
	v_lshlrev_b16 v19, 8, v19
	v_lshlrev_b16 v17, 8, v17
	s_and_b32 s5, s5, s6
	v_lshlrev_b16 v45, 8, v12
	s_and_b32 s2, vcc_lo, s2
	v_cndmask_b32_e64 v34, 0, 1, s5
	v_cndmask_b32_e64 v43, 0, 1, s2
	v_or_b32_e32 v19, v30, v19
	v_or_b32_e32 v17, v18, v17
	v_lshlrev_b16 v18, 8, v31
	v_or_b32_e32 v31, v32, v45
	v_lshlrev_b16 v30, 8, v43
	s_and_b32 s2, s3, s4
	v_and_b32_e32 v19, 0xffff, v19
	v_or_b32_e32 v18, v34, v18
	v_lshlrev_b32_e32 v17, 16, v17
	v_or_b32_e32 v30, 1, v30
	v_and_b32_e32 v43, 0xffff, v31
	v_cndmask_b32_e64 v34, 0, 1, s2
	v_lshlrev_b32_e32 v18, 16, v18
	v_or_b32_e32 v31, v19, v17
	v_and_b32_e32 v30, 0xffff, v30
	s_mov_b32 s3, exec_lo
	v_lshl_or_b32 v19, v34, 16, v43
	s_waitcnt lgkmcnt(0)
	s_barrier
	v_or_b32_e32 v30, v30, v18
	buffer_gl0_inv
                                        ; implicit-def: $sgpr2
	v_cmpx_ne_u32_e32 0, v0
	s_cbranch_execz .LBB1211_212
; %bb.70:
	v_add_nc_u32_e32 v17, -2, v35
	v_cmp_gt_u32_e32 vcc_lo, s19, v1
	s_or_b32 s22, s22, exec_lo
	ds_load_u16 v17, v17
	s_waitcnt lgkmcnt(0)
	v_cmp_ne_u16_e64 s2, v17, v13
                                        ; implicit-def: $vgpr17_vgpr18_vgpr19
	s_delay_alu instid0(VALU_DEP_1) | instskip(NEXT) | instid1(SALU_CYCLE_1)
	s_and_b32 s2, vcc_lo, s2
	s_and_b32 s2, s2, exec_lo
	s_or_b32 exec_lo, exec_lo, s3
.LBB1211_71:
	s_and_saveexec_b32 s3, s22
	s_cbranch_execz .LBB1211_73
.LBB1211_72:
	v_lshrrev_b32_e32 v18, 24, v30
	v_lshrrev_b32_e32 v19, 16, v30
	;; [unrolled: 1-line block ×3, first 2 shown]
	s_waitcnt vmcnt(0) lgkmcnt(1)
	v_cndmask_b32_e64 v17, 0, 1, s2
	v_lshlrev_b16 v12, 8, v12
	v_and_b32_e32 v32, 0xff, v32
	v_lshlrev_b16 v18, 8, v18
	v_and_b32_e32 v19, 0xff, v19
	;; [unrolled: 2-line block ×3, first 2 shown]
	v_or_b32_e32 v12, v32, v12
	s_delay_alu instid0(VALU_DEP_4) | instskip(NEXT) | instid1(VALU_DEP_4)
	v_or_b32_e32 v18, v19, v18
	v_or_b32_e32 v17, v17, v30
	s_delay_alu instid0(VALU_DEP_4) | instskip(NEXT) | instid1(VALU_DEP_4)
	v_lshlrev_b32_e32 v19, 16, v34
	v_and_b32_e32 v12, 0xffff, v12
	s_delay_alu instid0(VALU_DEP_4) | instskip(NEXT) | instid1(VALU_DEP_4)
	v_lshlrev_b32_e32 v18, 16, v18
	v_and_b32_e32 v17, 0xffff, v17
	s_delay_alu instid0(VALU_DEP_3) | instskip(NEXT) | instid1(VALU_DEP_2)
	v_or_b32_e32 v19, v12, v19
	v_or_b32_e32 v30, v17, v18
.LBB1211_73:
	s_or_b32 exec_lo, exec_lo, s3
	s_load_b64 s[10:11], s[0:1], 0x68
	s_and_not1_b32 vcc_lo, exec_lo, s20
	s_cbranch_vccnz .LBB1211_75
; %bb.74:
	v_cmp_gt_u32_e32 vcc_lo, s19, v1
	v_cmp_gt_u32_e64 s2, s19, v5
	v_cmp_gt_u32_e64 s4, s19, v6
	v_and_b32_e32 v5, 0xffffff00, v31
	v_cmp_gt_u32_e64 s3, s19, v10
	v_dual_cndmask_b32 v1, 0, v30 :: v_dual_and_b32 v12, 0xff000000, v19
	v_cmp_gt_u32_e32 vcc_lo, s19, v11
	v_cmp_gt_u32_e64 s6, s19, v3
	v_cmp_gt_u32_e64 s5, s19, v9
	s_delay_alu instid0(VALU_DEP_4) | instskip(SKIP_1) | instid1(VALU_DEP_2)
	v_and_b32_e32 v1, 0xff, v1
	v_cndmask_b32_e32 v11, v12, v19, vcc_lo
	v_cndmask_b32_e64 v1, v1, v30, s2
	v_cmp_gt_u32_e64 s2, s19, v8
	s_delay_alu instid0(VALU_DEP_3) | instskip(NEXT) | instid1(VALU_DEP_3)
	v_and_b32_e32 v11, 0xff0000ff, v11
	v_and_b32_e32 v1, 0xffff, v1
	s_delay_alu instid0(VALU_DEP_3) | instskip(NEXT) | instid1(VALU_DEP_3)
	v_cndmask_b32_e64 v5, v5, v31, s2
	v_cndmask_b32_e64 v8, v11, v19, s3
	s_or_b32 s3, s5, s3
	s_delay_alu instid0(VALU_DEP_3) | instskip(NEXT) | instid1(VALU_DEP_3)
	v_cndmask_b32_e64 v1, v1, v30, s4
	v_and_b32_e32 v5, 0xffff00ff, v5
	s_delay_alu instid0(VALU_DEP_3) | instskip(SKIP_1) | instid1(VALU_DEP_4)
	v_and_b32_e32 v6, 0xff00ffff, v8
	v_cmp_gt_u32_e64 s4, s19, v7
	v_and_b32_e32 v1, 0xffffff, v1
	s_delay_alu instid0(VALU_DEP_3) | instskip(NEXT) | instid1(VALU_DEP_3)
	v_cndmask_b32_e64 v6, v6, v19, s5
	v_cndmask_b32_e64 v5, v5, v31, s4
	s_delay_alu instid0(VALU_DEP_3) | instskip(NEXT) | instid1(VALU_DEP_2)
	v_cndmask_b32_e64 v1, v1, v30, s6
	v_and_b32_e32 v3, 0xff00ffff, v5
	s_delay_alu instid0(VALU_DEP_4) | instskip(NEXT) | instid1(VALU_DEP_3)
	v_lshrrev_b32_e32 v5, 8, v6
	v_cndmask_b32_e64 v1, v1, v30, s2
	v_cmp_gt_u32_e64 s2, s19, v4
	s_delay_alu instid0(VALU_DEP_3) | instskip(NEXT) | instid1(VALU_DEP_3)
	v_lshlrev_b16 v5, 8, v5
	v_cndmask_b32_e64 v1, v1, v30, s4
	v_cmp_gt_u32_e64 s4, s19, v2
	s_delay_alu instid0(VALU_DEP_4) | instskip(NEXT) | instid1(VALU_DEP_3)
	v_cndmask_b32_e64 v3, v3, v31, s2
	v_cndmask_b32_e64 v1, v1, v30, s2
	s_or_b32 s2, s3, vcc_lo
	s_delay_alu instid0(VALU_DEP_3) | instid1(SALU_CYCLE_1)
	s_or_b32 vcc_lo, s2, s4
	s_delay_alu instid0(VALU_DEP_1) | instskip(NEXT) | instid1(VALU_DEP_1)
	v_dual_cndmask_b32 v1, v1, v30 :: v_dual_and_b32 v2, 0xffffff, v3
	v_dual_cndmask_b32 v31, v2, v31 :: v_dual_and_b32 v4, 0xff, v6
	s_delay_alu instid0(VALU_DEP_2) | instskip(NEXT) | instid1(VALU_DEP_2)
	v_perm_b32 v30, v1, v1, 0x3020104
	v_or_b32_e32 v3, v4, v5
	s_delay_alu instid0(VALU_DEP_1) | instskip(NEXT) | instid1(VALU_DEP_1)
	v_and_b32_e32 v2, 0xffff, v3
	v_and_or_b32 v19, 0xff0000, v6, v2
.LBB1211_75:
	s_delay_alu instid0(VALU_DEP_4)
	v_and_b32_e32 v45, 0xff, v30
	v_bfe_u32 v46, v30, 8, 8
	v_alignbit_b32 v1, v31, v30, 24
	v_bfe_u32 v47, v30, 16, 8
	v_and_b32_e32 v48, 0xff, v31
	v_bfe_u32 v50, v31, 8, 8
	v_bfe_u32 v51, v31, 16, 8
	v_and_b32_e32 v49, 0xff, v1
	v_add3_u32 v1, v46, v45, v47
	v_lshrrev_b32_e32 v43, 24, v31
	v_mbcnt_lo_u32_b32 v54, -1, 0
	v_and_b32_e32 v52, 0xff, v19
	v_bfe_u32 v53, v19, 8, 8
	v_add3_u32 v1, v1, v49, v48
	v_bfe_u32 v3, v19, 16, 8
	v_and_b32_e32 v2, 15, v54
	v_or_b32_e32 v4, 31, v0
	v_and_b32_e32 v5, 16, v54
	v_add3_u32 v1, v1, v50, v51
	v_lshrrev_b32_e32 v55, 5, v0
	v_cmp_eq_u32_e64 s7, 0, v2
	v_cmp_lt_u32_e64 s6, 1, v2
	v_cmp_lt_u32_e64 s5, 3, v2
	v_add3_u32 v1, v1, v43, v52
	v_cmp_lt_u32_e64 s4, 7, v2
	v_cmp_eq_u32_e64 s3, 0, v5
	v_cmp_eq_u32_e64 s2, v4, v0
	s_and_b32 vcc_lo, exec_lo, s21
	v_add3_u32 v56, v1, v53, v3
	s_mov_b32 s19, -1
	s_waitcnt vmcnt(0) lgkmcnt(0)
	s_barrier
	buffer_gl0_inv
	s_cbranch_vccz .LBB1211_101
; %bb.76:
	v_mov_b32_dpp v1, v56 row_shr:1 row_mask:0xf bank_mask:0xf
	s_delay_alu instid0(VALU_DEP_1) | instskip(NEXT) | instid1(VALU_DEP_1)
	v_cndmask_b32_e64 v1, v1, 0, s7
	v_add_nc_u32_e32 v1, v1, v56
	s_delay_alu instid0(VALU_DEP_1) | instskip(NEXT) | instid1(VALU_DEP_1)
	v_mov_b32_dpp v2, v1 row_shr:2 row_mask:0xf bank_mask:0xf
	v_cndmask_b32_e64 v2, 0, v2, s6
	s_delay_alu instid0(VALU_DEP_1) | instskip(NEXT) | instid1(VALU_DEP_1)
	v_add_nc_u32_e32 v1, v1, v2
	v_mov_b32_dpp v2, v1 row_shr:4 row_mask:0xf bank_mask:0xf
	s_delay_alu instid0(VALU_DEP_1) | instskip(NEXT) | instid1(VALU_DEP_1)
	v_cndmask_b32_e64 v2, 0, v2, s5
	v_add_nc_u32_e32 v1, v1, v2
	s_delay_alu instid0(VALU_DEP_1) | instskip(NEXT) | instid1(VALU_DEP_1)
	v_mov_b32_dpp v2, v1 row_shr:8 row_mask:0xf bank_mask:0xf
	v_cndmask_b32_e64 v2, 0, v2, s4
	s_delay_alu instid0(VALU_DEP_1) | instskip(SKIP_3) | instid1(VALU_DEP_1)
	v_add_nc_u32_e32 v1, v1, v2
	ds_swizzle_b32 v2, v1 offset:swizzle(BROADCAST,32,15)
	s_waitcnt lgkmcnt(0)
	v_cndmask_b32_e64 v2, v2, 0, s3
	v_add_nc_u32_e32 v1, v1, v2
	s_and_saveexec_b32 s8, s2
	s_cbranch_execz .LBB1211_78
; %bb.77:
	v_lshlrev_b32_e32 v2, 2, v55
	ds_store_b32 v2, v1
.LBB1211_78:
	s_or_b32 exec_lo, exec_lo, s8
	s_delay_alu instid0(SALU_CYCLE_1)
	s_mov_b32 s8, exec_lo
	s_waitcnt lgkmcnt(0)
	s_barrier
	buffer_gl0_inv
	v_cmpx_gt_u32_e32 4, v0
	s_cbranch_execz .LBB1211_80
; %bb.79:
	v_and_b32_e32 v4, 3, v54
	s_delay_alu instid0(VALU_DEP_1) | instskip(SKIP_4) | instid1(VALU_DEP_1)
	v_cmp_ne_u32_e32 vcc_lo, 0, v4
	v_lshlrev_b32_e32 v2, 2, v0
	ds_load_b32 v3, v2
	s_waitcnt lgkmcnt(0)
	v_mov_b32_dpp v5, v3 row_shr:1 row_mask:0xf bank_mask:0xf
	v_cndmask_b32_e32 v5, 0, v5, vcc_lo
	v_cmp_lt_u32_e32 vcc_lo, 1, v4
	s_delay_alu instid0(VALU_DEP_2) | instskip(NEXT) | instid1(VALU_DEP_1)
	v_add_nc_u32_e32 v3, v5, v3
	v_mov_b32_dpp v5, v3 row_shr:2 row_mask:0xf bank_mask:0xf
	s_delay_alu instid0(VALU_DEP_1) | instskip(NEXT) | instid1(VALU_DEP_1)
	v_cndmask_b32_e32 v4, 0, v5, vcc_lo
	v_add_nc_u32_e32 v3, v3, v4
	ds_store_b32 v2, v3
.LBB1211_80:
	s_or_b32 exec_lo, exec_lo, s8
	v_cmp_gt_u32_e32 vcc_lo, 32, v0
	s_mov_b32 s9, exec_lo
	s_waitcnt lgkmcnt(0)
	s_barrier
	buffer_gl0_inv
                                        ; implicit-def: $vgpr9
	v_cmpx_lt_u32_e32 31, v0
	s_cbranch_execz .LBB1211_82
; %bb.81:
	v_lshl_add_u32 v2, v55, 2, -4
	ds_load_b32 v9, v2
	s_waitcnt lgkmcnt(0)
	v_add_nc_u32_e32 v1, v9, v1
.LBB1211_82:
	s_or_b32 exec_lo, exec_lo, s9
	v_add_nc_u32_e32 v2, -1, v54
	s_delay_alu instid0(VALU_DEP_1) | instskip(NEXT) | instid1(VALU_DEP_1)
	v_cmp_gt_i32_e64 s8, 0, v2
	v_cndmask_b32_e64 v2, v2, v54, s8
	v_cmp_eq_u32_e64 s8, 0, v54
	s_delay_alu instid0(VALU_DEP_2)
	v_lshlrev_b32_e32 v2, 2, v2
	ds_bpermute_b32 v10, v2, v1
	s_and_saveexec_b32 s9, vcc_lo
	s_cbranch_execz .LBB1211_100
; %bb.83:
	v_mov_b32_e32 v5, 0
	ds_load_b32 v1, v5 offset:12
	s_and_saveexec_b32 s19, s8
	s_cbranch_execz .LBB1211_85
; %bb.84:
	s_add_i32 s20, s15, 32
	s_mov_b32 s21, 0
	v_mov_b32_e32 v2, 1
	s_lshl_b64 s[20:21], s[20:21], 3
	s_delay_alu instid0(SALU_CYCLE_1)
	s_add_u32 s20, s10, s20
	s_addc_u32 s21, s11, s21
	s_waitcnt lgkmcnt(0)
	global_store_b64 v5, v[1:2], s[20:21]
.LBB1211_85:
	s_or_b32 exec_lo, exec_lo, s19
	v_xad_u32 v3, v54, -1, s15
	s_mov_b32 s20, 0
	s_mov_b32 s19, exec_lo
	s_delay_alu instid0(VALU_DEP_1) | instskip(NEXT) | instid1(VALU_DEP_1)
	v_add_nc_u32_e32 v4, 32, v3
	v_lshlrev_b64 v[4:5], 3, v[4:5]
	s_delay_alu instid0(VALU_DEP_1) | instskip(NEXT) | instid1(VALU_DEP_2)
	v_add_co_u32 v7, vcc_lo, s10, v4
	v_add_co_ci_u32_e32 v8, vcc_lo, s11, v5, vcc_lo
	global_load_b64 v[5:6], v[7:8], off glc
	s_waitcnt vmcnt(0)
	v_and_b32_e32 v2, 0xff, v6
	s_delay_alu instid0(VALU_DEP_1)
	v_cmpx_eq_u16_e32 0, v2
	s_cbranch_execz .LBB1211_88
.LBB1211_86:                            ; =>This Inner Loop Header: Depth=1
	global_load_b64 v[5:6], v[7:8], off glc
	s_waitcnt vmcnt(0)
	v_and_b32_e32 v2, 0xff, v6
	s_delay_alu instid0(VALU_DEP_1) | instskip(SKIP_1) | instid1(SALU_CYCLE_1)
	v_cmp_ne_u16_e32 vcc_lo, 0, v2
	s_or_b32 s20, vcc_lo, s20
	s_and_not1_b32 exec_lo, exec_lo, s20
	s_cbranch_execnz .LBB1211_86
; %bb.87:
	s_or_b32 exec_lo, exec_lo, s20
.LBB1211_88:
	s_delay_alu instid0(SALU_CYCLE_1)
	s_or_b32 exec_lo, exec_lo, s19
	v_cmp_ne_u32_e32 vcc_lo, 31, v54
	v_lshlrev_b32_e64 v12, v54, -1
	v_add_nc_u32_e32 v18, 2, v54
	v_add_nc_u32_e32 v34, 4, v54
	;; [unrolled: 1-line block ×3, first 2 shown]
	v_add_co_ci_u32_e32 v2, vcc_lo, 0, v54, vcc_lo
	v_add_nc_u32_e32 v59, 16, v54
	s_delay_alu instid0(VALU_DEP_2)
	v_lshlrev_b32_e32 v11, 2, v2
	v_and_b32_e32 v2, 0xff, v6
	ds_bpermute_b32 v4, v11, v5
	v_cmp_eq_u16_e32 vcc_lo, 2, v2
	v_and_or_b32 v2, vcc_lo, v12, 0x80000000
	v_cmp_gt_u32_e32 vcc_lo, 30, v54
	s_delay_alu instid0(VALU_DEP_2) | instskip(SKIP_1) | instid1(VALU_DEP_2)
	v_ctz_i32_b32_e32 v2, v2
	v_cndmask_b32_e64 v7, 0, 1, vcc_lo
	v_cmp_lt_u32_e32 vcc_lo, v54, v2
	s_waitcnt lgkmcnt(0)
	s_delay_alu instid0(VALU_DEP_2) | instskip(NEXT) | instid1(VALU_DEP_1)
	v_dual_cndmask_b32 v4, 0, v4 :: v_dual_lshlrev_b32 v7, 1, v7
	v_add_lshl_u32 v17, v7, v54, 2
	v_cmp_gt_u32_e32 vcc_lo, 28, v54
	s_delay_alu instid0(VALU_DEP_3) | instskip(SKIP_4) | instid1(VALU_DEP_1)
	v_add_nc_u32_e32 v4, v4, v5
	v_cndmask_b32_e64 v7, 0, 1, vcc_lo
	v_cmp_le_u32_e32 vcc_lo, v18, v2
	ds_bpermute_b32 v5, v17, v4
	v_lshlrev_b32_e32 v7, 2, v7
	v_add_lshl_u32 v32, v7, v54, 2
	s_waitcnt lgkmcnt(0)
	v_cndmask_b32_e32 v5, 0, v5, vcc_lo
	v_cmp_gt_u32_e32 vcc_lo, 24, v54
	s_delay_alu instid0(VALU_DEP_2) | instskip(SKIP_4) | instid1(VALU_DEP_1)
	v_add_nc_u32_e32 v4, v4, v5
	v_cndmask_b32_e64 v7, 0, 1, vcc_lo
	v_cmp_le_u32_e32 vcc_lo, v34, v2
	ds_bpermute_b32 v5, v32, v4
	v_lshlrev_b32_e32 v7, 3, v7
	v_add_lshl_u32 v35, v7, v54, 2
	s_waitcnt lgkmcnt(0)
	v_cndmask_b32_e32 v5, 0, v5, vcc_lo
	v_cmp_gt_u32_e32 vcc_lo, 16, v54
	s_delay_alu instid0(VALU_DEP_2) | instskip(SKIP_4) | instid1(VALU_DEP_1)
	v_add_nc_u32_e32 v4, v4, v5
	v_cndmask_b32_e64 v7, 0, 1, vcc_lo
	v_cmp_le_u32_e32 vcc_lo, v57, v2
	ds_bpermute_b32 v5, v35, v4
	v_lshlrev_b32_e32 v7, 4, v7
	v_add_lshl_u32 v58, v7, v54, 2
	s_waitcnt lgkmcnt(0)
	v_cndmask_b32_e32 v5, 0, v5, vcc_lo
	v_cmp_le_u32_e32 vcc_lo, v59, v2
	s_delay_alu instid0(VALU_DEP_2) | instskip(SKIP_3) | instid1(VALU_DEP_1)
	v_add_nc_u32_e32 v4, v4, v5
	ds_bpermute_b32 v5, v58, v4
	s_waitcnt lgkmcnt(0)
	v_cndmask_b32_e32 v2, 0, v5, vcc_lo
	v_dual_mov_b32 v4, 0 :: v_dual_add_nc_u32 v5, v4, v2
	s_branch .LBB1211_90
.LBB1211_89:                            ;   in Loop: Header=BB1211_90 Depth=1
	s_or_b32 exec_lo, exec_lo, s19
	ds_bpermute_b32 v8, v11, v5
	v_and_b32_e32 v7, 0xff, v6
	v_subrev_nc_u32_e32 v3, 32, v3
	s_delay_alu instid0(VALU_DEP_2) | instskip(SKIP_1) | instid1(VALU_DEP_1)
	v_cmp_eq_u16_e32 vcc_lo, 2, v7
	v_and_or_b32 v7, vcc_lo, v12, 0x80000000
	v_ctz_i32_b32_e32 v7, v7
	s_delay_alu instid0(VALU_DEP_1) | instskip(SKIP_3) | instid1(VALU_DEP_2)
	v_cmp_lt_u32_e32 vcc_lo, v54, v7
	s_waitcnt lgkmcnt(0)
	v_cndmask_b32_e32 v8, 0, v8, vcc_lo
	v_cmp_le_u32_e32 vcc_lo, v18, v7
	v_add_nc_u32_e32 v5, v8, v5
	ds_bpermute_b32 v8, v17, v5
	s_waitcnt lgkmcnt(0)
	v_cndmask_b32_e32 v8, 0, v8, vcc_lo
	v_cmp_le_u32_e32 vcc_lo, v34, v7
	s_delay_alu instid0(VALU_DEP_2) | instskip(SKIP_4) | instid1(VALU_DEP_2)
	v_add_nc_u32_e32 v5, v5, v8
	ds_bpermute_b32 v8, v32, v5
	s_waitcnt lgkmcnt(0)
	v_cndmask_b32_e32 v8, 0, v8, vcc_lo
	v_cmp_le_u32_e32 vcc_lo, v57, v7
	v_add_nc_u32_e32 v5, v5, v8
	ds_bpermute_b32 v8, v35, v5
	s_waitcnt lgkmcnt(0)
	v_cndmask_b32_e32 v8, 0, v8, vcc_lo
	v_cmp_le_u32_e32 vcc_lo, v59, v7
	s_delay_alu instid0(VALU_DEP_2) | instskip(SKIP_3) | instid1(VALU_DEP_1)
	v_add_nc_u32_e32 v5, v5, v8
	ds_bpermute_b32 v8, v58, v5
	s_waitcnt lgkmcnt(0)
	v_cndmask_b32_e32 v7, 0, v8, vcc_lo
	v_add3_u32 v5, v7, v2, v5
.LBB1211_90:                            ; =>This Loop Header: Depth=1
                                        ;     Child Loop BB1211_93 Depth 2
	v_and_b32_e32 v2, 0xff, v6
	s_delay_alu instid0(VALU_DEP_1) | instskip(SKIP_2) | instid1(VALU_DEP_1)
	v_cmp_ne_u16_e32 vcc_lo, 2, v2
	v_cndmask_b32_e64 v2, 0, 1, vcc_lo
	;;#ASMSTART
	;;#ASMEND
	v_cmp_ne_u32_e32 vcc_lo, 0, v2
	v_mov_b32_e32 v2, v5
	s_cmp_lg_u32 vcc_lo, exec_lo
	s_cbranch_scc1 .LBB1211_95
; %bb.91:                               ;   in Loop: Header=BB1211_90 Depth=1
	v_lshlrev_b64 v[5:6], 3, v[3:4]
	s_mov_b32 s19, exec_lo
	s_delay_alu instid0(VALU_DEP_1) | instskip(NEXT) | instid1(VALU_DEP_2)
	v_add_co_u32 v7, vcc_lo, s10, v5
	v_add_co_ci_u32_e32 v8, vcc_lo, s11, v6, vcc_lo
	global_load_b64 v[5:6], v[7:8], off glc
	s_waitcnt vmcnt(0)
	v_and_b32_e32 v60, 0xff, v6
	s_delay_alu instid0(VALU_DEP_1)
	v_cmpx_eq_u16_e32 0, v60
	s_cbranch_execz .LBB1211_89
; %bb.92:                               ;   in Loop: Header=BB1211_90 Depth=1
	s_mov_b32 s20, 0
.LBB1211_93:                            ;   Parent Loop BB1211_90 Depth=1
                                        ; =>  This Inner Loop Header: Depth=2
	global_load_b64 v[5:6], v[7:8], off glc
	s_waitcnt vmcnt(0)
	v_and_b32_e32 v60, 0xff, v6
	s_delay_alu instid0(VALU_DEP_1) | instskip(SKIP_1) | instid1(SALU_CYCLE_1)
	v_cmp_ne_u16_e32 vcc_lo, 0, v60
	s_or_b32 s20, vcc_lo, s20
	s_and_not1_b32 exec_lo, exec_lo, s20
	s_cbranch_execnz .LBB1211_93
; %bb.94:                               ;   in Loop: Header=BB1211_90 Depth=1
	s_or_b32 exec_lo, exec_lo, s20
	s_branch .LBB1211_89
.LBB1211_95:                            ;   in Loop: Header=BB1211_90 Depth=1
                                        ; implicit-def: $vgpr5
                                        ; implicit-def: $vgpr6
	s_cbranch_execz .LBB1211_90
; %bb.96:
	s_and_saveexec_b32 s19, s8
	s_cbranch_execz .LBB1211_98
; %bb.97:
	s_add_i32 s20, s15, 32
	s_mov_b32 s21, 0
	v_dual_mov_b32 v4, 2 :: v_dual_add_nc_u32 v3, v2, v1
	s_lshl_b64 s[20:21], s[20:21], 3
	v_mov_b32_e32 v5, 0
	s_add_u32 s20, s10, s20
	s_addc_u32 s21, s11, s21
	global_store_b64 v5, v[3:4], s[20:21]
	ds_store_b64 v5, v[1:2] offset:5632
.LBB1211_98:
	s_or_b32 exec_lo, exec_lo, s19
	v_cmp_eq_u32_e32 vcc_lo, 0, v0
	s_and_b32 exec_lo, exec_lo, vcc_lo
	s_cbranch_execz .LBB1211_100
; %bb.99:
	v_mov_b32_e32 v1, 0
	ds_store_b32 v1, v2 offset:12
.LBB1211_100:
	s_or_b32 exec_lo, exec_lo, s9
	s_waitcnt lgkmcnt(0)
	v_cndmask_b32_e64 v3, v10, v9, s8
	v_cmp_ne_u32_e32 vcc_lo, 0, v0
	s_waitcnt_vscnt null, 0x0
	s_barrier
	buffer_gl0_inv
	v_cndmask_b32_e32 v3, 0, v3, vcc_lo
	v_mov_b32_e32 v1, 0
	ds_load_b32 v2, v1 offset:12
	s_waitcnt lgkmcnt(0)
	s_barrier
	buffer_gl0_inv
	v_add_nc_u32_e32 v2, v2, v3
	ds_load_b64 v[17:18], v1 offset:5632
	v_add_nc_u32_e32 v3, v2, v45
	s_delay_alu instid0(VALU_DEP_1) | instskip(SKIP_1) | instid1(VALU_DEP_1)
	v_add_nc_u32_e32 v4, v3, v46
	s_waitcnt lgkmcnt(0)
	v_dual_mov_b32 v32, v18 :: v_dual_add_nc_u32 v5, v4, v47
	s_delay_alu instid0(VALU_DEP_1) | instskip(NEXT) | instid1(VALU_DEP_1)
	v_add_nc_u32_e32 v6, v5, v49
	v_add_nc_u32_e32 v7, v6, v48
	s_delay_alu instid0(VALU_DEP_1) | instskip(NEXT) | instid1(VALU_DEP_1)
	v_add_nc_u32_e32 v8, v7, v50
	v_add_nc_u32_e32 v9, v8, v51
	;; [unrolled: 3-line block ×3, first 2 shown]
	s_delay_alu instid0(VALU_DEP_1)
	v_add_nc_u32_e32 v12, v11, v53
	s_load_b64 s[8:9], s[0:1], 0x28
	v_lshrrev_b64 v[34:35], 24, v[30:31]
	s_branch .LBB1211_111
.LBB1211_101:
                                        ; implicit-def: $vgpr32
                                        ; implicit-def: $vgpr2_vgpr3_vgpr4_vgpr5_vgpr6_vgpr7_vgpr8_vgpr9_vgpr10_vgpr11_vgpr12
                                        ; implicit-def: $vgpr17
	s_load_b64 s[8:9], s[0:1], 0x28
	v_lshrrev_b64 v[34:35], 24, v[30:31]
	s_and_b32 vcc_lo, exec_lo, s19
	s_cbranch_vccz .LBB1211_111
; %bb.102:
	v_mov_b32_dpp v1, v56 row_shr:1 row_mask:0xf bank_mask:0xf
	s_delay_alu instid0(VALU_DEP_1) | instskip(NEXT) | instid1(VALU_DEP_1)
	v_cndmask_b32_e64 v1, v1, 0, s7
	v_add_nc_u32_e32 v1, v1, v56
	s_delay_alu instid0(VALU_DEP_1) | instskip(NEXT) | instid1(VALU_DEP_1)
	v_mov_b32_dpp v2, v1 row_shr:2 row_mask:0xf bank_mask:0xf
	v_cndmask_b32_e64 v2, 0, v2, s6
	s_delay_alu instid0(VALU_DEP_1) | instskip(NEXT) | instid1(VALU_DEP_1)
	v_add_nc_u32_e32 v1, v1, v2
	v_mov_b32_dpp v2, v1 row_shr:4 row_mask:0xf bank_mask:0xf
	s_delay_alu instid0(VALU_DEP_1) | instskip(NEXT) | instid1(VALU_DEP_1)
	v_cndmask_b32_e64 v2, 0, v2, s5
	v_add_nc_u32_e32 v1, v1, v2
	s_delay_alu instid0(VALU_DEP_1) | instskip(NEXT) | instid1(VALU_DEP_1)
	v_mov_b32_dpp v2, v1 row_shr:8 row_mask:0xf bank_mask:0xf
	v_cndmask_b32_e64 v2, 0, v2, s4
	s_delay_alu instid0(VALU_DEP_1) | instskip(SKIP_3) | instid1(VALU_DEP_1)
	v_add_nc_u32_e32 v1, v1, v2
	ds_swizzle_b32 v2, v1 offset:swizzle(BROADCAST,32,15)
	s_waitcnt lgkmcnt(0)
	v_cndmask_b32_e64 v2, v2, 0, s3
	v_add_nc_u32_e32 v1, v1, v2
	s_and_saveexec_b32 s0, s2
	s_cbranch_execz .LBB1211_104
; %bb.103:
	v_lshlrev_b32_e32 v2, 2, v55
	ds_store_b32 v2, v1
.LBB1211_104:
	s_or_b32 exec_lo, exec_lo, s0
	s_delay_alu instid0(SALU_CYCLE_1)
	s_mov_b32 s0, exec_lo
	s_waitcnt lgkmcnt(0)
	s_barrier
	buffer_gl0_inv
	v_cmpx_gt_u32_e32 4, v0
	s_cbranch_execz .LBB1211_106
; %bb.105:
	v_mad_i32_i24 v2, 0xffffffd8, v0, v44
	ds_load_b32 v3, v2
	s_waitcnt lgkmcnt(0)
	v_mov_b32_dpp v5, v3 row_shr:1 row_mask:0xf bank_mask:0xf
	v_and_b32_e32 v4, 3, v54
	s_delay_alu instid0(VALU_DEP_1) | instskip(NEXT) | instid1(VALU_DEP_3)
	v_cmp_ne_u32_e32 vcc_lo, 0, v4
	v_cndmask_b32_e32 v5, 0, v5, vcc_lo
	v_cmp_lt_u32_e32 vcc_lo, 1, v4
	s_delay_alu instid0(VALU_DEP_2) | instskip(NEXT) | instid1(VALU_DEP_1)
	v_add_nc_u32_e32 v3, v5, v3
	v_mov_b32_dpp v5, v3 row_shr:2 row_mask:0xf bank_mask:0xf
	s_delay_alu instid0(VALU_DEP_1) | instskip(NEXT) | instid1(VALU_DEP_1)
	v_cndmask_b32_e32 v4, 0, v5, vcc_lo
	v_add_nc_u32_e32 v3, v3, v4
	ds_store_b32 v2, v3
.LBB1211_106:
	s_or_b32 exec_lo, exec_lo, s0
	v_dual_mov_b32 v3, 0 :: v_dual_mov_b32 v2, 0
	s_mov_b32 s0, exec_lo
	s_waitcnt lgkmcnt(0)
	s_barrier
	buffer_gl0_inv
	v_cmpx_lt_u32_e32 31, v0
	s_cbranch_execz .LBB1211_108
; %bb.107:
	v_lshl_add_u32 v2, v55, 2, -4
	ds_load_b32 v2, v2
.LBB1211_108:
	s_or_b32 exec_lo, exec_lo, s0
	v_add_nc_u32_e32 v4, -1, v54
	ds_load_b32 v17, v3 offset:12
	s_waitcnt lgkmcnt(1)
	v_add_nc_u32_e32 v1, v2, v1
	v_cmp_gt_i32_e32 vcc_lo, 0, v4
	v_cndmask_b32_e32 v4, v4, v54, vcc_lo
	v_cmp_eq_u32_e32 vcc_lo, 0, v0
	s_delay_alu instid0(VALU_DEP_2)
	v_lshlrev_b32_e32 v4, 2, v4
	ds_bpermute_b32 v1, v4, v1
	s_and_saveexec_b32 s0, vcc_lo
	s_cbranch_execz .LBB1211_110
; %bb.109:
	v_dual_mov_b32 v3, 0 :: v_dual_mov_b32 v18, 2
	s_waitcnt lgkmcnt(1)
	global_store_b64 v3, v[17:18], s[10:11] offset:256
.LBB1211_110:
	s_or_b32 exec_lo, exec_lo, s0
	v_cmp_eq_u32_e64 s0, 0, v54
	s_waitcnt lgkmcnt(0)
	s_waitcnt_vscnt null, 0x0
	s_barrier
	buffer_gl0_inv
	v_mov_b32_e32 v32, 0
	v_cndmask_b32_e64 v1, v1, v2, s0
	s_delay_alu instid0(VALU_DEP_1) | instskip(NEXT) | instid1(VALU_DEP_1)
	v_cndmask_b32_e64 v2, v1, 0, vcc_lo
	v_add_nc_u32_e32 v3, v2, v45
	s_delay_alu instid0(VALU_DEP_1) | instskip(NEXT) | instid1(VALU_DEP_1)
	v_add_nc_u32_e32 v4, v3, v46
	v_add_nc_u32_e32 v5, v4, v47
	s_delay_alu instid0(VALU_DEP_1) | instskip(NEXT) | instid1(VALU_DEP_1)
	v_add_nc_u32_e32 v6, v5, v49
	;; [unrolled: 3-line block ×4, first 2 shown]
	v_add_nc_u32_e32 v11, v10, v52
	s_delay_alu instid0(VALU_DEP_1)
	v_add_nc_u32_e32 v12, v11, v53
.LBB1211_111:
	v_cmp_gt_u32_e32 vcc_lo, 0x81, v17
	v_lshrrev_b32_e32 v18, 16, v19
	v_lshrrev_b32_e32 v46, 16, v30
	;; [unrolled: 1-line block ×6, first 2 shown]
	v_cmp_lt_u32_e64 s0, 0x80, v17
	s_mov_b32 s1, -1
	s_cbranch_vccz .LBB1211_146
; %bb.112:
	v_add_nc_u32_e32 v1, v32, v17
	s_lshl_b64 s[2:3], s[12:13], 1
	s_waitcnt lgkmcnt(0)
	s_add_u32 s1, s8, s2
	s_addc_u32 s2, s9, s3
	v_cmp_lt_u32_e32 vcc_lo, v2, v1
	s_or_b32 s4, s18, vcc_lo
	s_delay_alu instid0(SALU_CYCLE_1)
	s_and_saveexec_b32 s3, s4
	s_cbranch_execz .LBB1211_115
; %bb.113:
	v_and_b32_e32 v48, 1, v30
	s_delay_alu instid0(VALU_DEP_1)
	v_cmp_eq_u32_e32 vcc_lo, 1, v48
	s_and_b32 exec_lo, exec_lo, vcc_lo
	s_cbranch_execz .LBB1211_115
; %bb.114:
	v_dual_mov_b32 v49, 0 :: v_dual_mov_b32 v48, v2
	s_delay_alu instid0(VALU_DEP_1) | instskip(NEXT) | instid1(VALU_DEP_1)
	v_lshlrev_b64 v[48:49], 1, v[48:49]
	v_add_co_u32 v48, vcc_lo, s1, v48
	s_delay_alu instid0(VALU_DEP_2)
	v_add_co_ci_u32_e32 v49, vcc_lo, s2, v49, vcc_lo
	global_store_b16 v[48:49], v13, off
.LBB1211_115:
	s_or_b32 exec_lo, exec_lo, s3
	v_cmp_lt_u32_e32 vcc_lo, v3, v1
	s_or_b32 s4, s18, vcc_lo
	s_delay_alu instid0(SALU_CYCLE_1)
	s_and_saveexec_b32 s3, s4
	s_cbranch_execz .LBB1211_118
; %bb.116:
	v_and_b32_e32 v48, 1, v47
	s_delay_alu instid0(VALU_DEP_1)
	v_cmp_eq_u32_e32 vcc_lo, 1, v48
	s_and_b32 exec_lo, exec_lo, vcc_lo
	s_cbranch_execz .LBB1211_118
; %bb.117:
	v_dual_mov_b32 v49, 0 :: v_dual_mov_b32 v48, v3
	s_delay_alu instid0(VALU_DEP_1) | instskip(NEXT) | instid1(VALU_DEP_1)
	v_lshlrev_b64 v[48:49], 1, v[48:49]
	v_add_co_u32 v48, vcc_lo, s1, v48
	s_delay_alu instid0(VALU_DEP_2)
	v_add_co_ci_u32_e32 v49, vcc_lo, s2, v49, vcc_lo
	global_store_b16 v[48:49], v42, off
.LBB1211_118:
	s_or_b32 exec_lo, exec_lo, s3
	;; [unrolled: 21-line block ×11, first 2 shown]
	s_mov_b32 s1, 0
.LBB1211_146:
	v_and_b32_e32 v30, 1, v30
	s_and_b32 vcc_lo, exec_lo, s1
	s_delay_alu instid0(VALU_DEP_1)
	v_cmp_eq_u32_e64 s1, 1, v30
	s_cbranch_vccz .LBB1211_185
; %bb.147:
	s_delay_alu instid0(VALU_DEP_1)
	s_and_saveexec_b32 s2, s1
	s_cbranch_execz .LBB1211_149
; %bb.148:
	v_sub_nc_u32_e32 v1, v2, v32
	s_delay_alu instid0(VALU_DEP_1)
	v_lshlrev_b32_e32 v1, 1, v1
	ds_store_b16 v1, v13
.LBB1211_149:
	s_or_b32 exec_lo, exec_lo, s2
	v_and_b32_e32 v1, 1, v47
	s_mov_b32 s1, exec_lo
	s_delay_alu instid0(VALU_DEP_1)
	v_cmpx_eq_u32_e32 1, v1
	s_cbranch_execz .LBB1211_151
; %bb.150:
	v_sub_nc_u32_e32 v1, v3, v32
	s_delay_alu instid0(VALU_DEP_1)
	v_lshlrev_b32_e32 v1, 1, v1
	ds_store_b16 v1, v42
.LBB1211_151:
	s_or_b32 exec_lo, exec_lo, s1
	v_and_b32_e32 v1, 1, v46
	s_mov_b32 s1, exec_lo
	s_delay_alu instid0(VALU_DEP_1)
	v_cmpx_eq_u32_e32 1, v1
	;; [unrolled: 12-line block ×10, first 2 shown]
	s_cbranch_execz .LBB1211_169
; %bb.168:
	v_sub_nc_u32_e32 v1, v12, v32
	s_delay_alu instid0(VALU_DEP_1)
	v_lshlrev_b32_e32 v1, 1, v1
	ds_store_b16 v1, v33
.LBB1211_169:
	s_or_b32 exec_lo, exec_lo, s1
	s_delay_alu instid0(SALU_CYCLE_1)
	s_mov_b32 s3, exec_lo
	s_waitcnt lgkmcnt(0)
	s_waitcnt_vscnt null, 0x0
	s_barrier
	buffer_gl0_inv
	v_cmpx_lt_u32_e64 v0, v17
	s_cbranch_execz .LBB1211_184
; %bb.170:
	v_mov_b32_e32 v33, 0
	s_lshl_b64 s[4:5], s[12:13], 1
	v_xad_u32 v1, v0, -1, v17
	s_add_u32 s2, s8, s4
	s_addc_u32 s4, s9, s5
	v_lshlrev_b64 v[13:14], 1, v[32:33]
	s_delay_alu instid0(VALU_DEP_2) | instskip(NEXT) | instid1(VALU_DEP_2)
	v_cmp_gt_u32_e32 vcc_lo, 0xc80, v1
	v_add_co_u32 v33, s2, s2, v13
	s_delay_alu instid0(VALU_DEP_1)
	v_add_co_ci_u32_e64 v37, s2, s4, v14, s2
	v_mov_b32_e32 v13, v0
	s_mov_b32 s2, -1
	s_mov_b32 s4, exec_lo
	v_cmpx_lt_u32_e32 0xc7f, v1
	s_cbranch_execz .LBB1211_181
; %bb.171:
	v_sub_nc_u32_e32 v13, v0, v17
	s_delay_alu instid0(VALU_DEP_1) | instskip(NEXT) | instid1(VALU_DEP_1)
	v_or_b32_e32 v13, 0x7f, v13
	v_cmp_ge_u32_e64 s1, v13, v0
	v_mov_b32_e32 v13, v0
	s_delay_alu instid0(VALU_DEP_2)
	s_and_saveexec_b32 s5, s1
	s_cbranch_execz .LBB1211_180
; %bb.172:
	v_lshrrev_b32_e32 v38, 7, v1
	v_or_b32_e32 v1, 0x80, v0
	v_dual_mov_b32 v48, 0 :: v_dual_lshlrev_b32 v39, 1, v0
	s_delay_alu instid0(VALU_DEP_3) | instskip(NEXT) | instid1(VALU_DEP_1)
	v_add_nc_u32_e32 v13, -1, v38
	v_lshrrev_b32_e32 v14, 1, v13
	v_cmp_lt_u32_e64 s1, 13, v13
	s_delay_alu instid0(VALU_DEP_2) | instskip(SKIP_1) | instid1(VALU_DEP_3)
	v_add_nc_u32_e32 v40, 1, v14
	v_dual_mov_b32 v14, v1 :: v_dual_mov_b32 v13, v0
	s_and_saveexec_b32 s2, s1
	s_cbranch_execz .LBB1211_176
; %bb.173:
	s_delay_alu instid0(VALU_DEP_2)
	v_dual_mov_b32 v14, v1 :: v_dual_and_b32 v41, -8, v40
	v_mov_b32_e32 v16, 0
	v_dual_mov_b32 v42, v39 :: v_dual_mov_b32 v13, v0
	s_mov_b32 s6, 0
	s_mov_b32 s7, 0
.LBB1211_174:                           ; =>This Inner Loop Header: Depth=1
	s_delay_alu instid0(VALU_DEP_1) | instskip(SKIP_2) | instid1(VALU_DEP_3)
	v_dual_mov_b32 v15, v13 :: v_dual_mov_b32 v50, v16
	v_add_nc_u32_e32 v41, -8, v41
	v_dual_mov_b32 v52, v16 :: v_dual_add_nc_u32 v49, 0x100, v14
	v_lshlrev_b64 v[63:64], 1, v[15:16]
	v_dual_mov_b32 v54, v16 :: v_dual_add_nc_u32 v51, 0x200, v14
	s_delay_alu instid0(VALU_DEP_4) | instskip(NEXT) | instid1(VALU_DEP_4)
	v_cmp_eq_u32_e64 s1, 0, v41
	v_lshlrev_b64 v[49:50], 1, v[49:50]
	v_dual_mov_b32 v56, v16 :: v_dual_add_nc_u32 v53, 0x300, v14
	s_add_i32 s7, s7, 16
	v_lshlrev_b64 v[51:52], 1, v[51:52]
	s_or_b32 s6, s1, s6
	v_add_co_u32 v63, s1, v33, v63
	v_dual_mov_b32 v58, v16 :: v_dual_add_nc_u32 v55, 0x400, v14
	v_add_co_ci_u32_e64 v64, s1, v37, v64, s1
	v_lshlrev_b64 v[53:54], 1, v[53:54]
	v_add_co_u32 v49, s1, v33, v49
	v_dual_mov_b32 v60, v16 :: v_dual_add_nc_u32 v57, 0x500, v14
	v_add_co_ci_u32_e64 v50, s1, v37, v50, s1
	v_lshlrev_b64 v[55:56], 1, v[55:56]
	;; [unrolled: 4-line block ×3, first 2 shown]
	v_add_co_u32 v53, s1, v33, v53
	v_dual_mov_b32 v48, s7 :: v_dual_add_nc_u32 v61, 0x700, v14
	ds_load_u16 v1, v42
	ds_load_u16 v69, v42 offset:256
	ds_load_u16 v70, v42 offset:512
	;; [unrolled: 1-line block ×15, first 2 shown]
	v_dual_mov_b32 v15, v14 :: v_dual_add_nc_u32 v42, 0x1000, v42
	v_add_co_ci_u32_e64 v54, s1, v37, v54, s1
	v_lshlrev_b64 v[59:60], 1, v[59:60]
	v_add_co_u32 v55, s1, v33, v55
	s_delay_alu instid0(VALU_DEP_1)
	v_add_co_ci_u32_e64 v56, s1, v37, v56, s1
	v_lshlrev_b64 v[61:62], 1, v[61:62]
	v_add_co_u32 v57, s1, v33, v57
	v_lshlrev_b64 v[65:66], 1, v[15:16]
	v_add_nc_u32_e32 v15, 0x100, v13
	v_add_co_ci_u32_e64 v58, s1, v37, v58, s1
	v_add_co_u32 v59, s1, v33, v59
	s_delay_alu instid0(VALU_DEP_1)
	v_add_co_ci_u32_e64 v60, s1, v37, v60, s1
	v_add_co_u32 v61, s1, v33, v61
	v_lshlrev_b64 v[67:68], 1, v[15:16]
	v_add_nc_u32_e32 v15, 0x200, v13
	v_add_co_ci_u32_e64 v62, s1, v37, v62, s1
	v_add_co_u32 v65, s1, v33, v65
	s_delay_alu instid0(VALU_DEP_1)
	v_add_co_ci_u32_e64 v66, s1, v37, v66, s1
	s_waitcnt lgkmcnt(15)
	global_store_b16 v[63:64], v1, off
	v_lshlrev_b64 v[63:64], 1, v[15:16]
	v_add_nc_u32_e32 v15, 0x300, v13
	v_add_co_u32 v67, s1, v33, v67
	s_delay_alu instid0(VALU_DEP_1)
	v_add_co_ci_u32_e64 v68, s1, v37, v68, s1
	s_waitcnt lgkmcnt(14)
	global_store_b16 v[65:66], v69, off
	v_lshlrev_b64 v[65:66], 1, v[15:16]
	v_add_nc_u32_e32 v15, 0x400, v13
	s_waitcnt lgkmcnt(13)
	global_store_b16 v[67:68], v70, off
	s_waitcnt lgkmcnt(12)
	global_store_b16 v[49:50], v71, off
	v_add_co_u32 v49, s1, v33, v63
	s_delay_alu instid0(VALU_DEP_1) | instskip(SKIP_3) | instid1(VALU_DEP_1)
	v_add_co_ci_u32_e64 v50, s1, v37, v64, s1
	v_lshlrev_b64 v[63:64], 1, v[15:16]
	v_add_nc_u32_e32 v15, 0x500, v13
	v_add_co_u32 v65, s1, v33, v65
	v_add_co_ci_u32_e64 v66, s1, v37, v66, s1
	s_waitcnt lgkmcnt(11)
	global_store_b16 v[49:50], v72, off
	s_waitcnt lgkmcnt(10)
	global_store_b16 v[51:52], v73, off
	v_lshlrev_b64 v[49:50], 1, v[15:16]
	v_add_nc_u32_e32 v15, 0x600, v13
	v_add_co_u32 v51, s1, v33, v63
	s_waitcnt lgkmcnt(9)
	global_store_b16 v[65:66], v74, off
	s_waitcnt lgkmcnt(8)
	global_store_b16 v[53:54], v75, off
	v_add_co_ci_u32_e64 v52, s1, v37, v64, s1
	v_lshlrev_b64 v[53:54], 1, v[15:16]
	v_add_nc_u32_e32 v15, 0x700, v13
	v_add_co_u32 v49, s1, v33, v49
	s_delay_alu instid0(VALU_DEP_1)
	v_add_co_ci_u32_e64 v50, s1, v37, v50, s1
	s_waitcnt lgkmcnt(7)
	global_store_b16 v[51:52], v76, off
	s_waitcnt lgkmcnt(6)
	global_store_b16 v[55:56], v77, off
	v_lshlrev_b64 v[51:52], 1, v[15:16]
	v_add_nc_u32_e32 v14, 0x800, v14
	s_waitcnt lgkmcnt(5)
	global_store_b16 v[49:50], v78, off
	v_add_co_u32 v49, s1, v33, v53
	v_add_nc_u32_e32 v13, 0x800, v13
	v_add_co_ci_u32_e64 v50, s1, v37, v54, s1
	v_add_co_u32 v51, s1, v33, v51
	s_delay_alu instid0(VALU_DEP_1)
	v_add_co_ci_u32_e64 v52, s1, v37, v52, s1
	s_waitcnt lgkmcnt(4)
	global_store_b16 v[57:58], v79, off
	s_waitcnt lgkmcnt(3)
	global_store_b16 v[49:50], v80, off
	;; [unrolled: 2-line block ×5, first 2 shown]
	s_and_not1_b32 exec_lo, exec_lo, s6
	s_cbranch_execnz .LBB1211_174
; %bb.175:
	s_or_b32 exec_lo, exec_lo, s6
.LBB1211_176:
	s_delay_alu instid0(SALU_CYCLE_1) | instskip(SKIP_3) | instid1(VALU_DEP_1)
	s_or_b32 exec_lo, exec_lo, s2
	v_and_b32_e32 v1, 7, v40
	s_mov_b32 s7, 0
	s_mov_b32 s6, exec_lo
	v_cmpx_ne_u32_e32 0, v1
	s_cbranch_execz .LBB1211_179
; %bb.177:
	v_lshl_or_b32 v39, v48, 8, v39
	v_mov_b32_e32 v16, 0
	s_set_inst_prefetch_distance 0x1
	.p2align	6
.LBB1211_178:                           ; =>This Inner Loop Header: Depth=1
	v_mov_b32_e32 v15, v13
	ds_load_u16 v42, v39
	ds_load_u16 v50, v39 offset:256
	v_add_nc_u32_e32 v1, -1, v1
	v_add_nc_u32_e32 v13, 0x100, v13
	v_add_nc_u32_e32 v39, 0x200, v39
	v_lshlrev_b64 v[40:41], 1, v[15:16]
	v_dual_mov_b32 v15, v14 :: v_dual_add_nc_u32 v14, 0x100, v14
	v_cmp_eq_u32_e64 s1, 0, v1
	s_delay_alu instid0(VALU_DEP_2) | instskip(NEXT) | instid1(VALU_DEP_4)
	v_lshlrev_b64 v[48:49], 1, v[15:16]
	v_add_co_u32 v40, s2, v33, v40
	s_delay_alu instid0(VALU_DEP_1) | instskip(NEXT) | instid1(VALU_DEP_4)
	v_add_co_ci_u32_e64 v41, s2, v37, v41, s2
	s_or_b32 s7, s1, s7
	s_delay_alu instid0(VALU_DEP_3) | instskip(NEXT) | instid1(VALU_DEP_1)
	v_add_co_u32 v48, s2, v33, v48
	v_add_co_ci_u32_e64 v49, s2, v37, v49, s2
	s_waitcnt lgkmcnt(1)
	global_store_b16 v[40:41], v42, off
	s_waitcnt lgkmcnt(0)
	global_store_b16 v[48:49], v50, off
	s_and_not1_b32 exec_lo, exec_lo, s7
	s_cbranch_execnz .LBB1211_178
.LBB1211_179:
	s_set_inst_prefetch_distance 0x2
	s_or_b32 exec_lo, exec_lo, s6
	v_add_nc_u32_e32 v1, 1, v38
	s_delay_alu instid0(VALU_DEP_1) | instskip(NEXT) | instid1(VALU_DEP_1)
	v_and_b32_e32 v13, 0x3fffffe, v1
	v_cmp_ne_u32_e64 s1, v1, v13
	v_lshl_or_b32 v13, v13, 7, v0
	s_delay_alu instid0(VALU_DEP_2)
	s_or_not1_b32 s2, s1, exec_lo
.LBB1211_180:
	s_or_b32 exec_lo, exec_lo, s5
	s_delay_alu instid0(SALU_CYCLE_1) | instskip(SKIP_1) | instid1(SALU_CYCLE_1)
	s_and_not1_b32 s1, vcc_lo, exec_lo
	s_and_b32 s2, s2, exec_lo
	s_or_b32 vcc_lo, s1, s2
.LBB1211_181:
	s_or_b32 exec_lo, exec_lo, s4
	s_delay_alu instid0(SALU_CYCLE_1)
	s_and_b32 exec_lo, exec_lo, vcc_lo
	s_cbranch_execz .LBB1211_184
; %bb.182:
	v_dual_mov_b32 v14, 0 :: v_dual_lshlrev_b32 v1, 1, v13
	s_mov_b32 s2, 0
	.p2align	6
.LBB1211_183:                           ; =>This Inner Loop Header: Depth=1
	ds_load_u16 v38, v1
	v_lshlrev_b64 v[15:16], 1, v[13:14]
	v_add_nc_u32_e32 v13, 0x80, v13
	v_add_nc_u32_e32 v1, 0x100, v1
	s_delay_alu instid0(VALU_DEP_2) | instskip(NEXT) | instid1(VALU_DEP_4)
	v_cmp_ge_u32_e32 vcc_lo, v13, v17
	v_add_co_u32 v15, s1, v33, v15
	s_delay_alu instid0(VALU_DEP_1)
	v_add_co_ci_u32_e64 v16, s1, v37, v16, s1
	s_or_b32 s2, vcc_lo, s2
	s_waitcnt lgkmcnt(0)
	global_store_b16 v[15:16], v38, off
	s_and_not1_b32 exec_lo, exec_lo, s2
	s_cbranch_execnz .LBB1211_183
.LBB1211_184:
	s_or_b32 exec_lo, exec_lo, s3
.LBB1211_185:
	s_delay_alu instid0(SALU_CYCLE_1)
	s_and_not1_b32 vcc_lo, exec_lo, s0
	s_waitcnt lgkmcnt(0)
	s_waitcnt_vscnt null, 0x0
	s_barrier
	buffer_gl0_inv
	s_cbranch_vccz .LBB1211_188
; %bb.186:
	v_cmp_eq_u32_e32 vcc_lo, 0, v0
	s_and_b32 s0, vcc_lo, s14
	s_delay_alu instid0(SALU_CYCLE_1)
	s_and_saveexec_b32 s1, s0
	s_cbranch_execnz .LBB1211_211
.LBB1211_187:
	s_endpgm
.LBB1211_188:
	s_mov_b32 s0, exec_lo
	v_cmpx_eq_u32_e32 1, v30
	s_cbranch_execz .LBB1211_190
; %bb.189:
	v_sub_nc_u32_e32 v1, v2, v32
	s_delay_alu instid0(VALU_DEP_1)
	v_lshlrev_b32_e32 v1, 2, v1
	ds_store_b32 v1, v28
.LBB1211_190:
	s_or_b32 exec_lo, exec_lo, s0
	v_and_b32_e32 v1, 1, v47
	s_mov_b32 s0, exec_lo
	s_delay_alu instid0(VALU_DEP_1)
	v_cmpx_eq_u32_e32 1, v1
	s_cbranch_execz .LBB1211_192
; %bb.191:
	v_sub_nc_u32_e32 v1, v3, v32
	s_delay_alu instid0(VALU_DEP_1)
	v_lshlrev_b32_e32 v1, 2, v1
	ds_store_b32 v1, v29
.LBB1211_192:
	s_or_b32 exec_lo, exec_lo, s0
	v_and_b32_e32 v1, 1, v46
	s_mov_b32 s0, exec_lo
	s_delay_alu instid0(VALU_DEP_1)
	;; [unrolled: 12-line block ×10, first 2 shown]
	v_cmpx_eq_u32_e32 1, v1
	s_cbranch_execz .LBB1211_210
; %bb.209:
	v_sub_nc_u32_e32 v1, v12, v32
	s_delay_alu instid0(VALU_DEP_1)
	v_lshlrev_b32_e32 v1, 2, v1
	ds_store_b32 v1, v36
.LBB1211_210:
	s_or_b32 exec_lo, exec_lo, s0
	s_waitcnt lgkmcnt(0)
	s_barrier
	buffer_gl0_inv
	v_cmp_eq_u32_e32 vcc_lo, 0, v0
	s_and_b32 s0, vcc_lo, s14
	s_delay_alu instid0(SALU_CYCLE_1)
	s_and_saveexec_b32 s1, s0
	s_cbranch_execz .LBB1211_187
.LBB1211_211:
	v_add_co_u32 v0, s0, s12, v17
	s_delay_alu instid0(VALU_DEP_1) | instskip(SKIP_1) | instid1(VALU_DEP_3)
	v_add_co_ci_u32_e64 v1, null, s13, 0, s0
	v_mov_b32_e32 v2, 0
	v_add_co_u32 v0, vcc_lo, v0, v32
	s_delay_alu instid0(VALU_DEP_3)
	v_add_co_ci_u32_e32 v1, vcc_lo, 0, v1, vcc_lo
	global_store_b64 v2, v[0:1], s[16:17]
	s_nop 0
	s_sendmsg sendmsg(MSG_DEALLOC_VGPRS)
	s_endpgm
.LBB1211_212:
	s_or_b32 exec_lo, exec_lo, s3
	s_and_saveexec_b32 s3, s22
	s_cbranch_execnz .LBB1211_72
	s_branch .LBB1211_73
	.section	.rodata,"a",@progbits
	.p2align	6, 0x0
	.amdhsa_kernel _ZN7rocprim17ROCPRIM_400000_NS6detail17trampoline_kernelINS0_14default_configENS1_25partition_config_selectorILNS1_17partition_subalgoE9EsjbEEZZNS1_14partition_implILS5_9ELb0ES3_jN6thrust23THRUST_200600_302600_NS6detail15normal_iteratorINS9_10device_ptrIsEEEENSB_INSC_IjEEEEPNS0_10empty_typeENS0_5tupleIJSE_SH_EEENSJ_IJNS9_16discard_iteratorINS9_11use_defaultEEESI_EEENS0_18inequality_wrapperINS9_8equal_toIsEEEEPmJSH_EEE10hipError_tPvRmT3_T4_T5_T6_T7_T9_mT8_P12ihipStream_tbDpT10_ENKUlT_T0_E_clISt17integral_constantIbLb0EES1D_EEDaS18_S19_EUlS18_E_NS1_11comp_targetILNS1_3genE9ELNS1_11target_archE1100ELNS1_3gpuE3ELNS1_3repE0EEENS1_30default_config_static_selectorELNS0_4arch9wavefront6targetE0EEEvT1_
		.amdhsa_group_segment_fixed_size 5640
		.amdhsa_private_segment_fixed_size 0
		.amdhsa_kernarg_size 120
		.amdhsa_user_sgpr_count 15
		.amdhsa_user_sgpr_dispatch_ptr 0
		.amdhsa_user_sgpr_queue_ptr 0
		.amdhsa_user_sgpr_kernarg_segment_ptr 1
		.amdhsa_user_sgpr_dispatch_id 0
		.amdhsa_user_sgpr_private_segment_size 0
		.amdhsa_wavefront_size32 1
		.amdhsa_uses_dynamic_stack 0
		.amdhsa_enable_private_segment 0
		.amdhsa_system_sgpr_workgroup_id_x 1
		.amdhsa_system_sgpr_workgroup_id_y 0
		.amdhsa_system_sgpr_workgroup_id_z 0
		.amdhsa_system_sgpr_workgroup_info 0
		.amdhsa_system_vgpr_workitem_id 0
		.amdhsa_next_free_vgpr 84
		.amdhsa_next_free_sgpr 24
		.amdhsa_reserve_vcc 1
		.amdhsa_float_round_mode_32 0
		.amdhsa_float_round_mode_16_64 0
		.amdhsa_float_denorm_mode_32 3
		.amdhsa_float_denorm_mode_16_64 3
		.amdhsa_dx10_clamp 1
		.amdhsa_ieee_mode 1
		.amdhsa_fp16_overflow 0
		.amdhsa_workgroup_processor_mode 1
		.amdhsa_memory_ordered 1
		.amdhsa_forward_progress 0
		.amdhsa_shared_vgpr_count 0
		.amdhsa_exception_fp_ieee_invalid_op 0
		.amdhsa_exception_fp_denorm_src 0
		.amdhsa_exception_fp_ieee_div_zero 0
		.amdhsa_exception_fp_ieee_overflow 0
		.amdhsa_exception_fp_ieee_underflow 0
		.amdhsa_exception_fp_ieee_inexact 0
		.amdhsa_exception_int_div_zero 0
	.end_amdhsa_kernel
	.section	.text._ZN7rocprim17ROCPRIM_400000_NS6detail17trampoline_kernelINS0_14default_configENS1_25partition_config_selectorILNS1_17partition_subalgoE9EsjbEEZZNS1_14partition_implILS5_9ELb0ES3_jN6thrust23THRUST_200600_302600_NS6detail15normal_iteratorINS9_10device_ptrIsEEEENSB_INSC_IjEEEEPNS0_10empty_typeENS0_5tupleIJSE_SH_EEENSJ_IJNS9_16discard_iteratorINS9_11use_defaultEEESI_EEENS0_18inequality_wrapperINS9_8equal_toIsEEEEPmJSH_EEE10hipError_tPvRmT3_T4_T5_T6_T7_T9_mT8_P12ihipStream_tbDpT10_ENKUlT_T0_E_clISt17integral_constantIbLb0EES1D_EEDaS18_S19_EUlS18_E_NS1_11comp_targetILNS1_3genE9ELNS1_11target_archE1100ELNS1_3gpuE3ELNS1_3repE0EEENS1_30default_config_static_selectorELNS0_4arch9wavefront6targetE0EEEvT1_,"axG",@progbits,_ZN7rocprim17ROCPRIM_400000_NS6detail17trampoline_kernelINS0_14default_configENS1_25partition_config_selectorILNS1_17partition_subalgoE9EsjbEEZZNS1_14partition_implILS5_9ELb0ES3_jN6thrust23THRUST_200600_302600_NS6detail15normal_iteratorINS9_10device_ptrIsEEEENSB_INSC_IjEEEEPNS0_10empty_typeENS0_5tupleIJSE_SH_EEENSJ_IJNS9_16discard_iteratorINS9_11use_defaultEEESI_EEENS0_18inequality_wrapperINS9_8equal_toIsEEEEPmJSH_EEE10hipError_tPvRmT3_T4_T5_T6_T7_T9_mT8_P12ihipStream_tbDpT10_ENKUlT_T0_E_clISt17integral_constantIbLb0EES1D_EEDaS18_S19_EUlS18_E_NS1_11comp_targetILNS1_3genE9ELNS1_11target_archE1100ELNS1_3gpuE3ELNS1_3repE0EEENS1_30default_config_static_selectorELNS0_4arch9wavefront6targetE0EEEvT1_,comdat
.Lfunc_end1211:
	.size	_ZN7rocprim17ROCPRIM_400000_NS6detail17trampoline_kernelINS0_14default_configENS1_25partition_config_selectorILNS1_17partition_subalgoE9EsjbEEZZNS1_14partition_implILS5_9ELb0ES3_jN6thrust23THRUST_200600_302600_NS6detail15normal_iteratorINS9_10device_ptrIsEEEENSB_INSC_IjEEEEPNS0_10empty_typeENS0_5tupleIJSE_SH_EEENSJ_IJNS9_16discard_iteratorINS9_11use_defaultEEESI_EEENS0_18inequality_wrapperINS9_8equal_toIsEEEEPmJSH_EEE10hipError_tPvRmT3_T4_T5_T6_T7_T9_mT8_P12ihipStream_tbDpT10_ENKUlT_T0_E_clISt17integral_constantIbLb0EES1D_EEDaS18_S19_EUlS18_E_NS1_11comp_targetILNS1_3genE9ELNS1_11target_archE1100ELNS1_3gpuE3ELNS1_3repE0EEENS1_30default_config_static_selectorELNS0_4arch9wavefront6targetE0EEEvT1_, .Lfunc_end1211-_ZN7rocprim17ROCPRIM_400000_NS6detail17trampoline_kernelINS0_14default_configENS1_25partition_config_selectorILNS1_17partition_subalgoE9EsjbEEZZNS1_14partition_implILS5_9ELb0ES3_jN6thrust23THRUST_200600_302600_NS6detail15normal_iteratorINS9_10device_ptrIsEEEENSB_INSC_IjEEEEPNS0_10empty_typeENS0_5tupleIJSE_SH_EEENSJ_IJNS9_16discard_iteratorINS9_11use_defaultEEESI_EEENS0_18inequality_wrapperINS9_8equal_toIsEEEEPmJSH_EEE10hipError_tPvRmT3_T4_T5_T6_T7_T9_mT8_P12ihipStream_tbDpT10_ENKUlT_T0_E_clISt17integral_constantIbLb0EES1D_EEDaS18_S19_EUlS18_E_NS1_11comp_targetILNS1_3genE9ELNS1_11target_archE1100ELNS1_3gpuE3ELNS1_3repE0EEENS1_30default_config_static_selectorELNS0_4arch9wavefront6targetE0EEEvT1_
                                        ; -- End function
	.section	.AMDGPU.csdata,"",@progbits
; Kernel info:
; codeLenInByte = 10712
; NumSgprs: 26
; NumVgprs: 84
; ScratchSize: 0
; MemoryBound: 0
; FloatMode: 240
; IeeeMode: 1
; LDSByteSize: 5640 bytes/workgroup (compile time only)
; SGPRBlocks: 3
; VGPRBlocks: 10
; NumSGPRsForWavesPerEU: 26
; NumVGPRsForWavesPerEU: 84
; Occupancy: 16
; WaveLimiterHint : 1
; COMPUTE_PGM_RSRC2:SCRATCH_EN: 0
; COMPUTE_PGM_RSRC2:USER_SGPR: 15
; COMPUTE_PGM_RSRC2:TRAP_HANDLER: 0
; COMPUTE_PGM_RSRC2:TGID_X_EN: 1
; COMPUTE_PGM_RSRC2:TGID_Y_EN: 0
; COMPUTE_PGM_RSRC2:TGID_Z_EN: 0
; COMPUTE_PGM_RSRC2:TIDIG_COMP_CNT: 0
	.section	.text._ZN7rocprim17ROCPRIM_400000_NS6detail17trampoline_kernelINS0_14default_configENS1_25partition_config_selectorILNS1_17partition_subalgoE9EsjbEEZZNS1_14partition_implILS5_9ELb0ES3_jN6thrust23THRUST_200600_302600_NS6detail15normal_iteratorINS9_10device_ptrIsEEEENSB_INSC_IjEEEEPNS0_10empty_typeENS0_5tupleIJSE_SH_EEENSJ_IJNS9_16discard_iteratorINS9_11use_defaultEEESI_EEENS0_18inequality_wrapperINS9_8equal_toIsEEEEPmJSH_EEE10hipError_tPvRmT3_T4_T5_T6_T7_T9_mT8_P12ihipStream_tbDpT10_ENKUlT_T0_E_clISt17integral_constantIbLb0EES1D_EEDaS18_S19_EUlS18_E_NS1_11comp_targetILNS1_3genE8ELNS1_11target_archE1030ELNS1_3gpuE2ELNS1_3repE0EEENS1_30default_config_static_selectorELNS0_4arch9wavefront6targetE0EEEvT1_,"axG",@progbits,_ZN7rocprim17ROCPRIM_400000_NS6detail17trampoline_kernelINS0_14default_configENS1_25partition_config_selectorILNS1_17partition_subalgoE9EsjbEEZZNS1_14partition_implILS5_9ELb0ES3_jN6thrust23THRUST_200600_302600_NS6detail15normal_iteratorINS9_10device_ptrIsEEEENSB_INSC_IjEEEEPNS0_10empty_typeENS0_5tupleIJSE_SH_EEENSJ_IJNS9_16discard_iteratorINS9_11use_defaultEEESI_EEENS0_18inequality_wrapperINS9_8equal_toIsEEEEPmJSH_EEE10hipError_tPvRmT3_T4_T5_T6_T7_T9_mT8_P12ihipStream_tbDpT10_ENKUlT_T0_E_clISt17integral_constantIbLb0EES1D_EEDaS18_S19_EUlS18_E_NS1_11comp_targetILNS1_3genE8ELNS1_11target_archE1030ELNS1_3gpuE2ELNS1_3repE0EEENS1_30default_config_static_selectorELNS0_4arch9wavefront6targetE0EEEvT1_,comdat
	.protected	_ZN7rocprim17ROCPRIM_400000_NS6detail17trampoline_kernelINS0_14default_configENS1_25partition_config_selectorILNS1_17partition_subalgoE9EsjbEEZZNS1_14partition_implILS5_9ELb0ES3_jN6thrust23THRUST_200600_302600_NS6detail15normal_iteratorINS9_10device_ptrIsEEEENSB_INSC_IjEEEEPNS0_10empty_typeENS0_5tupleIJSE_SH_EEENSJ_IJNS9_16discard_iteratorINS9_11use_defaultEEESI_EEENS0_18inequality_wrapperINS9_8equal_toIsEEEEPmJSH_EEE10hipError_tPvRmT3_T4_T5_T6_T7_T9_mT8_P12ihipStream_tbDpT10_ENKUlT_T0_E_clISt17integral_constantIbLb0EES1D_EEDaS18_S19_EUlS18_E_NS1_11comp_targetILNS1_3genE8ELNS1_11target_archE1030ELNS1_3gpuE2ELNS1_3repE0EEENS1_30default_config_static_selectorELNS0_4arch9wavefront6targetE0EEEvT1_ ; -- Begin function _ZN7rocprim17ROCPRIM_400000_NS6detail17trampoline_kernelINS0_14default_configENS1_25partition_config_selectorILNS1_17partition_subalgoE9EsjbEEZZNS1_14partition_implILS5_9ELb0ES3_jN6thrust23THRUST_200600_302600_NS6detail15normal_iteratorINS9_10device_ptrIsEEEENSB_INSC_IjEEEEPNS0_10empty_typeENS0_5tupleIJSE_SH_EEENSJ_IJNS9_16discard_iteratorINS9_11use_defaultEEESI_EEENS0_18inequality_wrapperINS9_8equal_toIsEEEEPmJSH_EEE10hipError_tPvRmT3_T4_T5_T6_T7_T9_mT8_P12ihipStream_tbDpT10_ENKUlT_T0_E_clISt17integral_constantIbLb0EES1D_EEDaS18_S19_EUlS18_E_NS1_11comp_targetILNS1_3genE8ELNS1_11target_archE1030ELNS1_3gpuE2ELNS1_3repE0EEENS1_30default_config_static_selectorELNS0_4arch9wavefront6targetE0EEEvT1_
	.globl	_ZN7rocprim17ROCPRIM_400000_NS6detail17trampoline_kernelINS0_14default_configENS1_25partition_config_selectorILNS1_17partition_subalgoE9EsjbEEZZNS1_14partition_implILS5_9ELb0ES3_jN6thrust23THRUST_200600_302600_NS6detail15normal_iteratorINS9_10device_ptrIsEEEENSB_INSC_IjEEEEPNS0_10empty_typeENS0_5tupleIJSE_SH_EEENSJ_IJNS9_16discard_iteratorINS9_11use_defaultEEESI_EEENS0_18inequality_wrapperINS9_8equal_toIsEEEEPmJSH_EEE10hipError_tPvRmT3_T4_T5_T6_T7_T9_mT8_P12ihipStream_tbDpT10_ENKUlT_T0_E_clISt17integral_constantIbLb0EES1D_EEDaS18_S19_EUlS18_E_NS1_11comp_targetILNS1_3genE8ELNS1_11target_archE1030ELNS1_3gpuE2ELNS1_3repE0EEENS1_30default_config_static_selectorELNS0_4arch9wavefront6targetE0EEEvT1_
	.p2align	8
	.type	_ZN7rocprim17ROCPRIM_400000_NS6detail17trampoline_kernelINS0_14default_configENS1_25partition_config_selectorILNS1_17partition_subalgoE9EsjbEEZZNS1_14partition_implILS5_9ELb0ES3_jN6thrust23THRUST_200600_302600_NS6detail15normal_iteratorINS9_10device_ptrIsEEEENSB_INSC_IjEEEEPNS0_10empty_typeENS0_5tupleIJSE_SH_EEENSJ_IJNS9_16discard_iteratorINS9_11use_defaultEEESI_EEENS0_18inequality_wrapperINS9_8equal_toIsEEEEPmJSH_EEE10hipError_tPvRmT3_T4_T5_T6_T7_T9_mT8_P12ihipStream_tbDpT10_ENKUlT_T0_E_clISt17integral_constantIbLb0EES1D_EEDaS18_S19_EUlS18_E_NS1_11comp_targetILNS1_3genE8ELNS1_11target_archE1030ELNS1_3gpuE2ELNS1_3repE0EEENS1_30default_config_static_selectorELNS0_4arch9wavefront6targetE0EEEvT1_,@function
_ZN7rocprim17ROCPRIM_400000_NS6detail17trampoline_kernelINS0_14default_configENS1_25partition_config_selectorILNS1_17partition_subalgoE9EsjbEEZZNS1_14partition_implILS5_9ELb0ES3_jN6thrust23THRUST_200600_302600_NS6detail15normal_iteratorINS9_10device_ptrIsEEEENSB_INSC_IjEEEEPNS0_10empty_typeENS0_5tupleIJSE_SH_EEENSJ_IJNS9_16discard_iteratorINS9_11use_defaultEEESI_EEENS0_18inequality_wrapperINS9_8equal_toIsEEEEPmJSH_EEE10hipError_tPvRmT3_T4_T5_T6_T7_T9_mT8_P12ihipStream_tbDpT10_ENKUlT_T0_E_clISt17integral_constantIbLb0EES1D_EEDaS18_S19_EUlS18_E_NS1_11comp_targetILNS1_3genE8ELNS1_11target_archE1030ELNS1_3gpuE2ELNS1_3repE0EEENS1_30default_config_static_selectorELNS0_4arch9wavefront6targetE0EEEvT1_: ; @_ZN7rocprim17ROCPRIM_400000_NS6detail17trampoline_kernelINS0_14default_configENS1_25partition_config_selectorILNS1_17partition_subalgoE9EsjbEEZZNS1_14partition_implILS5_9ELb0ES3_jN6thrust23THRUST_200600_302600_NS6detail15normal_iteratorINS9_10device_ptrIsEEEENSB_INSC_IjEEEEPNS0_10empty_typeENS0_5tupleIJSE_SH_EEENSJ_IJNS9_16discard_iteratorINS9_11use_defaultEEESI_EEENS0_18inequality_wrapperINS9_8equal_toIsEEEEPmJSH_EEE10hipError_tPvRmT3_T4_T5_T6_T7_T9_mT8_P12ihipStream_tbDpT10_ENKUlT_T0_E_clISt17integral_constantIbLb0EES1D_EEDaS18_S19_EUlS18_E_NS1_11comp_targetILNS1_3genE8ELNS1_11target_archE1030ELNS1_3gpuE2ELNS1_3repE0EEENS1_30default_config_static_selectorELNS0_4arch9wavefront6targetE0EEEvT1_
; %bb.0:
	.section	.rodata,"a",@progbits
	.p2align	6, 0x0
	.amdhsa_kernel _ZN7rocprim17ROCPRIM_400000_NS6detail17trampoline_kernelINS0_14default_configENS1_25partition_config_selectorILNS1_17partition_subalgoE9EsjbEEZZNS1_14partition_implILS5_9ELb0ES3_jN6thrust23THRUST_200600_302600_NS6detail15normal_iteratorINS9_10device_ptrIsEEEENSB_INSC_IjEEEEPNS0_10empty_typeENS0_5tupleIJSE_SH_EEENSJ_IJNS9_16discard_iteratorINS9_11use_defaultEEESI_EEENS0_18inequality_wrapperINS9_8equal_toIsEEEEPmJSH_EEE10hipError_tPvRmT3_T4_T5_T6_T7_T9_mT8_P12ihipStream_tbDpT10_ENKUlT_T0_E_clISt17integral_constantIbLb0EES1D_EEDaS18_S19_EUlS18_E_NS1_11comp_targetILNS1_3genE8ELNS1_11target_archE1030ELNS1_3gpuE2ELNS1_3repE0EEENS1_30default_config_static_selectorELNS0_4arch9wavefront6targetE0EEEvT1_
		.amdhsa_group_segment_fixed_size 0
		.amdhsa_private_segment_fixed_size 0
		.amdhsa_kernarg_size 120
		.amdhsa_user_sgpr_count 15
		.amdhsa_user_sgpr_dispatch_ptr 0
		.amdhsa_user_sgpr_queue_ptr 0
		.amdhsa_user_sgpr_kernarg_segment_ptr 1
		.amdhsa_user_sgpr_dispatch_id 0
		.amdhsa_user_sgpr_private_segment_size 0
		.amdhsa_wavefront_size32 1
		.amdhsa_uses_dynamic_stack 0
		.amdhsa_enable_private_segment 0
		.amdhsa_system_sgpr_workgroup_id_x 1
		.amdhsa_system_sgpr_workgroup_id_y 0
		.amdhsa_system_sgpr_workgroup_id_z 0
		.amdhsa_system_sgpr_workgroup_info 0
		.amdhsa_system_vgpr_workitem_id 0
		.amdhsa_next_free_vgpr 1
		.amdhsa_next_free_sgpr 1
		.amdhsa_reserve_vcc 0
		.amdhsa_float_round_mode_32 0
		.amdhsa_float_round_mode_16_64 0
		.amdhsa_float_denorm_mode_32 3
		.amdhsa_float_denorm_mode_16_64 3
		.amdhsa_dx10_clamp 1
		.amdhsa_ieee_mode 1
		.amdhsa_fp16_overflow 0
		.amdhsa_workgroup_processor_mode 1
		.amdhsa_memory_ordered 1
		.amdhsa_forward_progress 0
		.amdhsa_shared_vgpr_count 0
		.amdhsa_exception_fp_ieee_invalid_op 0
		.amdhsa_exception_fp_denorm_src 0
		.amdhsa_exception_fp_ieee_div_zero 0
		.amdhsa_exception_fp_ieee_overflow 0
		.amdhsa_exception_fp_ieee_underflow 0
		.amdhsa_exception_fp_ieee_inexact 0
		.amdhsa_exception_int_div_zero 0
	.end_amdhsa_kernel
	.section	.text._ZN7rocprim17ROCPRIM_400000_NS6detail17trampoline_kernelINS0_14default_configENS1_25partition_config_selectorILNS1_17partition_subalgoE9EsjbEEZZNS1_14partition_implILS5_9ELb0ES3_jN6thrust23THRUST_200600_302600_NS6detail15normal_iteratorINS9_10device_ptrIsEEEENSB_INSC_IjEEEEPNS0_10empty_typeENS0_5tupleIJSE_SH_EEENSJ_IJNS9_16discard_iteratorINS9_11use_defaultEEESI_EEENS0_18inequality_wrapperINS9_8equal_toIsEEEEPmJSH_EEE10hipError_tPvRmT3_T4_T5_T6_T7_T9_mT8_P12ihipStream_tbDpT10_ENKUlT_T0_E_clISt17integral_constantIbLb0EES1D_EEDaS18_S19_EUlS18_E_NS1_11comp_targetILNS1_3genE8ELNS1_11target_archE1030ELNS1_3gpuE2ELNS1_3repE0EEENS1_30default_config_static_selectorELNS0_4arch9wavefront6targetE0EEEvT1_,"axG",@progbits,_ZN7rocprim17ROCPRIM_400000_NS6detail17trampoline_kernelINS0_14default_configENS1_25partition_config_selectorILNS1_17partition_subalgoE9EsjbEEZZNS1_14partition_implILS5_9ELb0ES3_jN6thrust23THRUST_200600_302600_NS6detail15normal_iteratorINS9_10device_ptrIsEEEENSB_INSC_IjEEEEPNS0_10empty_typeENS0_5tupleIJSE_SH_EEENSJ_IJNS9_16discard_iteratorINS9_11use_defaultEEESI_EEENS0_18inequality_wrapperINS9_8equal_toIsEEEEPmJSH_EEE10hipError_tPvRmT3_T4_T5_T6_T7_T9_mT8_P12ihipStream_tbDpT10_ENKUlT_T0_E_clISt17integral_constantIbLb0EES1D_EEDaS18_S19_EUlS18_E_NS1_11comp_targetILNS1_3genE8ELNS1_11target_archE1030ELNS1_3gpuE2ELNS1_3repE0EEENS1_30default_config_static_selectorELNS0_4arch9wavefront6targetE0EEEvT1_,comdat
.Lfunc_end1212:
	.size	_ZN7rocprim17ROCPRIM_400000_NS6detail17trampoline_kernelINS0_14default_configENS1_25partition_config_selectorILNS1_17partition_subalgoE9EsjbEEZZNS1_14partition_implILS5_9ELb0ES3_jN6thrust23THRUST_200600_302600_NS6detail15normal_iteratorINS9_10device_ptrIsEEEENSB_INSC_IjEEEEPNS0_10empty_typeENS0_5tupleIJSE_SH_EEENSJ_IJNS9_16discard_iteratorINS9_11use_defaultEEESI_EEENS0_18inequality_wrapperINS9_8equal_toIsEEEEPmJSH_EEE10hipError_tPvRmT3_T4_T5_T6_T7_T9_mT8_P12ihipStream_tbDpT10_ENKUlT_T0_E_clISt17integral_constantIbLb0EES1D_EEDaS18_S19_EUlS18_E_NS1_11comp_targetILNS1_3genE8ELNS1_11target_archE1030ELNS1_3gpuE2ELNS1_3repE0EEENS1_30default_config_static_selectorELNS0_4arch9wavefront6targetE0EEEvT1_, .Lfunc_end1212-_ZN7rocprim17ROCPRIM_400000_NS6detail17trampoline_kernelINS0_14default_configENS1_25partition_config_selectorILNS1_17partition_subalgoE9EsjbEEZZNS1_14partition_implILS5_9ELb0ES3_jN6thrust23THRUST_200600_302600_NS6detail15normal_iteratorINS9_10device_ptrIsEEEENSB_INSC_IjEEEEPNS0_10empty_typeENS0_5tupleIJSE_SH_EEENSJ_IJNS9_16discard_iteratorINS9_11use_defaultEEESI_EEENS0_18inequality_wrapperINS9_8equal_toIsEEEEPmJSH_EEE10hipError_tPvRmT3_T4_T5_T6_T7_T9_mT8_P12ihipStream_tbDpT10_ENKUlT_T0_E_clISt17integral_constantIbLb0EES1D_EEDaS18_S19_EUlS18_E_NS1_11comp_targetILNS1_3genE8ELNS1_11target_archE1030ELNS1_3gpuE2ELNS1_3repE0EEENS1_30default_config_static_selectorELNS0_4arch9wavefront6targetE0EEEvT1_
                                        ; -- End function
	.section	.AMDGPU.csdata,"",@progbits
; Kernel info:
; codeLenInByte = 0
; NumSgprs: 0
; NumVgprs: 0
; ScratchSize: 0
; MemoryBound: 0
; FloatMode: 240
; IeeeMode: 1
; LDSByteSize: 0 bytes/workgroup (compile time only)
; SGPRBlocks: 0
; VGPRBlocks: 0
; NumSGPRsForWavesPerEU: 1
; NumVGPRsForWavesPerEU: 1
; Occupancy: 16
; WaveLimiterHint : 0
; COMPUTE_PGM_RSRC2:SCRATCH_EN: 0
; COMPUTE_PGM_RSRC2:USER_SGPR: 15
; COMPUTE_PGM_RSRC2:TRAP_HANDLER: 0
; COMPUTE_PGM_RSRC2:TGID_X_EN: 1
; COMPUTE_PGM_RSRC2:TGID_Y_EN: 0
; COMPUTE_PGM_RSRC2:TGID_Z_EN: 0
; COMPUTE_PGM_RSRC2:TIDIG_COMP_CNT: 0
	.section	.text._ZN7rocprim17ROCPRIM_400000_NS6detail17trampoline_kernelINS0_14default_configENS1_25partition_config_selectorILNS1_17partition_subalgoE9EsjbEEZZNS1_14partition_implILS5_9ELb0ES3_jN6thrust23THRUST_200600_302600_NS6detail15normal_iteratorINS9_10device_ptrIsEEEENSB_INSC_IjEEEEPNS0_10empty_typeENS0_5tupleIJSE_SH_EEENSJ_IJNS9_16discard_iteratorINS9_11use_defaultEEESI_EEENS0_18inequality_wrapperINS9_8equal_toIsEEEEPmJSH_EEE10hipError_tPvRmT3_T4_T5_T6_T7_T9_mT8_P12ihipStream_tbDpT10_ENKUlT_T0_E_clISt17integral_constantIbLb1EES1D_EEDaS18_S19_EUlS18_E_NS1_11comp_targetILNS1_3genE0ELNS1_11target_archE4294967295ELNS1_3gpuE0ELNS1_3repE0EEENS1_30default_config_static_selectorELNS0_4arch9wavefront6targetE0EEEvT1_,"axG",@progbits,_ZN7rocprim17ROCPRIM_400000_NS6detail17trampoline_kernelINS0_14default_configENS1_25partition_config_selectorILNS1_17partition_subalgoE9EsjbEEZZNS1_14partition_implILS5_9ELb0ES3_jN6thrust23THRUST_200600_302600_NS6detail15normal_iteratorINS9_10device_ptrIsEEEENSB_INSC_IjEEEEPNS0_10empty_typeENS0_5tupleIJSE_SH_EEENSJ_IJNS9_16discard_iteratorINS9_11use_defaultEEESI_EEENS0_18inequality_wrapperINS9_8equal_toIsEEEEPmJSH_EEE10hipError_tPvRmT3_T4_T5_T6_T7_T9_mT8_P12ihipStream_tbDpT10_ENKUlT_T0_E_clISt17integral_constantIbLb1EES1D_EEDaS18_S19_EUlS18_E_NS1_11comp_targetILNS1_3genE0ELNS1_11target_archE4294967295ELNS1_3gpuE0ELNS1_3repE0EEENS1_30default_config_static_selectorELNS0_4arch9wavefront6targetE0EEEvT1_,comdat
	.protected	_ZN7rocprim17ROCPRIM_400000_NS6detail17trampoline_kernelINS0_14default_configENS1_25partition_config_selectorILNS1_17partition_subalgoE9EsjbEEZZNS1_14partition_implILS5_9ELb0ES3_jN6thrust23THRUST_200600_302600_NS6detail15normal_iteratorINS9_10device_ptrIsEEEENSB_INSC_IjEEEEPNS0_10empty_typeENS0_5tupleIJSE_SH_EEENSJ_IJNS9_16discard_iteratorINS9_11use_defaultEEESI_EEENS0_18inequality_wrapperINS9_8equal_toIsEEEEPmJSH_EEE10hipError_tPvRmT3_T4_T5_T6_T7_T9_mT8_P12ihipStream_tbDpT10_ENKUlT_T0_E_clISt17integral_constantIbLb1EES1D_EEDaS18_S19_EUlS18_E_NS1_11comp_targetILNS1_3genE0ELNS1_11target_archE4294967295ELNS1_3gpuE0ELNS1_3repE0EEENS1_30default_config_static_selectorELNS0_4arch9wavefront6targetE0EEEvT1_ ; -- Begin function _ZN7rocprim17ROCPRIM_400000_NS6detail17trampoline_kernelINS0_14default_configENS1_25partition_config_selectorILNS1_17partition_subalgoE9EsjbEEZZNS1_14partition_implILS5_9ELb0ES3_jN6thrust23THRUST_200600_302600_NS6detail15normal_iteratorINS9_10device_ptrIsEEEENSB_INSC_IjEEEEPNS0_10empty_typeENS0_5tupleIJSE_SH_EEENSJ_IJNS9_16discard_iteratorINS9_11use_defaultEEESI_EEENS0_18inequality_wrapperINS9_8equal_toIsEEEEPmJSH_EEE10hipError_tPvRmT3_T4_T5_T6_T7_T9_mT8_P12ihipStream_tbDpT10_ENKUlT_T0_E_clISt17integral_constantIbLb1EES1D_EEDaS18_S19_EUlS18_E_NS1_11comp_targetILNS1_3genE0ELNS1_11target_archE4294967295ELNS1_3gpuE0ELNS1_3repE0EEENS1_30default_config_static_selectorELNS0_4arch9wavefront6targetE0EEEvT1_
	.globl	_ZN7rocprim17ROCPRIM_400000_NS6detail17trampoline_kernelINS0_14default_configENS1_25partition_config_selectorILNS1_17partition_subalgoE9EsjbEEZZNS1_14partition_implILS5_9ELb0ES3_jN6thrust23THRUST_200600_302600_NS6detail15normal_iteratorINS9_10device_ptrIsEEEENSB_INSC_IjEEEEPNS0_10empty_typeENS0_5tupleIJSE_SH_EEENSJ_IJNS9_16discard_iteratorINS9_11use_defaultEEESI_EEENS0_18inequality_wrapperINS9_8equal_toIsEEEEPmJSH_EEE10hipError_tPvRmT3_T4_T5_T6_T7_T9_mT8_P12ihipStream_tbDpT10_ENKUlT_T0_E_clISt17integral_constantIbLb1EES1D_EEDaS18_S19_EUlS18_E_NS1_11comp_targetILNS1_3genE0ELNS1_11target_archE4294967295ELNS1_3gpuE0ELNS1_3repE0EEENS1_30default_config_static_selectorELNS0_4arch9wavefront6targetE0EEEvT1_
	.p2align	8
	.type	_ZN7rocprim17ROCPRIM_400000_NS6detail17trampoline_kernelINS0_14default_configENS1_25partition_config_selectorILNS1_17partition_subalgoE9EsjbEEZZNS1_14partition_implILS5_9ELb0ES3_jN6thrust23THRUST_200600_302600_NS6detail15normal_iteratorINS9_10device_ptrIsEEEENSB_INSC_IjEEEEPNS0_10empty_typeENS0_5tupleIJSE_SH_EEENSJ_IJNS9_16discard_iteratorINS9_11use_defaultEEESI_EEENS0_18inequality_wrapperINS9_8equal_toIsEEEEPmJSH_EEE10hipError_tPvRmT3_T4_T5_T6_T7_T9_mT8_P12ihipStream_tbDpT10_ENKUlT_T0_E_clISt17integral_constantIbLb1EES1D_EEDaS18_S19_EUlS18_E_NS1_11comp_targetILNS1_3genE0ELNS1_11target_archE4294967295ELNS1_3gpuE0ELNS1_3repE0EEENS1_30default_config_static_selectorELNS0_4arch9wavefront6targetE0EEEvT1_,@function
_ZN7rocprim17ROCPRIM_400000_NS6detail17trampoline_kernelINS0_14default_configENS1_25partition_config_selectorILNS1_17partition_subalgoE9EsjbEEZZNS1_14partition_implILS5_9ELb0ES3_jN6thrust23THRUST_200600_302600_NS6detail15normal_iteratorINS9_10device_ptrIsEEEENSB_INSC_IjEEEEPNS0_10empty_typeENS0_5tupleIJSE_SH_EEENSJ_IJNS9_16discard_iteratorINS9_11use_defaultEEESI_EEENS0_18inequality_wrapperINS9_8equal_toIsEEEEPmJSH_EEE10hipError_tPvRmT3_T4_T5_T6_T7_T9_mT8_P12ihipStream_tbDpT10_ENKUlT_T0_E_clISt17integral_constantIbLb1EES1D_EEDaS18_S19_EUlS18_E_NS1_11comp_targetILNS1_3genE0ELNS1_11target_archE4294967295ELNS1_3gpuE0ELNS1_3repE0EEENS1_30default_config_static_selectorELNS0_4arch9wavefront6targetE0EEEvT1_: ; @_ZN7rocprim17ROCPRIM_400000_NS6detail17trampoline_kernelINS0_14default_configENS1_25partition_config_selectorILNS1_17partition_subalgoE9EsjbEEZZNS1_14partition_implILS5_9ELb0ES3_jN6thrust23THRUST_200600_302600_NS6detail15normal_iteratorINS9_10device_ptrIsEEEENSB_INSC_IjEEEEPNS0_10empty_typeENS0_5tupleIJSE_SH_EEENSJ_IJNS9_16discard_iteratorINS9_11use_defaultEEESI_EEENS0_18inequality_wrapperINS9_8equal_toIsEEEEPmJSH_EEE10hipError_tPvRmT3_T4_T5_T6_T7_T9_mT8_P12ihipStream_tbDpT10_ENKUlT_T0_E_clISt17integral_constantIbLb1EES1D_EEDaS18_S19_EUlS18_E_NS1_11comp_targetILNS1_3genE0ELNS1_11target_archE4294967295ELNS1_3gpuE0ELNS1_3repE0EEENS1_30default_config_static_selectorELNS0_4arch9wavefront6targetE0EEEvT1_
; %bb.0:
	.section	.rodata,"a",@progbits
	.p2align	6, 0x0
	.amdhsa_kernel _ZN7rocprim17ROCPRIM_400000_NS6detail17trampoline_kernelINS0_14default_configENS1_25partition_config_selectorILNS1_17partition_subalgoE9EsjbEEZZNS1_14partition_implILS5_9ELb0ES3_jN6thrust23THRUST_200600_302600_NS6detail15normal_iteratorINS9_10device_ptrIsEEEENSB_INSC_IjEEEEPNS0_10empty_typeENS0_5tupleIJSE_SH_EEENSJ_IJNS9_16discard_iteratorINS9_11use_defaultEEESI_EEENS0_18inequality_wrapperINS9_8equal_toIsEEEEPmJSH_EEE10hipError_tPvRmT3_T4_T5_T6_T7_T9_mT8_P12ihipStream_tbDpT10_ENKUlT_T0_E_clISt17integral_constantIbLb1EES1D_EEDaS18_S19_EUlS18_E_NS1_11comp_targetILNS1_3genE0ELNS1_11target_archE4294967295ELNS1_3gpuE0ELNS1_3repE0EEENS1_30default_config_static_selectorELNS0_4arch9wavefront6targetE0EEEvT1_
		.amdhsa_group_segment_fixed_size 0
		.amdhsa_private_segment_fixed_size 0
		.amdhsa_kernarg_size 136
		.amdhsa_user_sgpr_count 15
		.amdhsa_user_sgpr_dispatch_ptr 0
		.amdhsa_user_sgpr_queue_ptr 0
		.amdhsa_user_sgpr_kernarg_segment_ptr 1
		.amdhsa_user_sgpr_dispatch_id 0
		.amdhsa_user_sgpr_private_segment_size 0
		.amdhsa_wavefront_size32 1
		.amdhsa_uses_dynamic_stack 0
		.amdhsa_enable_private_segment 0
		.amdhsa_system_sgpr_workgroup_id_x 1
		.amdhsa_system_sgpr_workgroup_id_y 0
		.amdhsa_system_sgpr_workgroup_id_z 0
		.amdhsa_system_sgpr_workgroup_info 0
		.amdhsa_system_vgpr_workitem_id 0
		.amdhsa_next_free_vgpr 1
		.amdhsa_next_free_sgpr 1
		.amdhsa_reserve_vcc 0
		.amdhsa_float_round_mode_32 0
		.amdhsa_float_round_mode_16_64 0
		.amdhsa_float_denorm_mode_32 3
		.amdhsa_float_denorm_mode_16_64 3
		.amdhsa_dx10_clamp 1
		.amdhsa_ieee_mode 1
		.amdhsa_fp16_overflow 0
		.amdhsa_workgroup_processor_mode 1
		.amdhsa_memory_ordered 1
		.amdhsa_forward_progress 0
		.amdhsa_shared_vgpr_count 0
		.amdhsa_exception_fp_ieee_invalid_op 0
		.amdhsa_exception_fp_denorm_src 0
		.amdhsa_exception_fp_ieee_div_zero 0
		.amdhsa_exception_fp_ieee_overflow 0
		.amdhsa_exception_fp_ieee_underflow 0
		.amdhsa_exception_fp_ieee_inexact 0
		.amdhsa_exception_int_div_zero 0
	.end_amdhsa_kernel
	.section	.text._ZN7rocprim17ROCPRIM_400000_NS6detail17trampoline_kernelINS0_14default_configENS1_25partition_config_selectorILNS1_17partition_subalgoE9EsjbEEZZNS1_14partition_implILS5_9ELb0ES3_jN6thrust23THRUST_200600_302600_NS6detail15normal_iteratorINS9_10device_ptrIsEEEENSB_INSC_IjEEEEPNS0_10empty_typeENS0_5tupleIJSE_SH_EEENSJ_IJNS9_16discard_iteratorINS9_11use_defaultEEESI_EEENS0_18inequality_wrapperINS9_8equal_toIsEEEEPmJSH_EEE10hipError_tPvRmT3_T4_T5_T6_T7_T9_mT8_P12ihipStream_tbDpT10_ENKUlT_T0_E_clISt17integral_constantIbLb1EES1D_EEDaS18_S19_EUlS18_E_NS1_11comp_targetILNS1_3genE0ELNS1_11target_archE4294967295ELNS1_3gpuE0ELNS1_3repE0EEENS1_30default_config_static_selectorELNS0_4arch9wavefront6targetE0EEEvT1_,"axG",@progbits,_ZN7rocprim17ROCPRIM_400000_NS6detail17trampoline_kernelINS0_14default_configENS1_25partition_config_selectorILNS1_17partition_subalgoE9EsjbEEZZNS1_14partition_implILS5_9ELb0ES3_jN6thrust23THRUST_200600_302600_NS6detail15normal_iteratorINS9_10device_ptrIsEEEENSB_INSC_IjEEEEPNS0_10empty_typeENS0_5tupleIJSE_SH_EEENSJ_IJNS9_16discard_iteratorINS9_11use_defaultEEESI_EEENS0_18inequality_wrapperINS9_8equal_toIsEEEEPmJSH_EEE10hipError_tPvRmT3_T4_T5_T6_T7_T9_mT8_P12ihipStream_tbDpT10_ENKUlT_T0_E_clISt17integral_constantIbLb1EES1D_EEDaS18_S19_EUlS18_E_NS1_11comp_targetILNS1_3genE0ELNS1_11target_archE4294967295ELNS1_3gpuE0ELNS1_3repE0EEENS1_30default_config_static_selectorELNS0_4arch9wavefront6targetE0EEEvT1_,comdat
.Lfunc_end1213:
	.size	_ZN7rocprim17ROCPRIM_400000_NS6detail17trampoline_kernelINS0_14default_configENS1_25partition_config_selectorILNS1_17partition_subalgoE9EsjbEEZZNS1_14partition_implILS5_9ELb0ES3_jN6thrust23THRUST_200600_302600_NS6detail15normal_iteratorINS9_10device_ptrIsEEEENSB_INSC_IjEEEEPNS0_10empty_typeENS0_5tupleIJSE_SH_EEENSJ_IJNS9_16discard_iteratorINS9_11use_defaultEEESI_EEENS0_18inequality_wrapperINS9_8equal_toIsEEEEPmJSH_EEE10hipError_tPvRmT3_T4_T5_T6_T7_T9_mT8_P12ihipStream_tbDpT10_ENKUlT_T0_E_clISt17integral_constantIbLb1EES1D_EEDaS18_S19_EUlS18_E_NS1_11comp_targetILNS1_3genE0ELNS1_11target_archE4294967295ELNS1_3gpuE0ELNS1_3repE0EEENS1_30default_config_static_selectorELNS0_4arch9wavefront6targetE0EEEvT1_, .Lfunc_end1213-_ZN7rocprim17ROCPRIM_400000_NS6detail17trampoline_kernelINS0_14default_configENS1_25partition_config_selectorILNS1_17partition_subalgoE9EsjbEEZZNS1_14partition_implILS5_9ELb0ES3_jN6thrust23THRUST_200600_302600_NS6detail15normal_iteratorINS9_10device_ptrIsEEEENSB_INSC_IjEEEEPNS0_10empty_typeENS0_5tupleIJSE_SH_EEENSJ_IJNS9_16discard_iteratorINS9_11use_defaultEEESI_EEENS0_18inequality_wrapperINS9_8equal_toIsEEEEPmJSH_EEE10hipError_tPvRmT3_T4_T5_T6_T7_T9_mT8_P12ihipStream_tbDpT10_ENKUlT_T0_E_clISt17integral_constantIbLb1EES1D_EEDaS18_S19_EUlS18_E_NS1_11comp_targetILNS1_3genE0ELNS1_11target_archE4294967295ELNS1_3gpuE0ELNS1_3repE0EEENS1_30default_config_static_selectorELNS0_4arch9wavefront6targetE0EEEvT1_
                                        ; -- End function
	.section	.AMDGPU.csdata,"",@progbits
; Kernel info:
; codeLenInByte = 0
; NumSgprs: 0
; NumVgprs: 0
; ScratchSize: 0
; MemoryBound: 0
; FloatMode: 240
; IeeeMode: 1
; LDSByteSize: 0 bytes/workgroup (compile time only)
; SGPRBlocks: 0
; VGPRBlocks: 0
; NumSGPRsForWavesPerEU: 1
; NumVGPRsForWavesPerEU: 1
; Occupancy: 16
; WaveLimiterHint : 0
; COMPUTE_PGM_RSRC2:SCRATCH_EN: 0
; COMPUTE_PGM_RSRC2:USER_SGPR: 15
; COMPUTE_PGM_RSRC2:TRAP_HANDLER: 0
; COMPUTE_PGM_RSRC2:TGID_X_EN: 1
; COMPUTE_PGM_RSRC2:TGID_Y_EN: 0
; COMPUTE_PGM_RSRC2:TGID_Z_EN: 0
; COMPUTE_PGM_RSRC2:TIDIG_COMP_CNT: 0
	.section	.text._ZN7rocprim17ROCPRIM_400000_NS6detail17trampoline_kernelINS0_14default_configENS1_25partition_config_selectorILNS1_17partition_subalgoE9EsjbEEZZNS1_14partition_implILS5_9ELb0ES3_jN6thrust23THRUST_200600_302600_NS6detail15normal_iteratorINS9_10device_ptrIsEEEENSB_INSC_IjEEEEPNS0_10empty_typeENS0_5tupleIJSE_SH_EEENSJ_IJNS9_16discard_iteratorINS9_11use_defaultEEESI_EEENS0_18inequality_wrapperINS9_8equal_toIsEEEEPmJSH_EEE10hipError_tPvRmT3_T4_T5_T6_T7_T9_mT8_P12ihipStream_tbDpT10_ENKUlT_T0_E_clISt17integral_constantIbLb1EES1D_EEDaS18_S19_EUlS18_E_NS1_11comp_targetILNS1_3genE5ELNS1_11target_archE942ELNS1_3gpuE9ELNS1_3repE0EEENS1_30default_config_static_selectorELNS0_4arch9wavefront6targetE0EEEvT1_,"axG",@progbits,_ZN7rocprim17ROCPRIM_400000_NS6detail17trampoline_kernelINS0_14default_configENS1_25partition_config_selectorILNS1_17partition_subalgoE9EsjbEEZZNS1_14partition_implILS5_9ELb0ES3_jN6thrust23THRUST_200600_302600_NS6detail15normal_iteratorINS9_10device_ptrIsEEEENSB_INSC_IjEEEEPNS0_10empty_typeENS0_5tupleIJSE_SH_EEENSJ_IJNS9_16discard_iteratorINS9_11use_defaultEEESI_EEENS0_18inequality_wrapperINS9_8equal_toIsEEEEPmJSH_EEE10hipError_tPvRmT3_T4_T5_T6_T7_T9_mT8_P12ihipStream_tbDpT10_ENKUlT_T0_E_clISt17integral_constantIbLb1EES1D_EEDaS18_S19_EUlS18_E_NS1_11comp_targetILNS1_3genE5ELNS1_11target_archE942ELNS1_3gpuE9ELNS1_3repE0EEENS1_30default_config_static_selectorELNS0_4arch9wavefront6targetE0EEEvT1_,comdat
	.protected	_ZN7rocprim17ROCPRIM_400000_NS6detail17trampoline_kernelINS0_14default_configENS1_25partition_config_selectorILNS1_17partition_subalgoE9EsjbEEZZNS1_14partition_implILS5_9ELb0ES3_jN6thrust23THRUST_200600_302600_NS6detail15normal_iteratorINS9_10device_ptrIsEEEENSB_INSC_IjEEEEPNS0_10empty_typeENS0_5tupleIJSE_SH_EEENSJ_IJNS9_16discard_iteratorINS9_11use_defaultEEESI_EEENS0_18inequality_wrapperINS9_8equal_toIsEEEEPmJSH_EEE10hipError_tPvRmT3_T4_T5_T6_T7_T9_mT8_P12ihipStream_tbDpT10_ENKUlT_T0_E_clISt17integral_constantIbLb1EES1D_EEDaS18_S19_EUlS18_E_NS1_11comp_targetILNS1_3genE5ELNS1_11target_archE942ELNS1_3gpuE9ELNS1_3repE0EEENS1_30default_config_static_selectorELNS0_4arch9wavefront6targetE0EEEvT1_ ; -- Begin function _ZN7rocprim17ROCPRIM_400000_NS6detail17trampoline_kernelINS0_14default_configENS1_25partition_config_selectorILNS1_17partition_subalgoE9EsjbEEZZNS1_14partition_implILS5_9ELb0ES3_jN6thrust23THRUST_200600_302600_NS6detail15normal_iteratorINS9_10device_ptrIsEEEENSB_INSC_IjEEEEPNS0_10empty_typeENS0_5tupleIJSE_SH_EEENSJ_IJNS9_16discard_iteratorINS9_11use_defaultEEESI_EEENS0_18inequality_wrapperINS9_8equal_toIsEEEEPmJSH_EEE10hipError_tPvRmT3_T4_T5_T6_T7_T9_mT8_P12ihipStream_tbDpT10_ENKUlT_T0_E_clISt17integral_constantIbLb1EES1D_EEDaS18_S19_EUlS18_E_NS1_11comp_targetILNS1_3genE5ELNS1_11target_archE942ELNS1_3gpuE9ELNS1_3repE0EEENS1_30default_config_static_selectorELNS0_4arch9wavefront6targetE0EEEvT1_
	.globl	_ZN7rocprim17ROCPRIM_400000_NS6detail17trampoline_kernelINS0_14default_configENS1_25partition_config_selectorILNS1_17partition_subalgoE9EsjbEEZZNS1_14partition_implILS5_9ELb0ES3_jN6thrust23THRUST_200600_302600_NS6detail15normal_iteratorINS9_10device_ptrIsEEEENSB_INSC_IjEEEEPNS0_10empty_typeENS0_5tupleIJSE_SH_EEENSJ_IJNS9_16discard_iteratorINS9_11use_defaultEEESI_EEENS0_18inequality_wrapperINS9_8equal_toIsEEEEPmJSH_EEE10hipError_tPvRmT3_T4_T5_T6_T7_T9_mT8_P12ihipStream_tbDpT10_ENKUlT_T0_E_clISt17integral_constantIbLb1EES1D_EEDaS18_S19_EUlS18_E_NS1_11comp_targetILNS1_3genE5ELNS1_11target_archE942ELNS1_3gpuE9ELNS1_3repE0EEENS1_30default_config_static_selectorELNS0_4arch9wavefront6targetE0EEEvT1_
	.p2align	8
	.type	_ZN7rocprim17ROCPRIM_400000_NS6detail17trampoline_kernelINS0_14default_configENS1_25partition_config_selectorILNS1_17partition_subalgoE9EsjbEEZZNS1_14partition_implILS5_9ELb0ES3_jN6thrust23THRUST_200600_302600_NS6detail15normal_iteratorINS9_10device_ptrIsEEEENSB_INSC_IjEEEEPNS0_10empty_typeENS0_5tupleIJSE_SH_EEENSJ_IJNS9_16discard_iteratorINS9_11use_defaultEEESI_EEENS0_18inequality_wrapperINS9_8equal_toIsEEEEPmJSH_EEE10hipError_tPvRmT3_T4_T5_T6_T7_T9_mT8_P12ihipStream_tbDpT10_ENKUlT_T0_E_clISt17integral_constantIbLb1EES1D_EEDaS18_S19_EUlS18_E_NS1_11comp_targetILNS1_3genE5ELNS1_11target_archE942ELNS1_3gpuE9ELNS1_3repE0EEENS1_30default_config_static_selectorELNS0_4arch9wavefront6targetE0EEEvT1_,@function
_ZN7rocprim17ROCPRIM_400000_NS6detail17trampoline_kernelINS0_14default_configENS1_25partition_config_selectorILNS1_17partition_subalgoE9EsjbEEZZNS1_14partition_implILS5_9ELb0ES3_jN6thrust23THRUST_200600_302600_NS6detail15normal_iteratorINS9_10device_ptrIsEEEENSB_INSC_IjEEEEPNS0_10empty_typeENS0_5tupleIJSE_SH_EEENSJ_IJNS9_16discard_iteratorINS9_11use_defaultEEESI_EEENS0_18inequality_wrapperINS9_8equal_toIsEEEEPmJSH_EEE10hipError_tPvRmT3_T4_T5_T6_T7_T9_mT8_P12ihipStream_tbDpT10_ENKUlT_T0_E_clISt17integral_constantIbLb1EES1D_EEDaS18_S19_EUlS18_E_NS1_11comp_targetILNS1_3genE5ELNS1_11target_archE942ELNS1_3gpuE9ELNS1_3repE0EEENS1_30default_config_static_selectorELNS0_4arch9wavefront6targetE0EEEvT1_: ; @_ZN7rocprim17ROCPRIM_400000_NS6detail17trampoline_kernelINS0_14default_configENS1_25partition_config_selectorILNS1_17partition_subalgoE9EsjbEEZZNS1_14partition_implILS5_9ELb0ES3_jN6thrust23THRUST_200600_302600_NS6detail15normal_iteratorINS9_10device_ptrIsEEEENSB_INSC_IjEEEEPNS0_10empty_typeENS0_5tupleIJSE_SH_EEENSJ_IJNS9_16discard_iteratorINS9_11use_defaultEEESI_EEENS0_18inequality_wrapperINS9_8equal_toIsEEEEPmJSH_EEE10hipError_tPvRmT3_T4_T5_T6_T7_T9_mT8_P12ihipStream_tbDpT10_ENKUlT_T0_E_clISt17integral_constantIbLb1EES1D_EEDaS18_S19_EUlS18_E_NS1_11comp_targetILNS1_3genE5ELNS1_11target_archE942ELNS1_3gpuE9ELNS1_3repE0EEENS1_30default_config_static_selectorELNS0_4arch9wavefront6targetE0EEEvT1_
; %bb.0:
	.section	.rodata,"a",@progbits
	.p2align	6, 0x0
	.amdhsa_kernel _ZN7rocprim17ROCPRIM_400000_NS6detail17trampoline_kernelINS0_14default_configENS1_25partition_config_selectorILNS1_17partition_subalgoE9EsjbEEZZNS1_14partition_implILS5_9ELb0ES3_jN6thrust23THRUST_200600_302600_NS6detail15normal_iteratorINS9_10device_ptrIsEEEENSB_INSC_IjEEEEPNS0_10empty_typeENS0_5tupleIJSE_SH_EEENSJ_IJNS9_16discard_iteratorINS9_11use_defaultEEESI_EEENS0_18inequality_wrapperINS9_8equal_toIsEEEEPmJSH_EEE10hipError_tPvRmT3_T4_T5_T6_T7_T9_mT8_P12ihipStream_tbDpT10_ENKUlT_T0_E_clISt17integral_constantIbLb1EES1D_EEDaS18_S19_EUlS18_E_NS1_11comp_targetILNS1_3genE5ELNS1_11target_archE942ELNS1_3gpuE9ELNS1_3repE0EEENS1_30default_config_static_selectorELNS0_4arch9wavefront6targetE0EEEvT1_
		.amdhsa_group_segment_fixed_size 0
		.amdhsa_private_segment_fixed_size 0
		.amdhsa_kernarg_size 136
		.amdhsa_user_sgpr_count 15
		.amdhsa_user_sgpr_dispatch_ptr 0
		.amdhsa_user_sgpr_queue_ptr 0
		.amdhsa_user_sgpr_kernarg_segment_ptr 1
		.amdhsa_user_sgpr_dispatch_id 0
		.amdhsa_user_sgpr_private_segment_size 0
		.amdhsa_wavefront_size32 1
		.amdhsa_uses_dynamic_stack 0
		.amdhsa_enable_private_segment 0
		.amdhsa_system_sgpr_workgroup_id_x 1
		.amdhsa_system_sgpr_workgroup_id_y 0
		.amdhsa_system_sgpr_workgroup_id_z 0
		.amdhsa_system_sgpr_workgroup_info 0
		.amdhsa_system_vgpr_workitem_id 0
		.amdhsa_next_free_vgpr 1
		.amdhsa_next_free_sgpr 1
		.amdhsa_reserve_vcc 0
		.amdhsa_float_round_mode_32 0
		.amdhsa_float_round_mode_16_64 0
		.amdhsa_float_denorm_mode_32 3
		.amdhsa_float_denorm_mode_16_64 3
		.amdhsa_dx10_clamp 1
		.amdhsa_ieee_mode 1
		.amdhsa_fp16_overflow 0
		.amdhsa_workgroup_processor_mode 1
		.amdhsa_memory_ordered 1
		.amdhsa_forward_progress 0
		.amdhsa_shared_vgpr_count 0
		.amdhsa_exception_fp_ieee_invalid_op 0
		.amdhsa_exception_fp_denorm_src 0
		.amdhsa_exception_fp_ieee_div_zero 0
		.amdhsa_exception_fp_ieee_overflow 0
		.amdhsa_exception_fp_ieee_underflow 0
		.amdhsa_exception_fp_ieee_inexact 0
		.amdhsa_exception_int_div_zero 0
	.end_amdhsa_kernel
	.section	.text._ZN7rocprim17ROCPRIM_400000_NS6detail17trampoline_kernelINS0_14default_configENS1_25partition_config_selectorILNS1_17partition_subalgoE9EsjbEEZZNS1_14partition_implILS5_9ELb0ES3_jN6thrust23THRUST_200600_302600_NS6detail15normal_iteratorINS9_10device_ptrIsEEEENSB_INSC_IjEEEEPNS0_10empty_typeENS0_5tupleIJSE_SH_EEENSJ_IJNS9_16discard_iteratorINS9_11use_defaultEEESI_EEENS0_18inequality_wrapperINS9_8equal_toIsEEEEPmJSH_EEE10hipError_tPvRmT3_T4_T5_T6_T7_T9_mT8_P12ihipStream_tbDpT10_ENKUlT_T0_E_clISt17integral_constantIbLb1EES1D_EEDaS18_S19_EUlS18_E_NS1_11comp_targetILNS1_3genE5ELNS1_11target_archE942ELNS1_3gpuE9ELNS1_3repE0EEENS1_30default_config_static_selectorELNS0_4arch9wavefront6targetE0EEEvT1_,"axG",@progbits,_ZN7rocprim17ROCPRIM_400000_NS6detail17trampoline_kernelINS0_14default_configENS1_25partition_config_selectorILNS1_17partition_subalgoE9EsjbEEZZNS1_14partition_implILS5_9ELb0ES3_jN6thrust23THRUST_200600_302600_NS6detail15normal_iteratorINS9_10device_ptrIsEEEENSB_INSC_IjEEEEPNS0_10empty_typeENS0_5tupleIJSE_SH_EEENSJ_IJNS9_16discard_iteratorINS9_11use_defaultEEESI_EEENS0_18inequality_wrapperINS9_8equal_toIsEEEEPmJSH_EEE10hipError_tPvRmT3_T4_T5_T6_T7_T9_mT8_P12ihipStream_tbDpT10_ENKUlT_T0_E_clISt17integral_constantIbLb1EES1D_EEDaS18_S19_EUlS18_E_NS1_11comp_targetILNS1_3genE5ELNS1_11target_archE942ELNS1_3gpuE9ELNS1_3repE0EEENS1_30default_config_static_selectorELNS0_4arch9wavefront6targetE0EEEvT1_,comdat
.Lfunc_end1214:
	.size	_ZN7rocprim17ROCPRIM_400000_NS6detail17trampoline_kernelINS0_14default_configENS1_25partition_config_selectorILNS1_17partition_subalgoE9EsjbEEZZNS1_14partition_implILS5_9ELb0ES3_jN6thrust23THRUST_200600_302600_NS6detail15normal_iteratorINS9_10device_ptrIsEEEENSB_INSC_IjEEEEPNS0_10empty_typeENS0_5tupleIJSE_SH_EEENSJ_IJNS9_16discard_iteratorINS9_11use_defaultEEESI_EEENS0_18inequality_wrapperINS9_8equal_toIsEEEEPmJSH_EEE10hipError_tPvRmT3_T4_T5_T6_T7_T9_mT8_P12ihipStream_tbDpT10_ENKUlT_T0_E_clISt17integral_constantIbLb1EES1D_EEDaS18_S19_EUlS18_E_NS1_11comp_targetILNS1_3genE5ELNS1_11target_archE942ELNS1_3gpuE9ELNS1_3repE0EEENS1_30default_config_static_selectorELNS0_4arch9wavefront6targetE0EEEvT1_, .Lfunc_end1214-_ZN7rocprim17ROCPRIM_400000_NS6detail17trampoline_kernelINS0_14default_configENS1_25partition_config_selectorILNS1_17partition_subalgoE9EsjbEEZZNS1_14partition_implILS5_9ELb0ES3_jN6thrust23THRUST_200600_302600_NS6detail15normal_iteratorINS9_10device_ptrIsEEEENSB_INSC_IjEEEEPNS0_10empty_typeENS0_5tupleIJSE_SH_EEENSJ_IJNS9_16discard_iteratorINS9_11use_defaultEEESI_EEENS0_18inequality_wrapperINS9_8equal_toIsEEEEPmJSH_EEE10hipError_tPvRmT3_T4_T5_T6_T7_T9_mT8_P12ihipStream_tbDpT10_ENKUlT_T0_E_clISt17integral_constantIbLb1EES1D_EEDaS18_S19_EUlS18_E_NS1_11comp_targetILNS1_3genE5ELNS1_11target_archE942ELNS1_3gpuE9ELNS1_3repE0EEENS1_30default_config_static_selectorELNS0_4arch9wavefront6targetE0EEEvT1_
                                        ; -- End function
	.section	.AMDGPU.csdata,"",@progbits
; Kernel info:
; codeLenInByte = 0
; NumSgprs: 0
; NumVgprs: 0
; ScratchSize: 0
; MemoryBound: 0
; FloatMode: 240
; IeeeMode: 1
; LDSByteSize: 0 bytes/workgroup (compile time only)
; SGPRBlocks: 0
; VGPRBlocks: 0
; NumSGPRsForWavesPerEU: 1
; NumVGPRsForWavesPerEU: 1
; Occupancy: 16
; WaveLimiterHint : 0
; COMPUTE_PGM_RSRC2:SCRATCH_EN: 0
; COMPUTE_PGM_RSRC2:USER_SGPR: 15
; COMPUTE_PGM_RSRC2:TRAP_HANDLER: 0
; COMPUTE_PGM_RSRC2:TGID_X_EN: 1
; COMPUTE_PGM_RSRC2:TGID_Y_EN: 0
; COMPUTE_PGM_RSRC2:TGID_Z_EN: 0
; COMPUTE_PGM_RSRC2:TIDIG_COMP_CNT: 0
	.section	.text._ZN7rocprim17ROCPRIM_400000_NS6detail17trampoline_kernelINS0_14default_configENS1_25partition_config_selectorILNS1_17partition_subalgoE9EsjbEEZZNS1_14partition_implILS5_9ELb0ES3_jN6thrust23THRUST_200600_302600_NS6detail15normal_iteratorINS9_10device_ptrIsEEEENSB_INSC_IjEEEEPNS0_10empty_typeENS0_5tupleIJSE_SH_EEENSJ_IJNS9_16discard_iteratorINS9_11use_defaultEEESI_EEENS0_18inequality_wrapperINS9_8equal_toIsEEEEPmJSH_EEE10hipError_tPvRmT3_T4_T5_T6_T7_T9_mT8_P12ihipStream_tbDpT10_ENKUlT_T0_E_clISt17integral_constantIbLb1EES1D_EEDaS18_S19_EUlS18_E_NS1_11comp_targetILNS1_3genE4ELNS1_11target_archE910ELNS1_3gpuE8ELNS1_3repE0EEENS1_30default_config_static_selectorELNS0_4arch9wavefront6targetE0EEEvT1_,"axG",@progbits,_ZN7rocprim17ROCPRIM_400000_NS6detail17trampoline_kernelINS0_14default_configENS1_25partition_config_selectorILNS1_17partition_subalgoE9EsjbEEZZNS1_14partition_implILS5_9ELb0ES3_jN6thrust23THRUST_200600_302600_NS6detail15normal_iteratorINS9_10device_ptrIsEEEENSB_INSC_IjEEEEPNS0_10empty_typeENS0_5tupleIJSE_SH_EEENSJ_IJNS9_16discard_iteratorINS9_11use_defaultEEESI_EEENS0_18inequality_wrapperINS9_8equal_toIsEEEEPmJSH_EEE10hipError_tPvRmT3_T4_T5_T6_T7_T9_mT8_P12ihipStream_tbDpT10_ENKUlT_T0_E_clISt17integral_constantIbLb1EES1D_EEDaS18_S19_EUlS18_E_NS1_11comp_targetILNS1_3genE4ELNS1_11target_archE910ELNS1_3gpuE8ELNS1_3repE0EEENS1_30default_config_static_selectorELNS0_4arch9wavefront6targetE0EEEvT1_,comdat
	.protected	_ZN7rocprim17ROCPRIM_400000_NS6detail17trampoline_kernelINS0_14default_configENS1_25partition_config_selectorILNS1_17partition_subalgoE9EsjbEEZZNS1_14partition_implILS5_9ELb0ES3_jN6thrust23THRUST_200600_302600_NS6detail15normal_iteratorINS9_10device_ptrIsEEEENSB_INSC_IjEEEEPNS0_10empty_typeENS0_5tupleIJSE_SH_EEENSJ_IJNS9_16discard_iteratorINS9_11use_defaultEEESI_EEENS0_18inequality_wrapperINS9_8equal_toIsEEEEPmJSH_EEE10hipError_tPvRmT3_T4_T5_T6_T7_T9_mT8_P12ihipStream_tbDpT10_ENKUlT_T0_E_clISt17integral_constantIbLb1EES1D_EEDaS18_S19_EUlS18_E_NS1_11comp_targetILNS1_3genE4ELNS1_11target_archE910ELNS1_3gpuE8ELNS1_3repE0EEENS1_30default_config_static_selectorELNS0_4arch9wavefront6targetE0EEEvT1_ ; -- Begin function _ZN7rocprim17ROCPRIM_400000_NS6detail17trampoline_kernelINS0_14default_configENS1_25partition_config_selectorILNS1_17partition_subalgoE9EsjbEEZZNS1_14partition_implILS5_9ELb0ES3_jN6thrust23THRUST_200600_302600_NS6detail15normal_iteratorINS9_10device_ptrIsEEEENSB_INSC_IjEEEEPNS0_10empty_typeENS0_5tupleIJSE_SH_EEENSJ_IJNS9_16discard_iteratorINS9_11use_defaultEEESI_EEENS0_18inequality_wrapperINS9_8equal_toIsEEEEPmJSH_EEE10hipError_tPvRmT3_T4_T5_T6_T7_T9_mT8_P12ihipStream_tbDpT10_ENKUlT_T0_E_clISt17integral_constantIbLb1EES1D_EEDaS18_S19_EUlS18_E_NS1_11comp_targetILNS1_3genE4ELNS1_11target_archE910ELNS1_3gpuE8ELNS1_3repE0EEENS1_30default_config_static_selectorELNS0_4arch9wavefront6targetE0EEEvT1_
	.globl	_ZN7rocprim17ROCPRIM_400000_NS6detail17trampoline_kernelINS0_14default_configENS1_25partition_config_selectorILNS1_17partition_subalgoE9EsjbEEZZNS1_14partition_implILS5_9ELb0ES3_jN6thrust23THRUST_200600_302600_NS6detail15normal_iteratorINS9_10device_ptrIsEEEENSB_INSC_IjEEEEPNS0_10empty_typeENS0_5tupleIJSE_SH_EEENSJ_IJNS9_16discard_iteratorINS9_11use_defaultEEESI_EEENS0_18inequality_wrapperINS9_8equal_toIsEEEEPmJSH_EEE10hipError_tPvRmT3_T4_T5_T6_T7_T9_mT8_P12ihipStream_tbDpT10_ENKUlT_T0_E_clISt17integral_constantIbLb1EES1D_EEDaS18_S19_EUlS18_E_NS1_11comp_targetILNS1_3genE4ELNS1_11target_archE910ELNS1_3gpuE8ELNS1_3repE0EEENS1_30default_config_static_selectorELNS0_4arch9wavefront6targetE0EEEvT1_
	.p2align	8
	.type	_ZN7rocprim17ROCPRIM_400000_NS6detail17trampoline_kernelINS0_14default_configENS1_25partition_config_selectorILNS1_17partition_subalgoE9EsjbEEZZNS1_14partition_implILS5_9ELb0ES3_jN6thrust23THRUST_200600_302600_NS6detail15normal_iteratorINS9_10device_ptrIsEEEENSB_INSC_IjEEEEPNS0_10empty_typeENS0_5tupleIJSE_SH_EEENSJ_IJNS9_16discard_iteratorINS9_11use_defaultEEESI_EEENS0_18inequality_wrapperINS9_8equal_toIsEEEEPmJSH_EEE10hipError_tPvRmT3_T4_T5_T6_T7_T9_mT8_P12ihipStream_tbDpT10_ENKUlT_T0_E_clISt17integral_constantIbLb1EES1D_EEDaS18_S19_EUlS18_E_NS1_11comp_targetILNS1_3genE4ELNS1_11target_archE910ELNS1_3gpuE8ELNS1_3repE0EEENS1_30default_config_static_selectorELNS0_4arch9wavefront6targetE0EEEvT1_,@function
_ZN7rocprim17ROCPRIM_400000_NS6detail17trampoline_kernelINS0_14default_configENS1_25partition_config_selectorILNS1_17partition_subalgoE9EsjbEEZZNS1_14partition_implILS5_9ELb0ES3_jN6thrust23THRUST_200600_302600_NS6detail15normal_iteratorINS9_10device_ptrIsEEEENSB_INSC_IjEEEEPNS0_10empty_typeENS0_5tupleIJSE_SH_EEENSJ_IJNS9_16discard_iteratorINS9_11use_defaultEEESI_EEENS0_18inequality_wrapperINS9_8equal_toIsEEEEPmJSH_EEE10hipError_tPvRmT3_T4_T5_T6_T7_T9_mT8_P12ihipStream_tbDpT10_ENKUlT_T0_E_clISt17integral_constantIbLb1EES1D_EEDaS18_S19_EUlS18_E_NS1_11comp_targetILNS1_3genE4ELNS1_11target_archE910ELNS1_3gpuE8ELNS1_3repE0EEENS1_30default_config_static_selectorELNS0_4arch9wavefront6targetE0EEEvT1_: ; @_ZN7rocprim17ROCPRIM_400000_NS6detail17trampoline_kernelINS0_14default_configENS1_25partition_config_selectorILNS1_17partition_subalgoE9EsjbEEZZNS1_14partition_implILS5_9ELb0ES3_jN6thrust23THRUST_200600_302600_NS6detail15normal_iteratorINS9_10device_ptrIsEEEENSB_INSC_IjEEEEPNS0_10empty_typeENS0_5tupleIJSE_SH_EEENSJ_IJNS9_16discard_iteratorINS9_11use_defaultEEESI_EEENS0_18inequality_wrapperINS9_8equal_toIsEEEEPmJSH_EEE10hipError_tPvRmT3_T4_T5_T6_T7_T9_mT8_P12ihipStream_tbDpT10_ENKUlT_T0_E_clISt17integral_constantIbLb1EES1D_EEDaS18_S19_EUlS18_E_NS1_11comp_targetILNS1_3genE4ELNS1_11target_archE910ELNS1_3gpuE8ELNS1_3repE0EEENS1_30default_config_static_selectorELNS0_4arch9wavefront6targetE0EEEvT1_
; %bb.0:
	.section	.rodata,"a",@progbits
	.p2align	6, 0x0
	.amdhsa_kernel _ZN7rocprim17ROCPRIM_400000_NS6detail17trampoline_kernelINS0_14default_configENS1_25partition_config_selectorILNS1_17partition_subalgoE9EsjbEEZZNS1_14partition_implILS5_9ELb0ES3_jN6thrust23THRUST_200600_302600_NS6detail15normal_iteratorINS9_10device_ptrIsEEEENSB_INSC_IjEEEEPNS0_10empty_typeENS0_5tupleIJSE_SH_EEENSJ_IJNS9_16discard_iteratorINS9_11use_defaultEEESI_EEENS0_18inequality_wrapperINS9_8equal_toIsEEEEPmJSH_EEE10hipError_tPvRmT3_T4_T5_T6_T7_T9_mT8_P12ihipStream_tbDpT10_ENKUlT_T0_E_clISt17integral_constantIbLb1EES1D_EEDaS18_S19_EUlS18_E_NS1_11comp_targetILNS1_3genE4ELNS1_11target_archE910ELNS1_3gpuE8ELNS1_3repE0EEENS1_30default_config_static_selectorELNS0_4arch9wavefront6targetE0EEEvT1_
		.amdhsa_group_segment_fixed_size 0
		.amdhsa_private_segment_fixed_size 0
		.amdhsa_kernarg_size 136
		.amdhsa_user_sgpr_count 15
		.amdhsa_user_sgpr_dispatch_ptr 0
		.amdhsa_user_sgpr_queue_ptr 0
		.amdhsa_user_sgpr_kernarg_segment_ptr 1
		.amdhsa_user_sgpr_dispatch_id 0
		.amdhsa_user_sgpr_private_segment_size 0
		.amdhsa_wavefront_size32 1
		.amdhsa_uses_dynamic_stack 0
		.amdhsa_enable_private_segment 0
		.amdhsa_system_sgpr_workgroup_id_x 1
		.amdhsa_system_sgpr_workgroup_id_y 0
		.amdhsa_system_sgpr_workgroup_id_z 0
		.amdhsa_system_sgpr_workgroup_info 0
		.amdhsa_system_vgpr_workitem_id 0
		.amdhsa_next_free_vgpr 1
		.amdhsa_next_free_sgpr 1
		.amdhsa_reserve_vcc 0
		.amdhsa_float_round_mode_32 0
		.amdhsa_float_round_mode_16_64 0
		.amdhsa_float_denorm_mode_32 3
		.amdhsa_float_denorm_mode_16_64 3
		.amdhsa_dx10_clamp 1
		.amdhsa_ieee_mode 1
		.amdhsa_fp16_overflow 0
		.amdhsa_workgroup_processor_mode 1
		.amdhsa_memory_ordered 1
		.amdhsa_forward_progress 0
		.amdhsa_shared_vgpr_count 0
		.amdhsa_exception_fp_ieee_invalid_op 0
		.amdhsa_exception_fp_denorm_src 0
		.amdhsa_exception_fp_ieee_div_zero 0
		.amdhsa_exception_fp_ieee_overflow 0
		.amdhsa_exception_fp_ieee_underflow 0
		.amdhsa_exception_fp_ieee_inexact 0
		.amdhsa_exception_int_div_zero 0
	.end_amdhsa_kernel
	.section	.text._ZN7rocprim17ROCPRIM_400000_NS6detail17trampoline_kernelINS0_14default_configENS1_25partition_config_selectorILNS1_17partition_subalgoE9EsjbEEZZNS1_14partition_implILS5_9ELb0ES3_jN6thrust23THRUST_200600_302600_NS6detail15normal_iteratorINS9_10device_ptrIsEEEENSB_INSC_IjEEEEPNS0_10empty_typeENS0_5tupleIJSE_SH_EEENSJ_IJNS9_16discard_iteratorINS9_11use_defaultEEESI_EEENS0_18inequality_wrapperINS9_8equal_toIsEEEEPmJSH_EEE10hipError_tPvRmT3_T4_T5_T6_T7_T9_mT8_P12ihipStream_tbDpT10_ENKUlT_T0_E_clISt17integral_constantIbLb1EES1D_EEDaS18_S19_EUlS18_E_NS1_11comp_targetILNS1_3genE4ELNS1_11target_archE910ELNS1_3gpuE8ELNS1_3repE0EEENS1_30default_config_static_selectorELNS0_4arch9wavefront6targetE0EEEvT1_,"axG",@progbits,_ZN7rocprim17ROCPRIM_400000_NS6detail17trampoline_kernelINS0_14default_configENS1_25partition_config_selectorILNS1_17partition_subalgoE9EsjbEEZZNS1_14partition_implILS5_9ELb0ES3_jN6thrust23THRUST_200600_302600_NS6detail15normal_iteratorINS9_10device_ptrIsEEEENSB_INSC_IjEEEEPNS0_10empty_typeENS0_5tupleIJSE_SH_EEENSJ_IJNS9_16discard_iteratorINS9_11use_defaultEEESI_EEENS0_18inequality_wrapperINS9_8equal_toIsEEEEPmJSH_EEE10hipError_tPvRmT3_T4_T5_T6_T7_T9_mT8_P12ihipStream_tbDpT10_ENKUlT_T0_E_clISt17integral_constantIbLb1EES1D_EEDaS18_S19_EUlS18_E_NS1_11comp_targetILNS1_3genE4ELNS1_11target_archE910ELNS1_3gpuE8ELNS1_3repE0EEENS1_30default_config_static_selectorELNS0_4arch9wavefront6targetE0EEEvT1_,comdat
.Lfunc_end1215:
	.size	_ZN7rocprim17ROCPRIM_400000_NS6detail17trampoline_kernelINS0_14default_configENS1_25partition_config_selectorILNS1_17partition_subalgoE9EsjbEEZZNS1_14partition_implILS5_9ELb0ES3_jN6thrust23THRUST_200600_302600_NS6detail15normal_iteratorINS9_10device_ptrIsEEEENSB_INSC_IjEEEEPNS0_10empty_typeENS0_5tupleIJSE_SH_EEENSJ_IJNS9_16discard_iteratorINS9_11use_defaultEEESI_EEENS0_18inequality_wrapperINS9_8equal_toIsEEEEPmJSH_EEE10hipError_tPvRmT3_T4_T5_T6_T7_T9_mT8_P12ihipStream_tbDpT10_ENKUlT_T0_E_clISt17integral_constantIbLb1EES1D_EEDaS18_S19_EUlS18_E_NS1_11comp_targetILNS1_3genE4ELNS1_11target_archE910ELNS1_3gpuE8ELNS1_3repE0EEENS1_30default_config_static_selectorELNS0_4arch9wavefront6targetE0EEEvT1_, .Lfunc_end1215-_ZN7rocprim17ROCPRIM_400000_NS6detail17trampoline_kernelINS0_14default_configENS1_25partition_config_selectorILNS1_17partition_subalgoE9EsjbEEZZNS1_14partition_implILS5_9ELb0ES3_jN6thrust23THRUST_200600_302600_NS6detail15normal_iteratorINS9_10device_ptrIsEEEENSB_INSC_IjEEEEPNS0_10empty_typeENS0_5tupleIJSE_SH_EEENSJ_IJNS9_16discard_iteratorINS9_11use_defaultEEESI_EEENS0_18inequality_wrapperINS9_8equal_toIsEEEEPmJSH_EEE10hipError_tPvRmT3_T4_T5_T6_T7_T9_mT8_P12ihipStream_tbDpT10_ENKUlT_T0_E_clISt17integral_constantIbLb1EES1D_EEDaS18_S19_EUlS18_E_NS1_11comp_targetILNS1_3genE4ELNS1_11target_archE910ELNS1_3gpuE8ELNS1_3repE0EEENS1_30default_config_static_selectorELNS0_4arch9wavefront6targetE0EEEvT1_
                                        ; -- End function
	.section	.AMDGPU.csdata,"",@progbits
; Kernel info:
; codeLenInByte = 0
; NumSgprs: 0
; NumVgprs: 0
; ScratchSize: 0
; MemoryBound: 0
; FloatMode: 240
; IeeeMode: 1
; LDSByteSize: 0 bytes/workgroup (compile time only)
; SGPRBlocks: 0
; VGPRBlocks: 0
; NumSGPRsForWavesPerEU: 1
; NumVGPRsForWavesPerEU: 1
; Occupancy: 15
; WaveLimiterHint : 0
; COMPUTE_PGM_RSRC2:SCRATCH_EN: 0
; COMPUTE_PGM_RSRC2:USER_SGPR: 15
; COMPUTE_PGM_RSRC2:TRAP_HANDLER: 0
; COMPUTE_PGM_RSRC2:TGID_X_EN: 1
; COMPUTE_PGM_RSRC2:TGID_Y_EN: 0
; COMPUTE_PGM_RSRC2:TGID_Z_EN: 0
; COMPUTE_PGM_RSRC2:TIDIG_COMP_CNT: 0
	.section	.text._ZN7rocprim17ROCPRIM_400000_NS6detail17trampoline_kernelINS0_14default_configENS1_25partition_config_selectorILNS1_17partition_subalgoE9EsjbEEZZNS1_14partition_implILS5_9ELb0ES3_jN6thrust23THRUST_200600_302600_NS6detail15normal_iteratorINS9_10device_ptrIsEEEENSB_INSC_IjEEEEPNS0_10empty_typeENS0_5tupleIJSE_SH_EEENSJ_IJNS9_16discard_iteratorINS9_11use_defaultEEESI_EEENS0_18inequality_wrapperINS9_8equal_toIsEEEEPmJSH_EEE10hipError_tPvRmT3_T4_T5_T6_T7_T9_mT8_P12ihipStream_tbDpT10_ENKUlT_T0_E_clISt17integral_constantIbLb1EES1D_EEDaS18_S19_EUlS18_E_NS1_11comp_targetILNS1_3genE3ELNS1_11target_archE908ELNS1_3gpuE7ELNS1_3repE0EEENS1_30default_config_static_selectorELNS0_4arch9wavefront6targetE0EEEvT1_,"axG",@progbits,_ZN7rocprim17ROCPRIM_400000_NS6detail17trampoline_kernelINS0_14default_configENS1_25partition_config_selectorILNS1_17partition_subalgoE9EsjbEEZZNS1_14partition_implILS5_9ELb0ES3_jN6thrust23THRUST_200600_302600_NS6detail15normal_iteratorINS9_10device_ptrIsEEEENSB_INSC_IjEEEEPNS0_10empty_typeENS0_5tupleIJSE_SH_EEENSJ_IJNS9_16discard_iteratorINS9_11use_defaultEEESI_EEENS0_18inequality_wrapperINS9_8equal_toIsEEEEPmJSH_EEE10hipError_tPvRmT3_T4_T5_T6_T7_T9_mT8_P12ihipStream_tbDpT10_ENKUlT_T0_E_clISt17integral_constantIbLb1EES1D_EEDaS18_S19_EUlS18_E_NS1_11comp_targetILNS1_3genE3ELNS1_11target_archE908ELNS1_3gpuE7ELNS1_3repE0EEENS1_30default_config_static_selectorELNS0_4arch9wavefront6targetE0EEEvT1_,comdat
	.protected	_ZN7rocprim17ROCPRIM_400000_NS6detail17trampoline_kernelINS0_14default_configENS1_25partition_config_selectorILNS1_17partition_subalgoE9EsjbEEZZNS1_14partition_implILS5_9ELb0ES3_jN6thrust23THRUST_200600_302600_NS6detail15normal_iteratorINS9_10device_ptrIsEEEENSB_INSC_IjEEEEPNS0_10empty_typeENS0_5tupleIJSE_SH_EEENSJ_IJNS9_16discard_iteratorINS9_11use_defaultEEESI_EEENS0_18inequality_wrapperINS9_8equal_toIsEEEEPmJSH_EEE10hipError_tPvRmT3_T4_T5_T6_T7_T9_mT8_P12ihipStream_tbDpT10_ENKUlT_T0_E_clISt17integral_constantIbLb1EES1D_EEDaS18_S19_EUlS18_E_NS1_11comp_targetILNS1_3genE3ELNS1_11target_archE908ELNS1_3gpuE7ELNS1_3repE0EEENS1_30default_config_static_selectorELNS0_4arch9wavefront6targetE0EEEvT1_ ; -- Begin function _ZN7rocprim17ROCPRIM_400000_NS6detail17trampoline_kernelINS0_14default_configENS1_25partition_config_selectorILNS1_17partition_subalgoE9EsjbEEZZNS1_14partition_implILS5_9ELb0ES3_jN6thrust23THRUST_200600_302600_NS6detail15normal_iteratorINS9_10device_ptrIsEEEENSB_INSC_IjEEEEPNS0_10empty_typeENS0_5tupleIJSE_SH_EEENSJ_IJNS9_16discard_iteratorINS9_11use_defaultEEESI_EEENS0_18inequality_wrapperINS9_8equal_toIsEEEEPmJSH_EEE10hipError_tPvRmT3_T4_T5_T6_T7_T9_mT8_P12ihipStream_tbDpT10_ENKUlT_T0_E_clISt17integral_constantIbLb1EES1D_EEDaS18_S19_EUlS18_E_NS1_11comp_targetILNS1_3genE3ELNS1_11target_archE908ELNS1_3gpuE7ELNS1_3repE0EEENS1_30default_config_static_selectorELNS0_4arch9wavefront6targetE0EEEvT1_
	.globl	_ZN7rocprim17ROCPRIM_400000_NS6detail17trampoline_kernelINS0_14default_configENS1_25partition_config_selectorILNS1_17partition_subalgoE9EsjbEEZZNS1_14partition_implILS5_9ELb0ES3_jN6thrust23THRUST_200600_302600_NS6detail15normal_iteratorINS9_10device_ptrIsEEEENSB_INSC_IjEEEEPNS0_10empty_typeENS0_5tupleIJSE_SH_EEENSJ_IJNS9_16discard_iteratorINS9_11use_defaultEEESI_EEENS0_18inequality_wrapperINS9_8equal_toIsEEEEPmJSH_EEE10hipError_tPvRmT3_T4_T5_T6_T7_T9_mT8_P12ihipStream_tbDpT10_ENKUlT_T0_E_clISt17integral_constantIbLb1EES1D_EEDaS18_S19_EUlS18_E_NS1_11comp_targetILNS1_3genE3ELNS1_11target_archE908ELNS1_3gpuE7ELNS1_3repE0EEENS1_30default_config_static_selectorELNS0_4arch9wavefront6targetE0EEEvT1_
	.p2align	8
	.type	_ZN7rocprim17ROCPRIM_400000_NS6detail17trampoline_kernelINS0_14default_configENS1_25partition_config_selectorILNS1_17partition_subalgoE9EsjbEEZZNS1_14partition_implILS5_9ELb0ES3_jN6thrust23THRUST_200600_302600_NS6detail15normal_iteratorINS9_10device_ptrIsEEEENSB_INSC_IjEEEEPNS0_10empty_typeENS0_5tupleIJSE_SH_EEENSJ_IJNS9_16discard_iteratorINS9_11use_defaultEEESI_EEENS0_18inequality_wrapperINS9_8equal_toIsEEEEPmJSH_EEE10hipError_tPvRmT3_T4_T5_T6_T7_T9_mT8_P12ihipStream_tbDpT10_ENKUlT_T0_E_clISt17integral_constantIbLb1EES1D_EEDaS18_S19_EUlS18_E_NS1_11comp_targetILNS1_3genE3ELNS1_11target_archE908ELNS1_3gpuE7ELNS1_3repE0EEENS1_30default_config_static_selectorELNS0_4arch9wavefront6targetE0EEEvT1_,@function
_ZN7rocprim17ROCPRIM_400000_NS6detail17trampoline_kernelINS0_14default_configENS1_25partition_config_selectorILNS1_17partition_subalgoE9EsjbEEZZNS1_14partition_implILS5_9ELb0ES3_jN6thrust23THRUST_200600_302600_NS6detail15normal_iteratorINS9_10device_ptrIsEEEENSB_INSC_IjEEEEPNS0_10empty_typeENS0_5tupleIJSE_SH_EEENSJ_IJNS9_16discard_iteratorINS9_11use_defaultEEESI_EEENS0_18inequality_wrapperINS9_8equal_toIsEEEEPmJSH_EEE10hipError_tPvRmT3_T4_T5_T6_T7_T9_mT8_P12ihipStream_tbDpT10_ENKUlT_T0_E_clISt17integral_constantIbLb1EES1D_EEDaS18_S19_EUlS18_E_NS1_11comp_targetILNS1_3genE3ELNS1_11target_archE908ELNS1_3gpuE7ELNS1_3repE0EEENS1_30default_config_static_selectorELNS0_4arch9wavefront6targetE0EEEvT1_: ; @_ZN7rocprim17ROCPRIM_400000_NS6detail17trampoline_kernelINS0_14default_configENS1_25partition_config_selectorILNS1_17partition_subalgoE9EsjbEEZZNS1_14partition_implILS5_9ELb0ES3_jN6thrust23THRUST_200600_302600_NS6detail15normal_iteratorINS9_10device_ptrIsEEEENSB_INSC_IjEEEEPNS0_10empty_typeENS0_5tupleIJSE_SH_EEENSJ_IJNS9_16discard_iteratorINS9_11use_defaultEEESI_EEENS0_18inequality_wrapperINS9_8equal_toIsEEEEPmJSH_EEE10hipError_tPvRmT3_T4_T5_T6_T7_T9_mT8_P12ihipStream_tbDpT10_ENKUlT_T0_E_clISt17integral_constantIbLb1EES1D_EEDaS18_S19_EUlS18_E_NS1_11comp_targetILNS1_3genE3ELNS1_11target_archE908ELNS1_3gpuE7ELNS1_3repE0EEENS1_30default_config_static_selectorELNS0_4arch9wavefront6targetE0EEEvT1_
; %bb.0:
	.section	.rodata,"a",@progbits
	.p2align	6, 0x0
	.amdhsa_kernel _ZN7rocprim17ROCPRIM_400000_NS6detail17trampoline_kernelINS0_14default_configENS1_25partition_config_selectorILNS1_17partition_subalgoE9EsjbEEZZNS1_14partition_implILS5_9ELb0ES3_jN6thrust23THRUST_200600_302600_NS6detail15normal_iteratorINS9_10device_ptrIsEEEENSB_INSC_IjEEEEPNS0_10empty_typeENS0_5tupleIJSE_SH_EEENSJ_IJNS9_16discard_iteratorINS9_11use_defaultEEESI_EEENS0_18inequality_wrapperINS9_8equal_toIsEEEEPmJSH_EEE10hipError_tPvRmT3_T4_T5_T6_T7_T9_mT8_P12ihipStream_tbDpT10_ENKUlT_T0_E_clISt17integral_constantIbLb1EES1D_EEDaS18_S19_EUlS18_E_NS1_11comp_targetILNS1_3genE3ELNS1_11target_archE908ELNS1_3gpuE7ELNS1_3repE0EEENS1_30default_config_static_selectorELNS0_4arch9wavefront6targetE0EEEvT1_
		.amdhsa_group_segment_fixed_size 0
		.amdhsa_private_segment_fixed_size 0
		.amdhsa_kernarg_size 136
		.amdhsa_user_sgpr_count 15
		.amdhsa_user_sgpr_dispatch_ptr 0
		.amdhsa_user_sgpr_queue_ptr 0
		.amdhsa_user_sgpr_kernarg_segment_ptr 1
		.amdhsa_user_sgpr_dispatch_id 0
		.amdhsa_user_sgpr_private_segment_size 0
		.amdhsa_wavefront_size32 1
		.amdhsa_uses_dynamic_stack 0
		.amdhsa_enable_private_segment 0
		.amdhsa_system_sgpr_workgroup_id_x 1
		.amdhsa_system_sgpr_workgroup_id_y 0
		.amdhsa_system_sgpr_workgroup_id_z 0
		.amdhsa_system_sgpr_workgroup_info 0
		.amdhsa_system_vgpr_workitem_id 0
		.amdhsa_next_free_vgpr 1
		.amdhsa_next_free_sgpr 1
		.amdhsa_reserve_vcc 0
		.amdhsa_float_round_mode_32 0
		.amdhsa_float_round_mode_16_64 0
		.amdhsa_float_denorm_mode_32 3
		.amdhsa_float_denorm_mode_16_64 3
		.amdhsa_dx10_clamp 1
		.amdhsa_ieee_mode 1
		.amdhsa_fp16_overflow 0
		.amdhsa_workgroup_processor_mode 1
		.amdhsa_memory_ordered 1
		.amdhsa_forward_progress 0
		.amdhsa_shared_vgpr_count 0
		.amdhsa_exception_fp_ieee_invalid_op 0
		.amdhsa_exception_fp_denorm_src 0
		.amdhsa_exception_fp_ieee_div_zero 0
		.amdhsa_exception_fp_ieee_overflow 0
		.amdhsa_exception_fp_ieee_underflow 0
		.amdhsa_exception_fp_ieee_inexact 0
		.amdhsa_exception_int_div_zero 0
	.end_amdhsa_kernel
	.section	.text._ZN7rocprim17ROCPRIM_400000_NS6detail17trampoline_kernelINS0_14default_configENS1_25partition_config_selectorILNS1_17partition_subalgoE9EsjbEEZZNS1_14partition_implILS5_9ELb0ES3_jN6thrust23THRUST_200600_302600_NS6detail15normal_iteratorINS9_10device_ptrIsEEEENSB_INSC_IjEEEEPNS0_10empty_typeENS0_5tupleIJSE_SH_EEENSJ_IJNS9_16discard_iteratorINS9_11use_defaultEEESI_EEENS0_18inequality_wrapperINS9_8equal_toIsEEEEPmJSH_EEE10hipError_tPvRmT3_T4_T5_T6_T7_T9_mT8_P12ihipStream_tbDpT10_ENKUlT_T0_E_clISt17integral_constantIbLb1EES1D_EEDaS18_S19_EUlS18_E_NS1_11comp_targetILNS1_3genE3ELNS1_11target_archE908ELNS1_3gpuE7ELNS1_3repE0EEENS1_30default_config_static_selectorELNS0_4arch9wavefront6targetE0EEEvT1_,"axG",@progbits,_ZN7rocprim17ROCPRIM_400000_NS6detail17trampoline_kernelINS0_14default_configENS1_25partition_config_selectorILNS1_17partition_subalgoE9EsjbEEZZNS1_14partition_implILS5_9ELb0ES3_jN6thrust23THRUST_200600_302600_NS6detail15normal_iteratorINS9_10device_ptrIsEEEENSB_INSC_IjEEEEPNS0_10empty_typeENS0_5tupleIJSE_SH_EEENSJ_IJNS9_16discard_iteratorINS9_11use_defaultEEESI_EEENS0_18inequality_wrapperINS9_8equal_toIsEEEEPmJSH_EEE10hipError_tPvRmT3_T4_T5_T6_T7_T9_mT8_P12ihipStream_tbDpT10_ENKUlT_T0_E_clISt17integral_constantIbLb1EES1D_EEDaS18_S19_EUlS18_E_NS1_11comp_targetILNS1_3genE3ELNS1_11target_archE908ELNS1_3gpuE7ELNS1_3repE0EEENS1_30default_config_static_selectorELNS0_4arch9wavefront6targetE0EEEvT1_,comdat
.Lfunc_end1216:
	.size	_ZN7rocprim17ROCPRIM_400000_NS6detail17trampoline_kernelINS0_14default_configENS1_25partition_config_selectorILNS1_17partition_subalgoE9EsjbEEZZNS1_14partition_implILS5_9ELb0ES3_jN6thrust23THRUST_200600_302600_NS6detail15normal_iteratorINS9_10device_ptrIsEEEENSB_INSC_IjEEEEPNS0_10empty_typeENS0_5tupleIJSE_SH_EEENSJ_IJNS9_16discard_iteratorINS9_11use_defaultEEESI_EEENS0_18inequality_wrapperINS9_8equal_toIsEEEEPmJSH_EEE10hipError_tPvRmT3_T4_T5_T6_T7_T9_mT8_P12ihipStream_tbDpT10_ENKUlT_T0_E_clISt17integral_constantIbLb1EES1D_EEDaS18_S19_EUlS18_E_NS1_11comp_targetILNS1_3genE3ELNS1_11target_archE908ELNS1_3gpuE7ELNS1_3repE0EEENS1_30default_config_static_selectorELNS0_4arch9wavefront6targetE0EEEvT1_, .Lfunc_end1216-_ZN7rocprim17ROCPRIM_400000_NS6detail17trampoline_kernelINS0_14default_configENS1_25partition_config_selectorILNS1_17partition_subalgoE9EsjbEEZZNS1_14partition_implILS5_9ELb0ES3_jN6thrust23THRUST_200600_302600_NS6detail15normal_iteratorINS9_10device_ptrIsEEEENSB_INSC_IjEEEEPNS0_10empty_typeENS0_5tupleIJSE_SH_EEENSJ_IJNS9_16discard_iteratorINS9_11use_defaultEEESI_EEENS0_18inequality_wrapperINS9_8equal_toIsEEEEPmJSH_EEE10hipError_tPvRmT3_T4_T5_T6_T7_T9_mT8_P12ihipStream_tbDpT10_ENKUlT_T0_E_clISt17integral_constantIbLb1EES1D_EEDaS18_S19_EUlS18_E_NS1_11comp_targetILNS1_3genE3ELNS1_11target_archE908ELNS1_3gpuE7ELNS1_3repE0EEENS1_30default_config_static_selectorELNS0_4arch9wavefront6targetE0EEEvT1_
                                        ; -- End function
	.section	.AMDGPU.csdata,"",@progbits
; Kernel info:
; codeLenInByte = 0
; NumSgprs: 0
; NumVgprs: 0
; ScratchSize: 0
; MemoryBound: 0
; FloatMode: 240
; IeeeMode: 1
; LDSByteSize: 0 bytes/workgroup (compile time only)
; SGPRBlocks: 0
; VGPRBlocks: 0
; NumSGPRsForWavesPerEU: 1
; NumVGPRsForWavesPerEU: 1
; Occupancy: 16
; WaveLimiterHint : 0
; COMPUTE_PGM_RSRC2:SCRATCH_EN: 0
; COMPUTE_PGM_RSRC2:USER_SGPR: 15
; COMPUTE_PGM_RSRC2:TRAP_HANDLER: 0
; COMPUTE_PGM_RSRC2:TGID_X_EN: 1
; COMPUTE_PGM_RSRC2:TGID_Y_EN: 0
; COMPUTE_PGM_RSRC2:TGID_Z_EN: 0
; COMPUTE_PGM_RSRC2:TIDIG_COMP_CNT: 0
	.section	.text._ZN7rocprim17ROCPRIM_400000_NS6detail17trampoline_kernelINS0_14default_configENS1_25partition_config_selectorILNS1_17partition_subalgoE9EsjbEEZZNS1_14partition_implILS5_9ELb0ES3_jN6thrust23THRUST_200600_302600_NS6detail15normal_iteratorINS9_10device_ptrIsEEEENSB_INSC_IjEEEEPNS0_10empty_typeENS0_5tupleIJSE_SH_EEENSJ_IJNS9_16discard_iteratorINS9_11use_defaultEEESI_EEENS0_18inequality_wrapperINS9_8equal_toIsEEEEPmJSH_EEE10hipError_tPvRmT3_T4_T5_T6_T7_T9_mT8_P12ihipStream_tbDpT10_ENKUlT_T0_E_clISt17integral_constantIbLb1EES1D_EEDaS18_S19_EUlS18_E_NS1_11comp_targetILNS1_3genE2ELNS1_11target_archE906ELNS1_3gpuE6ELNS1_3repE0EEENS1_30default_config_static_selectorELNS0_4arch9wavefront6targetE0EEEvT1_,"axG",@progbits,_ZN7rocprim17ROCPRIM_400000_NS6detail17trampoline_kernelINS0_14default_configENS1_25partition_config_selectorILNS1_17partition_subalgoE9EsjbEEZZNS1_14partition_implILS5_9ELb0ES3_jN6thrust23THRUST_200600_302600_NS6detail15normal_iteratorINS9_10device_ptrIsEEEENSB_INSC_IjEEEEPNS0_10empty_typeENS0_5tupleIJSE_SH_EEENSJ_IJNS9_16discard_iteratorINS9_11use_defaultEEESI_EEENS0_18inequality_wrapperINS9_8equal_toIsEEEEPmJSH_EEE10hipError_tPvRmT3_T4_T5_T6_T7_T9_mT8_P12ihipStream_tbDpT10_ENKUlT_T0_E_clISt17integral_constantIbLb1EES1D_EEDaS18_S19_EUlS18_E_NS1_11comp_targetILNS1_3genE2ELNS1_11target_archE906ELNS1_3gpuE6ELNS1_3repE0EEENS1_30default_config_static_selectorELNS0_4arch9wavefront6targetE0EEEvT1_,comdat
	.protected	_ZN7rocprim17ROCPRIM_400000_NS6detail17trampoline_kernelINS0_14default_configENS1_25partition_config_selectorILNS1_17partition_subalgoE9EsjbEEZZNS1_14partition_implILS5_9ELb0ES3_jN6thrust23THRUST_200600_302600_NS6detail15normal_iteratorINS9_10device_ptrIsEEEENSB_INSC_IjEEEEPNS0_10empty_typeENS0_5tupleIJSE_SH_EEENSJ_IJNS9_16discard_iteratorINS9_11use_defaultEEESI_EEENS0_18inequality_wrapperINS9_8equal_toIsEEEEPmJSH_EEE10hipError_tPvRmT3_T4_T5_T6_T7_T9_mT8_P12ihipStream_tbDpT10_ENKUlT_T0_E_clISt17integral_constantIbLb1EES1D_EEDaS18_S19_EUlS18_E_NS1_11comp_targetILNS1_3genE2ELNS1_11target_archE906ELNS1_3gpuE6ELNS1_3repE0EEENS1_30default_config_static_selectorELNS0_4arch9wavefront6targetE0EEEvT1_ ; -- Begin function _ZN7rocprim17ROCPRIM_400000_NS6detail17trampoline_kernelINS0_14default_configENS1_25partition_config_selectorILNS1_17partition_subalgoE9EsjbEEZZNS1_14partition_implILS5_9ELb0ES3_jN6thrust23THRUST_200600_302600_NS6detail15normal_iteratorINS9_10device_ptrIsEEEENSB_INSC_IjEEEEPNS0_10empty_typeENS0_5tupleIJSE_SH_EEENSJ_IJNS9_16discard_iteratorINS9_11use_defaultEEESI_EEENS0_18inequality_wrapperINS9_8equal_toIsEEEEPmJSH_EEE10hipError_tPvRmT3_T4_T5_T6_T7_T9_mT8_P12ihipStream_tbDpT10_ENKUlT_T0_E_clISt17integral_constantIbLb1EES1D_EEDaS18_S19_EUlS18_E_NS1_11comp_targetILNS1_3genE2ELNS1_11target_archE906ELNS1_3gpuE6ELNS1_3repE0EEENS1_30default_config_static_selectorELNS0_4arch9wavefront6targetE0EEEvT1_
	.globl	_ZN7rocprim17ROCPRIM_400000_NS6detail17trampoline_kernelINS0_14default_configENS1_25partition_config_selectorILNS1_17partition_subalgoE9EsjbEEZZNS1_14partition_implILS5_9ELb0ES3_jN6thrust23THRUST_200600_302600_NS6detail15normal_iteratorINS9_10device_ptrIsEEEENSB_INSC_IjEEEEPNS0_10empty_typeENS0_5tupleIJSE_SH_EEENSJ_IJNS9_16discard_iteratorINS9_11use_defaultEEESI_EEENS0_18inequality_wrapperINS9_8equal_toIsEEEEPmJSH_EEE10hipError_tPvRmT3_T4_T5_T6_T7_T9_mT8_P12ihipStream_tbDpT10_ENKUlT_T0_E_clISt17integral_constantIbLb1EES1D_EEDaS18_S19_EUlS18_E_NS1_11comp_targetILNS1_3genE2ELNS1_11target_archE906ELNS1_3gpuE6ELNS1_3repE0EEENS1_30default_config_static_selectorELNS0_4arch9wavefront6targetE0EEEvT1_
	.p2align	8
	.type	_ZN7rocprim17ROCPRIM_400000_NS6detail17trampoline_kernelINS0_14default_configENS1_25partition_config_selectorILNS1_17partition_subalgoE9EsjbEEZZNS1_14partition_implILS5_9ELb0ES3_jN6thrust23THRUST_200600_302600_NS6detail15normal_iteratorINS9_10device_ptrIsEEEENSB_INSC_IjEEEEPNS0_10empty_typeENS0_5tupleIJSE_SH_EEENSJ_IJNS9_16discard_iteratorINS9_11use_defaultEEESI_EEENS0_18inequality_wrapperINS9_8equal_toIsEEEEPmJSH_EEE10hipError_tPvRmT3_T4_T5_T6_T7_T9_mT8_P12ihipStream_tbDpT10_ENKUlT_T0_E_clISt17integral_constantIbLb1EES1D_EEDaS18_S19_EUlS18_E_NS1_11comp_targetILNS1_3genE2ELNS1_11target_archE906ELNS1_3gpuE6ELNS1_3repE0EEENS1_30default_config_static_selectorELNS0_4arch9wavefront6targetE0EEEvT1_,@function
_ZN7rocprim17ROCPRIM_400000_NS6detail17trampoline_kernelINS0_14default_configENS1_25partition_config_selectorILNS1_17partition_subalgoE9EsjbEEZZNS1_14partition_implILS5_9ELb0ES3_jN6thrust23THRUST_200600_302600_NS6detail15normal_iteratorINS9_10device_ptrIsEEEENSB_INSC_IjEEEEPNS0_10empty_typeENS0_5tupleIJSE_SH_EEENSJ_IJNS9_16discard_iteratorINS9_11use_defaultEEESI_EEENS0_18inequality_wrapperINS9_8equal_toIsEEEEPmJSH_EEE10hipError_tPvRmT3_T4_T5_T6_T7_T9_mT8_P12ihipStream_tbDpT10_ENKUlT_T0_E_clISt17integral_constantIbLb1EES1D_EEDaS18_S19_EUlS18_E_NS1_11comp_targetILNS1_3genE2ELNS1_11target_archE906ELNS1_3gpuE6ELNS1_3repE0EEENS1_30default_config_static_selectorELNS0_4arch9wavefront6targetE0EEEvT1_: ; @_ZN7rocprim17ROCPRIM_400000_NS6detail17trampoline_kernelINS0_14default_configENS1_25partition_config_selectorILNS1_17partition_subalgoE9EsjbEEZZNS1_14partition_implILS5_9ELb0ES3_jN6thrust23THRUST_200600_302600_NS6detail15normal_iteratorINS9_10device_ptrIsEEEENSB_INSC_IjEEEEPNS0_10empty_typeENS0_5tupleIJSE_SH_EEENSJ_IJNS9_16discard_iteratorINS9_11use_defaultEEESI_EEENS0_18inequality_wrapperINS9_8equal_toIsEEEEPmJSH_EEE10hipError_tPvRmT3_T4_T5_T6_T7_T9_mT8_P12ihipStream_tbDpT10_ENKUlT_T0_E_clISt17integral_constantIbLb1EES1D_EEDaS18_S19_EUlS18_E_NS1_11comp_targetILNS1_3genE2ELNS1_11target_archE906ELNS1_3gpuE6ELNS1_3repE0EEENS1_30default_config_static_selectorELNS0_4arch9wavefront6targetE0EEEvT1_
; %bb.0:
	.section	.rodata,"a",@progbits
	.p2align	6, 0x0
	.amdhsa_kernel _ZN7rocprim17ROCPRIM_400000_NS6detail17trampoline_kernelINS0_14default_configENS1_25partition_config_selectorILNS1_17partition_subalgoE9EsjbEEZZNS1_14partition_implILS5_9ELb0ES3_jN6thrust23THRUST_200600_302600_NS6detail15normal_iteratorINS9_10device_ptrIsEEEENSB_INSC_IjEEEEPNS0_10empty_typeENS0_5tupleIJSE_SH_EEENSJ_IJNS9_16discard_iteratorINS9_11use_defaultEEESI_EEENS0_18inequality_wrapperINS9_8equal_toIsEEEEPmJSH_EEE10hipError_tPvRmT3_T4_T5_T6_T7_T9_mT8_P12ihipStream_tbDpT10_ENKUlT_T0_E_clISt17integral_constantIbLb1EES1D_EEDaS18_S19_EUlS18_E_NS1_11comp_targetILNS1_3genE2ELNS1_11target_archE906ELNS1_3gpuE6ELNS1_3repE0EEENS1_30default_config_static_selectorELNS0_4arch9wavefront6targetE0EEEvT1_
		.amdhsa_group_segment_fixed_size 0
		.amdhsa_private_segment_fixed_size 0
		.amdhsa_kernarg_size 136
		.amdhsa_user_sgpr_count 15
		.amdhsa_user_sgpr_dispatch_ptr 0
		.amdhsa_user_sgpr_queue_ptr 0
		.amdhsa_user_sgpr_kernarg_segment_ptr 1
		.amdhsa_user_sgpr_dispatch_id 0
		.amdhsa_user_sgpr_private_segment_size 0
		.amdhsa_wavefront_size32 1
		.amdhsa_uses_dynamic_stack 0
		.amdhsa_enable_private_segment 0
		.amdhsa_system_sgpr_workgroup_id_x 1
		.amdhsa_system_sgpr_workgroup_id_y 0
		.amdhsa_system_sgpr_workgroup_id_z 0
		.amdhsa_system_sgpr_workgroup_info 0
		.amdhsa_system_vgpr_workitem_id 0
		.amdhsa_next_free_vgpr 1
		.amdhsa_next_free_sgpr 1
		.amdhsa_reserve_vcc 0
		.amdhsa_float_round_mode_32 0
		.amdhsa_float_round_mode_16_64 0
		.amdhsa_float_denorm_mode_32 3
		.amdhsa_float_denorm_mode_16_64 3
		.amdhsa_dx10_clamp 1
		.amdhsa_ieee_mode 1
		.amdhsa_fp16_overflow 0
		.amdhsa_workgroup_processor_mode 1
		.amdhsa_memory_ordered 1
		.amdhsa_forward_progress 0
		.amdhsa_shared_vgpr_count 0
		.amdhsa_exception_fp_ieee_invalid_op 0
		.amdhsa_exception_fp_denorm_src 0
		.amdhsa_exception_fp_ieee_div_zero 0
		.amdhsa_exception_fp_ieee_overflow 0
		.amdhsa_exception_fp_ieee_underflow 0
		.amdhsa_exception_fp_ieee_inexact 0
		.amdhsa_exception_int_div_zero 0
	.end_amdhsa_kernel
	.section	.text._ZN7rocprim17ROCPRIM_400000_NS6detail17trampoline_kernelINS0_14default_configENS1_25partition_config_selectorILNS1_17partition_subalgoE9EsjbEEZZNS1_14partition_implILS5_9ELb0ES3_jN6thrust23THRUST_200600_302600_NS6detail15normal_iteratorINS9_10device_ptrIsEEEENSB_INSC_IjEEEEPNS0_10empty_typeENS0_5tupleIJSE_SH_EEENSJ_IJNS9_16discard_iteratorINS9_11use_defaultEEESI_EEENS0_18inequality_wrapperINS9_8equal_toIsEEEEPmJSH_EEE10hipError_tPvRmT3_T4_T5_T6_T7_T9_mT8_P12ihipStream_tbDpT10_ENKUlT_T0_E_clISt17integral_constantIbLb1EES1D_EEDaS18_S19_EUlS18_E_NS1_11comp_targetILNS1_3genE2ELNS1_11target_archE906ELNS1_3gpuE6ELNS1_3repE0EEENS1_30default_config_static_selectorELNS0_4arch9wavefront6targetE0EEEvT1_,"axG",@progbits,_ZN7rocprim17ROCPRIM_400000_NS6detail17trampoline_kernelINS0_14default_configENS1_25partition_config_selectorILNS1_17partition_subalgoE9EsjbEEZZNS1_14partition_implILS5_9ELb0ES3_jN6thrust23THRUST_200600_302600_NS6detail15normal_iteratorINS9_10device_ptrIsEEEENSB_INSC_IjEEEEPNS0_10empty_typeENS0_5tupleIJSE_SH_EEENSJ_IJNS9_16discard_iteratorINS9_11use_defaultEEESI_EEENS0_18inequality_wrapperINS9_8equal_toIsEEEEPmJSH_EEE10hipError_tPvRmT3_T4_T5_T6_T7_T9_mT8_P12ihipStream_tbDpT10_ENKUlT_T0_E_clISt17integral_constantIbLb1EES1D_EEDaS18_S19_EUlS18_E_NS1_11comp_targetILNS1_3genE2ELNS1_11target_archE906ELNS1_3gpuE6ELNS1_3repE0EEENS1_30default_config_static_selectorELNS0_4arch9wavefront6targetE0EEEvT1_,comdat
.Lfunc_end1217:
	.size	_ZN7rocprim17ROCPRIM_400000_NS6detail17trampoline_kernelINS0_14default_configENS1_25partition_config_selectorILNS1_17partition_subalgoE9EsjbEEZZNS1_14partition_implILS5_9ELb0ES3_jN6thrust23THRUST_200600_302600_NS6detail15normal_iteratorINS9_10device_ptrIsEEEENSB_INSC_IjEEEEPNS0_10empty_typeENS0_5tupleIJSE_SH_EEENSJ_IJNS9_16discard_iteratorINS9_11use_defaultEEESI_EEENS0_18inequality_wrapperINS9_8equal_toIsEEEEPmJSH_EEE10hipError_tPvRmT3_T4_T5_T6_T7_T9_mT8_P12ihipStream_tbDpT10_ENKUlT_T0_E_clISt17integral_constantIbLb1EES1D_EEDaS18_S19_EUlS18_E_NS1_11comp_targetILNS1_3genE2ELNS1_11target_archE906ELNS1_3gpuE6ELNS1_3repE0EEENS1_30default_config_static_selectorELNS0_4arch9wavefront6targetE0EEEvT1_, .Lfunc_end1217-_ZN7rocprim17ROCPRIM_400000_NS6detail17trampoline_kernelINS0_14default_configENS1_25partition_config_selectorILNS1_17partition_subalgoE9EsjbEEZZNS1_14partition_implILS5_9ELb0ES3_jN6thrust23THRUST_200600_302600_NS6detail15normal_iteratorINS9_10device_ptrIsEEEENSB_INSC_IjEEEEPNS0_10empty_typeENS0_5tupleIJSE_SH_EEENSJ_IJNS9_16discard_iteratorINS9_11use_defaultEEESI_EEENS0_18inequality_wrapperINS9_8equal_toIsEEEEPmJSH_EEE10hipError_tPvRmT3_T4_T5_T6_T7_T9_mT8_P12ihipStream_tbDpT10_ENKUlT_T0_E_clISt17integral_constantIbLb1EES1D_EEDaS18_S19_EUlS18_E_NS1_11comp_targetILNS1_3genE2ELNS1_11target_archE906ELNS1_3gpuE6ELNS1_3repE0EEENS1_30default_config_static_selectorELNS0_4arch9wavefront6targetE0EEEvT1_
                                        ; -- End function
	.section	.AMDGPU.csdata,"",@progbits
; Kernel info:
; codeLenInByte = 0
; NumSgprs: 0
; NumVgprs: 0
; ScratchSize: 0
; MemoryBound: 0
; FloatMode: 240
; IeeeMode: 1
; LDSByteSize: 0 bytes/workgroup (compile time only)
; SGPRBlocks: 0
; VGPRBlocks: 0
; NumSGPRsForWavesPerEU: 1
; NumVGPRsForWavesPerEU: 1
; Occupancy: 16
; WaveLimiterHint : 0
; COMPUTE_PGM_RSRC2:SCRATCH_EN: 0
; COMPUTE_PGM_RSRC2:USER_SGPR: 15
; COMPUTE_PGM_RSRC2:TRAP_HANDLER: 0
; COMPUTE_PGM_RSRC2:TGID_X_EN: 1
; COMPUTE_PGM_RSRC2:TGID_Y_EN: 0
; COMPUTE_PGM_RSRC2:TGID_Z_EN: 0
; COMPUTE_PGM_RSRC2:TIDIG_COMP_CNT: 0
	.section	.text._ZN7rocprim17ROCPRIM_400000_NS6detail17trampoline_kernelINS0_14default_configENS1_25partition_config_selectorILNS1_17partition_subalgoE9EsjbEEZZNS1_14partition_implILS5_9ELb0ES3_jN6thrust23THRUST_200600_302600_NS6detail15normal_iteratorINS9_10device_ptrIsEEEENSB_INSC_IjEEEEPNS0_10empty_typeENS0_5tupleIJSE_SH_EEENSJ_IJNS9_16discard_iteratorINS9_11use_defaultEEESI_EEENS0_18inequality_wrapperINS9_8equal_toIsEEEEPmJSH_EEE10hipError_tPvRmT3_T4_T5_T6_T7_T9_mT8_P12ihipStream_tbDpT10_ENKUlT_T0_E_clISt17integral_constantIbLb1EES1D_EEDaS18_S19_EUlS18_E_NS1_11comp_targetILNS1_3genE10ELNS1_11target_archE1200ELNS1_3gpuE4ELNS1_3repE0EEENS1_30default_config_static_selectorELNS0_4arch9wavefront6targetE0EEEvT1_,"axG",@progbits,_ZN7rocprim17ROCPRIM_400000_NS6detail17trampoline_kernelINS0_14default_configENS1_25partition_config_selectorILNS1_17partition_subalgoE9EsjbEEZZNS1_14partition_implILS5_9ELb0ES3_jN6thrust23THRUST_200600_302600_NS6detail15normal_iteratorINS9_10device_ptrIsEEEENSB_INSC_IjEEEEPNS0_10empty_typeENS0_5tupleIJSE_SH_EEENSJ_IJNS9_16discard_iteratorINS9_11use_defaultEEESI_EEENS0_18inequality_wrapperINS9_8equal_toIsEEEEPmJSH_EEE10hipError_tPvRmT3_T4_T5_T6_T7_T9_mT8_P12ihipStream_tbDpT10_ENKUlT_T0_E_clISt17integral_constantIbLb1EES1D_EEDaS18_S19_EUlS18_E_NS1_11comp_targetILNS1_3genE10ELNS1_11target_archE1200ELNS1_3gpuE4ELNS1_3repE0EEENS1_30default_config_static_selectorELNS0_4arch9wavefront6targetE0EEEvT1_,comdat
	.protected	_ZN7rocprim17ROCPRIM_400000_NS6detail17trampoline_kernelINS0_14default_configENS1_25partition_config_selectorILNS1_17partition_subalgoE9EsjbEEZZNS1_14partition_implILS5_9ELb0ES3_jN6thrust23THRUST_200600_302600_NS6detail15normal_iteratorINS9_10device_ptrIsEEEENSB_INSC_IjEEEEPNS0_10empty_typeENS0_5tupleIJSE_SH_EEENSJ_IJNS9_16discard_iteratorINS9_11use_defaultEEESI_EEENS0_18inequality_wrapperINS9_8equal_toIsEEEEPmJSH_EEE10hipError_tPvRmT3_T4_T5_T6_T7_T9_mT8_P12ihipStream_tbDpT10_ENKUlT_T0_E_clISt17integral_constantIbLb1EES1D_EEDaS18_S19_EUlS18_E_NS1_11comp_targetILNS1_3genE10ELNS1_11target_archE1200ELNS1_3gpuE4ELNS1_3repE0EEENS1_30default_config_static_selectorELNS0_4arch9wavefront6targetE0EEEvT1_ ; -- Begin function _ZN7rocprim17ROCPRIM_400000_NS6detail17trampoline_kernelINS0_14default_configENS1_25partition_config_selectorILNS1_17partition_subalgoE9EsjbEEZZNS1_14partition_implILS5_9ELb0ES3_jN6thrust23THRUST_200600_302600_NS6detail15normal_iteratorINS9_10device_ptrIsEEEENSB_INSC_IjEEEEPNS0_10empty_typeENS0_5tupleIJSE_SH_EEENSJ_IJNS9_16discard_iteratorINS9_11use_defaultEEESI_EEENS0_18inequality_wrapperINS9_8equal_toIsEEEEPmJSH_EEE10hipError_tPvRmT3_T4_T5_T6_T7_T9_mT8_P12ihipStream_tbDpT10_ENKUlT_T0_E_clISt17integral_constantIbLb1EES1D_EEDaS18_S19_EUlS18_E_NS1_11comp_targetILNS1_3genE10ELNS1_11target_archE1200ELNS1_3gpuE4ELNS1_3repE0EEENS1_30default_config_static_selectorELNS0_4arch9wavefront6targetE0EEEvT1_
	.globl	_ZN7rocprim17ROCPRIM_400000_NS6detail17trampoline_kernelINS0_14default_configENS1_25partition_config_selectorILNS1_17partition_subalgoE9EsjbEEZZNS1_14partition_implILS5_9ELb0ES3_jN6thrust23THRUST_200600_302600_NS6detail15normal_iteratorINS9_10device_ptrIsEEEENSB_INSC_IjEEEEPNS0_10empty_typeENS0_5tupleIJSE_SH_EEENSJ_IJNS9_16discard_iteratorINS9_11use_defaultEEESI_EEENS0_18inequality_wrapperINS9_8equal_toIsEEEEPmJSH_EEE10hipError_tPvRmT3_T4_T5_T6_T7_T9_mT8_P12ihipStream_tbDpT10_ENKUlT_T0_E_clISt17integral_constantIbLb1EES1D_EEDaS18_S19_EUlS18_E_NS1_11comp_targetILNS1_3genE10ELNS1_11target_archE1200ELNS1_3gpuE4ELNS1_3repE0EEENS1_30default_config_static_selectorELNS0_4arch9wavefront6targetE0EEEvT1_
	.p2align	8
	.type	_ZN7rocprim17ROCPRIM_400000_NS6detail17trampoline_kernelINS0_14default_configENS1_25partition_config_selectorILNS1_17partition_subalgoE9EsjbEEZZNS1_14partition_implILS5_9ELb0ES3_jN6thrust23THRUST_200600_302600_NS6detail15normal_iteratorINS9_10device_ptrIsEEEENSB_INSC_IjEEEEPNS0_10empty_typeENS0_5tupleIJSE_SH_EEENSJ_IJNS9_16discard_iteratorINS9_11use_defaultEEESI_EEENS0_18inequality_wrapperINS9_8equal_toIsEEEEPmJSH_EEE10hipError_tPvRmT3_T4_T5_T6_T7_T9_mT8_P12ihipStream_tbDpT10_ENKUlT_T0_E_clISt17integral_constantIbLb1EES1D_EEDaS18_S19_EUlS18_E_NS1_11comp_targetILNS1_3genE10ELNS1_11target_archE1200ELNS1_3gpuE4ELNS1_3repE0EEENS1_30default_config_static_selectorELNS0_4arch9wavefront6targetE0EEEvT1_,@function
_ZN7rocprim17ROCPRIM_400000_NS6detail17trampoline_kernelINS0_14default_configENS1_25partition_config_selectorILNS1_17partition_subalgoE9EsjbEEZZNS1_14partition_implILS5_9ELb0ES3_jN6thrust23THRUST_200600_302600_NS6detail15normal_iteratorINS9_10device_ptrIsEEEENSB_INSC_IjEEEEPNS0_10empty_typeENS0_5tupleIJSE_SH_EEENSJ_IJNS9_16discard_iteratorINS9_11use_defaultEEESI_EEENS0_18inequality_wrapperINS9_8equal_toIsEEEEPmJSH_EEE10hipError_tPvRmT3_T4_T5_T6_T7_T9_mT8_P12ihipStream_tbDpT10_ENKUlT_T0_E_clISt17integral_constantIbLb1EES1D_EEDaS18_S19_EUlS18_E_NS1_11comp_targetILNS1_3genE10ELNS1_11target_archE1200ELNS1_3gpuE4ELNS1_3repE0EEENS1_30default_config_static_selectorELNS0_4arch9wavefront6targetE0EEEvT1_: ; @_ZN7rocprim17ROCPRIM_400000_NS6detail17trampoline_kernelINS0_14default_configENS1_25partition_config_selectorILNS1_17partition_subalgoE9EsjbEEZZNS1_14partition_implILS5_9ELb0ES3_jN6thrust23THRUST_200600_302600_NS6detail15normal_iteratorINS9_10device_ptrIsEEEENSB_INSC_IjEEEEPNS0_10empty_typeENS0_5tupleIJSE_SH_EEENSJ_IJNS9_16discard_iteratorINS9_11use_defaultEEESI_EEENS0_18inequality_wrapperINS9_8equal_toIsEEEEPmJSH_EEE10hipError_tPvRmT3_T4_T5_T6_T7_T9_mT8_P12ihipStream_tbDpT10_ENKUlT_T0_E_clISt17integral_constantIbLb1EES1D_EEDaS18_S19_EUlS18_E_NS1_11comp_targetILNS1_3genE10ELNS1_11target_archE1200ELNS1_3gpuE4ELNS1_3repE0EEENS1_30default_config_static_selectorELNS0_4arch9wavefront6targetE0EEEvT1_
; %bb.0:
	.section	.rodata,"a",@progbits
	.p2align	6, 0x0
	.amdhsa_kernel _ZN7rocprim17ROCPRIM_400000_NS6detail17trampoline_kernelINS0_14default_configENS1_25partition_config_selectorILNS1_17partition_subalgoE9EsjbEEZZNS1_14partition_implILS5_9ELb0ES3_jN6thrust23THRUST_200600_302600_NS6detail15normal_iteratorINS9_10device_ptrIsEEEENSB_INSC_IjEEEEPNS0_10empty_typeENS0_5tupleIJSE_SH_EEENSJ_IJNS9_16discard_iteratorINS9_11use_defaultEEESI_EEENS0_18inequality_wrapperINS9_8equal_toIsEEEEPmJSH_EEE10hipError_tPvRmT3_T4_T5_T6_T7_T9_mT8_P12ihipStream_tbDpT10_ENKUlT_T0_E_clISt17integral_constantIbLb1EES1D_EEDaS18_S19_EUlS18_E_NS1_11comp_targetILNS1_3genE10ELNS1_11target_archE1200ELNS1_3gpuE4ELNS1_3repE0EEENS1_30default_config_static_selectorELNS0_4arch9wavefront6targetE0EEEvT1_
		.amdhsa_group_segment_fixed_size 0
		.amdhsa_private_segment_fixed_size 0
		.amdhsa_kernarg_size 136
		.amdhsa_user_sgpr_count 15
		.amdhsa_user_sgpr_dispatch_ptr 0
		.amdhsa_user_sgpr_queue_ptr 0
		.amdhsa_user_sgpr_kernarg_segment_ptr 1
		.amdhsa_user_sgpr_dispatch_id 0
		.amdhsa_user_sgpr_private_segment_size 0
		.amdhsa_wavefront_size32 1
		.amdhsa_uses_dynamic_stack 0
		.amdhsa_enable_private_segment 0
		.amdhsa_system_sgpr_workgroup_id_x 1
		.amdhsa_system_sgpr_workgroup_id_y 0
		.amdhsa_system_sgpr_workgroup_id_z 0
		.amdhsa_system_sgpr_workgroup_info 0
		.amdhsa_system_vgpr_workitem_id 0
		.amdhsa_next_free_vgpr 1
		.amdhsa_next_free_sgpr 1
		.amdhsa_reserve_vcc 0
		.amdhsa_float_round_mode_32 0
		.amdhsa_float_round_mode_16_64 0
		.amdhsa_float_denorm_mode_32 3
		.amdhsa_float_denorm_mode_16_64 3
		.amdhsa_dx10_clamp 1
		.amdhsa_ieee_mode 1
		.amdhsa_fp16_overflow 0
		.amdhsa_workgroup_processor_mode 1
		.amdhsa_memory_ordered 1
		.amdhsa_forward_progress 0
		.amdhsa_shared_vgpr_count 0
		.amdhsa_exception_fp_ieee_invalid_op 0
		.amdhsa_exception_fp_denorm_src 0
		.amdhsa_exception_fp_ieee_div_zero 0
		.amdhsa_exception_fp_ieee_overflow 0
		.amdhsa_exception_fp_ieee_underflow 0
		.amdhsa_exception_fp_ieee_inexact 0
		.amdhsa_exception_int_div_zero 0
	.end_amdhsa_kernel
	.section	.text._ZN7rocprim17ROCPRIM_400000_NS6detail17trampoline_kernelINS0_14default_configENS1_25partition_config_selectorILNS1_17partition_subalgoE9EsjbEEZZNS1_14partition_implILS5_9ELb0ES3_jN6thrust23THRUST_200600_302600_NS6detail15normal_iteratorINS9_10device_ptrIsEEEENSB_INSC_IjEEEEPNS0_10empty_typeENS0_5tupleIJSE_SH_EEENSJ_IJNS9_16discard_iteratorINS9_11use_defaultEEESI_EEENS0_18inequality_wrapperINS9_8equal_toIsEEEEPmJSH_EEE10hipError_tPvRmT3_T4_T5_T6_T7_T9_mT8_P12ihipStream_tbDpT10_ENKUlT_T0_E_clISt17integral_constantIbLb1EES1D_EEDaS18_S19_EUlS18_E_NS1_11comp_targetILNS1_3genE10ELNS1_11target_archE1200ELNS1_3gpuE4ELNS1_3repE0EEENS1_30default_config_static_selectorELNS0_4arch9wavefront6targetE0EEEvT1_,"axG",@progbits,_ZN7rocprim17ROCPRIM_400000_NS6detail17trampoline_kernelINS0_14default_configENS1_25partition_config_selectorILNS1_17partition_subalgoE9EsjbEEZZNS1_14partition_implILS5_9ELb0ES3_jN6thrust23THRUST_200600_302600_NS6detail15normal_iteratorINS9_10device_ptrIsEEEENSB_INSC_IjEEEEPNS0_10empty_typeENS0_5tupleIJSE_SH_EEENSJ_IJNS9_16discard_iteratorINS9_11use_defaultEEESI_EEENS0_18inequality_wrapperINS9_8equal_toIsEEEEPmJSH_EEE10hipError_tPvRmT3_T4_T5_T6_T7_T9_mT8_P12ihipStream_tbDpT10_ENKUlT_T0_E_clISt17integral_constantIbLb1EES1D_EEDaS18_S19_EUlS18_E_NS1_11comp_targetILNS1_3genE10ELNS1_11target_archE1200ELNS1_3gpuE4ELNS1_3repE0EEENS1_30default_config_static_selectorELNS0_4arch9wavefront6targetE0EEEvT1_,comdat
.Lfunc_end1218:
	.size	_ZN7rocprim17ROCPRIM_400000_NS6detail17trampoline_kernelINS0_14default_configENS1_25partition_config_selectorILNS1_17partition_subalgoE9EsjbEEZZNS1_14partition_implILS5_9ELb0ES3_jN6thrust23THRUST_200600_302600_NS6detail15normal_iteratorINS9_10device_ptrIsEEEENSB_INSC_IjEEEEPNS0_10empty_typeENS0_5tupleIJSE_SH_EEENSJ_IJNS9_16discard_iteratorINS9_11use_defaultEEESI_EEENS0_18inequality_wrapperINS9_8equal_toIsEEEEPmJSH_EEE10hipError_tPvRmT3_T4_T5_T6_T7_T9_mT8_P12ihipStream_tbDpT10_ENKUlT_T0_E_clISt17integral_constantIbLb1EES1D_EEDaS18_S19_EUlS18_E_NS1_11comp_targetILNS1_3genE10ELNS1_11target_archE1200ELNS1_3gpuE4ELNS1_3repE0EEENS1_30default_config_static_selectorELNS0_4arch9wavefront6targetE0EEEvT1_, .Lfunc_end1218-_ZN7rocprim17ROCPRIM_400000_NS6detail17trampoline_kernelINS0_14default_configENS1_25partition_config_selectorILNS1_17partition_subalgoE9EsjbEEZZNS1_14partition_implILS5_9ELb0ES3_jN6thrust23THRUST_200600_302600_NS6detail15normal_iteratorINS9_10device_ptrIsEEEENSB_INSC_IjEEEEPNS0_10empty_typeENS0_5tupleIJSE_SH_EEENSJ_IJNS9_16discard_iteratorINS9_11use_defaultEEESI_EEENS0_18inequality_wrapperINS9_8equal_toIsEEEEPmJSH_EEE10hipError_tPvRmT3_T4_T5_T6_T7_T9_mT8_P12ihipStream_tbDpT10_ENKUlT_T0_E_clISt17integral_constantIbLb1EES1D_EEDaS18_S19_EUlS18_E_NS1_11comp_targetILNS1_3genE10ELNS1_11target_archE1200ELNS1_3gpuE4ELNS1_3repE0EEENS1_30default_config_static_selectorELNS0_4arch9wavefront6targetE0EEEvT1_
                                        ; -- End function
	.section	.AMDGPU.csdata,"",@progbits
; Kernel info:
; codeLenInByte = 0
; NumSgprs: 0
; NumVgprs: 0
; ScratchSize: 0
; MemoryBound: 0
; FloatMode: 240
; IeeeMode: 1
; LDSByteSize: 0 bytes/workgroup (compile time only)
; SGPRBlocks: 0
; VGPRBlocks: 0
; NumSGPRsForWavesPerEU: 1
; NumVGPRsForWavesPerEU: 1
; Occupancy: 16
; WaveLimiterHint : 0
; COMPUTE_PGM_RSRC2:SCRATCH_EN: 0
; COMPUTE_PGM_RSRC2:USER_SGPR: 15
; COMPUTE_PGM_RSRC2:TRAP_HANDLER: 0
; COMPUTE_PGM_RSRC2:TGID_X_EN: 1
; COMPUTE_PGM_RSRC2:TGID_Y_EN: 0
; COMPUTE_PGM_RSRC2:TGID_Z_EN: 0
; COMPUTE_PGM_RSRC2:TIDIG_COMP_CNT: 0
	.section	.text._ZN7rocprim17ROCPRIM_400000_NS6detail17trampoline_kernelINS0_14default_configENS1_25partition_config_selectorILNS1_17partition_subalgoE9EsjbEEZZNS1_14partition_implILS5_9ELb0ES3_jN6thrust23THRUST_200600_302600_NS6detail15normal_iteratorINS9_10device_ptrIsEEEENSB_INSC_IjEEEEPNS0_10empty_typeENS0_5tupleIJSE_SH_EEENSJ_IJNS9_16discard_iteratorINS9_11use_defaultEEESI_EEENS0_18inequality_wrapperINS9_8equal_toIsEEEEPmJSH_EEE10hipError_tPvRmT3_T4_T5_T6_T7_T9_mT8_P12ihipStream_tbDpT10_ENKUlT_T0_E_clISt17integral_constantIbLb1EES1D_EEDaS18_S19_EUlS18_E_NS1_11comp_targetILNS1_3genE9ELNS1_11target_archE1100ELNS1_3gpuE3ELNS1_3repE0EEENS1_30default_config_static_selectorELNS0_4arch9wavefront6targetE0EEEvT1_,"axG",@progbits,_ZN7rocprim17ROCPRIM_400000_NS6detail17trampoline_kernelINS0_14default_configENS1_25partition_config_selectorILNS1_17partition_subalgoE9EsjbEEZZNS1_14partition_implILS5_9ELb0ES3_jN6thrust23THRUST_200600_302600_NS6detail15normal_iteratorINS9_10device_ptrIsEEEENSB_INSC_IjEEEEPNS0_10empty_typeENS0_5tupleIJSE_SH_EEENSJ_IJNS9_16discard_iteratorINS9_11use_defaultEEESI_EEENS0_18inequality_wrapperINS9_8equal_toIsEEEEPmJSH_EEE10hipError_tPvRmT3_T4_T5_T6_T7_T9_mT8_P12ihipStream_tbDpT10_ENKUlT_T0_E_clISt17integral_constantIbLb1EES1D_EEDaS18_S19_EUlS18_E_NS1_11comp_targetILNS1_3genE9ELNS1_11target_archE1100ELNS1_3gpuE3ELNS1_3repE0EEENS1_30default_config_static_selectorELNS0_4arch9wavefront6targetE0EEEvT1_,comdat
	.protected	_ZN7rocprim17ROCPRIM_400000_NS6detail17trampoline_kernelINS0_14default_configENS1_25partition_config_selectorILNS1_17partition_subalgoE9EsjbEEZZNS1_14partition_implILS5_9ELb0ES3_jN6thrust23THRUST_200600_302600_NS6detail15normal_iteratorINS9_10device_ptrIsEEEENSB_INSC_IjEEEEPNS0_10empty_typeENS0_5tupleIJSE_SH_EEENSJ_IJNS9_16discard_iteratorINS9_11use_defaultEEESI_EEENS0_18inequality_wrapperINS9_8equal_toIsEEEEPmJSH_EEE10hipError_tPvRmT3_T4_T5_T6_T7_T9_mT8_P12ihipStream_tbDpT10_ENKUlT_T0_E_clISt17integral_constantIbLb1EES1D_EEDaS18_S19_EUlS18_E_NS1_11comp_targetILNS1_3genE9ELNS1_11target_archE1100ELNS1_3gpuE3ELNS1_3repE0EEENS1_30default_config_static_selectorELNS0_4arch9wavefront6targetE0EEEvT1_ ; -- Begin function _ZN7rocprim17ROCPRIM_400000_NS6detail17trampoline_kernelINS0_14default_configENS1_25partition_config_selectorILNS1_17partition_subalgoE9EsjbEEZZNS1_14partition_implILS5_9ELb0ES3_jN6thrust23THRUST_200600_302600_NS6detail15normal_iteratorINS9_10device_ptrIsEEEENSB_INSC_IjEEEEPNS0_10empty_typeENS0_5tupleIJSE_SH_EEENSJ_IJNS9_16discard_iteratorINS9_11use_defaultEEESI_EEENS0_18inequality_wrapperINS9_8equal_toIsEEEEPmJSH_EEE10hipError_tPvRmT3_T4_T5_T6_T7_T9_mT8_P12ihipStream_tbDpT10_ENKUlT_T0_E_clISt17integral_constantIbLb1EES1D_EEDaS18_S19_EUlS18_E_NS1_11comp_targetILNS1_3genE9ELNS1_11target_archE1100ELNS1_3gpuE3ELNS1_3repE0EEENS1_30default_config_static_selectorELNS0_4arch9wavefront6targetE0EEEvT1_
	.globl	_ZN7rocprim17ROCPRIM_400000_NS6detail17trampoline_kernelINS0_14default_configENS1_25partition_config_selectorILNS1_17partition_subalgoE9EsjbEEZZNS1_14partition_implILS5_9ELb0ES3_jN6thrust23THRUST_200600_302600_NS6detail15normal_iteratorINS9_10device_ptrIsEEEENSB_INSC_IjEEEEPNS0_10empty_typeENS0_5tupleIJSE_SH_EEENSJ_IJNS9_16discard_iteratorINS9_11use_defaultEEESI_EEENS0_18inequality_wrapperINS9_8equal_toIsEEEEPmJSH_EEE10hipError_tPvRmT3_T4_T5_T6_T7_T9_mT8_P12ihipStream_tbDpT10_ENKUlT_T0_E_clISt17integral_constantIbLb1EES1D_EEDaS18_S19_EUlS18_E_NS1_11comp_targetILNS1_3genE9ELNS1_11target_archE1100ELNS1_3gpuE3ELNS1_3repE0EEENS1_30default_config_static_selectorELNS0_4arch9wavefront6targetE0EEEvT1_
	.p2align	8
	.type	_ZN7rocprim17ROCPRIM_400000_NS6detail17trampoline_kernelINS0_14default_configENS1_25partition_config_selectorILNS1_17partition_subalgoE9EsjbEEZZNS1_14partition_implILS5_9ELb0ES3_jN6thrust23THRUST_200600_302600_NS6detail15normal_iteratorINS9_10device_ptrIsEEEENSB_INSC_IjEEEEPNS0_10empty_typeENS0_5tupleIJSE_SH_EEENSJ_IJNS9_16discard_iteratorINS9_11use_defaultEEESI_EEENS0_18inequality_wrapperINS9_8equal_toIsEEEEPmJSH_EEE10hipError_tPvRmT3_T4_T5_T6_T7_T9_mT8_P12ihipStream_tbDpT10_ENKUlT_T0_E_clISt17integral_constantIbLb1EES1D_EEDaS18_S19_EUlS18_E_NS1_11comp_targetILNS1_3genE9ELNS1_11target_archE1100ELNS1_3gpuE3ELNS1_3repE0EEENS1_30default_config_static_selectorELNS0_4arch9wavefront6targetE0EEEvT1_,@function
_ZN7rocprim17ROCPRIM_400000_NS6detail17trampoline_kernelINS0_14default_configENS1_25partition_config_selectorILNS1_17partition_subalgoE9EsjbEEZZNS1_14partition_implILS5_9ELb0ES3_jN6thrust23THRUST_200600_302600_NS6detail15normal_iteratorINS9_10device_ptrIsEEEENSB_INSC_IjEEEEPNS0_10empty_typeENS0_5tupleIJSE_SH_EEENSJ_IJNS9_16discard_iteratorINS9_11use_defaultEEESI_EEENS0_18inequality_wrapperINS9_8equal_toIsEEEEPmJSH_EEE10hipError_tPvRmT3_T4_T5_T6_T7_T9_mT8_P12ihipStream_tbDpT10_ENKUlT_T0_E_clISt17integral_constantIbLb1EES1D_EEDaS18_S19_EUlS18_E_NS1_11comp_targetILNS1_3genE9ELNS1_11target_archE1100ELNS1_3gpuE3ELNS1_3repE0EEENS1_30default_config_static_selectorELNS0_4arch9wavefront6targetE0EEEvT1_: ; @_ZN7rocprim17ROCPRIM_400000_NS6detail17trampoline_kernelINS0_14default_configENS1_25partition_config_selectorILNS1_17partition_subalgoE9EsjbEEZZNS1_14partition_implILS5_9ELb0ES3_jN6thrust23THRUST_200600_302600_NS6detail15normal_iteratorINS9_10device_ptrIsEEEENSB_INSC_IjEEEEPNS0_10empty_typeENS0_5tupleIJSE_SH_EEENSJ_IJNS9_16discard_iteratorINS9_11use_defaultEEESI_EEENS0_18inequality_wrapperINS9_8equal_toIsEEEEPmJSH_EEE10hipError_tPvRmT3_T4_T5_T6_T7_T9_mT8_P12ihipStream_tbDpT10_ENKUlT_T0_E_clISt17integral_constantIbLb1EES1D_EEDaS18_S19_EUlS18_E_NS1_11comp_targetILNS1_3genE9ELNS1_11target_archE1100ELNS1_3gpuE3ELNS1_3repE0EEENS1_30default_config_static_selectorELNS0_4arch9wavefront6targetE0EEEvT1_
; %bb.0:
	s_clause 0x5
	s_load_b128 s[4:7], s[0:1], 0x8
	s_load_b64 s[8:9], s[0:1], 0x18
	s_load_b64 s[16:17], s[0:1], 0x28
	s_load_b128 s[12:15], s[0:1], 0x48
	s_load_b64 s[10:11], s[0:1], 0x58
	s_load_b64 s[18:19], s[0:1], 0x68
	v_cmp_ne_u32_e64 s3, 0, v0
	v_cmp_eq_u32_e64 s2, 0, v0
	s_delay_alu instid0(VALU_DEP_1)
	s_and_saveexec_b32 s20, s2
	s_cbranch_execz .LBB1219_4
; %bb.1:
	s_mov_b32 s22, exec_lo
	s_mov_b32 s21, exec_lo
	v_mbcnt_lo_u32_b32 v1, s22, 0
                                        ; implicit-def: $vgpr2
	s_delay_alu instid0(VALU_DEP_1)
	v_cmpx_eq_u32_e32 0, v1
	s_cbranch_execz .LBB1219_3
; %bb.2:
	s_load_b64 s[24:25], s[0:1], 0x78
	s_bcnt1_i32_b32 s22, s22
	s_delay_alu instid0(SALU_CYCLE_1)
	v_dual_mov_b32 v2, 0 :: v_dual_mov_b32 v3, s22
	s_waitcnt lgkmcnt(0)
	global_atomic_add_u32 v2, v2, v3, s[24:25] glc
.LBB1219_3:
	s_or_b32 exec_lo, exec_lo, s21
	s_waitcnt vmcnt(0)
	v_readfirstlane_b32 s21, v2
	s_delay_alu instid0(VALU_DEP_1)
	v_dual_mov_b32 v2, 0 :: v_dual_add_nc_u32 v1, s21, v1
	ds_store_b32 v2, v1
.LBB1219_4:
	s_or_b32 exec_lo, exec_lo, s20
	v_mov_b32_e32 v1, 0
	s_waitcnt lgkmcnt(0)
	s_barrier
	buffer_gl0_inv
	s_load_b32 s0, s[0:1], 0x70
	ds_load_b32 v2, v1
	s_waitcnt lgkmcnt(0)
	s_barrier
	buffer_gl0_inv
	global_load_b64 v[20:21], v1, s[14:15]
	s_lshl_b64 s[14:15], s[6:7], 1
	s_delay_alu instid0(SALU_CYCLE_1)
	s_add_u32 s23, s4, s14
	s_addc_u32 s24, s5, s15
	s_mov_b32 s5, 0
	s_mul_i32 s1, s0, 0x580
	v_readfirstlane_b32 s20, v2
	s_add_i32 s4, s1, s6
	s_delay_alu instid0(SALU_CYCLE_1)
	s_sub_i32 s21, s10, s4
	s_add_i32 s4, s0, -1
	s_addk_i32 s21, 0x580
	s_add_u32 s0, s6, s1
	s_addc_u32 s1, s7, 0
	s_cmp_eq_u32 s20, s4
	v_cmp_ge_u64_e64 s0, s[0:1], s[10:11]
	s_cselect_b32 s14, -1, 0
	s_mul_i32 s4, s20, 0x580
	s_mov_b32 s11, -1
	s_delay_alu instid0(VALU_DEP_1)
	s_and_b32 s22, s0, s14
	s_lshl_b64 s[0:1], s[4:5], 1
	s_xor_b32 s15, s22, -1
	s_add_u32 s10, s23, s0
	s_addc_u32 s1, s24, s1
	s_and_b32 vcc_lo, exec_lo, s15
	s_cbranch_vccz .LBB1219_6
; %bb.5:
	v_lshlrev_b32_e32 v3, 1, v0
	s_mov_b32 s11, s5
	s_delay_alu instid0(VALU_DEP_1) | instskip(NEXT) | instid1(VALU_DEP_1)
	v_add_co_u32 v1, s0, s10, v3
	v_add_co_ci_u32_e64 v2, null, s1, 0, s0
	s_clause 0xa
	flat_load_u16 v4, v[1:2]
	flat_load_u16 v5, v[1:2] offset:256
	flat_load_u16 v6, v[1:2] offset:512
	;; [unrolled: 1-line block ×10, first 2 shown]
	s_waitcnt vmcnt(10) lgkmcnt(10)
	ds_store_b16 v3, v4
	s_waitcnt vmcnt(9) lgkmcnt(10)
	ds_store_b16 v3, v5 offset:256
	s_waitcnt vmcnt(8) lgkmcnt(10)
	ds_store_b16 v3, v6 offset:512
	;; [unrolled: 2-line block ×10, first 2 shown]
	s_waitcnt lgkmcnt(0)
	s_barrier
.LBB1219_6:
	v_cmp_gt_u32_e64 s0, s21, v0
	s_and_not1_b32 vcc_lo, exec_lo, s11
	s_cbranch_vccnz .LBB1219_30
; %bb.7:
                                        ; implicit-def: $vgpr1_vgpr2_vgpr3_vgpr4_vgpr5_vgpr6_vgpr7_vgpr8
	s_delay_alu instid0(VALU_DEP_1)
	s_and_saveexec_b32 s11, s0
	s_cbranch_execz .LBB1219_9
; %bb.8:
	v_lshlrev_b32_e32 v1, 1, v0
	s_delay_alu instid0(VALU_DEP_1) | instskip(NEXT) | instid1(VALU_DEP_1)
	v_add_co_u32 v1, s0, s10, v1
	v_add_co_ci_u32_e64 v2, null, s1, 0, s0
	flat_load_d16_b16 v1, v[1:2]
.LBB1219_9:
	s_or_b32 exec_lo, exec_lo, s11
	v_or_b32_e32 v7, 0x80, v0
	s_mov_b32 s0, exec_lo
	s_delay_alu instid0(VALU_DEP_1)
	v_cmpx_gt_u32_e64 s21, v7
	s_cbranch_execz .LBB1219_11
; %bb.10:
	v_lshlrev_b32_e32 v7, 1, v0
	s_delay_alu instid0(VALU_DEP_1) | instskip(NEXT) | instid1(VALU_DEP_1)
	v_add_co_u32 v7, s11, s10, v7
	v_add_co_ci_u32_e64 v8, null, s1, 0, s11
	s_waitcnt vmcnt(0) lgkmcnt(0)
	flat_load_d16_hi_b16 v1, v[7:8] offset:256
.LBB1219_11:
	s_or_b32 exec_lo, exec_lo, s0
	v_or_b32_e32 v7, 0x100, v0
	s_mov_b32 s0, exec_lo
	s_delay_alu instid0(VALU_DEP_1)
	v_cmpx_gt_u32_e64 s21, v7
	s_cbranch_execz .LBB1219_13
; %bb.12:
	v_lshlrev_b32_e32 v7, 1, v0
	s_delay_alu instid0(VALU_DEP_1) | instskip(NEXT) | instid1(VALU_DEP_1)
	v_add_co_u32 v7, s11, s10, v7
	v_add_co_ci_u32_e64 v8, null, s1, 0, s11
	flat_load_d16_b16 v2, v[7:8] offset:512
.LBB1219_13:
	s_or_b32 exec_lo, exec_lo, s0
	v_or_b32_e32 v7, 0x180, v0
	s_mov_b32 s0, exec_lo
	s_delay_alu instid0(VALU_DEP_1)
	v_cmpx_gt_u32_e64 s21, v7
	s_cbranch_execz .LBB1219_15
; %bb.14:
	v_lshlrev_b32_e32 v7, 1, v0
	s_delay_alu instid0(VALU_DEP_1) | instskip(NEXT) | instid1(VALU_DEP_1)
	v_add_co_u32 v7, s11, s10, v7
	v_add_co_ci_u32_e64 v8, null, s1, 0, s11
	s_waitcnt vmcnt(0) lgkmcnt(0)
	flat_load_d16_hi_b16 v2, v[7:8] offset:768
.LBB1219_15:
	s_or_b32 exec_lo, exec_lo, s0
	v_or_b32_e32 v7, 0x200, v0
	s_mov_b32 s0, exec_lo
	s_delay_alu instid0(VALU_DEP_1)
	v_cmpx_gt_u32_e64 s21, v7
	s_cbranch_execz .LBB1219_17
; %bb.16:
	v_lshlrev_b32_e32 v7, 1, v0
	s_delay_alu instid0(VALU_DEP_1) | instskip(NEXT) | instid1(VALU_DEP_1)
	v_add_co_u32 v7, s11, s10, v7
	v_add_co_ci_u32_e64 v8, null, s1, 0, s11
	flat_load_d16_b16 v3, v[7:8] offset:1024
.LBB1219_17:
	;; [unrolled: 27-line block ×5, first 2 shown]
	s_or_b32 exec_lo, exec_lo, s0
	v_lshlrev_b32_e32 v7, 1, v0
	s_waitcnt vmcnt(0) lgkmcnt(0)
	ds_store_b16 v7, v1
	ds_store_b16_d16_hi v7, v1 offset:256
	ds_store_b16 v7, v2 offset:512
	ds_store_b16_d16_hi v7, v2 offset:768
	ds_store_b16 v7, v3 offset:1024
	;; [unrolled: 2-line block ×5, first 2 shown]
	s_waitcnt lgkmcnt(0)
	s_barrier
.LBB1219_30:
	v_mul_u32_u24_e32 v1, 11, v0
	s_waitcnt vmcnt(0)
	buffer_gl0_inv
	s_lshl_b64 s[24:25], s[6:7], 2
	s_delay_alu instid0(SALU_CYCLE_1)
	s_add_u32 s0, s8, s24
	v_lshlrev_b32_e32 v2, 1, v1
	s_addc_u32 s8, s9, s25
	s_lshl_b64 s[4:5], s[4:5], 2
	ds_load_b128 v[13:16], v2
	ds_load_u16 v40, v2 offset:16
	ds_load_u16 v39, v2 offset:18
	;; [unrolled: 1-line block ×3, first 2 shown]
	s_add_u32 s0, s0, s4
	s_addc_u32 s4, s8, s5
	s_and_b32 vcc_lo, exec_lo, s15
	s_mov_b32 s5, -1
	s_waitcnt lgkmcnt(0)
	s_barrier
	buffer_gl0_inv
	s_cbranch_vccz .LBB1219_32
; %bb.31:
	v_lshlrev_b32_e32 v7, 2, v0
	s_delay_alu instid0(VALU_DEP_1) | instskip(NEXT) | instid1(VALU_DEP_1)
	v_add_co_u32 v3, s5, s0, v7
	v_add_co_ci_u32_e64 v4, null, s4, 0, s5
	s_mov_b32 s5, 0
	s_delay_alu instid0(VALU_DEP_2) | instskip(NEXT) | instid1(VALU_DEP_2)
	v_add_co_u32 v5, vcc_lo, 0x1000, v3
	v_add_co_ci_u32_e32 v6, vcc_lo, 0, v4, vcc_lo
	s_clause 0xa
	flat_load_b32 v8, v[3:4]
	flat_load_b32 v9, v[3:4] offset:512
	flat_load_b32 v10, v[3:4] offset:1024
	;; [unrolled: 1-line block ×7, first 2 shown]
	flat_load_b32 v4, v[5:6]
	flat_load_b32 v19, v[5:6] offset:512
	flat_load_b32 v5, v[5:6] offset:1024
	s_waitcnt vmcnt(9) lgkmcnt(9)
	ds_store_2addr_stride64_b32 v7, v8, v9 offset1:2
	s_waitcnt vmcnt(7) lgkmcnt(8)
	ds_store_2addr_stride64_b32 v7, v10, v11 offset0:4 offset1:6
	s_waitcnt vmcnt(5) lgkmcnt(7)
	ds_store_2addr_stride64_b32 v7, v12, v17 offset0:8 offset1:10
	;; [unrolled: 2-line block ×4, first 2 shown]
	s_waitcnt vmcnt(0) lgkmcnt(5)
	ds_store_b32 v7, v5 offset:5120
	s_waitcnt lgkmcnt(0)
	s_barrier
.LBB1219_32:
	s_and_not1_b32 vcc_lo, exec_lo, s5
	s_cbranch_vccnz .LBB1219_56
; %bb.33:
	s_mov_b32 s5, exec_lo
                                        ; implicit-def: $vgpr3
	v_cmpx_gt_u32_e64 s21, v0
	s_cbranch_execz .LBB1219_35
; %bb.34:
	v_lshlrev_b32_e32 v3, 2, v0
	s_delay_alu instid0(VALU_DEP_1) | instskip(NEXT) | instid1(VALU_DEP_1)
	v_add_co_u32 v3, s8, s0, v3
	v_add_co_ci_u32_e64 v4, null, s4, 0, s8
	flat_load_b32 v3, v[3:4]
.LBB1219_35:
	s_or_b32 exec_lo, exec_lo, s5
	v_or_b32_e32 v4, 0x80, v0
	s_delay_alu instid0(VALU_DEP_1)
	v_cmp_gt_u32_e32 vcc_lo, s21, v4
                                        ; implicit-def: $vgpr4
	s_and_saveexec_b32 s5, vcc_lo
	s_cbranch_execz .LBB1219_37
; %bb.36:
	v_lshlrev_b32_e32 v4, 2, v0
	s_delay_alu instid0(VALU_DEP_1) | instskip(NEXT) | instid1(VALU_DEP_1)
	v_add_co_u32 v4, s8, s0, v4
	v_add_co_ci_u32_e64 v5, null, s4, 0, s8
	flat_load_b32 v4, v[4:5] offset:512
.LBB1219_37:
	s_or_b32 exec_lo, exec_lo, s5
	v_or_b32_e32 v5, 0x100, v0
	s_delay_alu instid0(VALU_DEP_1)
	v_cmp_gt_u32_e32 vcc_lo, s21, v5
                                        ; implicit-def: $vgpr5
	s_and_saveexec_b32 s5, vcc_lo
	s_cbranch_execz .LBB1219_39
; %bb.38:
	v_lshlrev_b32_e32 v5, 2, v0
	s_delay_alu instid0(VALU_DEP_1) | instskip(NEXT) | instid1(VALU_DEP_1)
	v_add_co_u32 v5, s8, s0, v5
	v_add_co_ci_u32_e64 v6, null, s4, 0, s8
	flat_load_b32 v5, v[5:6] offset:1024
.LBB1219_39:
	s_or_b32 exec_lo, exec_lo, s5
	v_or_b32_e32 v6, 0x180, v0
	s_delay_alu instid0(VALU_DEP_1)
	v_cmp_gt_u32_e32 vcc_lo, s21, v6
                                        ; implicit-def: $vgpr6
	s_and_saveexec_b32 s5, vcc_lo
	s_cbranch_execz .LBB1219_41
; %bb.40:
	v_lshlrev_b32_e32 v6, 2, v0
	s_delay_alu instid0(VALU_DEP_1) | instskip(NEXT) | instid1(VALU_DEP_1)
	v_add_co_u32 v6, s8, s0, v6
	v_add_co_ci_u32_e64 v7, null, s4, 0, s8
	flat_load_b32 v6, v[6:7] offset:1536
.LBB1219_41:
	s_or_b32 exec_lo, exec_lo, s5
	v_or_b32_e32 v7, 0x200, v0
	s_delay_alu instid0(VALU_DEP_1)
	v_cmp_gt_u32_e32 vcc_lo, s21, v7
                                        ; implicit-def: $vgpr7
	s_and_saveexec_b32 s5, vcc_lo
	s_cbranch_execz .LBB1219_43
; %bb.42:
	v_lshlrev_b32_e32 v7, 2, v0
	s_delay_alu instid0(VALU_DEP_1) | instskip(NEXT) | instid1(VALU_DEP_1)
	v_add_co_u32 v7, s8, s0, v7
	v_add_co_ci_u32_e64 v8, null, s4, 0, s8
	flat_load_b32 v7, v[7:8] offset:2048
.LBB1219_43:
	s_or_b32 exec_lo, exec_lo, s5
	v_or_b32_e32 v8, 0x280, v0
	s_delay_alu instid0(VALU_DEP_1)
	v_cmp_gt_u32_e32 vcc_lo, s21, v8
                                        ; implicit-def: $vgpr8
	s_and_saveexec_b32 s5, vcc_lo
	s_cbranch_execz .LBB1219_45
; %bb.44:
	v_lshlrev_b32_e32 v8, 2, v0
	s_delay_alu instid0(VALU_DEP_1) | instskip(NEXT) | instid1(VALU_DEP_1)
	v_add_co_u32 v8, s8, s0, v8
	v_add_co_ci_u32_e64 v9, null, s4, 0, s8
	flat_load_b32 v8, v[8:9] offset:2560
.LBB1219_45:
	s_or_b32 exec_lo, exec_lo, s5
	v_or_b32_e32 v9, 0x300, v0
	s_delay_alu instid0(VALU_DEP_1)
	v_cmp_gt_u32_e32 vcc_lo, s21, v9
                                        ; implicit-def: $vgpr9
	s_and_saveexec_b32 s5, vcc_lo
	s_cbranch_execz .LBB1219_47
; %bb.46:
	v_lshlrev_b32_e32 v9, 2, v0
	s_delay_alu instid0(VALU_DEP_1) | instskip(NEXT) | instid1(VALU_DEP_1)
	v_add_co_u32 v9, s8, s0, v9
	v_add_co_ci_u32_e64 v10, null, s4, 0, s8
	flat_load_b32 v9, v[9:10] offset:3072
.LBB1219_47:
	s_or_b32 exec_lo, exec_lo, s5
	v_or_b32_e32 v10, 0x380, v0
	s_delay_alu instid0(VALU_DEP_1)
	v_cmp_gt_u32_e32 vcc_lo, s21, v10
                                        ; implicit-def: $vgpr10
	s_and_saveexec_b32 s5, vcc_lo
	s_cbranch_execz .LBB1219_49
; %bb.48:
	v_lshlrev_b32_e32 v10, 2, v0
	s_delay_alu instid0(VALU_DEP_1) | instskip(NEXT) | instid1(VALU_DEP_1)
	v_add_co_u32 v10, s8, s0, v10
	v_add_co_ci_u32_e64 v11, null, s4, 0, s8
	flat_load_b32 v10, v[10:11] offset:3584
.LBB1219_49:
	s_or_b32 exec_lo, exec_lo, s5
	v_or_b32_e32 v12, 0x400, v0
	s_mov_b32 s5, exec_lo
                                        ; implicit-def: $vgpr11
	s_delay_alu instid0(VALU_DEP_1)
	v_cmpx_gt_u32_e64 s21, v12
	s_cbranch_execz .LBB1219_51
; %bb.50:
	v_lshlrev_b32_e32 v11, 2, v12
	s_delay_alu instid0(VALU_DEP_1) | instskip(NEXT) | instid1(VALU_DEP_1)
	v_add_co_u32 v11, s8, s0, v11
	v_add_co_ci_u32_e64 v12, null, s4, 0, s8
	flat_load_b32 v11, v[11:12]
.LBB1219_51:
	s_or_b32 exec_lo, exec_lo, s5
	v_or_b32_e32 v17, 0x480, v0
	s_mov_b32 s5, exec_lo
                                        ; implicit-def: $vgpr12
	s_delay_alu instid0(VALU_DEP_1)
	v_cmpx_gt_u32_e64 s21, v17
	s_cbranch_execz .LBB1219_53
; %bb.52:
	v_lshlrev_b32_e32 v12, 2, v17
	s_delay_alu instid0(VALU_DEP_1) | instskip(NEXT) | instid1(VALU_DEP_1)
	v_add_co_u32 v17, s8, s0, v12
	v_add_co_ci_u32_e64 v18, null, s4, 0, s8
	flat_load_b32 v12, v[17:18]
.LBB1219_53:
	s_or_b32 exec_lo, exec_lo, s5
	v_or_b32_e32 v18, 0x500, v0
	s_mov_b32 s5, exec_lo
                                        ; implicit-def: $vgpr17
	s_delay_alu instid0(VALU_DEP_1)
	v_cmpx_gt_u32_e64 s21, v18
	s_cbranch_execz .LBB1219_55
; %bb.54:
	v_lshlrev_b32_e32 v17, 2, v18
	s_delay_alu instid0(VALU_DEP_1) | instskip(NEXT) | instid1(VALU_DEP_1)
	v_add_co_u32 v17, s0, s0, v17
	v_add_co_ci_u32_e64 v18, null, s4, 0, s0
	flat_load_b32 v17, v[17:18]
.LBB1219_55:
	s_or_b32 exec_lo, exec_lo, s5
	v_mad_i32_i24 v2, 0xffffffee, v0, v2
	s_waitcnt vmcnt(0) lgkmcnt(0)
	ds_store_2addr_stride64_b32 v2, v3, v4 offset1:2
	ds_store_2addr_stride64_b32 v2, v5, v6 offset0:4 offset1:6
	ds_store_2addr_stride64_b32 v2, v7, v8 offset0:8 offset1:10
	ds_store_2addr_stride64_b32 v2, v9, v10 offset0:12 offset1:14
	ds_store_2addr_stride64_b32 v2, v11, v12 offset0:16 offset1:18
	ds_store_b32 v2, v17 offset:5120
	s_waitcnt lgkmcnt(0)
	s_barrier
.LBB1219_56:
	v_lshlrev_b32_e32 v46, 2, v1
	buffer_gl0_inv
	s_cmp_lg_u32 s20, 0
	v_lshrrev_b32_e32 v44, 16, v13
	s_cselect_b32 s23, -1, 0
	ds_load_2addr_b32 v[30:31], v46 offset1:1
	ds_load_2addr_b32 v[28:29], v46 offset0:2 offset1:3
	ds_load_2addr_b32 v[26:27], v46 offset0:4 offset1:5
	;; [unrolled: 1-line block ×4, first 2 shown]
	ds_load_b32 v38, v46 offset:40
	s_cmp_lg_u64 s[6:7], 0
	v_lshrrev_b32_e32 v43, 16, v14
	s_cselect_b32 s0, -1, 0
	v_lshrrev_b32_e32 v42, 16, v15
	v_lshrrev_b32_e32 v41, 16, v16
	v_add_nc_u32_e32 v5, 1, v1
	v_add_nc_u32_e32 v6, 2, v1
	;; [unrolled: 1-line block ×10, first 2 shown]
	s_or_b32 s0, s0, s23
	s_mov_b32 s24, 0
	s_and_b32 vcc_lo, exec_lo, s0
	s_waitcnt lgkmcnt(0)
	s_barrier
	buffer_gl0_inv
	s_cbranch_vccz .LBB1219_61
; %bb.57:
	v_add_co_u32 v17, s0, -2, s10
	s_delay_alu instid0(VALU_DEP_1)
	v_add_co_ci_u32_e64 v18, null, -1, s1, s0
	s_mov_b32 s1, -1
	s_and_b32 vcc_lo, exec_lo, s15
	flat_load_u16 v17, v[17:18]
	v_lshlrev_b32_e32 v18, 1, v0
	ds_store_b16 v18, v35
	s_cbranch_vccz .LBB1219_63
; %bb.58:
	s_waitcnt vmcnt(0) lgkmcnt(1)
	v_mov_b32_e32 v19, v17
	s_waitcnt lgkmcnt(0)
	s_barrier
	buffer_gl0_inv
	s_and_saveexec_b32 s0, s3
	s_cbranch_execz .LBB1219_60
; %bb.59:
	v_add_nc_u32_e32 v12, -2, v18
	ds_load_u16 v19, v12
.LBB1219_60:
	s_or_b32 exec_lo, exec_lo, s0
	v_cmp_ne_u16_e32 vcc_lo, v16, v41
	s_waitcnt lgkmcnt(0)
	v_cmp_ne_u16_e64 s0, v19, v13
	v_cndmask_b32_e64 v12, 0, 1, vcc_lo
	v_cmp_ne_u16_e32 vcc_lo, v42, v16
	s_delay_alu instid0(VALU_DEP_2) | instskip(SKIP_2) | instid1(VALU_DEP_2)
	v_lshlrev_b16 v12, 8, v12
	v_cndmask_b32_e64 v32, 0, 1, vcc_lo
	v_cmp_ne_u16_e32 vcc_lo, v15, v42
	v_or_b32_e32 v32, v32, v12
	v_cndmask_b32_e64 v33, 0, 1, vcc_lo
	v_cmp_ne_u16_e32 vcc_lo, v43, v15
	s_delay_alu instid0(VALU_DEP_2) | instskip(SKIP_2) | instid1(VALU_DEP_2)
	v_lshlrev_b16 v33, 8, v33
	v_cndmask_b32_e64 v34, 0, 1, vcc_lo
	v_cmp_ne_u16_e32 vcc_lo, v14, v43
	v_or_b32_e32 v33, v34, v33
	v_cndmask_b32_e64 v36, 0, 1, vcc_lo
	v_cmp_ne_u16_e32 vcc_lo, v44, v14
	s_delay_alu instid0(VALU_DEP_3) | instskip(NEXT) | instid1(VALU_DEP_3)
	v_and_b32_e32 v33, 0xffff, v33
	v_lshlrev_b16 v47, 8, v36
	v_cndmask_b32_e64 v37, 0, 1, vcc_lo
	v_cmp_ne_u16_e32 vcc_lo, v13, v44
	s_delay_alu instid0(VALU_DEP_2) | instskip(SKIP_3) | instid1(VALU_DEP_4)
	v_or_b32_e32 v37, v37, v47
	v_cndmask_b32_e64 v45, 0, 1, vcc_lo
	v_cmp_ne_u16_e32 vcc_lo, v39, v35
	v_lshlrev_b32_e32 v47, 16, v32
	v_lshlrev_b32_e32 v37, 16, v37
	s_delay_alu instid0(VALU_DEP_4) | instskip(SKIP_3) | instid1(VALU_DEP_4)
	v_lshlrev_b16 v45, 8, v45
	v_cndmask_b32_e64 v36, 0, 1, vcc_lo
	v_cmp_ne_u16_e32 vcc_lo, v40, v39
	v_or_b32_e32 v33, v33, v47
	v_and_b32_e32 v45, 0xffff, v45
	v_cndmask_b32_e64 v12, 0, 1, vcc_lo
	v_cmp_ne_u16_e32 vcc_lo, v41, v40
	s_delay_alu instid0(VALU_DEP_3)
	v_or_b32_e32 v32, v45, v37
	v_cndmask_b32_e64 v34, 0, 1, vcc_lo
	s_branch .LBB1219_67
.LBB1219_61:
                                        ; implicit-def: $sgpr0
                                        ; implicit-def: $vgpr36
                                        ; implicit-def: $vgpr12
                                        ; implicit-def: $vgpr34
                                        ; implicit-def: $vgpr33
	s_branch .LBB1219_68
.LBB1219_62:
                                        ; implicit-def: $vgpr17_vgpr18_vgpr19
	s_and_saveexec_b32 s1, s24
	s_cbranch_execnz .LBB1219_76
	s_branch .LBB1219_77
.LBB1219_63:
                                        ; implicit-def: $sgpr0
                                        ; implicit-def: $vgpr36
                                        ; implicit-def: $vgpr12
                                        ; implicit-def: $vgpr34
                                        ; implicit-def: $vgpr33
	s_and_b32 vcc_lo, exec_lo, s1
	s_cbranch_vccz .LBB1219_67
; %bb.64:
	s_waitcnt vmcnt(0) lgkmcnt(0)
	s_barrier
	buffer_gl0_inv
	s_and_saveexec_b32 s0, s3
	s_cbranch_execz .LBB1219_66
; %bb.65:
	v_add_nc_u32_e32 v12, -2, v18
	ds_load_u16 v17, v12
.LBB1219_66:
	s_or_b32 exec_lo, exec_lo, s0
	v_cmp_gt_u32_e32 vcc_lo, s21, v9
	v_cmp_ne_u16_e64 s0, v39, v35
	v_cmp_gt_u32_e64 s1, s21, v10
	v_cmp_ne_u16_e64 s4, v40, v39
	v_cmp_gt_u32_e64 s5, s21, v5
	v_cmp_ne_u16_e64 s6, v13, v44
	s_and_b32 s0, vcc_lo, s0
	v_cmp_gt_u32_e32 vcc_lo, s21, v2
	v_cndmask_b32_e64 v36, 0, 1, s0
	v_cmp_ne_u16_e64 s0, v16, v41
	s_and_b32 s1, s1, s4
	v_cmp_ne_u16_e64 s4, v42, v16
	v_cndmask_b32_e64 v12, 0, 1, s1
	v_cmp_gt_u32_e64 s1, s21, v4
	s_and_b32 s0, vcc_lo, s0
	v_cmp_gt_u32_e32 vcc_lo, s21, v7
	v_cndmask_b32_e64 v18, 0, 1, s0
	v_cmp_ne_u16_e64 s0, v15, v42
	s_and_b32 s1, s1, s4
	v_cmp_ne_u16_e64 s4, v14, v43
	v_cndmask_b32_e64 v19, 0, 1, s1
	v_cmp_gt_u32_e64 s1, s21, v3
	;; [unrolled: 8-line block ×3, first 2 shown]
	s_and_b32 s0, vcc_lo, s0
	v_lshlrev_b16 v32, 8, v32
	v_cndmask_b32_e64 v34, 0, 1, s0
	v_lshlrev_b16 v33, 8, v33
	s_and_b32 s0, s1, s4
	v_lshlrev_b16 v18, 8, v18
	v_cndmask_b32_e64 v37, 0, 1, s0
	s_and_b32 s0, s5, s6
	v_or_b32_e32 v32, v34, v32
	v_cndmask_b32_e64 v45, 0, 1, s0
	v_or_b32_e32 v18, v19, v18
	v_or_b32_e32 v33, v37, v33
	v_cmp_gt_u32_e32 vcc_lo, s21, v11
	v_cmp_ne_u16_e64 s0, v41, v40
	v_lshlrev_b16 v37, 8, v45
	v_lshlrev_b32_e32 v18, 16, v18
	v_lshlrev_b32_e32 v19, 16, v33
	s_delay_alu instid0(VALU_DEP_4) | instskip(NEXT) | instid1(VALU_DEP_3)
	s_and_b32 s0, vcc_lo, s0
	v_and_b32_e32 v33, 0xffff, v37
	v_and_b32_e32 v37, 0xffff, v32
	v_cndmask_b32_e64 v34, 0, 1, s0
	v_cmp_gt_u32_e32 vcc_lo, s21, v1
	s_waitcnt lgkmcnt(0)
	v_cmp_ne_u16_e64 s0, v17, v13
	v_or_b32_e32 v32, v33, v19
	v_or_b32_e32 v33, v37, v18
	s_delay_alu instid0(VALU_DEP_3)
	s_and_b32 s0, vcc_lo, s0
.LBB1219_67:
	s_mov_b32 s24, -1
	s_cbranch_execnz .LBB1219_62
.LBB1219_68:
	v_mad_i32_i24 v37, 0xffffffd6, v0, v46
	v_cmp_ne_u16_e64 s0, v39, v35
	v_cmp_ne_u16_e64 s9, v40, v39
	v_cmp_ne_u16_e64 s10, v41, v40
	v_cmp_ne_u16_e64 s5, v16, v41
	v_cmp_ne_u16_e64 s6, v42, v16
	v_cmp_ne_u16_e64 s11, v15, v42
	v_cmp_ne_u16_e64 s7, v43, v15
	v_cmp_ne_u16_e64 s8, v14, v43
	v_cmp_ne_u16_e64 s1, v44, v14
	v_cmp_ne_u16_e64 s4, v13, v44
	s_and_b32 vcc_lo, exec_lo, s15
	ds_store_b16 v37, v35
	s_cbranch_vccz .LBB1219_72
; %bb.69:
	s_waitcnt vmcnt(0) lgkmcnt(2)
	v_cndmask_b32_e64 v17, 0, 1, s11
	v_cndmask_b32_e64 v12, 0, 1, s9
	;; [unrolled: 1-line block ×5, first 2 shown]
	v_lshlrev_b16 v17, 8, v17
	v_cndmask_b32_e64 v45, 0, 1, s4
	v_cndmask_b32_e64 v34, 0, 1, s10
	;; [unrolled: 1-line block ×4, first 2 shown]
	v_lshlrev_b16 v18, 8, v18
	v_lshlrev_b16 v47, 8, v12
	v_or_b32_e32 v17, v32, v17
	v_lshlrev_b16 v32, 8, v33
	v_lshlrev_b16 v33, 8, v45
	v_or_b32_e32 v18, v19, v18
	v_or_b32_e32 v19, v34, v47
	v_and_b32_e32 v17, 0xffff, v17
	v_or_b32_e32 v32, v36, v32
	v_or_b32_e32 v33, 1, v33
	v_lshlrev_b32_e32 v18, 16, v18
	v_and_b32_e32 v19, 0xffff, v19
	v_cndmask_b32_e64 v36, 0, 1, s0
	v_lshlrev_b32_e32 v32, 16, v32
	v_and_b32_e32 v45, 0xffff, v33
	v_or_b32_e32 v33, v17, v18
	s_waitcnt lgkmcnt(0)
	v_lshl_or_b32 v19, v36, 16, v19
	s_barrier
	v_or_b32_e32 v32, v45, v32
	buffer_gl0_inv
                                        ; implicit-def: $sgpr0
	s_and_saveexec_b32 s1, s3
	s_delay_alu instid0(SALU_CYCLE_1)
	s_xor_b32 s1, exec_lo, s1
	s_cbranch_execz .LBB1219_71
; %bb.70:
	v_add_nc_u32_e32 v17, -2, v37
	s_or_b32 s24, s24, exec_lo
	ds_load_u16 v17, v17
	s_waitcnt lgkmcnt(0)
	v_cmp_ne_u16_e32 vcc_lo, v17, v13
                                        ; implicit-def: $vgpr17_vgpr18_vgpr19
	s_and_b32 s0, vcc_lo, exec_lo
.LBB1219_71:
	s_or_b32 exec_lo, exec_lo, s1
	s_branch .LBB1219_75
.LBB1219_72:
                                        ; implicit-def: $sgpr0
                                        ; implicit-def: $vgpr36
                                        ; implicit-def: $vgpr12
                                        ; implicit-def: $vgpr34
                                        ; implicit-def: $vgpr33
                                        ; implicit-def: $vgpr17_vgpr18_vgpr19
	s_cbranch_execz .LBB1219_75
; %bb.73:
	v_cmp_gt_u32_e32 vcc_lo, s21, v10
	v_cmp_ne_u16_e64 s0, v40, v39
	v_cmp_gt_u32_e64 s5, s21, v11
	v_cmp_ne_u16_e64 s6, v41, v40
	v_cmp_gt_u32_e64 s1, s21, v9
	v_cmp_ne_u16_e64 s4, v39, v35
	s_and_b32 s0, vcc_lo, s0
	v_cmp_gt_u32_e32 vcc_lo, s21, v2
	v_cndmask_b32_e64 v12, 0, 1, s0
	v_cmp_ne_u16_e64 s0, v16, v41
	s_and_b32 s5, s5, s6
	v_cmp_ne_u16_e64 s6, v42, v16
	v_cndmask_b32_e64 v34, 0, 1, s5
	v_cmp_gt_u32_e64 s5, s21, v4
	s_and_b32 s0, vcc_lo, s0
	v_cmp_gt_u32_e32 vcc_lo, s21, v7
	s_waitcnt vmcnt(0) lgkmcnt(2)
	v_cndmask_b32_e64 v17, 0, 1, s0
	v_cmp_ne_u16_e64 s0, v15, v42
	s_and_b32 s5, s5, s6
	v_cmp_ne_u16_e64 s6, v43, v15
	v_cndmask_b32_e64 v18, 0, 1, s5
	v_cmp_gt_u32_e64 s5, s21, v8
	s_and_b32 s0, vcc_lo, s0
	v_cmp_gt_u32_e32 vcc_lo, s21, v3
	v_cndmask_b32_e64 v19, 0, 1, s0
	v_cmp_ne_u16_e64 s0, v14, v43
	s_and_b32 s5, s5, s6
	v_cmp_ne_u16_e64 s6, v44, v14
	v_cndmask_b32_e64 v32, 0, 1, s5
	v_cmp_gt_u32_e64 s5, s21, v6
	s_and_b32 s0, vcc_lo, s0
	v_cmp_gt_u32_e32 vcc_lo, s21, v5
	v_cndmask_b32_e64 v33, 0, 1, s0
	v_cmp_ne_u16_e64 s0, v13, v44
	v_lshlrev_b16 v19, 8, v19
	v_lshlrev_b16 v17, 8, v17
	s_and_b32 s5, s5, s6
	v_lshlrev_b16 v47, 8, v12
	s_and_b32 s0, vcc_lo, s0
	v_cndmask_b32_e64 v36, 0, 1, s5
	v_cndmask_b32_e64 v45, 0, 1, s0
	v_or_b32_e32 v19, v32, v19
	v_or_b32_e32 v17, v18, v17
	v_lshlrev_b16 v18, 8, v33
	v_or_b32_e32 v33, v34, v47
	v_lshlrev_b16 v32, 8, v45
	s_and_b32 s0, s1, s4
	v_and_b32_e32 v19, 0xffff, v19
	v_or_b32_e32 v18, v36, v18
	v_lshlrev_b32_e32 v17, 16, v17
	v_or_b32_e32 v32, 1, v32
	v_and_b32_e32 v45, 0xffff, v33
	v_cndmask_b32_e64 v36, 0, 1, s0
	v_lshlrev_b32_e32 v18, 16, v18
	v_or_b32_e32 v33, v19, v17
	v_and_b32_e32 v32, 0xffff, v32
	s_waitcnt lgkmcnt(0)
	v_lshl_or_b32 v19, v36, 16, v45
	s_barrier
	buffer_gl0_inv
	v_or_b32_e32 v32, v32, v18
                                        ; implicit-def: $sgpr0
	s_and_saveexec_b32 s1, s3
	s_cbranch_execz .LBB1219_221
; %bb.74:
	v_add_nc_u32_e32 v17, -2, v37
	v_cmp_gt_u32_e32 vcc_lo, s21, v1
	s_or_b32 s24, s24, exec_lo
	ds_load_u16 v17, v17
	s_waitcnt lgkmcnt(0)
	v_cmp_ne_u16_e64 s0, v17, v13
                                        ; implicit-def: $vgpr17_vgpr18_vgpr19
	s_delay_alu instid0(VALU_DEP_1) | instskip(NEXT) | instid1(SALU_CYCLE_1)
	s_and_b32 s0, vcc_lo, s0
	s_and_b32 s0, s0, exec_lo
	s_or_b32 exec_lo, exec_lo, s1
.LBB1219_75:
	s_and_saveexec_b32 s1, s24
	s_cbranch_execz .LBB1219_77
.LBB1219_76:
	v_lshrrev_b32_e32 v18, 24, v32
	v_lshrrev_b32_e32 v19, 16, v32
	;; [unrolled: 1-line block ×3, first 2 shown]
	s_waitcnt vmcnt(0) lgkmcnt(1)
	v_cndmask_b32_e64 v17, 0, 1, s0
	v_lshlrev_b16 v12, 8, v12
	v_and_b32_e32 v34, 0xff, v34
	v_lshlrev_b16 v18, 8, v18
	v_and_b32_e32 v19, 0xff, v19
	;; [unrolled: 2-line block ×3, first 2 shown]
	v_or_b32_e32 v12, v34, v12
	s_delay_alu instid0(VALU_DEP_4) | instskip(NEXT) | instid1(VALU_DEP_4)
	v_or_b32_e32 v18, v19, v18
	v_or_b32_e32 v17, v17, v32
	s_delay_alu instid0(VALU_DEP_4) | instskip(NEXT) | instid1(VALU_DEP_4)
	v_lshlrev_b32_e32 v19, 16, v36
	v_and_b32_e32 v12, 0xffff, v12
	s_delay_alu instid0(VALU_DEP_4) | instskip(NEXT) | instid1(VALU_DEP_4)
	v_lshlrev_b32_e32 v18, 16, v18
	v_and_b32_e32 v17, 0xffff, v17
	s_delay_alu instid0(VALU_DEP_3) | instskip(NEXT) | instid1(VALU_DEP_2)
	v_or_b32_e32 v19, v12, v19
	v_or_b32_e32 v32, v17, v18
.LBB1219_77:
	s_or_b32 exec_lo, exec_lo, s1
	s_delay_alu instid0(SALU_CYCLE_1)
	s_and_not1_b32 vcc_lo, exec_lo, s22
	s_cbranch_vccnz .LBB1219_79
; %bb.78:
	v_cmp_gt_u32_e32 vcc_lo, s21, v1
	v_cmp_gt_u32_e64 s0, s21, v5
	v_cmp_gt_u32_e64 s3, s21, v6
	v_and_b32_e32 v5, 0xffffff00, v33
	v_cmp_gt_u32_e64 s1, s21, v10
	v_dual_cndmask_b32 v1, 0, v32 :: v_dual_and_b32 v12, 0xff000000, v19
	v_cmp_gt_u32_e32 vcc_lo, s21, v11
	v_cmp_gt_u32_e64 s5, s21, v3
	v_cmp_gt_u32_e64 s4, s21, v9
	s_delay_alu instid0(VALU_DEP_4) | instskip(SKIP_1) | instid1(VALU_DEP_2)
	v_and_b32_e32 v1, 0xff, v1
	v_cndmask_b32_e32 v11, v12, v19, vcc_lo
	v_cndmask_b32_e64 v1, v1, v32, s0
	v_cmp_gt_u32_e64 s0, s21, v8
	s_delay_alu instid0(VALU_DEP_3) | instskip(NEXT) | instid1(VALU_DEP_3)
	v_and_b32_e32 v11, 0xff0000ff, v11
	v_and_b32_e32 v1, 0xffff, v1
	s_delay_alu instid0(VALU_DEP_3) | instskip(NEXT) | instid1(VALU_DEP_3)
	v_cndmask_b32_e64 v5, v5, v33, s0
	v_cndmask_b32_e64 v8, v11, v19, s1
	s_or_b32 s1, s4, s1
	s_delay_alu instid0(VALU_DEP_3) | instskip(NEXT) | instid1(VALU_DEP_3)
	v_cndmask_b32_e64 v1, v1, v32, s3
	v_and_b32_e32 v5, 0xffff00ff, v5
	s_delay_alu instid0(VALU_DEP_3) | instskip(SKIP_1) | instid1(VALU_DEP_4)
	v_and_b32_e32 v6, 0xff00ffff, v8
	v_cmp_gt_u32_e64 s3, s21, v7
	v_and_b32_e32 v1, 0xffffff, v1
	s_delay_alu instid0(VALU_DEP_3) | instskip(NEXT) | instid1(VALU_DEP_3)
	v_cndmask_b32_e64 v6, v6, v19, s4
	v_cndmask_b32_e64 v5, v5, v33, s3
	s_delay_alu instid0(VALU_DEP_3) | instskip(NEXT) | instid1(VALU_DEP_2)
	v_cndmask_b32_e64 v1, v1, v32, s5
	v_and_b32_e32 v3, 0xff00ffff, v5
	s_delay_alu instid0(VALU_DEP_4) | instskip(NEXT) | instid1(VALU_DEP_3)
	v_lshrrev_b32_e32 v5, 8, v6
	v_cndmask_b32_e64 v1, v1, v32, s0
	v_cmp_gt_u32_e64 s0, s21, v4
	s_delay_alu instid0(VALU_DEP_3) | instskip(NEXT) | instid1(VALU_DEP_3)
	v_lshlrev_b16 v5, 8, v5
	v_cndmask_b32_e64 v1, v1, v32, s3
	v_cmp_gt_u32_e64 s3, s21, v2
	s_delay_alu instid0(VALU_DEP_4) | instskip(NEXT) | instid1(VALU_DEP_3)
	v_cndmask_b32_e64 v3, v3, v33, s0
	v_cndmask_b32_e64 v1, v1, v32, s0
	s_or_b32 s0, s1, vcc_lo
	s_delay_alu instid0(VALU_DEP_3) | instid1(SALU_CYCLE_1)
	s_or_b32 vcc_lo, s0, s3
	s_delay_alu instid0(VALU_DEP_1) | instskip(NEXT) | instid1(VALU_DEP_1)
	v_dual_cndmask_b32 v1, v1, v32 :: v_dual_and_b32 v2, 0xffffff, v3
	v_dual_cndmask_b32 v33, v2, v33 :: v_dual_and_b32 v4, 0xff, v6
	s_delay_alu instid0(VALU_DEP_2) | instskip(NEXT) | instid1(VALU_DEP_2)
	v_perm_b32 v32, v1, v1, 0x3020104
	v_or_b32_e32 v3, v4, v5
	s_delay_alu instid0(VALU_DEP_1) | instskip(NEXT) | instid1(VALU_DEP_1)
	v_and_b32_e32 v2, 0xffff, v3
	v_and_or_b32 v19, 0xff0000, v6, v2
.LBB1219_79:
	s_delay_alu instid0(VALU_DEP_1)
	v_and_b32_e32 v47, 0xff, v32
	v_bfe_u32 v48, v32, 8, 8
	v_alignbit_b32 v1, v33, v32, 24
	v_bfe_u32 v49, v32, 16, 8
	v_and_b32_e32 v50, 0xff, v33
	v_bfe_u32 v52, v33, 8, 8
	v_bfe_u32 v53, v33, 16, 8
	v_and_b32_e32 v51, 0xff, v1
	v_add3_u32 v1, v48, v47, v49
	v_lshrrev_b32_e32 v45, 24, v33
	v_mbcnt_lo_u32_b32 v56, -1, 0
	v_and_b32_e32 v54, 0xff, v19
	v_bfe_u32 v55, v19, 8, 8
	v_add3_u32 v1, v1, v51, v50
	v_bfe_u32 v3, v19, 16, 8
	v_and_b32_e32 v2, 15, v56
	v_or_b32_e32 v4, 31, v0
	v_and_b32_e32 v5, 16, v56
	v_add3_u32 v1, v1, v52, v53
	v_lshrrev_b32_e32 v57, 5, v0
	v_cmp_eq_u32_e64 s6, 0, v2
	v_cmp_lt_u32_e64 s5, 1, v2
	v_cmp_lt_u32_e64 s4, 3, v2
	v_add3_u32 v1, v1, v45, v54
	v_cmp_lt_u32_e64 s3, 7, v2
	v_cmp_eq_u32_e64 s1, 0, v5
	v_cmp_eq_u32_e64 s0, v4, v0
	s_and_b32 vcc_lo, exec_lo, s23
	v_add3_u32 v58, v1, v55, v3
	s_mov_b32 s7, -1
	s_waitcnt vmcnt(0) lgkmcnt(0)
	s_barrier
	buffer_gl0_inv
	s_cbranch_vccz .LBB1219_110
; %bb.80:
	v_mov_b32_dpp v1, v58 row_shr:1 row_mask:0xf bank_mask:0xf
	s_delay_alu instid0(VALU_DEP_1) | instskip(NEXT) | instid1(VALU_DEP_1)
	v_cndmask_b32_e64 v1, v1, 0, s6
	v_add_nc_u32_e32 v1, v1, v58
	s_delay_alu instid0(VALU_DEP_1) | instskip(NEXT) | instid1(VALU_DEP_1)
	v_mov_b32_dpp v2, v1 row_shr:2 row_mask:0xf bank_mask:0xf
	v_cndmask_b32_e64 v2, 0, v2, s5
	s_delay_alu instid0(VALU_DEP_1) | instskip(NEXT) | instid1(VALU_DEP_1)
	v_add_nc_u32_e32 v1, v1, v2
	v_mov_b32_dpp v2, v1 row_shr:4 row_mask:0xf bank_mask:0xf
	s_delay_alu instid0(VALU_DEP_1) | instskip(NEXT) | instid1(VALU_DEP_1)
	v_cndmask_b32_e64 v2, 0, v2, s4
	v_add_nc_u32_e32 v1, v1, v2
	s_delay_alu instid0(VALU_DEP_1) | instskip(NEXT) | instid1(VALU_DEP_1)
	v_mov_b32_dpp v2, v1 row_shr:8 row_mask:0xf bank_mask:0xf
	v_cndmask_b32_e64 v2, 0, v2, s3
	s_delay_alu instid0(VALU_DEP_1) | instskip(SKIP_3) | instid1(VALU_DEP_1)
	v_add_nc_u32_e32 v1, v1, v2
	ds_swizzle_b32 v2, v1 offset:swizzle(BROADCAST,32,15)
	s_waitcnt lgkmcnt(0)
	v_cndmask_b32_e64 v2, v2, 0, s1
	v_add_nc_u32_e32 v1, v1, v2
	s_and_saveexec_b32 s7, s0
	s_cbranch_execz .LBB1219_82
; %bb.81:
	v_lshlrev_b32_e32 v2, 2, v57
	ds_store_b32 v2, v1
.LBB1219_82:
	s_or_b32 exec_lo, exec_lo, s7
	s_delay_alu instid0(SALU_CYCLE_1)
	s_mov_b32 s7, exec_lo
	s_waitcnt lgkmcnt(0)
	s_barrier
	buffer_gl0_inv
	v_cmpx_gt_u32_e32 4, v0
	s_cbranch_execz .LBB1219_84
; %bb.83:
	v_and_b32_e32 v4, 3, v56
	s_delay_alu instid0(VALU_DEP_1) | instskip(SKIP_4) | instid1(VALU_DEP_1)
	v_cmp_ne_u32_e32 vcc_lo, 0, v4
	v_lshlrev_b32_e32 v2, 2, v0
	ds_load_b32 v3, v2
	s_waitcnt lgkmcnt(0)
	v_mov_b32_dpp v5, v3 row_shr:1 row_mask:0xf bank_mask:0xf
	v_cndmask_b32_e32 v5, 0, v5, vcc_lo
	v_cmp_lt_u32_e32 vcc_lo, 1, v4
	s_delay_alu instid0(VALU_DEP_2) | instskip(NEXT) | instid1(VALU_DEP_1)
	v_add_nc_u32_e32 v3, v5, v3
	v_mov_b32_dpp v5, v3 row_shr:2 row_mask:0xf bank_mask:0xf
	s_delay_alu instid0(VALU_DEP_1) | instskip(NEXT) | instid1(VALU_DEP_1)
	v_cndmask_b32_e32 v4, 0, v5, vcc_lo
	v_add_nc_u32_e32 v3, v3, v4
	ds_store_b32 v2, v3
.LBB1219_84:
	s_or_b32 exec_lo, exec_lo, s7
	v_cmp_gt_u32_e32 vcc_lo, 32, v0
	s_mov_b32 s8, exec_lo
	s_waitcnt lgkmcnt(0)
	s_barrier
	buffer_gl0_inv
                                        ; implicit-def: $vgpr9
	v_cmpx_lt_u32_e32 31, v0
	s_cbranch_execz .LBB1219_86
; %bb.85:
	v_lshl_add_u32 v2, v57, 2, -4
	ds_load_b32 v9, v2
	s_waitcnt lgkmcnt(0)
	v_add_nc_u32_e32 v1, v9, v1
.LBB1219_86:
	s_or_b32 exec_lo, exec_lo, s8
	v_add_nc_u32_e32 v2, -1, v56
	s_delay_alu instid0(VALU_DEP_1) | instskip(NEXT) | instid1(VALU_DEP_1)
	v_cmp_gt_i32_e64 s7, 0, v2
	v_cndmask_b32_e64 v2, v2, v56, s7
	v_cmp_eq_u32_e64 s7, 0, v56
	s_delay_alu instid0(VALU_DEP_2)
	v_lshlrev_b32_e32 v2, 2, v2
	ds_bpermute_b32 v10, v2, v1
	s_and_saveexec_b32 s8, vcc_lo
	s_cbranch_execz .LBB1219_109
; %bb.87:
	v_mov_b32_e32 v5, 0
	ds_load_b32 v1, v5 offset:12
	s_and_saveexec_b32 s9, s7
	s_cbranch_execz .LBB1219_89
; %bb.88:
	s_add_i32 s10, s20, 32
	s_mov_b32 s11, 0
	v_mov_b32_e32 v2, 1
	s_lshl_b64 s[10:11], s[10:11], 3
	s_delay_alu instid0(SALU_CYCLE_1)
	s_add_u32 s10, s18, s10
	s_addc_u32 s11, s19, s11
	s_waitcnt lgkmcnt(0)
	global_store_b64 v5, v[1:2], s[10:11]
.LBB1219_89:
	s_or_b32 exec_lo, exec_lo, s9
	v_xad_u32 v3, v56, -1, s20
	s_mov_b32 s10, 0
	s_mov_b32 s9, exec_lo
	s_delay_alu instid0(VALU_DEP_1) | instskip(NEXT) | instid1(VALU_DEP_1)
	v_add_nc_u32_e32 v4, 32, v3
	v_lshlrev_b64 v[4:5], 3, v[4:5]
	s_delay_alu instid0(VALU_DEP_1) | instskip(NEXT) | instid1(VALU_DEP_2)
	v_add_co_u32 v7, vcc_lo, s18, v4
	v_add_co_ci_u32_e32 v8, vcc_lo, s19, v5, vcc_lo
	global_load_b64 v[5:6], v[7:8], off glc
	s_waitcnt vmcnt(0)
	v_and_b32_e32 v2, 0xff, v6
	s_delay_alu instid0(VALU_DEP_1)
	v_cmpx_eq_u16_e32 0, v2
	s_cbranch_execz .LBB1219_95
; %bb.90:
	s_mov_b32 s11, 1
	.p2align	6
.LBB1219_91:                            ; =>This Loop Header: Depth=1
                                        ;     Child Loop BB1219_92 Depth 2
	s_delay_alu instid0(SALU_CYCLE_1)
	s_max_u32 s21, s11, 1
.LBB1219_92:                            ;   Parent Loop BB1219_91 Depth=1
                                        ; =>  This Inner Loop Header: Depth=2
	s_delay_alu instid0(SALU_CYCLE_1)
	s_add_i32 s21, s21, -1
	s_sleep 1
	s_cmp_eq_u32 s21, 0
	s_cbranch_scc0 .LBB1219_92
; %bb.93:                               ;   in Loop: Header=BB1219_91 Depth=1
	global_load_b64 v[5:6], v[7:8], off glc
	s_cmp_lt_u32 s11, 32
	s_cselect_b32 s21, -1, 0
	s_delay_alu instid0(SALU_CYCLE_1) | instskip(SKIP_3) | instid1(VALU_DEP_1)
	s_cmp_lg_u32 s21, 0
	s_addc_u32 s11, s11, 0
	s_waitcnt vmcnt(0)
	v_and_b32_e32 v2, 0xff, v6
	v_cmp_ne_u16_e32 vcc_lo, 0, v2
	s_or_b32 s10, vcc_lo, s10
	s_delay_alu instid0(SALU_CYCLE_1)
	s_and_not1_b32 exec_lo, exec_lo, s10
	s_cbranch_execnz .LBB1219_91
; %bb.94:
	s_or_b32 exec_lo, exec_lo, s10
.LBB1219_95:
	s_delay_alu instid0(SALU_CYCLE_1)
	s_or_b32 exec_lo, exec_lo, s9
	v_cmp_ne_u32_e32 vcc_lo, 31, v56
	v_lshlrev_b32_e64 v12, v56, -1
	v_add_nc_u32_e32 v18, 2, v56
	v_add_nc_u32_e32 v36, 4, v56
	v_add_nc_u32_e32 v59, 8, v56
	v_add_co_ci_u32_e32 v2, vcc_lo, 0, v56, vcc_lo
	v_add_nc_u32_e32 v61, 16, v56
	s_delay_alu instid0(VALU_DEP_2)
	v_lshlrev_b32_e32 v11, 2, v2
	v_and_b32_e32 v2, 0xff, v6
	ds_bpermute_b32 v4, v11, v5
	v_cmp_eq_u16_e32 vcc_lo, 2, v2
	v_and_or_b32 v2, vcc_lo, v12, 0x80000000
	v_cmp_gt_u32_e32 vcc_lo, 30, v56
	s_delay_alu instid0(VALU_DEP_2) | instskip(SKIP_1) | instid1(VALU_DEP_2)
	v_ctz_i32_b32_e32 v2, v2
	v_cndmask_b32_e64 v7, 0, 1, vcc_lo
	v_cmp_lt_u32_e32 vcc_lo, v56, v2
	s_waitcnt lgkmcnt(0)
	s_delay_alu instid0(VALU_DEP_2) | instskip(NEXT) | instid1(VALU_DEP_1)
	v_dual_cndmask_b32 v4, 0, v4 :: v_dual_lshlrev_b32 v7, 1, v7
	v_add_lshl_u32 v17, v7, v56, 2
	v_cmp_gt_u32_e32 vcc_lo, 28, v56
	s_delay_alu instid0(VALU_DEP_3) | instskip(SKIP_4) | instid1(VALU_DEP_1)
	v_add_nc_u32_e32 v4, v4, v5
	v_cndmask_b32_e64 v7, 0, 1, vcc_lo
	v_cmp_le_u32_e32 vcc_lo, v18, v2
	ds_bpermute_b32 v5, v17, v4
	v_lshlrev_b32_e32 v7, 2, v7
	v_add_lshl_u32 v34, v7, v56, 2
	s_waitcnt lgkmcnt(0)
	v_cndmask_b32_e32 v5, 0, v5, vcc_lo
	v_cmp_gt_u32_e32 vcc_lo, 24, v56
	s_delay_alu instid0(VALU_DEP_2) | instskip(SKIP_4) | instid1(VALU_DEP_1)
	v_add_nc_u32_e32 v4, v4, v5
	v_cndmask_b32_e64 v7, 0, 1, vcc_lo
	v_cmp_le_u32_e32 vcc_lo, v36, v2
	ds_bpermute_b32 v5, v34, v4
	v_lshlrev_b32_e32 v7, 3, v7
	v_add_lshl_u32 v37, v7, v56, 2
	s_waitcnt lgkmcnt(0)
	v_cndmask_b32_e32 v5, 0, v5, vcc_lo
	v_cmp_gt_u32_e32 vcc_lo, 16, v56
	s_delay_alu instid0(VALU_DEP_2) | instskip(SKIP_4) | instid1(VALU_DEP_1)
	v_add_nc_u32_e32 v4, v4, v5
	v_cndmask_b32_e64 v7, 0, 1, vcc_lo
	v_cmp_le_u32_e32 vcc_lo, v59, v2
	ds_bpermute_b32 v5, v37, v4
	v_lshlrev_b32_e32 v7, 4, v7
	v_add_lshl_u32 v60, v7, v56, 2
	s_waitcnt lgkmcnt(0)
	v_cndmask_b32_e32 v5, 0, v5, vcc_lo
	v_cmp_le_u32_e32 vcc_lo, v61, v2
	s_delay_alu instid0(VALU_DEP_2) | instskip(SKIP_3) | instid1(VALU_DEP_1)
	v_add_nc_u32_e32 v4, v4, v5
	ds_bpermute_b32 v5, v60, v4
	s_waitcnt lgkmcnt(0)
	v_cndmask_b32_e32 v2, 0, v5, vcc_lo
	v_dual_mov_b32 v4, 0 :: v_dual_add_nc_u32 v5, v4, v2
	s_branch .LBB1219_97
.LBB1219_96:                            ;   in Loop: Header=BB1219_97 Depth=1
	s_or_b32 exec_lo, exec_lo, s9
	ds_bpermute_b32 v8, v11, v5
	v_and_b32_e32 v7, 0xff, v6
	v_subrev_nc_u32_e32 v3, 32, v3
	s_delay_alu instid0(VALU_DEP_2) | instskip(SKIP_1) | instid1(VALU_DEP_1)
	v_cmp_eq_u16_e32 vcc_lo, 2, v7
	v_and_or_b32 v7, vcc_lo, v12, 0x80000000
	v_ctz_i32_b32_e32 v7, v7
	s_delay_alu instid0(VALU_DEP_1) | instskip(SKIP_3) | instid1(VALU_DEP_2)
	v_cmp_lt_u32_e32 vcc_lo, v56, v7
	s_waitcnt lgkmcnt(0)
	v_cndmask_b32_e32 v8, 0, v8, vcc_lo
	v_cmp_le_u32_e32 vcc_lo, v18, v7
	v_add_nc_u32_e32 v5, v8, v5
	ds_bpermute_b32 v8, v17, v5
	s_waitcnt lgkmcnt(0)
	v_cndmask_b32_e32 v8, 0, v8, vcc_lo
	v_cmp_le_u32_e32 vcc_lo, v36, v7
	s_delay_alu instid0(VALU_DEP_2) | instskip(SKIP_4) | instid1(VALU_DEP_2)
	v_add_nc_u32_e32 v5, v5, v8
	ds_bpermute_b32 v8, v34, v5
	s_waitcnt lgkmcnt(0)
	v_cndmask_b32_e32 v8, 0, v8, vcc_lo
	v_cmp_le_u32_e32 vcc_lo, v59, v7
	v_add_nc_u32_e32 v5, v5, v8
	ds_bpermute_b32 v8, v37, v5
	s_waitcnt lgkmcnt(0)
	v_cndmask_b32_e32 v8, 0, v8, vcc_lo
	v_cmp_le_u32_e32 vcc_lo, v61, v7
	s_delay_alu instid0(VALU_DEP_2) | instskip(SKIP_3) | instid1(VALU_DEP_1)
	v_add_nc_u32_e32 v5, v5, v8
	ds_bpermute_b32 v8, v60, v5
	s_waitcnt lgkmcnt(0)
	v_cndmask_b32_e32 v7, 0, v8, vcc_lo
	v_add3_u32 v5, v7, v2, v5
.LBB1219_97:                            ; =>This Loop Header: Depth=1
                                        ;     Child Loop BB1219_100 Depth 2
                                        ;       Child Loop BB1219_101 Depth 3
	v_and_b32_e32 v2, 0xff, v6
	s_delay_alu instid0(VALU_DEP_1) | instskip(SKIP_2) | instid1(VALU_DEP_1)
	v_cmp_ne_u16_e32 vcc_lo, 2, v2
	v_cndmask_b32_e64 v2, 0, 1, vcc_lo
	;;#ASMSTART
	;;#ASMEND
	v_cmp_ne_u32_e32 vcc_lo, 0, v2
	v_mov_b32_e32 v2, v5
	s_cmp_lg_u32 vcc_lo, exec_lo
	s_cbranch_scc1 .LBB1219_104
; %bb.98:                               ;   in Loop: Header=BB1219_97 Depth=1
	v_lshlrev_b64 v[5:6], 3, v[3:4]
	s_mov_b32 s9, exec_lo
	s_delay_alu instid0(VALU_DEP_1) | instskip(NEXT) | instid1(VALU_DEP_2)
	v_add_co_u32 v7, vcc_lo, s18, v5
	v_add_co_ci_u32_e32 v8, vcc_lo, s19, v6, vcc_lo
	global_load_b64 v[5:6], v[7:8], off glc
	s_waitcnt vmcnt(0)
	v_and_b32_e32 v62, 0xff, v6
	s_delay_alu instid0(VALU_DEP_1)
	v_cmpx_eq_u16_e32 0, v62
	s_cbranch_execz .LBB1219_96
; %bb.99:                               ;   in Loop: Header=BB1219_97 Depth=1
	s_mov_b32 s11, 1
	s_mov_b32 s10, 0
	.p2align	6
.LBB1219_100:                           ;   Parent Loop BB1219_97 Depth=1
                                        ; =>  This Loop Header: Depth=2
                                        ;       Child Loop BB1219_101 Depth 3
	s_max_u32 s21, s11, 1
.LBB1219_101:                           ;   Parent Loop BB1219_97 Depth=1
                                        ;     Parent Loop BB1219_100 Depth=2
                                        ; =>    This Inner Loop Header: Depth=3
	s_delay_alu instid0(SALU_CYCLE_1)
	s_add_i32 s21, s21, -1
	s_sleep 1
	s_cmp_eq_u32 s21, 0
	s_cbranch_scc0 .LBB1219_101
; %bb.102:                              ;   in Loop: Header=BB1219_100 Depth=2
	global_load_b64 v[5:6], v[7:8], off glc
	s_cmp_lt_u32 s11, 32
	s_cselect_b32 s21, -1, 0
	s_delay_alu instid0(SALU_CYCLE_1) | instskip(SKIP_3) | instid1(VALU_DEP_1)
	s_cmp_lg_u32 s21, 0
	s_addc_u32 s11, s11, 0
	s_waitcnt vmcnt(0)
	v_and_b32_e32 v62, 0xff, v6
	v_cmp_ne_u16_e32 vcc_lo, 0, v62
	s_or_b32 s10, vcc_lo, s10
	s_delay_alu instid0(SALU_CYCLE_1)
	s_and_not1_b32 exec_lo, exec_lo, s10
	s_cbranch_execnz .LBB1219_100
; %bb.103:                              ;   in Loop: Header=BB1219_97 Depth=1
	s_or_b32 exec_lo, exec_lo, s10
	s_branch .LBB1219_96
.LBB1219_104:                           ;   in Loop: Header=BB1219_97 Depth=1
                                        ; implicit-def: $vgpr5
                                        ; implicit-def: $vgpr6
	s_cbranch_execz .LBB1219_97
; %bb.105:
	s_and_saveexec_b32 s9, s7
	s_cbranch_execz .LBB1219_107
; %bb.106:
	s_add_i32 s10, s20, 32
	s_mov_b32 s11, 0
	v_dual_mov_b32 v4, 2 :: v_dual_add_nc_u32 v3, v2, v1
	s_lshl_b64 s[10:11], s[10:11], 3
	v_mov_b32_e32 v5, 0
	s_add_u32 s10, s18, s10
	s_addc_u32 s11, s19, s11
	global_store_b64 v5, v[3:4], s[10:11]
	ds_store_b64 v5, v[1:2] offset:5632
.LBB1219_107:
	s_or_b32 exec_lo, exec_lo, s9
	s_delay_alu instid0(SALU_CYCLE_1)
	s_and_b32 exec_lo, exec_lo, s2
	s_cbranch_execz .LBB1219_109
; %bb.108:
	v_mov_b32_e32 v1, 0
	ds_store_b32 v1, v2 offset:12
.LBB1219_109:
	s_or_b32 exec_lo, exec_lo, s8
	s_waitcnt lgkmcnt(0)
	v_cndmask_b32_e64 v3, v10, v9, s7
	s_waitcnt_vscnt null, 0x0
	s_barrier
	buffer_gl0_inv
	v_cndmask_b32_e64 v3, v3, 0, s2
	v_mov_b32_e32 v1, 0
	ds_load_b32 v2, v1 offset:12
	s_waitcnt lgkmcnt(0)
	s_barrier
	buffer_gl0_inv
	v_add_nc_u32_e32 v2, v2, v3
	ds_load_b64 v[17:18], v1 offset:5632
	v_add_nc_u32_e32 v3, v2, v47
	s_delay_alu instid0(VALU_DEP_1) | instskip(SKIP_1) | instid1(VALU_DEP_1)
	v_add_nc_u32_e32 v4, v3, v48
	s_waitcnt lgkmcnt(0)
	v_dual_mov_b32 v34, v18 :: v_dual_add_nc_u32 v5, v4, v49
	s_delay_alu instid0(VALU_DEP_1) | instskip(NEXT) | instid1(VALU_DEP_1)
	v_add_nc_u32_e32 v6, v5, v51
	v_add_nc_u32_e32 v7, v6, v50
	s_delay_alu instid0(VALU_DEP_1) | instskip(NEXT) | instid1(VALU_DEP_1)
	v_add_nc_u32_e32 v8, v7, v52
	v_add_nc_u32_e32 v9, v8, v53
	;; [unrolled: 3-line block ×3, first 2 shown]
	s_delay_alu instid0(VALU_DEP_1)
	v_add_nc_u32_e32 v12, v11, v55
	v_lshrrev_b64 v[36:37], 24, v[32:33]
	s_branch .LBB1219_120
.LBB1219_110:
                                        ; implicit-def: $vgpr34
                                        ; implicit-def: $vgpr2_vgpr3_vgpr4_vgpr5_vgpr6_vgpr7_vgpr8_vgpr9_vgpr10_vgpr11_vgpr12
                                        ; implicit-def: $vgpr17
	v_lshrrev_b64 v[36:37], 24, v[32:33]
	s_and_b32 vcc_lo, exec_lo, s7
	s_cbranch_vccz .LBB1219_120
; %bb.111:
	v_mov_b32_dpp v1, v58 row_shr:1 row_mask:0xf bank_mask:0xf
	s_delay_alu instid0(VALU_DEP_1) | instskip(NEXT) | instid1(VALU_DEP_1)
	v_cndmask_b32_e64 v1, v1, 0, s6
	v_add_nc_u32_e32 v1, v1, v58
	s_delay_alu instid0(VALU_DEP_1) | instskip(NEXT) | instid1(VALU_DEP_1)
	v_mov_b32_dpp v2, v1 row_shr:2 row_mask:0xf bank_mask:0xf
	v_cndmask_b32_e64 v2, 0, v2, s5
	s_delay_alu instid0(VALU_DEP_1) | instskip(NEXT) | instid1(VALU_DEP_1)
	v_add_nc_u32_e32 v1, v1, v2
	v_mov_b32_dpp v2, v1 row_shr:4 row_mask:0xf bank_mask:0xf
	s_delay_alu instid0(VALU_DEP_1) | instskip(NEXT) | instid1(VALU_DEP_1)
	v_cndmask_b32_e64 v2, 0, v2, s4
	v_add_nc_u32_e32 v1, v1, v2
	s_delay_alu instid0(VALU_DEP_1) | instskip(NEXT) | instid1(VALU_DEP_1)
	v_mov_b32_dpp v2, v1 row_shr:8 row_mask:0xf bank_mask:0xf
	v_cndmask_b32_e64 v2, 0, v2, s3
	s_delay_alu instid0(VALU_DEP_1) | instskip(SKIP_3) | instid1(VALU_DEP_1)
	v_add_nc_u32_e32 v1, v1, v2
	ds_swizzle_b32 v2, v1 offset:swizzle(BROADCAST,32,15)
	s_waitcnt lgkmcnt(0)
	v_cndmask_b32_e64 v2, v2, 0, s1
	v_add_nc_u32_e32 v1, v1, v2
	s_and_saveexec_b32 s1, s0
	s_cbranch_execz .LBB1219_113
; %bb.112:
	v_lshlrev_b32_e32 v2, 2, v57
	ds_store_b32 v2, v1
.LBB1219_113:
	s_or_b32 exec_lo, exec_lo, s1
	s_delay_alu instid0(SALU_CYCLE_1)
	s_mov_b32 s0, exec_lo
	s_waitcnt lgkmcnt(0)
	s_barrier
	buffer_gl0_inv
	v_cmpx_gt_u32_e32 4, v0
	s_cbranch_execz .LBB1219_115
; %bb.114:
	v_mad_i32_i24 v2, 0xffffffd8, v0, v46
	ds_load_b32 v3, v2
	s_waitcnt lgkmcnt(0)
	v_mov_b32_dpp v5, v3 row_shr:1 row_mask:0xf bank_mask:0xf
	v_and_b32_e32 v4, 3, v56
	s_delay_alu instid0(VALU_DEP_1) | instskip(NEXT) | instid1(VALU_DEP_3)
	v_cmp_ne_u32_e32 vcc_lo, 0, v4
	v_cndmask_b32_e32 v5, 0, v5, vcc_lo
	v_cmp_lt_u32_e32 vcc_lo, 1, v4
	s_delay_alu instid0(VALU_DEP_2) | instskip(NEXT) | instid1(VALU_DEP_1)
	v_add_nc_u32_e32 v3, v5, v3
	v_mov_b32_dpp v5, v3 row_shr:2 row_mask:0xf bank_mask:0xf
	s_delay_alu instid0(VALU_DEP_1) | instskip(NEXT) | instid1(VALU_DEP_1)
	v_cndmask_b32_e32 v4, 0, v5, vcc_lo
	v_add_nc_u32_e32 v3, v3, v4
	ds_store_b32 v2, v3
.LBB1219_115:
	s_or_b32 exec_lo, exec_lo, s0
	v_dual_mov_b32 v3, 0 :: v_dual_mov_b32 v2, 0
	s_mov_b32 s0, exec_lo
	s_waitcnt lgkmcnt(0)
	s_barrier
	buffer_gl0_inv
	v_cmpx_lt_u32_e32 31, v0
	s_cbranch_execz .LBB1219_117
; %bb.116:
	v_lshl_add_u32 v2, v57, 2, -4
	ds_load_b32 v2, v2
.LBB1219_117:
	s_or_b32 exec_lo, exec_lo, s0
	v_add_nc_u32_e32 v4, -1, v56
	ds_load_b32 v17, v3 offset:12
	s_waitcnt lgkmcnt(1)
	v_add_nc_u32_e32 v1, v2, v1
	v_cmp_gt_i32_e32 vcc_lo, 0, v4
	v_cndmask_b32_e32 v4, v4, v56, vcc_lo
	s_delay_alu instid0(VALU_DEP_1)
	v_lshlrev_b32_e32 v4, 2, v4
	ds_bpermute_b32 v1, v4, v1
	s_and_saveexec_b32 s0, s2
	s_cbranch_execz .LBB1219_119
; %bb.118:
	v_dual_mov_b32 v3, 0 :: v_dual_mov_b32 v18, 2
	s_waitcnt lgkmcnt(1)
	global_store_b64 v3, v[17:18], s[18:19] offset:256
.LBB1219_119:
	s_or_b32 exec_lo, exec_lo, s0
	v_cmp_eq_u32_e32 vcc_lo, 0, v56
	s_waitcnt lgkmcnt(0)
	s_waitcnt_vscnt null, 0x0
	s_barrier
	buffer_gl0_inv
	v_dual_mov_b32 v34, 0 :: v_dual_cndmask_b32 v1, v1, v2
	s_delay_alu instid0(VALU_DEP_1) | instskip(NEXT) | instid1(VALU_DEP_1)
	v_cndmask_b32_e64 v2, v1, 0, s2
	v_add_nc_u32_e32 v3, v2, v47
	s_delay_alu instid0(VALU_DEP_1) | instskip(NEXT) | instid1(VALU_DEP_1)
	v_add_nc_u32_e32 v4, v3, v48
	v_add_nc_u32_e32 v5, v4, v49
	s_delay_alu instid0(VALU_DEP_1) | instskip(NEXT) | instid1(VALU_DEP_1)
	v_add_nc_u32_e32 v6, v5, v51
	;; [unrolled: 3-line block ×4, first 2 shown]
	v_add_nc_u32_e32 v11, v10, v54
	s_delay_alu instid0(VALU_DEP_1)
	v_add_nc_u32_e32 v12, v11, v55
.LBB1219_120:
	v_cmp_gt_u32_e32 vcc_lo, 0x81, v17
	v_lshrrev_b32_e32 v18, 16, v19
	v_lshrrev_b32_e32 v48, 16, v32
	;; [unrolled: 1-line block ×6, first 2 shown]
	v_cmp_lt_u32_e64 s0, 0x80, v17
	s_mov_b32 s1, -1
	s_cbranch_vccz .LBB1219_155
; %bb.121:
	v_lshlrev_b64 v[52:53], 1, v[20:21]
	v_add_nc_u32_e32 v51, v34, v17
	s_delay_alu instid0(VALU_DEP_1) | instskip(NEXT) | instid1(VALU_DEP_3)
	v_cmp_lt_u32_e32 vcc_lo, v2, v51
	v_add_co_u32 v1, s1, s16, v52
	s_delay_alu instid0(VALU_DEP_1) | instskip(SKIP_1) | instid1(SALU_CYCLE_1)
	v_add_co_ci_u32_e64 v50, s1, s17, v53, s1
	s_or_b32 s3, s15, vcc_lo
	s_and_saveexec_b32 s1, s3
	s_cbranch_execz .LBB1219_124
; %bb.122:
	v_and_b32_e32 v52, 1, v32
	s_delay_alu instid0(VALU_DEP_1)
	v_cmp_eq_u32_e32 vcc_lo, 1, v52
	s_and_b32 exec_lo, exec_lo, vcc_lo
	s_cbranch_execz .LBB1219_124
; %bb.123:
	v_dual_mov_b32 v53, 0 :: v_dual_mov_b32 v52, v2
	s_delay_alu instid0(VALU_DEP_1) | instskip(NEXT) | instid1(VALU_DEP_1)
	v_lshlrev_b64 v[52:53], 1, v[52:53]
	v_add_co_u32 v52, vcc_lo, v1, v52
	s_delay_alu instid0(VALU_DEP_2)
	v_add_co_ci_u32_e32 v53, vcc_lo, v50, v53, vcc_lo
	global_store_b16 v[52:53], v13, off
.LBB1219_124:
	s_or_b32 exec_lo, exec_lo, s1
	v_cmp_lt_u32_e32 vcc_lo, v3, v51
	s_or_b32 s3, s15, vcc_lo
	s_delay_alu instid0(SALU_CYCLE_1)
	s_and_saveexec_b32 s1, s3
	s_cbranch_execz .LBB1219_127
; %bb.125:
	v_and_b32_e32 v52, 1, v49
	s_delay_alu instid0(VALU_DEP_1)
	v_cmp_eq_u32_e32 vcc_lo, 1, v52
	s_and_b32 exec_lo, exec_lo, vcc_lo
	s_cbranch_execz .LBB1219_127
; %bb.126:
	v_dual_mov_b32 v53, 0 :: v_dual_mov_b32 v52, v3
	s_delay_alu instid0(VALU_DEP_1) | instskip(NEXT) | instid1(VALU_DEP_1)
	v_lshlrev_b64 v[52:53], 1, v[52:53]
	v_add_co_u32 v52, vcc_lo, v1, v52
	s_delay_alu instid0(VALU_DEP_2)
	v_add_co_ci_u32_e32 v53, vcc_lo, v50, v53, vcc_lo
	global_store_b16 v[52:53], v44, off
.LBB1219_127:
	s_or_b32 exec_lo, exec_lo, s1
	v_cmp_lt_u32_e32 vcc_lo, v4, v51
	s_or_b32 s3, s15, vcc_lo
	s_delay_alu instid0(SALU_CYCLE_1)
	;; [unrolled: 21-line block ×10, first 2 shown]
	s_and_saveexec_b32 s1, s3
	s_cbranch_execz .LBB1219_154
; %bb.152:
	v_and_b32_e32 v51, 1, v18
	s_delay_alu instid0(VALU_DEP_1)
	v_cmp_eq_u32_e32 vcc_lo, 1, v51
	s_and_b32 exec_lo, exec_lo, vcc_lo
	s_cbranch_execz .LBB1219_154
; %bb.153:
	v_dual_mov_b32 v52, 0 :: v_dual_mov_b32 v51, v12
	s_delay_alu instid0(VALU_DEP_1) | instskip(NEXT) | instid1(VALU_DEP_1)
	v_lshlrev_b64 v[51:52], 1, v[51:52]
	v_add_co_u32 v51, vcc_lo, v1, v51
	s_delay_alu instid0(VALU_DEP_2)
	v_add_co_ci_u32_e32 v52, vcc_lo, v50, v52, vcc_lo
	global_store_b16 v[51:52], v35, off
.LBB1219_154:
	s_or_b32 exec_lo, exec_lo, s1
	s_mov_b32 s1, 0
.LBB1219_155:
	v_and_b32_e32 v32, 1, v32
	s_and_b32 vcc_lo, exec_lo, s1
	s_delay_alu instid0(VALU_DEP_1)
	v_cmp_eq_u32_e64 s1, 1, v32
	s_cbranch_vccz .LBB1219_194
; %bb.156:
	s_delay_alu instid0(VALU_DEP_1)
	s_and_saveexec_b32 s3, s1
	s_cbranch_execz .LBB1219_158
; %bb.157:
	v_sub_nc_u32_e32 v1, v2, v34
	s_delay_alu instid0(VALU_DEP_1)
	v_lshlrev_b32_e32 v1, 1, v1
	ds_store_b16 v1, v13
.LBB1219_158:
	s_or_b32 exec_lo, exec_lo, s3
	v_and_b32_e32 v1, 1, v49
	s_mov_b32 s1, exec_lo
	s_delay_alu instid0(VALU_DEP_1)
	v_cmpx_eq_u32_e32 1, v1
	s_cbranch_execz .LBB1219_160
; %bb.159:
	v_sub_nc_u32_e32 v1, v3, v34
	s_delay_alu instid0(VALU_DEP_1)
	v_lshlrev_b32_e32 v1, 1, v1
	ds_store_b16 v1, v44
.LBB1219_160:
	s_or_b32 exec_lo, exec_lo, s1
	v_and_b32_e32 v1, 1, v48
	s_mov_b32 s1, exec_lo
	s_delay_alu instid0(VALU_DEP_1)
	v_cmpx_eq_u32_e32 1, v1
	;; [unrolled: 12-line block ×10, first 2 shown]
	s_cbranch_execz .LBB1219_178
; %bb.177:
	v_sub_nc_u32_e32 v1, v12, v34
	s_delay_alu instid0(VALU_DEP_1)
	v_lshlrev_b32_e32 v1, 1, v1
	ds_store_b16 v1, v35
.LBB1219_178:
	s_or_b32 exec_lo, exec_lo, s1
	s_delay_alu instid0(SALU_CYCLE_1)
	s_mov_b32 s4, exec_lo
	s_waitcnt lgkmcnt(0)
	s_waitcnt_vscnt null, 0x0
	s_barrier
	buffer_gl0_inv
	v_cmpx_lt_u32_e64 v0, v17
	s_cbranch_execz .LBB1219_193
; %bb.179:
	v_mov_b32_e32 v35, 0
	v_lshlrev_b64 v[13:14], 1, v[20:21]
	v_xad_u32 v1, v0, -1, v17
	s_mov_b32 s3, -1
	s_mov_b32 s5, exec_lo
	v_lshlrev_b64 v[15:16], 1, v[34:35]
	s_delay_alu instid0(VALU_DEP_3) | instskip(SKIP_1) | instid1(VALU_DEP_2)
	v_add_co_u32 v13, vcc_lo, s16, v13
	v_add_co_ci_u32_e32 v14, vcc_lo, s17, v14, vcc_lo
	v_add_co_u32 v35, vcc_lo, v13, v15
	s_delay_alu instid0(VALU_DEP_2)
	v_add_co_ci_u32_e32 v39, vcc_lo, v14, v16, vcc_lo
	v_cmp_gt_u32_e32 vcc_lo, 0xc80, v1
	v_cmpx_lt_u32_e32 0xc7f, v1
	s_cbranch_execz .LBB1219_190
; %bb.180:
	v_sub_nc_u32_e32 v13, v0, v17
	s_mov_b32 s6, exec_lo
	s_delay_alu instid0(VALU_DEP_1) | instskip(NEXT) | instid1(VALU_DEP_1)
	v_or_b32_e32 v13, 0x7f, v13
	v_cmpx_ge_u32_e64 v13, v0
	s_cbranch_execz .LBB1219_189
; %bb.181:
	v_lshrrev_b32_e32 v40, 7, v1
	v_or_b32_e32 v1, 0x80, v0
	v_dual_mov_b32 v50, 0 :: v_dual_lshlrev_b32 v41, 1, v0
	s_delay_alu instid0(VALU_DEP_3) | instskip(NEXT) | instid1(VALU_DEP_1)
	v_add_nc_u32_e32 v13, -1, v40
	v_lshrrev_b32_e32 v14, 1, v13
	v_cmp_lt_u32_e64 s1, 13, v13
	s_delay_alu instid0(VALU_DEP_2) | instskip(SKIP_1) | instid1(VALU_DEP_3)
	v_add_nc_u32_e32 v42, 1, v14
	v_dual_mov_b32 v14, v1 :: v_dual_mov_b32 v13, v0
	s_and_saveexec_b32 s3, s1
	s_cbranch_execz .LBB1219_185
; %bb.182:
	s_delay_alu instid0(VALU_DEP_2)
	v_dual_mov_b32 v14, v1 :: v_dual_and_b32 v43, -8, v42
	v_mov_b32_e32 v16, 0
	v_dual_mov_b32 v44, v41 :: v_dual_mov_b32 v13, v0
	s_mov_b32 s7, 0
	s_mov_b32 s8, 0
.LBB1219_183:                           ; =>This Inner Loop Header: Depth=1
	s_delay_alu instid0(VALU_DEP_1) | instskip(SKIP_2) | instid1(VALU_DEP_3)
	v_dual_mov_b32 v15, v13 :: v_dual_mov_b32 v52, v16
	v_add_nc_u32_e32 v43, -8, v43
	v_dual_mov_b32 v54, v16 :: v_dual_add_nc_u32 v51, 0x100, v14
	v_lshlrev_b64 v[65:66], 1, v[15:16]
	v_dual_mov_b32 v56, v16 :: v_dual_add_nc_u32 v53, 0x200, v14
	s_delay_alu instid0(VALU_DEP_4) | instskip(NEXT) | instid1(VALU_DEP_4)
	v_cmp_eq_u32_e64 s1, 0, v43
	v_lshlrev_b64 v[51:52], 1, v[51:52]
	v_dual_mov_b32 v58, v16 :: v_dual_add_nc_u32 v55, 0x300, v14
	s_add_i32 s8, s8, 16
	v_lshlrev_b64 v[53:54], 1, v[53:54]
	s_or_b32 s7, s1, s7
	v_add_co_u32 v65, s1, v35, v65
	v_dual_mov_b32 v60, v16 :: v_dual_add_nc_u32 v57, 0x400, v14
	v_add_co_ci_u32_e64 v66, s1, v39, v66, s1
	v_lshlrev_b64 v[55:56], 1, v[55:56]
	v_add_co_u32 v51, s1, v35, v51
	v_dual_mov_b32 v62, v16 :: v_dual_add_nc_u32 v59, 0x500, v14
	v_add_co_ci_u32_e64 v52, s1, v39, v52, s1
	v_lshlrev_b64 v[57:58], 1, v[57:58]
	;; [unrolled: 4-line block ×3, first 2 shown]
	v_add_co_u32 v55, s1, v35, v55
	v_dual_mov_b32 v50, s8 :: v_dual_add_nc_u32 v63, 0x700, v14
	ds_load_u16 v1, v44
	ds_load_u16 v71, v44 offset:256
	ds_load_u16 v72, v44 offset:512
	;; [unrolled: 1-line block ×15, first 2 shown]
	v_dual_mov_b32 v15, v14 :: v_dual_add_nc_u32 v44, 0x1000, v44
	v_add_co_ci_u32_e64 v56, s1, v39, v56, s1
	v_lshlrev_b64 v[61:62], 1, v[61:62]
	v_add_co_u32 v57, s1, v35, v57
	s_delay_alu instid0(VALU_DEP_1)
	v_add_co_ci_u32_e64 v58, s1, v39, v58, s1
	v_lshlrev_b64 v[63:64], 1, v[63:64]
	v_add_co_u32 v59, s1, v35, v59
	v_lshlrev_b64 v[67:68], 1, v[15:16]
	v_add_nc_u32_e32 v15, 0x100, v13
	v_add_co_ci_u32_e64 v60, s1, v39, v60, s1
	v_add_co_u32 v61, s1, v35, v61
	s_delay_alu instid0(VALU_DEP_1)
	v_add_co_ci_u32_e64 v62, s1, v39, v62, s1
	v_add_co_u32 v63, s1, v35, v63
	v_lshlrev_b64 v[69:70], 1, v[15:16]
	v_add_nc_u32_e32 v15, 0x200, v13
	v_add_co_ci_u32_e64 v64, s1, v39, v64, s1
	v_add_co_u32 v67, s1, v35, v67
	s_delay_alu instid0(VALU_DEP_1)
	v_add_co_ci_u32_e64 v68, s1, v39, v68, s1
	s_waitcnt lgkmcnt(15)
	global_store_b16 v[65:66], v1, off
	v_lshlrev_b64 v[65:66], 1, v[15:16]
	v_add_nc_u32_e32 v15, 0x300, v13
	v_add_co_u32 v69, s1, v35, v69
	s_delay_alu instid0(VALU_DEP_1)
	v_add_co_ci_u32_e64 v70, s1, v39, v70, s1
	s_waitcnt lgkmcnt(14)
	global_store_b16 v[67:68], v71, off
	v_lshlrev_b64 v[67:68], 1, v[15:16]
	v_add_nc_u32_e32 v15, 0x400, v13
	s_waitcnt lgkmcnt(13)
	global_store_b16 v[69:70], v72, off
	s_waitcnt lgkmcnt(12)
	global_store_b16 v[51:52], v73, off
	v_add_co_u32 v51, s1, v35, v65
	s_delay_alu instid0(VALU_DEP_1) | instskip(SKIP_3) | instid1(VALU_DEP_1)
	v_add_co_ci_u32_e64 v52, s1, v39, v66, s1
	v_lshlrev_b64 v[65:66], 1, v[15:16]
	v_add_nc_u32_e32 v15, 0x500, v13
	v_add_co_u32 v67, s1, v35, v67
	v_add_co_ci_u32_e64 v68, s1, v39, v68, s1
	s_waitcnt lgkmcnt(11)
	global_store_b16 v[51:52], v74, off
	s_waitcnt lgkmcnt(10)
	global_store_b16 v[53:54], v75, off
	v_lshlrev_b64 v[51:52], 1, v[15:16]
	v_add_nc_u32_e32 v15, 0x600, v13
	v_add_co_u32 v53, s1, v35, v65
	s_waitcnt lgkmcnt(9)
	global_store_b16 v[67:68], v76, off
	s_waitcnt lgkmcnt(8)
	global_store_b16 v[55:56], v77, off
	v_add_co_ci_u32_e64 v54, s1, v39, v66, s1
	v_lshlrev_b64 v[55:56], 1, v[15:16]
	v_add_nc_u32_e32 v15, 0x700, v13
	v_add_co_u32 v51, s1, v35, v51
	s_delay_alu instid0(VALU_DEP_1)
	v_add_co_ci_u32_e64 v52, s1, v39, v52, s1
	s_waitcnt lgkmcnt(7)
	global_store_b16 v[53:54], v78, off
	s_waitcnt lgkmcnt(6)
	global_store_b16 v[57:58], v79, off
	v_lshlrev_b64 v[53:54], 1, v[15:16]
	v_add_nc_u32_e32 v14, 0x800, v14
	s_waitcnt lgkmcnt(5)
	global_store_b16 v[51:52], v80, off
	v_add_co_u32 v51, s1, v35, v55
	v_add_nc_u32_e32 v13, 0x800, v13
	v_add_co_ci_u32_e64 v52, s1, v39, v56, s1
	v_add_co_u32 v53, s1, v35, v53
	s_delay_alu instid0(VALU_DEP_1)
	v_add_co_ci_u32_e64 v54, s1, v39, v54, s1
	s_waitcnt lgkmcnt(4)
	global_store_b16 v[59:60], v81, off
	s_waitcnt lgkmcnt(3)
	global_store_b16 v[51:52], v82, off
	;; [unrolled: 2-line block ×5, first 2 shown]
	s_and_not1_b32 exec_lo, exec_lo, s7
	s_cbranch_execnz .LBB1219_183
; %bb.184:
	s_or_b32 exec_lo, exec_lo, s7
.LBB1219_185:
	s_delay_alu instid0(SALU_CYCLE_1) | instskip(SKIP_3) | instid1(VALU_DEP_1)
	s_or_b32 exec_lo, exec_lo, s3
	v_and_b32_e32 v1, 7, v42
	s_mov_b32 s8, 0
	s_mov_b32 s7, exec_lo
	v_cmpx_ne_u32_e32 0, v1
	s_cbranch_execz .LBB1219_188
; %bb.186:
	v_lshl_or_b32 v41, v50, 8, v41
	v_mov_b32_e32 v16, 0
	s_set_inst_prefetch_distance 0x1
	.p2align	6
.LBB1219_187:                           ; =>This Inner Loop Header: Depth=1
	v_mov_b32_e32 v15, v13
	ds_load_u16 v44, v41
	ds_load_u16 v52, v41 offset:256
	v_add_nc_u32_e32 v1, -1, v1
	v_add_nc_u32_e32 v13, 0x100, v13
	v_add_nc_u32_e32 v41, 0x200, v41
	v_lshlrev_b64 v[42:43], 1, v[15:16]
	v_dual_mov_b32 v15, v14 :: v_dual_add_nc_u32 v14, 0x100, v14
	v_cmp_eq_u32_e64 s1, 0, v1
	s_delay_alu instid0(VALU_DEP_2) | instskip(NEXT) | instid1(VALU_DEP_4)
	v_lshlrev_b64 v[50:51], 1, v[15:16]
	v_add_co_u32 v42, s3, v35, v42
	s_delay_alu instid0(VALU_DEP_1) | instskip(NEXT) | instid1(VALU_DEP_4)
	v_add_co_ci_u32_e64 v43, s3, v39, v43, s3
	s_or_b32 s8, s1, s8
	s_delay_alu instid0(VALU_DEP_3) | instskip(NEXT) | instid1(VALU_DEP_1)
	v_add_co_u32 v50, s3, v35, v50
	v_add_co_ci_u32_e64 v51, s3, v39, v51, s3
	s_waitcnt lgkmcnt(1)
	global_store_b16 v[42:43], v44, off
	s_waitcnt lgkmcnt(0)
	global_store_b16 v[50:51], v52, off
	s_and_not1_b32 exec_lo, exec_lo, s8
	s_cbranch_execnz .LBB1219_187
.LBB1219_188:
	s_set_inst_prefetch_distance 0x2
	s_or_b32 exec_lo, exec_lo, s7
	v_add_nc_u32_e32 v1, 1, v40
	s_delay_alu instid0(VALU_DEP_1) | instskip(NEXT) | instid1(VALU_DEP_1)
	v_and_b32_e32 v13, 0x3fffffe, v1
	v_cmp_ne_u32_e64 s1, v1, v13
	v_lshl_or_b32 v0, v13, 7, v0
	s_delay_alu instid0(VALU_DEP_2)
	s_or_not1_b32 s3, s1, exec_lo
.LBB1219_189:
	s_or_b32 exec_lo, exec_lo, s6
	s_delay_alu instid0(SALU_CYCLE_1) | instskip(SKIP_1) | instid1(SALU_CYCLE_1)
	s_and_not1_b32 s1, vcc_lo, exec_lo
	s_and_b32 s3, s3, exec_lo
	s_or_b32 vcc_lo, s1, s3
.LBB1219_190:
	s_or_b32 exec_lo, exec_lo, s5
	s_delay_alu instid0(SALU_CYCLE_1)
	s_and_b32 exec_lo, exec_lo, vcc_lo
	s_cbranch_execz .LBB1219_193
; %bb.191:
	v_lshlrev_b32_e32 v13, 1, v0
	v_mov_b32_e32 v1, 0
	s_mov_b32 s3, 0
	.p2align	6
.LBB1219_192:                           ; =>This Inner Loop Header: Depth=1
	ds_load_u16 v16, v13
	v_lshlrev_b64 v[14:15], 1, v[0:1]
	v_add_nc_u32_e32 v0, 0x80, v0
	v_add_nc_u32_e32 v13, 0x100, v13
	s_delay_alu instid0(VALU_DEP_2) | instskip(NEXT) | instid1(VALU_DEP_4)
	v_cmp_ge_u32_e32 vcc_lo, v0, v17
	v_add_co_u32 v14, s1, v35, v14
	s_delay_alu instid0(VALU_DEP_1)
	v_add_co_ci_u32_e64 v15, s1, v39, v15, s1
	s_or_b32 s3, vcc_lo, s3
	s_waitcnt lgkmcnt(0)
	global_store_b16 v[14:15], v16, off
	s_and_not1_b32 exec_lo, exec_lo, s3
	s_cbranch_execnz .LBB1219_192
.LBB1219_193:
	s_or_b32 exec_lo, exec_lo, s4
.LBB1219_194:
	s_delay_alu instid0(SALU_CYCLE_1)
	s_and_not1_b32 vcc_lo, exec_lo, s0
	s_waitcnt_vscnt null, 0x0
	s_barrier
	buffer_gl0_inv
	s_cbranch_vccz .LBB1219_197
; %bb.195:
	s_and_b32 s0, s2, s14
	s_delay_alu instid0(SALU_CYCLE_1)
	s_and_saveexec_b32 s1, s0
	s_cbranch_execnz .LBB1219_220
.LBB1219_196:
	s_endpgm
.LBB1219_197:
	s_mov_b32 s0, exec_lo
	v_cmpx_eq_u32_e32 1, v32
	s_cbranch_execz .LBB1219_199
; %bb.198:
	v_sub_nc_u32_e32 v0, v2, v34
	s_delay_alu instid0(VALU_DEP_1)
	v_lshlrev_b32_e32 v0, 2, v0
	ds_store_b32 v0, v30
.LBB1219_199:
	s_or_b32 exec_lo, exec_lo, s0
	v_and_b32_e32 v0, 1, v49
	s_mov_b32 s0, exec_lo
	s_delay_alu instid0(VALU_DEP_1)
	v_cmpx_eq_u32_e32 1, v0
	s_cbranch_execz .LBB1219_201
; %bb.200:
	v_sub_nc_u32_e32 v0, v3, v34
	s_delay_alu instid0(VALU_DEP_1)
	v_lshlrev_b32_e32 v0, 2, v0
	ds_store_b32 v0, v31
.LBB1219_201:
	s_or_b32 exec_lo, exec_lo, s0
	v_and_b32_e32 v0, 1, v48
	s_mov_b32 s0, exec_lo
	s_delay_alu instid0(VALU_DEP_1)
	;; [unrolled: 12-line block ×10, first 2 shown]
	v_cmpx_eq_u32_e32 1, v0
	s_cbranch_execz .LBB1219_219
; %bb.218:
	v_sub_nc_u32_e32 v0, v12, v34
	s_delay_alu instid0(VALU_DEP_1)
	v_lshlrev_b32_e32 v0, 2, v0
	ds_store_b32 v0, v38
.LBB1219_219:
	s_or_b32 exec_lo, exec_lo, s0
	s_waitcnt lgkmcnt(0)
	s_barrier
	buffer_gl0_inv
	s_and_b32 s0, s2, s14
	s_delay_alu instid0(SALU_CYCLE_1)
	s_and_saveexec_b32 s1, s0
	s_cbranch_execz .LBB1219_196
.LBB1219_220:
	v_add_co_u32 v0, vcc_lo, v20, v17
	v_add_co_ci_u32_e32 v1, vcc_lo, 0, v21, vcc_lo
	v_mov_b32_e32 v2, 0
	s_delay_alu instid0(VALU_DEP_3) | instskip(NEXT) | instid1(VALU_DEP_3)
	v_add_co_u32 v0, vcc_lo, v0, v34
	v_add_co_ci_u32_e32 v1, vcc_lo, 0, v1, vcc_lo
	global_store_b64 v2, v[0:1], s[12:13]
	s_nop 0
	s_sendmsg sendmsg(MSG_DEALLOC_VGPRS)
	s_endpgm
.LBB1219_221:
	s_or_b32 exec_lo, exec_lo, s1
	s_and_saveexec_b32 s1, s24
	s_cbranch_execnz .LBB1219_76
	s_branch .LBB1219_77
	.section	.rodata,"a",@progbits
	.p2align	6, 0x0
	.amdhsa_kernel _ZN7rocprim17ROCPRIM_400000_NS6detail17trampoline_kernelINS0_14default_configENS1_25partition_config_selectorILNS1_17partition_subalgoE9EsjbEEZZNS1_14partition_implILS5_9ELb0ES3_jN6thrust23THRUST_200600_302600_NS6detail15normal_iteratorINS9_10device_ptrIsEEEENSB_INSC_IjEEEEPNS0_10empty_typeENS0_5tupleIJSE_SH_EEENSJ_IJNS9_16discard_iteratorINS9_11use_defaultEEESI_EEENS0_18inequality_wrapperINS9_8equal_toIsEEEEPmJSH_EEE10hipError_tPvRmT3_T4_T5_T6_T7_T9_mT8_P12ihipStream_tbDpT10_ENKUlT_T0_E_clISt17integral_constantIbLb1EES1D_EEDaS18_S19_EUlS18_E_NS1_11comp_targetILNS1_3genE9ELNS1_11target_archE1100ELNS1_3gpuE3ELNS1_3repE0EEENS1_30default_config_static_selectorELNS0_4arch9wavefront6targetE0EEEvT1_
		.amdhsa_group_segment_fixed_size 5640
		.amdhsa_private_segment_fixed_size 0
		.amdhsa_kernarg_size 136
		.amdhsa_user_sgpr_count 15
		.amdhsa_user_sgpr_dispatch_ptr 0
		.amdhsa_user_sgpr_queue_ptr 0
		.amdhsa_user_sgpr_kernarg_segment_ptr 1
		.amdhsa_user_sgpr_dispatch_id 0
		.amdhsa_user_sgpr_private_segment_size 0
		.amdhsa_wavefront_size32 1
		.amdhsa_uses_dynamic_stack 0
		.amdhsa_enable_private_segment 0
		.amdhsa_system_sgpr_workgroup_id_x 1
		.amdhsa_system_sgpr_workgroup_id_y 0
		.amdhsa_system_sgpr_workgroup_id_z 0
		.amdhsa_system_sgpr_workgroup_info 0
		.amdhsa_system_vgpr_workitem_id 0
		.amdhsa_next_free_vgpr 86
		.amdhsa_next_free_sgpr 26
		.amdhsa_reserve_vcc 1
		.amdhsa_float_round_mode_32 0
		.amdhsa_float_round_mode_16_64 0
		.amdhsa_float_denorm_mode_32 3
		.amdhsa_float_denorm_mode_16_64 3
		.amdhsa_dx10_clamp 1
		.amdhsa_ieee_mode 1
		.amdhsa_fp16_overflow 0
		.amdhsa_workgroup_processor_mode 1
		.amdhsa_memory_ordered 1
		.amdhsa_forward_progress 0
		.amdhsa_shared_vgpr_count 0
		.amdhsa_exception_fp_ieee_invalid_op 0
		.amdhsa_exception_fp_denorm_src 0
		.amdhsa_exception_fp_ieee_div_zero 0
		.amdhsa_exception_fp_ieee_overflow 0
		.amdhsa_exception_fp_ieee_underflow 0
		.amdhsa_exception_fp_ieee_inexact 0
		.amdhsa_exception_int_div_zero 0
	.end_amdhsa_kernel
	.section	.text._ZN7rocprim17ROCPRIM_400000_NS6detail17trampoline_kernelINS0_14default_configENS1_25partition_config_selectorILNS1_17partition_subalgoE9EsjbEEZZNS1_14partition_implILS5_9ELb0ES3_jN6thrust23THRUST_200600_302600_NS6detail15normal_iteratorINS9_10device_ptrIsEEEENSB_INSC_IjEEEEPNS0_10empty_typeENS0_5tupleIJSE_SH_EEENSJ_IJNS9_16discard_iteratorINS9_11use_defaultEEESI_EEENS0_18inequality_wrapperINS9_8equal_toIsEEEEPmJSH_EEE10hipError_tPvRmT3_T4_T5_T6_T7_T9_mT8_P12ihipStream_tbDpT10_ENKUlT_T0_E_clISt17integral_constantIbLb1EES1D_EEDaS18_S19_EUlS18_E_NS1_11comp_targetILNS1_3genE9ELNS1_11target_archE1100ELNS1_3gpuE3ELNS1_3repE0EEENS1_30default_config_static_selectorELNS0_4arch9wavefront6targetE0EEEvT1_,"axG",@progbits,_ZN7rocprim17ROCPRIM_400000_NS6detail17trampoline_kernelINS0_14default_configENS1_25partition_config_selectorILNS1_17partition_subalgoE9EsjbEEZZNS1_14partition_implILS5_9ELb0ES3_jN6thrust23THRUST_200600_302600_NS6detail15normal_iteratorINS9_10device_ptrIsEEEENSB_INSC_IjEEEEPNS0_10empty_typeENS0_5tupleIJSE_SH_EEENSJ_IJNS9_16discard_iteratorINS9_11use_defaultEEESI_EEENS0_18inequality_wrapperINS9_8equal_toIsEEEEPmJSH_EEE10hipError_tPvRmT3_T4_T5_T6_T7_T9_mT8_P12ihipStream_tbDpT10_ENKUlT_T0_E_clISt17integral_constantIbLb1EES1D_EEDaS18_S19_EUlS18_E_NS1_11comp_targetILNS1_3genE9ELNS1_11target_archE1100ELNS1_3gpuE3ELNS1_3repE0EEENS1_30default_config_static_selectorELNS0_4arch9wavefront6targetE0EEEvT1_,comdat
.Lfunc_end1219:
	.size	_ZN7rocprim17ROCPRIM_400000_NS6detail17trampoline_kernelINS0_14default_configENS1_25partition_config_selectorILNS1_17partition_subalgoE9EsjbEEZZNS1_14partition_implILS5_9ELb0ES3_jN6thrust23THRUST_200600_302600_NS6detail15normal_iteratorINS9_10device_ptrIsEEEENSB_INSC_IjEEEEPNS0_10empty_typeENS0_5tupleIJSE_SH_EEENSJ_IJNS9_16discard_iteratorINS9_11use_defaultEEESI_EEENS0_18inequality_wrapperINS9_8equal_toIsEEEEPmJSH_EEE10hipError_tPvRmT3_T4_T5_T6_T7_T9_mT8_P12ihipStream_tbDpT10_ENKUlT_T0_E_clISt17integral_constantIbLb1EES1D_EEDaS18_S19_EUlS18_E_NS1_11comp_targetILNS1_3genE9ELNS1_11target_archE1100ELNS1_3gpuE3ELNS1_3repE0EEENS1_30default_config_static_selectorELNS0_4arch9wavefront6targetE0EEEvT1_, .Lfunc_end1219-_ZN7rocprim17ROCPRIM_400000_NS6detail17trampoline_kernelINS0_14default_configENS1_25partition_config_selectorILNS1_17partition_subalgoE9EsjbEEZZNS1_14partition_implILS5_9ELb0ES3_jN6thrust23THRUST_200600_302600_NS6detail15normal_iteratorINS9_10device_ptrIsEEEENSB_INSC_IjEEEEPNS0_10empty_typeENS0_5tupleIJSE_SH_EEENSJ_IJNS9_16discard_iteratorINS9_11use_defaultEEESI_EEENS0_18inequality_wrapperINS9_8equal_toIsEEEEPmJSH_EEE10hipError_tPvRmT3_T4_T5_T6_T7_T9_mT8_P12ihipStream_tbDpT10_ENKUlT_T0_E_clISt17integral_constantIbLb1EES1D_EEDaS18_S19_EUlS18_E_NS1_11comp_targetILNS1_3genE9ELNS1_11target_archE1100ELNS1_3gpuE3ELNS1_3repE0EEENS1_30default_config_static_selectorELNS0_4arch9wavefront6targetE0EEEvT1_
                                        ; -- End function
	.section	.AMDGPU.csdata,"",@progbits
; Kernel info:
; codeLenInByte = 10920
; NumSgprs: 28
; NumVgprs: 86
; ScratchSize: 0
; MemoryBound: 0
; FloatMode: 240
; IeeeMode: 1
; LDSByteSize: 5640 bytes/workgroup (compile time only)
; SGPRBlocks: 3
; VGPRBlocks: 10
; NumSGPRsForWavesPerEU: 28
; NumVGPRsForWavesPerEU: 86
; Occupancy: 16
; WaveLimiterHint : 1
; COMPUTE_PGM_RSRC2:SCRATCH_EN: 0
; COMPUTE_PGM_RSRC2:USER_SGPR: 15
; COMPUTE_PGM_RSRC2:TRAP_HANDLER: 0
; COMPUTE_PGM_RSRC2:TGID_X_EN: 1
; COMPUTE_PGM_RSRC2:TGID_Y_EN: 0
; COMPUTE_PGM_RSRC2:TGID_Z_EN: 0
; COMPUTE_PGM_RSRC2:TIDIG_COMP_CNT: 0
	.section	.text._ZN7rocprim17ROCPRIM_400000_NS6detail17trampoline_kernelINS0_14default_configENS1_25partition_config_selectorILNS1_17partition_subalgoE9EsjbEEZZNS1_14partition_implILS5_9ELb0ES3_jN6thrust23THRUST_200600_302600_NS6detail15normal_iteratorINS9_10device_ptrIsEEEENSB_INSC_IjEEEEPNS0_10empty_typeENS0_5tupleIJSE_SH_EEENSJ_IJNS9_16discard_iteratorINS9_11use_defaultEEESI_EEENS0_18inequality_wrapperINS9_8equal_toIsEEEEPmJSH_EEE10hipError_tPvRmT3_T4_T5_T6_T7_T9_mT8_P12ihipStream_tbDpT10_ENKUlT_T0_E_clISt17integral_constantIbLb1EES1D_EEDaS18_S19_EUlS18_E_NS1_11comp_targetILNS1_3genE8ELNS1_11target_archE1030ELNS1_3gpuE2ELNS1_3repE0EEENS1_30default_config_static_selectorELNS0_4arch9wavefront6targetE0EEEvT1_,"axG",@progbits,_ZN7rocprim17ROCPRIM_400000_NS6detail17trampoline_kernelINS0_14default_configENS1_25partition_config_selectorILNS1_17partition_subalgoE9EsjbEEZZNS1_14partition_implILS5_9ELb0ES3_jN6thrust23THRUST_200600_302600_NS6detail15normal_iteratorINS9_10device_ptrIsEEEENSB_INSC_IjEEEEPNS0_10empty_typeENS0_5tupleIJSE_SH_EEENSJ_IJNS9_16discard_iteratorINS9_11use_defaultEEESI_EEENS0_18inequality_wrapperINS9_8equal_toIsEEEEPmJSH_EEE10hipError_tPvRmT3_T4_T5_T6_T7_T9_mT8_P12ihipStream_tbDpT10_ENKUlT_T0_E_clISt17integral_constantIbLb1EES1D_EEDaS18_S19_EUlS18_E_NS1_11comp_targetILNS1_3genE8ELNS1_11target_archE1030ELNS1_3gpuE2ELNS1_3repE0EEENS1_30default_config_static_selectorELNS0_4arch9wavefront6targetE0EEEvT1_,comdat
	.protected	_ZN7rocprim17ROCPRIM_400000_NS6detail17trampoline_kernelINS0_14default_configENS1_25partition_config_selectorILNS1_17partition_subalgoE9EsjbEEZZNS1_14partition_implILS5_9ELb0ES3_jN6thrust23THRUST_200600_302600_NS6detail15normal_iteratorINS9_10device_ptrIsEEEENSB_INSC_IjEEEEPNS0_10empty_typeENS0_5tupleIJSE_SH_EEENSJ_IJNS9_16discard_iteratorINS9_11use_defaultEEESI_EEENS0_18inequality_wrapperINS9_8equal_toIsEEEEPmJSH_EEE10hipError_tPvRmT3_T4_T5_T6_T7_T9_mT8_P12ihipStream_tbDpT10_ENKUlT_T0_E_clISt17integral_constantIbLb1EES1D_EEDaS18_S19_EUlS18_E_NS1_11comp_targetILNS1_3genE8ELNS1_11target_archE1030ELNS1_3gpuE2ELNS1_3repE0EEENS1_30default_config_static_selectorELNS0_4arch9wavefront6targetE0EEEvT1_ ; -- Begin function _ZN7rocprim17ROCPRIM_400000_NS6detail17trampoline_kernelINS0_14default_configENS1_25partition_config_selectorILNS1_17partition_subalgoE9EsjbEEZZNS1_14partition_implILS5_9ELb0ES3_jN6thrust23THRUST_200600_302600_NS6detail15normal_iteratorINS9_10device_ptrIsEEEENSB_INSC_IjEEEEPNS0_10empty_typeENS0_5tupleIJSE_SH_EEENSJ_IJNS9_16discard_iteratorINS9_11use_defaultEEESI_EEENS0_18inequality_wrapperINS9_8equal_toIsEEEEPmJSH_EEE10hipError_tPvRmT3_T4_T5_T6_T7_T9_mT8_P12ihipStream_tbDpT10_ENKUlT_T0_E_clISt17integral_constantIbLb1EES1D_EEDaS18_S19_EUlS18_E_NS1_11comp_targetILNS1_3genE8ELNS1_11target_archE1030ELNS1_3gpuE2ELNS1_3repE0EEENS1_30default_config_static_selectorELNS0_4arch9wavefront6targetE0EEEvT1_
	.globl	_ZN7rocprim17ROCPRIM_400000_NS6detail17trampoline_kernelINS0_14default_configENS1_25partition_config_selectorILNS1_17partition_subalgoE9EsjbEEZZNS1_14partition_implILS5_9ELb0ES3_jN6thrust23THRUST_200600_302600_NS6detail15normal_iteratorINS9_10device_ptrIsEEEENSB_INSC_IjEEEEPNS0_10empty_typeENS0_5tupleIJSE_SH_EEENSJ_IJNS9_16discard_iteratorINS9_11use_defaultEEESI_EEENS0_18inequality_wrapperINS9_8equal_toIsEEEEPmJSH_EEE10hipError_tPvRmT3_T4_T5_T6_T7_T9_mT8_P12ihipStream_tbDpT10_ENKUlT_T0_E_clISt17integral_constantIbLb1EES1D_EEDaS18_S19_EUlS18_E_NS1_11comp_targetILNS1_3genE8ELNS1_11target_archE1030ELNS1_3gpuE2ELNS1_3repE0EEENS1_30default_config_static_selectorELNS0_4arch9wavefront6targetE0EEEvT1_
	.p2align	8
	.type	_ZN7rocprim17ROCPRIM_400000_NS6detail17trampoline_kernelINS0_14default_configENS1_25partition_config_selectorILNS1_17partition_subalgoE9EsjbEEZZNS1_14partition_implILS5_9ELb0ES3_jN6thrust23THRUST_200600_302600_NS6detail15normal_iteratorINS9_10device_ptrIsEEEENSB_INSC_IjEEEEPNS0_10empty_typeENS0_5tupleIJSE_SH_EEENSJ_IJNS9_16discard_iteratorINS9_11use_defaultEEESI_EEENS0_18inequality_wrapperINS9_8equal_toIsEEEEPmJSH_EEE10hipError_tPvRmT3_T4_T5_T6_T7_T9_mT8_P12ihipStream_tbDpT10_ENKUlT_T0_E_clISt17integral_constantIbLb1EES1D_EEDaS18_S19_EUlS18_E_NS1_11comp_targetILNS1_3genE8ELNS1_11target_archE1030ELNS1_3gpuE2ELNS1_3repE0EEENS1_30default_config_static_selectorELNS0_4arch9wavefront6targetE0EEEvT1_,@function
_ZN7rocprim17ROCPRIM_400000_NS6detail17trampoline_kernelINS0_14default_configENS1_25partition_config_selectorILNS1_17partition_subalgoE9EsjbEEZZNS1_14partition_implILS5_9ELb0ES3_jN6thrust23THRUST_200600_302600_NS6detail15normal_iteratorINS9_10device_ptrIsEEEENSB_INSC_IjEEEEPNS0_10empty_typeENS0_5tupleIJSE_SH_EEENSJ_IJNS9_16discard_iteratorINS9_11use_defaultEEESI_EEENS0_18inequality_wrapperINS9_8equal_toIsEEEEPmJSH_EEE10hipError_tPvRmT3_T4_T5_T6_T7_T9_mT8_P12ihipStream_tbDpT10_ENKUlT_T0_E_clISt17integral_constantIbLb1EES1D_EEDaS18_S19_EUlS18_E_NS1_11comp_targetILNS1_3genE8ELNS1_11target_archE1030ELNS1_3gpuE2ELNS1_3repE0EEENS1_30default_config_static_selectorELNS0_4arch9wavefront6targetE0EEEvT1_: ; @_ZN7rocprim17ROCPRIM_400000_NS6detail17trampoline_kernelINS0_14default_configENS1_25partition_config_selectorILNS1_17partition_subalgoE9EsjbEEZZNS1_14partition_implILS5_9ELb0ES3_jN6thrust23THRUST_200600_302600_NS6detail15normal_iteratorINS9_10device_ptrIsEEEENSB_INSC_IjEEEEPNS0_10empty_typeENS0_5tupleIJSE_SH_EEENSJ_IJNS9_16discard_iteratorINS9_11use_defaultEEESI_EEENS0_18inequality_wrapperINS9_8equal_toIsEEEEPmJSH_EEE10hipError_tPvRmT3_T4_T5_T6_T7_T9_mT8_P12ihipStream_tbDpT10_ENKUlT_T0_E_clISt17integral_constantIbLb1EES1D_EEDaS18_S19_EUlS18_E_NS1_11comp_targetILNS1_3genE8ELNS1_11target_archE1030ELNS1_3gpuE2ELNS1_3repE0EEENS1_30default_config_static_selectorELNS0_4arch9wavefront6targetE0EEEvT1_
; %bb.0:
	.section	.rodata,"a",@progbits
	.p2align	6, 0x0
	.amdhsa_kernel _ZN7rocprim17ROCPRIM_400000_NS6detail17trampoline_kernelINS0_14default_configENS1_25partition_config_selectorILNS1_17partition_subalgoE9EsjbEEZZNS1_14partition_implILS5_9ELb0ES3_jN6thrust23THRUST_200600_302600_NS6detail15normal_iteratorINS9_10device_ptrIsEEEENSB_INSC_IjEEEEPNS0_10empty_typeENS0_5tupleIJSE_SH_EEENSJ_IJNS9_16discard_iteratorINS9_11use_defaultEEESI_EEENS0_18inequality_wrapperINS9_8equal_toIsEEEEPmJSH_EEE10hipError_tPvRmT3_T4_T5_T6_T7_T9_mT8_P12ihipStream_tbDpT10_ENKUlT_T0_E_clISt17integral_constantIbLb1EES1D_EEDaS18_S19_EUlS18_E_NS1_11comp_targetILNS1_3genE8ELNS1_11target_archE1030ELNS1_3gpuE2ELNS1_3repE0EEENS1_30default_config_static_selectorELNS0_4arch9wavefront6targetE0EEEvT1_
		.amdhsa_group_segment_fixed_size 0
		.amdhsa_private_segment_fixed_size 0
		.amdhsa_kernarg_size 136
		.amdhsa_user_sgpr_count 15
		.amdhsa_user_sgpr_dispatch_ptr 0
		.amdhsa_user_sgpr_queue_ptr 0
		.amdhsa_user_sgpr_kernarg_segment_ptr 1
		.amdhsa_user_sgpr_dispatch_id 0
		.amdhsa_user_sgpr_private_segment_size 0
		.amdhsa_wavefront_size32 1
		.amdhsa_uses_dynamic_stack 0
		.amdhsa_enable_private_segment 0
		.amdhsa_system_sgpr_workgroup_id_x 1
		.amdhsa_system_sgpr_workgroup_id_y 0
		.amdhsa_system_sgpr_workgroup_id_z 0
		.amdhsa_system_sgpr_workgroup_info 0
		.amdhsa_system_vgpr_workitem_id 0
		.amdhsa_next_free_vgpr 1
		.amdhsa_next_free_sgpr 1
		.amdhsa_reserve_vcc 0
		.amdhsa_float_round_mode_32 0
		.amdhsa_float_round_mode_16_64 0
		.amdhsa_float_denorm_mode_32 3
		.amdhsa_float_denorm_mode_16_64 3
		.amdhsa_dx10_clamp 1
		.amdhsa_ieee_mode 1
		.amdhsa_fp16_overflow 0
		.amdhsa_workgroup_processor_mode 1
		.amdhsa_memory_ordered 1
		.amdhsa_forward_progress 0
		.amdhsa_shared_vgpr_count 0
		.amdhsa_exception_fp_ieee_invalid_op 0
		.amdhsa_exception_fp_denorm_src 0
		.amdhsa_exception_fp_ieee_div_zero 0
		.amdhsa_exception_fp_ieee_overflow 0
		.amdhsa_exception_fp_ieee_underflow 0
		.amdhsa_exception_fp_ieee_inexact 0
		.amdhsa_exception_int_div_zero 0
	.end_amdhsa_kernel
	.section	.text._ZN7rocprim17ROCPRIM_400000_NS6detail17trampoline_kernelINS0_14default_configENS1_25partition_config_selectorILNS1_17partition_subalgoE9EsjbEEZZNS1_14partition_implILS5_9ELb0ES3_jN6thrust23THRUST_200600_302600_NS6detail15normal_iteratorINS9_10device_ptrIsEEEENSB_INSC_IjEEEEPNS0_10empty_typeENS0_5tupleIJSE_SH_EEENSJ_IJNS9_16discard_iteratorINS9_11use_defaultEEESI_EEENS0_18inequality_wrapperINS9_8equal_toIsEEEEPmJSH_EEE10hipError_tPvRmT3_T4_T5_T6_T7_T9_mT8_P12ihipStream_tbDpT10_ENKUlT_T0_E_clISt17integral_constantIbLb1EES1D_EEDaS18_S19_EUlS18_E_NS1_11comp_targetILNS1_3genE8ELNS1_11target_archE1030ELNS1_3gpuE2ELNS1_3repE0EEENS1_30default_config_static_selectorELNS0_4arch9wavefront6targetE0EEEvT1_,"axG",@progbits,_ZN7rocprim17ROCPRIM_400000_NS6detail17trampoline_kernelINS0_14default_configENS1_25partition_config_selectorILNS1_17partition_subalgoE9EsjbEEZZNS1_14partition_implILS5_9ELb0ES3_jN6thrust23THRUST_200600_302600_NS6detail15normal_iteratorINS9_10device_ptrIsEEEENSB_INSC_IjEEEEPNS0_10empty_typeENS0_5tupleIJSE_SH_EEENSJ_IJNS9_16discard_iteratorINS9_11use_defaultEEESI_EEENS0_18inequality_wrapperINS9_8equal_toIsEEEEPmJSH_EEE10hipError_tPvRmT3_T4_T5_T6_T7_T9_mT8_P12ihipStream_tbDpT10_ENKUlT_T0_E_clISt17integral_constantIbLb1EES1D_EEDaS18_S19_EUlS18_E_NS1_11comp_targetILNS1_3genE8ELNS1_11target_archE1030ELNS1_3gpuE2ELNS1_3repE0EEENS1_30default_config_static_selectorELNS0_4arch9wavefront6targetE0EEEvT1_,comdat
.Lfunc_end1220:
	.size	_ZN7rocprim17ROCPRIM_400000_NS6detail17trampoline_kernelINS0_14default_configENS1_25partition_config_selectorILNS1_17partition_subalgoE9EsjbEEZZNS1_14partition_implILS5_9ELb0ES3_jN6thrust23THRUST_200600_302600_NS6detail15normal_iteratorINS9_10device_ptrIsEEEENSB_INSC_IjEEEEPNS0_10empty_typeENS0_5tupleIJSE_SH_EEENSJ_IJNS9_16discard_iteratorINS9_11use_defaultEEESI_EEENS0_18inequality_wrapperINS9_8equal_toIsEEEEPmJSH_EEE10hipError_tPvRmT3_T4_T5_T6_T7_T9_mT8_P12ihipStream_tbDpT10_ENKUlT_T0_E_clISt17integral_constantIbLb1EES1D_EEDaS18_S19_EUlS18_E_NS1_11comp_targetILNS1_3genE8ELNS1_11target_archE1030ELNS1_3gpuE2ELNS1_3repE0EEENS1_30default_config_static_selectorELNS0_4arch9wavefront6targetE0EEEvT1_, .Lfunc_end1220-_ZN7rocprim17ROCPRIM_400000_NS6detail17trampoline_kernelINS0_14default_configENS1_25partition_config_selectorILNS1_17partition_subalgoE9EsjbEEZZNS1_14partition_implILS5_9ELb0ES3_jN6thrust23THRUST_200600_302600_NS6detail15normal_iteratorINS9_10device_ptrIsEEEENSB_INSC_IjEEEEPNS0_10empty_typeENS0_5tupleIJSE_SH_EEENSJ_IJNS9_16discard_iteratorINS9_11use_defaultEEESI_EEENS0_18inequality_wrapperINS9_8equal_toIsEEEEPmJSH_EEE10hipError_tPvRmT3_T4_T5_T6_T7_T9_mT8_P12ihipStream_tbDpT10_ENKUlT_T0_E_clISt17integral_constantIbLb1EES1D_EEDaS18_S19_EUlS18_E_NS1_11comp_targetILNS1_3genE8ELNS1_11target_archE1030ELNS1_3gpuE2ELNS1_3repE0EEENS1_30default_config_static_selectorELNS0_4arch9wavefront6targetE0EEEvT1_
                                        ; -- End function
	.section	.AMDGPU.csdata,"",@progbits
; Kernel info:
; codeLenInByte = 0
; NumSgprs: 0
; NumVgprs: 0
; ScratchSize: 0
; MemoryBound: 0
; FloatMode: 240
; IeeeMode: 1
; LDSByteSize: 0 bytes/workgroup (compile time only)
; SGPRBlocks: 0
; VGPRBlocks: 0
; NumSGPRsForWavesPerEU: 1
; NumVGPRsForWavesPerEU: 1
; Occupancy: 16
; WaveLimiterHint : 0
; COMPUTE_PGM_RSRC2:SCRATCH_EN: 0
; COMPUTE_PGM_RSRC2:USER_SGPR: 15
; COMPUTE_PGM_RSRC2:TRAP_HANDLER: 0
; COMPUTE_PGM_RSRC2:TGID_X_EN: 1
; COMPUTE_PGM_RSRC2:TGID_Y_EN: 0
; COMPUTE_PGM_RSRC2:TGID_Z_EN: 0
; COMPUTE_PGM_RSRC2:TIDIG_COMP_CNT: 0
	.section	.text._ZN7rocprim17ROCPRIM_400000_NS6detail17trampoline_kernelINS0_14default_configENS1_25partition_config_selectorILNS1_17partition_subalgoE9EsjbEEZZNS1_14partition_implILS5_9ELb0ES3_jN6thrust23THRUST_200600_302600_NS6detail15normal_iteratorINS9_10device_ptrIsEEEENSB_INSC_IjEEEEPNS0_10empty_typeENS0_5tupleIJSE_SH_EEENSJ_IJNS9_16discard_iteratorINS9_11use_defaultEEESI_EEENS0_18inequality_wrapperINS9_8equal_toIsEEEEPmJSH_EEE10hipError_tPvRmT3_T4_T5_T6_T7_T9_mT8_P12ihipStream_tbDpT10_ENKUlT_T0_E_clISt17integral_constantIbLb1EES1C_IbLb0EEEEDaS18_S19_EUlS18_E_NS1_11comp_targetILNS1_3genE0ELNS1_11target_archE4294967295ELNS1_3gpuE0ELNS1_3repE0EEENS1_30default_config_static_selectorELNS0_4arch9wavefront6targetE0EEEvT1_,"axG",@progbits,_ZN7rocprim17ROCPRIM_400000_NS6detail17trampoline_kernelINS0_14default_configENS1_25partition_config_selectorILNS1_17partition_subalgoE9EsjbEEZZNS1_14partition_implILS5_9ELb0ES3_jN6thrust23THRUST_200600_302600_NS6detail15normal_iteratorINS9_10device_ptrIsEEEENSB_INSC_IjEEEEPNS0_10empty_typeENS0_5tupleIJSE_SH_EEENSJ_IJNS9_16discard_iteratorINS9_11use_defaultEEESI_EEENS0_18inequality_wrapperINS9_8equal_toIsEEEEPmJSH_EEE10hipError_tPvRmT3_T4_T5_T6_T7_T9_mT8_P12ihipStream_tbDpT10_ENKUlT_T0_E_clISt17integral_constantIbLb1EES1C_IbLb0EEEEDaS18_S19_EUlS18_E_NS1_11comp_targetILNS1_3genE0ELNS1_11target_archE4294967295ELNS1_3gpuE0ELNS1_3repE0EEENS1_30default_config_static_selectorELNS0_4arch9wavefront6targetE0EEEvT1_,comdat
	.protected	_ZN7rocprim17ROCPRIM_400000_NS6detail17trampoline_kernelINS0_14default_configENS1_25partition_config_selectorILNS1_17partition_subalgoE9EsjbEEZZNS1_14partition_implILS5_9ELb0ES3_jN6thrust23THRUST_200600_302600_NS6detail15normal_iteratorINS9_10device_ptrIsEEEENSB_INSC_IjEEEEPNS0_10empty_typeENS0_5tupleIJSE_SH_EEENSJ_IJNS9_16discard_iteratorINS9_11use_defaultEEESI_EEENS0_18inequality_wrapperINS9_8equal_toIsEEEEPmJSH_EEE10hipError_tPvRmT3_T4_T5_T6_T7_T9_mT8_P12ihipStream_tbDpT10_ENKUlT_T0_E_clISt17integral_constantIbLb1EES1C_IbLb0EEEEDaS18_S19_EUlS18_E_NS1_11comp_targetILNS1_3genE0ELNS1_11target_archE4294967295ELNS1_3gpuE0ELNS1_3repE0EEENS1_30default_config_static_selectorELNS0_4arch9wavefront6targetE0EEEvT1_ ; -- Begin function _ZN7rocprim17ROCPRIM_400000_NS6detail17trampoline_kernelINS0_14default_configENS1_25partition_config_selectorILNS1_17partition_subalgoE9EsjbEEZZNS1_14partition_implILS5_9ELb0ES3_jN6thrust23THRUST_200600_302600_NS6detail15normal_iteratorINS9_10device_ptrIsEEEENSB_INSC_IjEEEEPNS0_10empty_typeENS0_5tupleIJSE_SH_EEENSJ_IJNS9_16discard_iteratorINS9_11use_defaultEEESI_EEENS0_18inequality_wrapperINS9_8equal_toIsEEEEPmJSH_EEE10hipError_tPvRmT3_T4_T5_T6_T7_T9_mT8_P12ihipStream_tbDpT10_ENKUlT_T0_E_clISt17integral_constantIbLb1EES1C_IbLb0EEEEDaS18_S19_EUlS18_E_NS1_11comp_targetILNS1_3genE0ELNS1_11target_archE4294967295ELNS1_3gpuE0ELNS1_3repE0EEENS1_30default_config_static_selectorELNS0_4arch9wavefront6targetE0EEEvT1_
	.globl	_ZN7rocprim17ROCPRIM_400000_NS6detail17trampoline_kernelINS0_14default_configENS1_25partition_config_selectorILNS1_17partition_subalgoE9EsjbEEZZNS1_14partition_implILS5_9ELb0ES3_jN6thrust23THRUST_200600_302600_NS6detail15normal_iteratorINS9_10device_ptrIsEEEENSB_INSC_IjEEEEPNS0_10empty_typeENS0_5tupleIJSE_SH_EEENSJ_IJNS9_16discard_iteratorINS9_11use_defaultEEESI_EEENS0_18inequality_wrapperINS9_8equal_toIsEEEEPmJSH_EEE10hipError_tPvRmT3_T4_T5_T6_T7_T9_mT8_P12ihipStream_tbDpT10_ENKUlT_T0_E_clISt17integral_constantIbLb1EES1C_IbLb0EEEEDaS18_S19_EUlS18_E_NS1_11comp_targetILNS1_3genE0ELNS1_11target_archE4294967295ELNS1_3gpuE0ELNS1_3repE0EEENS1_30default_config_static_selectorELNS0_4arch9wavefront6targetE0EEEvT1_
	.p2align	8
	.type	_ZN7rocprim17ROCPRIM_400000_NS6detail17trampoline_kernelINS0_14default_configENS1_25partition_config_selectorILNS1_17partition_subalgoE9EsjbEEZZNS1_14partition_implILS5_9ELb0ES3_jN6thrust23THRUST_200600_302600_NS6detail15normal_iteratorINS9_10device_ptrIsEEEENSB_INSC_IjEEEEPNS0_10empty_typeENS0_5tupleIJSE_SH_EEENSJ_IJNS9_16discard_iteratorINS9_11use_defaultEEESI_EEENS0_18inequality_wrapperINS9_8equal_toIsEEEEPmJSH_EEE10hipError_tPvRmT3_T4_T5_T6_T7_T9_mT8_P12ihipStream_tbDpT10_ENKUlT_T0_E_clISt17integral_constantIbLb1EES1C_IbLb0EEEEDaS18_S19_EUlS18_E_NS1_11comp_targetILNS1_3genE0ELNS1_11target_archE4294967295ELNS1_3gpuE0ELNS1_3repE0EEENS1_30default_config_static_selectorELNS0_4arch9wavefront6targetE0EEEvT1_,@function
_ZN7rocprim17ROCPRIM_400000_NS6detail17trampoline_kernelINS0_14default_configENS1_25partition_config_selectorILNS1_17partition_subalgoE9EsjbEEZZNS1_14partition_implILS5_9ELb0ES3_jN6thrust23THRUST_200600_302600_NS6detail15normal_iteratorINS9_10device_ptrIsEEEENSB_INSC_IjEEEEPNS0_10empty_typeENS0_5tupleIJSE_SH_EEENSJ_IJNS9_16discard_iteratorINS9_11use_defaultEEESI_EEENS0_18inequality_wrapperINS9_8equal_toIsEEEEPmJSH_EEE10hipError_tPvRmT3_T4_T5_T6_T7_T9_mT8_P12ihipStream_tbDpT10_ENKUlT_T0_E_clISt17integral_constantIbLb1EES1C_IbLb0EEEEDaS18_S19_EUlS18_E_NS1_11comp_targetILNS1_3genE0ELNS1_11target_archE4294967295ELNS1_3gpuE0ELNS1_3repE0EEENS1_30default_config_static_selectorELNS0_4arch9wavefront6targetE0EEEvT1_: ; @_ZN7rocprim17ROCPRIM_400000_NS6detail17trampoline_kernelINS0_14default_configENS1_25partition_config_selectorILNS1_17partition_subalgoE9EsjbEEZZNS1_14partition_implILS5_9ELb0ES3_jN6thrust23THRUST_200600_302600_NS6detail15normal_iteratorINS9_10device_ptrIsEEEENSB_INSC_IjEEEEPNS0_10empty_typeENS0_5tupleIJSE_SH_EEENSJ_IJNS9_16discard_iteratorINS9_11use_defaultEEESI_EEENS0_18inequality_wrapperINS9_8equal_toIsEEEEPmJSH_EEE10hipError_tPvRmT3_T4_T5_T6_T7_T9_mT8_P12ihipStream_tbDpT10_ENKUlT_T0_E_clISt17integral_constantIbLb1EES1C_IbLb0EEEEDaS18_S19_EUlS18_E_NS1_11comp_targetILNS1_3genE0ELNS1_11target_archE4294967295ELNS1_3gpuE0ELNS1_3repE0EEENS1_30default_config_static_selectorELNS0_4arch9wavefront6targetE0EEEvT1_
; %bb.0:
	.section	.rodata,"a",@progbits
	.p2align	6, 0x0
	.amdhsa_kernel _ZN7rocprim17ROCPRIM_400000_NS6detail17trampoline_kernelINS0_14default_configENS1_25partition_config_selectorILNS1_17partition_subalgoE9EsjbEEZZNS1_14partition_implILS5_9ELb0ES3_jN6thrust23THRUST_200600_302600_NS6detail15normal_iteratorINS9_10device_ptrIsEEEENSB_INSC_IjEEEEPNS0_10empty_typeENS0_5tupleIJSE_SH_EEENSJ_IJNS9_16discard_iteratorINS9_11use_defaultEEESI_EEENS0_18inequality_wrapperINS9_8equal_toIsEEEEPmJSH_EEE10hipError_tPvRmT3_T4_T5_T6_T7_T9_mT8_P12ihipStream_tbDpT10_ENKUlT_T0_E_clISt17integral_constantIbLb1EES1C_IbLb0EEEEDaS18_S19_EUlS18_E_NS1_11comp_targetILNS1_3genE0ELNS1_11target_archE4294967295ELNS1_3gpuE0ELNS1_3repE0EEENS1_30default_config_static_selectorELNS0_4arch9wavefront6targetE0EEEvT1_
		.amdhsa_group_segment_fixed_size 0
		.amdhsa_private_segment_fixed_size 0
		.amdhsa_kernarg_size 120
		.amdhsa_user_sgpr_count 15
		.amdhsa_user_sgpr_dispatch_ptr 0
		.amdhsa_user_sgpr_queue_ptr 0
		.amdhsa_user_sgpr_kernarg_segment_ptr 1
		.amdhsa_user_sgpr_dispatch_id 0
		.amdhsa_user_sgpr_private_segment_size 0
		.amdhsa_wavefront_size32 1
		.amdhsa_uses_dynamic_stack 0
		.amdhsa_enable_private_segment 0
		.amdhsa_system_sgpr_workgroup_id_x 1
		.amdhsa_system_sgpr_workgroup_id_y 0
		.amdhsa_system_sgpr_workgroup_id_z 0
		.amdhsa_system_sgpr_workgroup_info 0
		.amdhsa_system_vgpr_workitem_id 0
		.amdhsa_next_free_vgpr 1
		.amdhsa_next_free_sgpr 1
		.amdhsa_reserve_vcc 0
		.amdhsa_float_round_mode_32 0
		.amdhsa_float_round_mode_16_64 0
		.amdhsa_float_denorm_mode_32 3
		.amdhsa_float_denorm_mode_16_64 3
		.amdhsa_dx10_clamp 1
		.amdhsa_ieee_mode 1
		.amdhsa_fp16_overflow 0
		.amdhsa_workgroup_processor_mode 1
		.amdhsa_memory_ordered 1
		.amdhsa_forward_progress 0
		.amdhsa_shared_vgpr_count 0
		.amdhsa_exception_fp_ieee_invalid_op 0
		.amdhsa_exception_fp_denorm_src 0
		.amdhsa_exception_fp_ieee_div_zero 0
		.amdhsa_exception_fp_ieee_overflow 0
		.amdhsa_exception_fp_ieee_underflow 0
		.amdhsa_exception_fp_ieee_inexact 0
		.amdhsa_exception_int_div_zero 0
	.end_amdhsa_kernel
	.section	.text._ZN7rocprim17ROCPRIM_400000_NS6detail17trampoline_kernelINS0_14default_configENS1_25partition_config_selectorILNS1_17partition_subalgoE9EsjbEEZZNS1_14partition_implILS5_9ELb0ES3_jN6thrust23THRUST_200600_302600_NS6detail15normal_iteratorINS9_10device_ptrIsEEEENSB_INSC_IjEEEEPNS0_10empty_typeENS0_5tupleIJSE_SH_EEENSJ_IJNS9_16discard_iteratorINS9_11use_defaultEEESI_EEENS0_18inequality_wrapperINS9_8equal_toIsEEEEPmJSH_EEE10hipError_tPvRmT3_T4_T5_T6_T7_T9_mT8_P12ihipStream_tbDpT10_ENKUlT_T0_E_clISt17integral_constantIbLb1EES1C_IbLb0EEEEDaS18_S19_EUlS18_E_NS1_11comp_targetILNS1_3genE0ELNS1_11target_archE4294967295ELNS1_3gpuE0ELNS1_3repE0EEENS1_30default_config_static_selectorELNS0_4arch9wavefront6targetE0EEEvT1_,"axG",@progbits,_ZN7rocprim17ROCPRIM_400000_NS6detail17trampoline_kernelINS0_14default_configENS1_25partition_config_selectorILNS1_17partition_subalgoE9EsjbEEZZNS1_14partition_implILS5_9ELb0ES3_jN6thrust23THRUST_200600_302600_NS6detail15normal_iteratorINS9_10device_ptrIsEEEENSB_INSC_IjEEEEPNS0_10empty_typeENS0_5tupleIJSE_SH_EEENSJ_IJNS9_16discard_iteratorINS9_11use_defaultEEESI_EEENS0_18inequality_wrapperINS9_8equal_toIsEEEEPmJSH_EEE10hipError_tPvRmT3_T4_T5_T6_T7_T9_mT8_P12ihipStream_tbDpT10_ENKUlT_T0_E_clISt17integral_constantIbLb1EES1C_IbLb0EEEEDaS18_S19_EUlS18_E_NS1_11comp_targetILNS1_3genE0ELNS1_11target_archE4294967295ELNS1_3gpuE0ELNS1_3repE0EEENS1_30default_config_static_selectorELNS0_4arch9wavefront6targetE0EEEvT1_,comdat
.Lfunc_end1221:
	.size	_ZN7rocprim17ROCPRIM_400000_NS6detail17trampoline_kernelINS0_14default_configENS1_25partition_config_selectorILNS1_17partition_subalgoE9EsjbEEZZNS1_14partition_implILS5_9ELb0ES3_jN6thrust23THRUST_200600_302600_NS6detail15normal_iteratorINS9_10device_ptrIsEEEENSB_INSC_IjEEEEPNS0_10empty_typeENS0_5tupleIJSE_SH_EEENSJ_IJNS9_16discard_iteratorINS9_11use_defaultEEESI_EEENS0_18inequality_wrapperINS9_8equal_toIsEEEEPmJSH_EEE10hipError_tPvRmT3_T4_T5_T6_T7_T9_mT8_P12ihipStream_tbDpT10_ENKUlT_T0_E_clISt17integral_constantIbLb1EES1C_IbLb0EEEEDaS18_S19_EUlS18_E_NS1_11comp_targetILNS1_3genE0ELNS1_11target_archE4294967295ELNS1_3gpuE0ELNS1_3repE0EEENS1_30default_config_static_selectorELNS0_4arch9wavefront6targetE0EEEvT1_, .Lfunc_end1221-_ZN7rocprim17ROCPRIM_400000_NS6detail17trampoline_kernelINS0_14default_configENS1_25partition_config_selectorILNS1_17partition_subalgoE9EsjbEEZZNS1_14partition_implILS5_9ELb0ES3_jN6thrust23THRUST_200600_302600_NS6detail15normal_iteratorINS9_10device_ptrIsEEEENSB_INSC_IjEEEEPNS0_10empty_typeENS0_5tupleIJSE_SH_EEENSJ_IJNS9_16discard_iteratorINS9_11use_defaultEEESI_EEENS0_18inequality_wrapperINS9_8equal_toIsEEEEPmJSH_EEE10hipError_tPvRmT3_T4_T5_T6_T7_T9_mT8_P12ihipStream_tbDpT10_ENKUlT_T0_E_clISt17integral_constantIbLb1EES1C_IbLb0EEEEDaS18_S19_EUlS18_E_NS1_11comp_targetILNS1_3genE0ELNS1_11target_archE4294967295ELNS1_3gpuE0ELNS1_3repE0EEENS1_30default_config_static_selectorELNS0_4arch9wavefront6targetE0EEEvT1_
                                        ; -- End function
	.section	.AMDGPU.csdata,"",@progbits
; Kernel info:
; codeLenInByte = 0
; NumSgprs: 0
; NumVgprs: 0
; ScratchSize: 0
; MemoryBound: 0
; FloatMode: 240
; IeeeMode: 1
; LDSByteSize: 0 bytes/workgroup (compile time only)
; SGPRBlocks: 0
; VGPRBlocks: 0
; NumSGPRsForWavesPerEU: 1
; NumVGPRsForWavesPerEU: 1
; Occupancy: 16
; WaveLimiterHint : 0
; COMPUTE_PGM_RSRC2:SCRATCH_EN: 0
; COMPUTE_PGM_RSRC2:USER_SGPR: 15
; COMPUTE_PGM_RSRC2:TRAP_HANDLER: 0
; COMPUTE_PGM_RSRC2:TGID_X_EN: 1
; COMPUTE_PGM_RSRC2:TGID_Y_EN: 0
; COMPUTE_PGM_RSRC2:TGID_Z_EN: 0
; COMPUTE_PGM_RSRC2:TIDIG_COMP_CNT: 0
	.section	.text._ZN7rocprim17ROCPRIM_400000_NS6detail17trampoline_kernelINS0_14default_configENS1_25partition_config_selectorILNS1_17partition_subalgoE9EsjbEEZZNS1_14partition_implILS5_9ELb0ES3_jN6thrust23THRUST_200600_302600_NS6detail15normal_iteratorINS9_10device_ptrIsEEEENSB_INSC_IjEEEEPNS0_10empty_typeENS0_5tupleIJSE_SH_EEENSJ_IJNS9_16discard_iteratorINS9_11use_defaultEEESI_EEENS0_18inequality_wrapperINS9_8equal_toIsEEEEPmJSH_EEE10hipError_tPvRmT3_T4_T5_T6_T7_T9_mT8_P12ihipStream_tbDpT10_ENKUlT_T0_E_clISt17integral_constantIbLb1EES1C_IbLb0EEEEDaS18_S19_EUlS18_E_NS1_11comp_targetILNS1_3genE5ELNS1_11target_archE942ELNS1_3gpuE9ELNS1_3repE0EEENS1_30default_config_static_selectorELNS0_4arch9wavefront6targetE0EEEvT1_,"axG",@progbits,_ZN7rocprim17ROCPRIM_400000_NS6detail17trampoline_kernelINS0_14default_configENS1_25partition_config_selectorILNS1_17partition_subalgoE9EsjbEEZZNS1_14partition_implILS5_9ELb0ES3_jN6thrust23THRUST_200600_302600_NS6detail15normal_iteratorINS9_10device_ptrIsEEEENSB_INSC_IjEEEEPNS0_10empty_typeENS0_5tupleIJSE_SH_EEENSJ_IJNS9_16discard_iteratorINS9_11use_defaultEEESI_EEENS0_18inequality_wrapperINS9_8equal_toIsEEEEPmJSH_EEE10hipError_tPvRmT3_T4_T5_T6_T7_T9_mT8_P12ihipStream_tbDpT10_ENKUlT_T0_E_clISt17integral_constantIbLb1EES1C_IbLb0EEEEDaS18_S19_EUlS18_E_NS1_11comp_targetILNS1_3genE5ELNS1_11target_archE942ELNS1_3gpuE9ELNS1_3repE0EEENS1_30default_config_static_selectorELNS0_4arch9wavefront6targetE0EEEvT1_,comdat
	.protected	_ZN7rocprim17ROCPRIM_400000_NS6detail17trampoline_kernelINS0_14default_configENS1_25partition_config_selectorILNS1_17partition_subalgoE9EsjbEEZZNS1_14partition_implILS5_9ELb0ES3_jN6thrust23THRUST_200600_302600_NS6detail15normal_iteratorINS9_10device_ptrIsEEEENSB_INSC_IjEEEEPNS0_10empty_typeENS0_5tupleIJSE_SH_EEENSJ_IJNS9_16discard_iteratorINS9_11use_defaultEEESI_EEENS0_18inequality_wrapperINS9_8equal_toIsEEEEPmJSH_EEE10hipError_tPvRmT3_T4_T5_T6_T7_T9_mT8_P12ihipStream_tbDpT10_ENKUlT_T0_E_clISt17integral_constantIbLb1EES1C_IbLb0EEEEDaS18_S19_EUlS18_E_NS1_11comp_targetILNS1_3genE5ELNS1_11target_archE942ELNS1_3gpuE9ELNS1_3repE0EEENS1_30default_config_static_selectorELNS0_4arch9wavefront6targetE0EEEvT1_ ; -- Begin function _ZN7rocprim17ROCPRIM_400000_NS6detail17trampoline_kernelINS0_14default_configENS1_25partition_config_selectorILNS1_17partition_subalgoE9EsjbEEZZNS1_14partition_implILS5_9ELb0ES3_jN6thrust23THRUST_200600_302600_NS6detail15normal_iteratorINS9_10device_ptrIsEEEENSB_INSC_IjEEEEPNS0_10empty_typeENS0_5tupleIJSE_SH_EEENSJ_IJNS9_16discard_iteratorINS9_11use_defaultEEESI_EEENS0_18inequality_wrapperINS9_8equal_toIsEEEEPmJSH_EEE10hipError_tPvRmT3_T4_T5_T6_T7_T9_mT8_P12ihipStream_tbDpT10_ENKUlT_T0_E_clISt17integral_constantIbLb1EES1C_IbLb0EEEEDaS18_S19_EUlS18_E_NS1_11comp_targetILNS1_3genE5ELNS1_11target_archE942ELNS1_3gpuE9ELNS1_3repE0EEENS1_30default_config_static_selectorELNS0_4arch9wavefront6targetE0EEEvT1_
	.globl	_ZN7rocprim17ROCPRIM_400000_NS6detail17trampoline_kernelINS0_14default_configENS1_25partition_config_selectorILNS1_17partition_subalgoE9EsjbEEZZNS1_14partition_implILS5_9ELb0ES3_jN6thrust23THRUST_200600_302600_NS6detail15normal_iteratorINS9_10device_ptrIsEEEENSB_INSC_IjEEEEPNS0_10empty_typeENS0_5tupleIJSE_SH_EEENSJ_IJNS9_16discard_iteratorINS9_11use_defaultEEESI_EEENS0_18inequality_wrapperINS9_8equal_toIsEEEEPmJSH_EEE10hipError_tPvRmT3_T4_T5_T6_T7_T9_mT8_P12ihipStream_tbDpT10_ENKUlT_T0_E_clISt17integral_constantIbLb1EES1C_IbLb0EEEEDaS18_S19_EUlS18_E_NS1_11comp_targetILNS1_3genE5ELNS1_11target_archE942ELNS1_3gpuE9ELNS1_3repE0EEENS1_30default_config_static_selectorELNS0_4arch9wavefront6targetE0EEEvT1_
	.p2align	8
	.type	_ZN7rocprim17ROCPRIM_400000_NS6detail17trampoline_kernelINS0_14default_configENS1_25partition_config_selectorILNS1_17partition_subalgoE9EsjbEEZZNS1_14partition_implILS5_9ELb0ES3_jN6thrust23THRUST_200600_302600_NS6detail15normal_iteratorINS9_10device_ptrIsEEEENSB_INSC_IjEEEEPNS0_10empty_typeENS0_5tupleIJSE_SH_EEENSJ_IJNS9_16discard_iteratorINS9_11use_defaultEEESI_EEENS0_18inequality_wrapperINS9_8equal_toIsEEEEPmJSH_EEE10hipError_tPvRmT3_T4_T5_T6_T7_T9_mT8_P12ihipStream_tbDpT10_ENKUlT_T0_E_clISt17integral_constantIbLb1EES1C_IbLb0EEEEDaS18_S19_EUlS18_E_NS1_11comp_targetILNS1_3genE5ELNS1_11target_archE942ELNS1_3gpuE9ELNS1_3repE0EEENS1_30default_config_static_selectorELNS0_4arch9wavefront6targetE0EEEvT1_,@function
_ZN7rocprim17ROCPRIM_400000_NS6detail17trampoline_kernelINS0_14default_configENS1_25partition_config_selectorILNS1_17partition_subalgoE9EsjbEEZZNS1_14partition_implILS5_9ELb0ES3_jN6thrust23THRUST_200600_302600_NS6detail15normal_iteratorINS9_10device_ptrIsEEEENSB_INSC_IjEEEEPNS0_10empty_typeENS0_5tupleIJSE_SH_EEENSJ_IJNS9_16discard_iteratorINS9_11use_defaultEEESI_EEENS0_18inequality_wrapperINS9_8equal_toIsEEEEPmJSH_EEE10hipError_tPvRmT3_T4_T5_T6_T7_T9_mT8_P12ihipStream_tbDpT10_ENKUlT_T0_E_clISt17integral_constantIbLb1EES1C_IbLb0EEEEDaS18_S19_EUlS18_E_NS1_11comp_targetILNS1_3genE5ELNS1_11target_archE942ELNS1_3gpuE9ELNS1_3repE0EEENS1_30default_config_static_selectorELNS0_4arch9wavefront6targetE0EEEvT1_: ; @_ZN7rocprim17ROCPRIM_400000_NS6detail17trampoline_kernelINS0_14default_configENS1_25partition_config_selectorILNS1_17partition_subalgoE9EsjbEEZZNS1_14partition_implILS5_9ELb0ES3_jN6thrust23THRUST_200600_302600_NS6detail15normal_iteratorINS9_10device_ptrIsEEEENSB_INSC_IjEEEEPNS0_10empty_typeENS0_5tupleIJSE_SH_EEENSJ_IJNS9_16discard_iteratorINS9_11use_defaultEEESI_EEENS0_18inequality_wrapperINS9_8equal_toIsEEEEPmJSH_EEE10hipError_tPvRmT3_T4_T5_T6_T7_T9_mT8_P12ihipStream_tbDpT10_ENKUlT_T0_E_clISt17integral_constantIbLb1EES1C_IbLb0EEEEDaS18_S19_EUlS18_E_NS1_11comp_targetILNS1_3genE5ELNS1_11target_archE942ELNS1_3gpuE9ELNS1_3repE0EEENS1_30default_config_static_selectorELNS0_4arch9wavefront6targetE0EEEvT1_
; %bb.0:
	.section	.rodata,"a",@progbits
	.p2align	6, 0x0
	.amdhsa_kernel _ZN7rocprim17ROCPRIM_400000_NS6detail17trampoline_kernelINS0_14default_configENS1_25partition_config_selectorILNS1_17partition_subalgoE9EsjbEEZZNS1_14partition_implILS5_9ELb0ES3_jN6thrust23THRUST_200600_302600_NS6detail15normal_iteratorINS9_10device_ptrIsEEEENSB_INSC_IjEEEEPNS0_10empty_typeENS0_5tupleIJSE_SH_EEENSJ_IJNS9_16discard_iteratorINS9_11use_defaultEEESI_EEENS0_18inequality_wrapperINS9_8equal_toIsEEEEPmJSH_EEE10hipError_tPvRmT3_T4_T5_T6_T7_T9_mT8_P12ihipStream_tbDpT10_ENKUlT_T0_E_clISt17integral_constantIbLb1EES1C_IbLb0EEEEDaS18_S19_EUlS18_E_NS1_11comp_targetILNS1_3genE5ELNS1_11target_archE942ELNS1_3gpuE9ELNS1_3repE0EEENS1_30default_config_static_selectorELNS0_4arch9wavefront6targetE0EEEvT1_
		.amdhsa_group_segment_fixed_size 0
		.amdhsa_private_segment_fixed_size 0
		.amdhsa_kernarg_size 120
		.amdhsa_user_sgpr_count 15
		.amdhsa_user_sgpr_dispatch_ptr 0
		.amdhsa_user_sgpr_queue_ptr 0
		.amdhsa_user_sgpr_kernarg_segment_ptr 1
		.amdhsa_user_sgpr_dispatch_id 0
		.amdhsa_user_sgpr_private_segment_size 0
		.amdhsa_wavefront_size32 1
		.amdhsa_uses_dynamic_stack 0
		.amdhsa_enable_private_segment 0
		.amdhsa_system_sgpr_workgroup_id_x 1
		.amdhsa_system_sgpr_workgroup_id_y 0
		.amdhsa_system_sgpr_workgroup_id_z 0
		.amdhsa_system_sgpr_workgroup_info 0
		.amdhsa_system_vgpr_workitem_id 0
		.amdhsa_next_free_vgpr 1
		.amdhsa_next_free_sgpr 1
		.amdhsa_reserve_vcc 0
		.amdhsa_float_round_mode_32 0
		.amdhsa_float_round_mode_16_64 0
		.amdhsa_float_denorm_mode_32 3
		.amdhsa_float_denorm_mode_16_64 3
		.amdhsa_dx10_clamp 1
		.amdhsa_ieee_mode 1
		.amdhsa_fp16_overflow 0
		.amdhsa_workgroup_processor_mode 1
		.amdhsa_memory_ordered 1
		.amdhsa_forward_progress 0
		.amdhsa_shared_vgpr_count 0
		.amdhsa_exception_fp_ieee_invalid_op 0
		.amdhsa_exception_fp_denorm_src 0
		.amdhsa_exception_fp_ieee_div_zero 0
		.amdhsa_exception_fp_ieee_overflow 0
		.amdhsa_exception_fp_ieee_underflow 0
		.amdhsa_exception_fp_ieee_inexact 0
		.amdhsa_exception_int_div_zero 0
	.end_amdhsa_kernel
	.section	.text._ZN7rocprim17ROCPRIM_400000_NS6detail17trampoline_kernelINS0_14default_configENS1_25partition_config_selectorILNS1_17partition_subalgoE9EsjbEEZZNS1_14partition_implILS5_9ELb0ES3_jN6thrust23THRUST_200600_302600_NS6detail15normal_iteratorINS9_10device_ptrIsEEEENSB_INSC_IjEEEEPNS0_10empty_typeENS0_5tupleIJSE_SH_EEENSJ_IJNS9_16discard_iteratorINS9_11use_defaultEEESI_EEENS0_18inequality_wrapperINS9_8equal_toIsEEEEPmJSH_EEE10hipError_tPvRmT3_T4_T5_T6_T7_T9_mT8_P12ihipStream_tbDpT10_ENKUlT_T0_E_clISt17integral_constantIbLb1EES1C_IbLb0EEEEDaS18_S19_EUlS18_E_NS1_11comp_targetILNS1_3genE5ELNS1_11target_archE942ELNS1_3gpuE9ELNS1_3repE0EEENS1_30default_config_static_selectorELNS0_4arch9wavefront6targetE0EEEvT1_,"axG",@progbits,_ZN7rocprim17ROCPRIM_400000_NS6detail17trampoline_kernelINS0_14default_configENS1_25partition_config_selectorILNS1_17partition_subalgoE9EsjbEEZZNS1_14partition_implILS5_9ELb0ES3_jN6thrust23THRUST_200600_302600_NS6detail15normal_iteratorINS9_10device_ptrIsEEEENSB_INSC_IjEEEEPNS0_10empty_typeENS0_5tupleIJSE_SH_EEENSJ_IJNS9_16discard_iteratorINS9_11use_defaultEEESI_EEENS0_18inequality_wrapperINS9_8equal_toIsEEEEPmJSH_EEE10hipError_tPvRmT3_T4_T5_T6_T7_T9_mT8_P12ihipStream_tbDpT10_ENKUlT_T0_E_clISt17integral_constantIbLb1EES1C_IbLb0EEEEDaS18_S19_EUlS18_E_NS1_11comp_targetILNS1_3genE5ELNS1_11target_archE942ELNS1_3gpuE9ELNS1_3repE0EEENS1_30default_config_static_selectorELNS0_4arch9wavefront6targetE0EEEvT1_,comdat
.Lfunc_end1222:
	.size	_ZN7rocprim17ROCPRIM_400000_NS6detail17trampoline_kernelINS0_14default_configENS1_25partition_config_selectorILNS1_17partition_subalgoE9EsjbEEZZNS1_14partition_implILS5_9ELb0ES3_jN6thrust23THRUST_200600_302600_NS6detail15normal_iteratorINS9_10device_ptrIsEEEENSB_INSC_IjEEEEPNS0_10empty_typeENS0_5tupleIJSE_SH_EEENSJ_IJNS9_16discard_iteratorINS9_11use_defaultEEESI_EEENS0_18inequality_wrapperINS9_8equal_toIsEEEEPmJSH_EEE10hipError_tPvRmT3_T4_T5_T6_T7_T9_mT8_P12ihipStream_tbDpT10_ENKUlT_T0_E_clISt17integral_constantIbLb1EES1C_IbLb0EEEEDaS18_S19_EUlS18_E_NS1_11comp_targetILNS1_3genE5ELNS1_11target_archE942ELNS1_3gpuE9ELNS1_3repE0EEENS1_30default_config_static_selectorELNS0_4arch9wavefront6targetE0EEEvT1_, .Lfunc_end1222-_ZN7rocprim17ROCPRIM_400000_NS6detail17trampoline_kernelINS0_14default_configENS1_25partition_config_selectorILNS1_17partition_subalgoE9EsjbEEZZNS1_14partition_implILS5_9ELb0ES3_jN6thrust23THRUST_200600_302600_NS6detail15normal_iteratorINS9_10device_ptrIsEEEENSB_INSC_IjEEEEPNS0_10empty_typeENS0_5tupleIJSE_SH_EEENSJ_IJNS9_16discard_iteratorINS9_11use_defaultEEESI_EEENS0_18inequality_wrapperINS9_8equal_toIsEEEEPmJSH_EEE10hipError_tPvRmT3_T4_T5_T6_T7_T9_mT8_P12ihipStream_tbDpT10_ENKUlT_T0_E_clISt17integral_constantIbLb1EES1C_IbLb0EEEEDaS18_S19_EUlS18_E_NS1_11comp_targetILNS1_3genE5ELNS1_11target_archE942ELNS1_3gpuE9ELNS1_3repE0EEENS1_30default_config_static_selectorELNS0_4arch9wavefront6targetE0EEEvT1_
                                        ; -- End function
	.section	.AMDGPU.csdata,"",@progbits
; Kernel info:
; codeLenInByte = 0
; NumSgprs: 0
; NumVgprs: 0
; ScratchSize: 0
; MemoryBound: 0
; FloatMode: 240
; IeeeMode: 1
; LDSByteSize: 0 bytes/workgroup (compile time only)
; SGPRBlocks: 0
; VGPRBlocks: 0
; NumSGPRsForWavesPerEU: 1
; NumVGPRsForWavesPerEU: 1
; Occupancy: 16
; WaveLimiterHint : 0
; COMPUTE_PGM_RSRC2:SCRATCH_EN: 0
; COMPUTE_PGM_RSRC2:USER_SGPR: 15
; COMPUTE_PGM_RSRC2:TRAP_HANDLER: 0
; COMPUTE_PGM_RSRC2:TGID_X_EN: 1
; COMPUTE_PGM_RSRC2:TGID_Y_EN: 0
; COMPUTE_PGM_RSRC2:TGID_Z_EN: 0
; COMPUTE_PGM_RSRC2:TIDIG_COMP_CNT: 0
	.section	.text._ZN7rocprim17ROCPRIM_400000_NS6detail17trampoline_kernelINS0_14default_configENS1_25partition_config_selectorILNS1_17partition_subalgoE9EsjbEEZZNS1_14partition_implILS5_9ELb0ES3_jN6thrust23THRUST_200600_302600_NS6detail15normal_iteratorINS9_10device_ptrIsEEEENSB_INSC_IjEEEEPNS0_10empty_typeENS0_5tupleIJSE_SH_EEENSJ_IJNS9_16discard_iteratorINS9_11use_defaultEEESI_EEENS0_18inequality_wrapperINS9_8equal_toIsEEEEPmJSH_EEE10hipError_tPvRmT3_T4_T5_T6_T7_T9_mT8_P12ihipStream_tbDpT10_ENKUlT_T0_E_clISt17integral_constantIbLb1EES1C_IbLb0EEEEDaS18_S19_EUlS18_E_NS1_11comp_targetILNS1_3genE4ELNS1_11target_archE910ELNS1_3gpuE8ELNS1_3repE0EEENS1_30default_config_static_selectorELNS0_4arch9wavefront6targetE0EEEvT1_,"axG",@progbits,_ZN7rocprim17ROCPRIM_400000_NS6detail17trampoline_kernelINS0_14default_configENS1_25partition_config_selectorILNS1_17partition_subalgoE9EsjbEEZZNS1_14partition_implILS5_9ELb0ES3_jN6thrust23THRUST_200600_302600_NS6detail15normal_iteratorINS9_10device_ptrIsEEEENSB_INSC_IjEEEEPNS0_10empty_typeENS0_5tupleIJSE_SH_EEENSJ_IJNS9_16discard_iteratorINS9_11use_defaultEEESI_EEENS0_18inequality_wrapperINS9_8equal_toIsEEEEPmJSH_EEE10hipError_tPvRmT3_T4_T5_T6_T7_T9_mT8_P12ihipStream_tbDpT10_ENKUlT_T0_E_clISt17integral_constantIbLb1EES1C_IbLb0EEEEDaS18_S19_EUlS18_E_NS1_11comp_targetILNS1_3genE4ELNS1_11target_archE910ELNS1_3gpuE8ELNS1_3repE0EEENS1_30default_config_static_selectorELNS0_4arch9wavefront6targetE0EEEvT1_,comdat
	.protected	_ZN7rocprim17ROCPRIM_400000_NS6detail17trampoline_kernelINS0_14default_configENS1_25partition_config_selectorILNS1_17partition_subalgoE9EsjbEEZZNS1_14partition_implILS5_9ELb0ES3_jN6thrust23THRUST_200600_302600_NS6detail15normal_iteratorINS9_10device_ptrIsEEEENSB_INSC_IjEEEEPNS0_10empty_typeENS0_5tupleIJSE_SH_EEENSJ_IJNS9_16discard_iteratorINS9_11use_defaultEEESI_EEENS0_18inequality_wrapperINS9_8equal_toIsEEEEPmJSH_EEE10hipError_tPvRmT3_T4_T5_T6_T7_T9_mT8_P12ihipStream_tbDpT10_ENKUlT_T0_E_clISt17integral_constantIbLb1EES1C_IbLb0EEEEDaS18_S19_EUlS18_E_NS1_11comp_targetILNS1_3genE4ELNS1_11target_archE910ELNS1_3gpuE8ELNS1_3repE0EEENS1_30default_config_static_selectorELNS0_4arch9wavefront6targetE0EEEvT1_ ; -- Begin function _ZN7rocprim17ROCPRIM_400000_NS6detail17trampoline_kernelINS0_14default_configENS1_25partition_config_selectorILNS1_17partition_subalgoE9EsjbEEZZNS1_14partition_implILS5_9ELb0ES3_jN6thrust23THRUST_200600_302600_NS6detail15normal_iteratorINS9_10device_ptrIsEEEENSB_INSC_IjEEEEPNS0_10empty_typeENS0_5tupleIJSE_SH_EEENSJ_IJNS9_16discard_iteratorINS9_11use_defaultEEESI_EEENS0_18inequality_wrapperINS9_8equal_toIsEEEEPmJSH_EEE10hipError_tPvRmT3_T4_T5_T6_T7_T9_mT8_P12ihipStream_tbDpT10_ENKUlT_T0_E_clISt17integral_constantIbLb1EES1C_IbLb0EEEEDaS18_S19_EUlS18_E_NS1_11comp_targetILNS1_3genE4ELNS1_11target_archE910ELNS1_3gpuE8ELNS1_3repE0EEENS1_30default_config_static_selectorELNS0_4arch9wavefront6targetE0EEEvT1_
	.globl	_ZN7rocprim17ROCPRIM_400000_NS6detail17trampoline_kernelINS0_14default_configENS1_25partition_config_selectorILNS1_17partition_subalgoE9EsjbEEZZNS1_14partition_implILS5_9ELb0ES3_jN6thrust23THRUST_200600_302600_NS6detail15normal_iteratorINS9_10device_ptrIsEEEENSB_INSC_IjEEEEPNS0_10empty_typeENS0_5tupleIJSE_SH_EEENSJ_IJNS9_16discard_iteratorINS9_11use_defaultEEESI_EEENS0_18inequality_wrapperINS9_8equal_toIsEEEEPmJSH_EEE10hipError_tPvRmT3_T4_T5_T6_T7_T9_mT8_P12ihipStream_tbDpT10_ENKUlT_T0_E_clISt17integral_constantIbLb1EES1C_IbLb0EEEEDaS18_S19_EUlS18_E_NS1_11comp_targetILNS1_3genE4ELNS1_11target_archE910ELNS1_3gpuE8ELNS1_3repE0EEENS1_30default_config_static_selectorELNS0_4arch9wavefront6targetE0EEEvT1_
	.p2align	8
	.type	_ZN7rocprim17ROCPRIM_400000_NS6detail17trampoline_kernelINS0_14default_configENS1_25partition_config_selectorILNS1_17partition_subalgoE9EsjbEEZZNS1_14partition_implILS5_9ELb0ES3_jN6thrust23THRUST_200600_302600_NS6detail15normal_iteratorINS9_10device_ptrIsEEEENSB_INSC_IjEEEEPNS0_10empty_typeENS0_5tupleIJSE_SH_EEENSJ_IJNS9_16discard_iteratorINS9_11use_defaultEEESI_EEENS0_18inequality_wrapperINS9_8equal_toIsEEEEPmJSH_EEE10hipError_tPvRmT3_T4_T5_T6_T7_T9_mT8_P12ihipStream_tbDpT10_ENKUlT_T0_E_clISt17integral_constantIbLb1EES1C_IbLb0EEEEDaS18_S19_EUlS18_E_NS1_11comp_targetILNS1_3genE4ELNS1_11target_archE910ELNS1_3gpuE8ELNS1_3repE0EEENS1_30default_config_static_selectorELNS0_4arch9wavefront6targetE0EEEvT1_,@function
_ZN7rocprim17ROCPRIM_400000_NS6detail17trampoline_kernelINS0_14default_configENS1_25partition_config_selectorILNS1_17partition_subalgoE9EsjbEEZZNS1_14partition_implILS5_9ELb0ES3_jN6thrust23THRUST_200600_302600_NS6detail15normal_iteratorINS9_10device_ptrIsEEEENSB_INSC_IjEEEEPNS0_10empty_typeENS0_5tupleIJSE_SH_EEENSJ_IJNS9_16discard_iteratorINS9_11use_defaultEEESI_EEENS0_18inequality_wrapperINS9_8equal_toIsEEEEPmJSH_EEE10hipError_tPvRmT3_T4_T5_T6_T7_T9_mT8_P12ihipStream_tbDpT10_ENKUlT_T0_E_clISt17integral_constantIbLb1EES1C_IbLb0EEEEDaS18_S19_EUlS18_E_NS1_11comp_targetILNS1_3genE4ELNS1_11target_archE910ELNS1_3gpuE8ELNS1_3repE0EEENS1_30default_config_static_selectorELNS0_4arch9wavefront6targetE0EEEvT1_: ; @_ZN7rocprim17ROCPRIM_400000_NS6detail17trampoline_kernelINS0_14default_configENS1_25partition_config_selectorILNS1_17partition_subalgoE9EsjbEEZZNS1_14partition_implILS5_9ELb0ES3_jN6thrust23THRUST_200600_302600_NS6detail15normal_iteratorINS9_10device_ptrIsEEEENSB_INSC_IjEEEEPNS0_10empty_typeENS0_5tupleIJSE_SH_EEENSJ_IJNS9_16discard_iteratorINS9_11use_defaultEEESI_EEENS0_18inequality_wrapperINS9_8equal_toIsEEEEPmJSH_EEE10hipError_tPvRmT3_T4_T5_T6_T7_T9_mT8_P12ihipStream_tbDpT10_ENKUlT_T0_E_clISt17integral_constantIbLb1EES1C_IbLb0EEEEDaS18_S19_EUlS18_E_NS1_11comp_targetILNS1_3genE4ELNS1_11target_archE910ELNS1_3gpuE8ELNS1_3repE0EEENS1_30default_config_static_selectorELNS0_4arch9wavefront6targetE0EEEvT1_
; %bb.0:
	.section	.rodata,"a",@progbits
	.p2align	6, 0x0
	.amdhsa_kernel _ZN7rocprim17ROCPRIM_400000_NS6detail17trampoline_kernelINS0_14default_configENS1_25partition_config_selectorILNS1_17partition_subalgoE9EsjbEEZZNS1_14partition_implILS5_9ELb0ES3_jN6thrust23THRUST_200600_302600_NS6detail15normal_iteratorINS9_10device_ptrIsEEEENSB_INSC_IjEEEEPNS0_10empty_typeENS0_5tupleIJSE_SH_EEENSJ_IJNS9_16discard_iteratorINS9_11use_defaultEEESI_EEENS0_18inequality_wrapperINS9_8equal_toIsEEEEPmJSH_EEE10hipError_tPvRmT3_T4_T5_T6_T7_T9_mT8_P12ihipStream_tbDpT10_ENKUlT_T0_E_clISt17integral_constantIbLb1EES1C_IbLb0EEEEDaS18_S19_EUlS18_E_NS1_11comp_targetILNS1_3genE4ELNS1_11target_archE910ELNS1_3gpuE8ELNS1_3repE0EEENS1_30default_config_static_selectorELNS0_4arch9wavefront6targetE0EEEvT1_
		.amdhsa_group_segment_fixed_size 0
		.amdhsa_private_segment_fixed_size 0
		.amdhsa_kernarg_size 120
		.amdhsa_user_sgpr_count 15
		.amdhsa_user_sgpr_dispatch_ptr 0
		.amdhsa_user_sgpr_queue_ptr 0
		.amdhsa_user_sgpr_kernarg_segment_ptr 1
		.amdhsa_user_sgpr_dispatch_id 0
		.amdhsa_user_sgpr_private_segment_size 0
		.amdhsa_wavefront_size32 1
		.amdhsa_uses_dynamic_stack 0
		.amdhsa_enable_private_segment 0
		.amdhsa_system_sgpr_workgroup_id_x 1
		.amdhsa_system_sgpr_workgroup_id_y 0
		.amdhsa_system_sgpr_workgroup_id_z 0
		.amdhsa_system_sgpr_workgroup_info 0
		.amdhsa_system_vgpr_workitem_id 0
		.amdhsa_next_free_vgpr 1
		.amdhsa_next_free_sgpr 1
		.amdhsa_reserve_vcc 0
		.amdhsa_float_round_mode_32 0
		.amdhsa_float_round_mode_16_64 0
		.amdhsa_float_denorm_mode_32 3
		.amdhsa_float_denorm_mode_16_64 3
		.amdhsa_dx10_clamp 1
		.amdhsa_ieee_mode 1
		.amdhsa_fp16_overflow 0
		.amdhsa_workgroup_processor_mode 1
		.amdhsa_memory_ordered 1
		.amdhsa_forward_progress 0
		.amdhsa_shared_vgpr_count 0
		.amdhsa_exception_fp_ieee_invalid_op 0
		.amdhsa_exception_fp_denorm_src 0
		.amdhsa_exception_fp_ieee_div_zero 0
		.amdhsa_exception_fp_ieee_overflow 0
		.amdhsa_exception_fp_ieee_underflow 0
		.amdhsa_exception_fp_ieee_inexact 0
		.amdhsa_exception_int_div_zero 0
	.end_amdhsa_kernel
	.section	.text._ZN7rocprim17ROCPRIM_400000_NS6detail17trampoline_kernelINS0_14default_configENS1_25partition_config_selectorILNS1_17partition_subalgoE9EsjbEEZZNS1_14partition_implILS5_9ELb0ES3_jN6thrust23THRUST_200600_302600_NS6detail15normal_iteratorINS9_10device_ptrIsEEEENSB_INSC_IjEEEEPNS0_10empty_typeENS0_5tupleIJSE_SH_EEENSJ_IJNS9_16discard_iteratorINS9_11use_defaultEEESI_EEENS0_18inequality_wrapperINS9_8equal_toIsEEEEPmJSH_EEE10hipError_tPvRmT3_T4_T5_T6_T7_T9_mT8_P12ihipStream_tbDpT10_ENKUlT_T0_E_clISt17integral_constantIbLb1EES1C_IbLb0EEEEDaS18_S19_EUlS18_E_NS1_11comp_targetILNS1_3genE4ELNS1_11target_archE910ELNS1_3gpuE8ELNS1_3repE0EEENS1_30default_config_static_selectorELNS0_4arch9wavefront6targetE0EEEvT1_,"axG",@progbits,_ZN7rocprim17ROCPRIM_400000_NS6detail17trampoline_kernelINS0_14default_configENS1_25partition_config_selectorILNS1_17partition_subalgoE9EsjbEEZZNS1_14partition_implILS5_9ELb0ES3_jN6thrust23THRUST_200600_302600_NS6detail15normal_iteratorINS9_10device_ptrIsEEEENSB_INSC_IjEEEEPNS0_10empty_typeENS0_5tupleIJSE_SH_EEENSJ_IJNS9_16discard_iteratorINS9_11use_defaultEEESI_EEENS0_18inequality_wrapperINS9_8equal_toIsEEEEPmJSH_EEE10hipError_tPvRmT3_T4_T5_T6_T7_T9_mT8_P12ihipStream_tbDpT10_ENKUlT_T0_E_clISt17integral_constantIbLb1EES1C_IbLb0EEEEDaS18_S19_EUlS18_E_NS1_11comp_targetILNS1_3genE4ELNS1_11target_archE910ELNS1_3gpuE8ELNS1_3repE0EEENS1_30default_config_static_selectorELNS0_4arch9wavefront6targetE0EEEvT1_,comdat
.Lfunc_end1223:
	.size	_ZN7rocprim17ROCPRIM_400000_NS6detail17trampoline_kernelINS0_14default_configENS1_25partition_config_selectorILNS1_17partition_subalgoE9EsjbEEZZNS1_14partition_implILS5_9ELb0ES3_jN6thrust23THRUST_200600_302600_NS6detail15normal_iteratorINS9_10device_ptrIsEEEENSB_INSC_IjEEEEPNS0_10empty_typeENS0_5tupleIJSE_SH_EEENSJ_IJNS9_16discard_iteratorINS9_11use_defaultEEESI_EEENS0_18inequality_wrapperINS9_8equal_toIsEEEEPmJSH_EEE10hipError_tPvRmT3_T4_T5_T6_T7_T9_mT8_P12ihipStream_tbDpT10_ENKUlT_T0_E_clISt17integral_constantIbLb1EES1C_IbLb0EEEEDaS18_S19_EUlS18_E_NS1_11comp_targetILNS1_3genE4ELNS1_11target_archE910ELNS1_3gpuE8ELNS1_3repE0EEENS1_30default_config_static_selectorELNS0_4arch9wavefront6targetE0EEEvT1_, .Lfunc_end1223-_ZN7rocprim17ROCPRIM_400000_NS6detail17trampoline_kernelINS0_14default_configENS1_25partition_config_selectorILNS1_17partition_subalgoE9EsjbEEZZNS1_14partition_implILS5_9ELb0ES3_jN6thrust23THRUST_200600_302600_NS6detail15normal_iteratorINS9_10device_ptrIsEEEENSB_INSC_IjEEEEPNS0_10empty_typeENS0_5tupleIJSE_SH_EEENSJ_IJNS9_16discard_iteratorINS9_11use_defaultEEESI_EEENS0_18inequality_wrapperINS9_8equal_toIsEEEEPmJSH_EEE10hipError_tPvRmT3_T4_T5_T6_T7_T9_mT8_P12ihipStream_tbDpT10_ENKUlT_T0_E_clISt17integral_constantIbLb1EES1C_IbLb0EEEEDaS18_S19_EUlS18_E_NS1_11comp_targetILNS1_3genE4ELNS1_11target_archE910ELNS1_3gpuE8ELNS1_3repE0EEENS1_30default_config_static_selectorELNS0_4arch9wavefront6targetE0EEEvT1_
                                        ; -- End function
	.section	.AMDGPU.csdata,"",@progbits
; Kernel info:
; codeLenInByte = 0
; NumSgprs: 0
; NumVgprs: 0
; ScratchSize: 0
; MemoryBound: 0
; FloatMode: 240
; IeeeMode: 1
; LDSByteSize: 0 bytes/workgroup (compile time only)
; SGPRBlocks: 0
; VGPRBlocks: 0
; NumSGPRsForWavesPerEU: 1
; NumVGPRsForWavesPerEU: 1
; Occupancy: 15
; WaveLimiterHint : 0
; COMPUTE_PGM_RSRC2:SCRATCH_EN: 0
; COMPUTE_PGM_RSRC2:USER_SGPR: 15
; COMPUTE_PGM_RSRC2:TRAP_HANDLER: 0
; COMPUTE_PGM_RSRC2:TGID_X_EN: 1
; COMPUTE_PGM_RSRC2:TGID_Y_EN: 0
; COMPUTE_PGM_RSRC2:TGID_Z_EN: 0
; COMPUTE_PGM_RSRC2:TIDIG_COMP_CNT: 0
	.section	.text._ZN7rocprim17ROCPRIM_400000_NS6detail17trampoline_kernelINS0_14default_configENS1_25partition_config_selectorILNS1_17partition_subalgoE9EsjbEEZZNS1_14partition_implILS5_9ELb0ES3_jN6thrust23THRUST_200600_302600_NS6detail15normal_iteratorINS9_10device_ptrIsEEEENSB_INSC_IjEEEEPNS0_10empty_typeENS0_5tupleIJSE_SH_EEENSJ_IJNS9_16discard_iteratorINS9_11use_defaultEEESI_EEENS0_18inequality_wrapperINS9_8equal_toIsEEEEPmJSH_EEE10hipError_tPvRmT3_T4_T5_T6_T7_T9_mT8_P12ihipStream_tbDpT10_ENKUlT_T0_E_clISt17integral_constantIbLb1EES1C_IbLb0EEEEDaS18_S19_EUlS18_E_NS1_11comp_targetILNS1_3genE3ELNS1_11target_archE908ELNS1_3gpuE7ELNS1_3repE0EEENS1_30default_config_static_selectorELNS0_4arch9wavefront6targetE0EEEvT1_,"axG",@progbits,_ZN7rocprim17ROCPRIM_400000_NS6detail17trampoline_kernelINS0_14default_configENS1_25partition_config_selectorILNS1_17partition_subalgoE9EsjbEEZZNS1_14partition_implILS5_9ELb0ES3_jN6thrust23THRUST_200600_302600_NS6detail15normal_iteratorINS9_10device_ptrIsEEEENSB_INSC_IjEEEEPNS0_10empty_typeENS0_5tupleIJSE_SH_EEENSJ_IJNS9_16discard_iteratorINS9_11use_defaultEEESI_EEENS0_18inequality_wrapperINS9_8equal_toIsEEEEPmJSH_EEE10hipError_tPvRmT3_T4_T5_T6_T7_T9_mT8_P12ihipStream_tbDpT10_ENKUlT_T0_E_clISt17integral_constantIbLb1EES1C_IbLb0EEEEDaS18_S19_EUlS18_E_NS1_11comp_targetILNS1_3genE3ELNS1_11target_archE908ELNS1_3gpuE7ELNS1_3repE0EEENS1_30default_config_static_selectorELNS0_4arch9wavefront6targetE0EEEvT1_,comdat
	.protected	_ZN7rocprim17ROCPRIM_400000_NS6detail17trampoline_kernelINS0_14default_configENS1_25partition_config_selectorILNS1_17partition_subalgoE9EsjbEEZZNS1_14partition_implILS5_9ELb0ES3_jN6thrust23THRUST_200600_302600_NS6detail15normal_iteratorINS9_10device_ptrIsEEEENSB_INSC_IjEEEEPNS0_10empty_typeENS0_5tupleIJSE_SH_EEENSJ_IJNS9_16discard_iteratorINS9_11use_defaultEEESI_EEENS0_18inequality_wrapperINS9_8equal_toIsEEEEPmJSH_EEE10hipError_tPvRmT3_T4_T5_T6_T7_T9_mT8_P12ihipStream_tbDpT10_ENKUlT_T0_E_clISt17integral_constantIbLb1EES1C_IbLb0EEEEDaS18_S19_EUlS18_E_NS1_11comp_targetILNS1_3genE3ELNS1_11target_archE908ELNS1_3gpuE7ELNS1_3repE0EEENS1_30default_config_static_selectorELNS0_4arch9wavefront6targetE0EEEvT1_ ; -- Begin function _ZN7rocprim17ROCPRIM_400000_NS6detail17trampoline_kernelINS0_14default_configENS1_25partition_config_selectorILNS1_17partition_subalgoE9EsjbEEZZNS1_14partition_implILS5_9ELb0ES3_jN6thrust23THRUST_200600_302600_NS6detail15normal_iteratorINS9_10device_ptrIsEEEENSB_INSC_IjEEEEPNS0_10empty_typeENS0_5tupleIJSE_SH_EEENSJ_IJNS9_16discard_iteratorINS9_11use_defaultEEESI_EEENS0_18inequality_wrapperINS9_8equal_toIsEEEEPmJSH_EEE10hipError_tPvRmT3_T4_T5_T6_T7_T9_mT8_P12ihipStream_tbDpT10_ENKUlT_T0_E_clISt17integral_constantIbLb1EES1C_IbLb0EEEEDaS18_S19_EUlS18_E_NS1_11comp_targetILNS1_3genE3ELNS1_11target_archE908ELNS1_3gpuE7ELNS1_3repE0EEENS1_30default_config_static_selectorELNS0_4arch9wavefront6targetE0EEEvT1_
	.globl	_ZN7rocprim17ROCPRIM_400000_NS6detail17trampoline_kernelINS0_14default_configENS1_25partition_config_selectorILNS1_17partition_subalgoE9EsjbEEZZNS1_14partition_implILS5_9ELb0ES3_jN6thrust23THRUST_200600_302600_NS6detail15normal_iteratorINS9_10device_ptrIsEEEENSB_INSC_IjEEEEPNS0_10empty_typeENS0_5tupleIJSE_SH_EEENSJ_IJNS9_16discard_iteratorINS9_11use_defaultEEESI_EEENS0_18inequality_wrapperINS9_8equal_toIsEEEEPmJSH_EEE10hipError_tPvRmT3_T4_T5_T6_T7_T9_mT8_P12ihipStream_tbDpT10_ENKUlT_T0_E_clISt17integral_constantIbLb1EES1C_IbLb0EEEEDaS18_S19_EUlS18_E_NS1_11comp_targetILNS1_3genE3ELNS1_11target_archE908ELNS1_3gpuE7ELNS1_3repE0EEENS1_30default_config_static_selectorELNS0_4arch9wavefront6targetE0EEEvT1_
	.p2align	8
	.type	_ZN7rocprim17ROCPRIM_400000_NS6detail17trampoline_kernelINS0_14default_configENS1_25partition_config_selectorILNS1_17partition_subalgoE9EsjbEEZZNS1_14partition_implILS5_9ELb0ES3_jN6thrust23THRUST_200600_302600_NS6detail15normal_iteratorINS9_10device_ptrIsEEEENSB_INSC_IjEEEEPNS0_10empty_typeENS0_5tupleIJSE_SH_EEENSJ_IJNS9_16discard_iteratorINS9_11use_defaultEEESI_EEENS0_18inequality_wrapperINS9_8equal_toIsEEEEPmJSH_EEE10hipError_tPvRmT3_T4_T5_T6_T7_T9_mT8_P12ihipStream_tbDpT10_ENKUlT_T0_E_clISt17integral_constantIbLb1EES1C_IbLb0EEEEDaS18_S19_EUlS18_E_NS1_11comp_targetILNS1_3genE3ELNS1_11target_archE908ELNS1_3gpuE7ELNS1_3repE0EEENS1_30default_config_static_selectorELNS0_4arch9wavefront6targetE0EEEvT1_,@function
_ZN7rocprim17ROCPRIM_400000_NS6detail17trampoline_kernelINS0_14default_configENS1_25partition_config_selectorILNS1_17partition_subalgoE9EsjbEEZZNS1_14partition_implILS5_9ELb0ES3_jN6thrust23THRUST_200600_302600_NS6detail15normal_iteratorINS9_10device_ptrIsEEEENSB_INSC_IjEEEEPNS0_10empty_typeENS0_5tupleIJSE_SH_EEENSJ_IJNS9_16discard_iteratorINS9_11use_defaultEEESI_EEENS0_18inequality_wrapperINS9_8equal_toIsEEEEPmJSH_EEE10hipError_tPvRmT3_T4_T5_T6_T7_T9_mT8_P12ihipStream_tbDpT10_ENKUlT_T0_E_clISt17integral_constantIbLb1EES1C_IbLb0EEEEDaS18_S19_EUlS18_E_NS1_11comp_targetILNS1_3genE3ELNS1_11target_archE908ELNS1_3gpuE7ELNS1_3repE0EEENS1_30default_config_static_selectorELNS0_4arch9wavefront6targetE0EEEvT1_: ; @_ZN7rocprim17ROCPRIM_400000_NS6detail17trampoline_kernelINS0_14default_configENS1_25partition_config_selectorILNS1_17partition_subalgoE9EsjbEEZZNS1_14partition_implILS5_9ELb0ES3_jN6thrust23THRUST_200600_302600_NS6detail15normal_iteratorINS9_10device_ptrIsEEEENSB_INSC_IjEEEEPNS0_10empty_typeENS0_5tupleIJSE_SH_EEENSJ_IJNS9_16discard_iteratorINS9_11use_defaultEEESI_EEENS0_18inequality_wrapperINS9_8equal_toIsEEEEPmJSH_EEE10hipError_tPvRmT3_T4_T5_T6_T7_T9_mT8_P12ihipStream_tbDpT10_ENKUlT_T0_E_clISt17integral_constantIbLb1EES1C_IbLb0EEEEDaS18_S19_EUlS18_E_NS1_11comp_targetILNS1_3genE3ELNS1_11target_archE908ELNS1_3gpuE7ELNS1_3repE0EEENS1_30default_config_static_selectorELNS0_4arch9wavefront6targetE0EEEvT1_
; %bb.0:
	.section	.rodata,"a",@progbits
	.p2align	6, 0x0
	.amdhsa_kernel _ZN7rocprim17ROCPRIM_400000_NS6detail17trampoline_kernelINS0_14default_configENS1_25partition_config_selectorILNS1_17partition_subalgoE9EsjbEEZZNS1_14partition_implILS5_9ELb0ES3_jN6thrust23THRUST_200600_302600_NS6detail15normal_iteratorINS9_10device_ptrIsEEEENSB_INSC_IjEEEEPNS0_10empty_typeENS0_5tupleIJSE_SH_EEENSJ_IJNS9_16discard_iteratorINS9_11use_defaultEEESI_EEENS0_18inequality_wrapperINS9_8equal_toIsEEEEPmJSH_EEE10hipError_tPvRmT3_T4_T5_T6_T7_T9_mT8_P12ihipStream_tbDpT10_ENKUlT_T0_E_clISt17integral_constantIbLb1EES1C_IbLb0EEEEDaS18_S19_EUlS18_E_NS1_11comp_targetILNS1_3genE3ELNS1_11target_archE908ELNS1_3gpuE7ELNS1_3repE0EEENS1_30default_config_static_selectorELNS0_4arch9wavefront6targetE0EEEvT1_
		.amdhsa_group_segment_fixed_size 0
		.amdhsa_private_segment_fixed_size 0
		.amdhsa_kernarg_size 120
		.amdhsa_user_sgpr_count 15
		.amdhsa_user_sgpr_dispatch_ptr 0
		.amdhsa_user_sgpr_queue_ptr 0
		.amdhsa_user_sgpr_kernarg_segment_ptr 1
		.amdhsa_user_sgpr_dispatch_id 0
		.amdhsa_user_sgpr_private_segment_size 0
		.amdhsa_wavefront_size32 1
		.amdhsa_uses_dynamic_stack 0
		.amdhsa_enable_private_segment 0
		.amdhsa_system_sgpr_workgroup_id_x 1
		.amdhsa_system_sgpr_workgroup_id_y 0
		.amdhsa_system_sgpr_workgroup_id_z 0
		.amdhsa_system_sgpr_workgroup_info 0
		.amdhsa_system_vgpr_workitem_id 0
		.amdhsa_next_free_vgpr 1
		.amdhsa_next_free_sgpr 1
		.amdhsa_reserve_vcc 0
		.amdhsa_float_round_mode_32 0
		.amdhsa_float_round_mode_16_64 0
		.amdhsa_float_denorm_mode_32 3
		.amdhsa_float_denorm_mode_16_64 3
		.amdhsa_dx10_clamp 1
		.amdhsa_ieee_mode 1
		.amdhsa_fp16_overflow 0
		.amdhsa_workgroup_processor_mode 1
		.amdhsa_memory_ordered 1
		.amdhsa_forward_progress 0
		.amdhsa_shared_vgpr_count 0
		.amdhsa_exception_fp_ieee_invalid_op 0
		.amdhsa_exception_fp_denorm_src 0
		.amdhsa_exception_fp_ieee_div_zero 0
		.amdhsa_exception_fp_ieee_overflow 0
		.amdhsa_exception_fp_ieee_underflow 0
		.amdhsa_exception_fp_ieee_inexact 0
		.amdhsa_exception_int_div_zero 0
	.end_amdhsa_kernel
	.section	.text._ZN7rocprim17ROCPRIM_400000_NS6detail17trampoline_kernelINS0_14default_configENS1_25partition_config_selectorILNS1_17partition_subalgoE9EsjbEEZZNS1_14partition_implILS5_9ELb0ES3_jN6thrust23THRUST_200600_302600_NS6detail15normal_iteratorINS9_10device_ptrIsEEEENSB_INSC_IjEEEEPNS0_10empty_typeENS0_5tupleIJSE_SH_EEENSJ_IJNS9_16discard_iteratorINS9_11use_defaultEEESI_EEENS0_18inequality_wrapperINS9_8equal_toIsEEEEPmJSH_EEE10hipError_tPvRmT3_T4_T5_T6_T7_T9_mT8_P12ihipStream_tbDpT10_ENKUlT_T0_E_clISt17integral_constantIbLb1EES1C_IbLb0EEEEDaS18_S19_EUlS18_E_NS1_11comp_targetILNS1_3genE3ELNS1_11target_archE908ELNS1_3gpuE7ELNS1_3repE0EEENS1_30default_config_static_selectorELNS0_4arch9wavefront6targetE0EEEvT1_,"axG",@progbits,_ZN7rocprim17ROCPRIM_400000_NS6detail17trampoline_kernelINS0_14default_configENS1_25partition_config_selectorILNS1_17partition_subalgoE9EsjbEEZZNS1_14partition_implILS5_9ELb0ES3_jN6thrust23THRUST_200600_302600_NS6detail15normal_iteratorINS9_10device_ptrIsEEEENSB_INSC_IjEEEEPNS0_10empty_typeENS0_5tupleIJSE_SH_EEENSJ_IJNS9_16discard_iteratorINS9_11use_defaultEEESI_EEENS0_18inequality_wrapperINS9_8equal_toIsEEEEPmJSH_EEE10hipError_tPvRmT3_T4_T5_T6_T7_T9_mT8_P12ihipStream_tbDpT10_ENKUlT_T0_E_clISt17integral_constantIbLb1EES1C_IbLb0EEEEDaS18_S19_EUlS18_E_NS1_11comp_targetILNS1_3genE3ELNS1_11target_archE908ELNS1_3gpuE7ELNS1_3repE0EEENS1_30default_config_static_selectorELNS0_4arch9wavefront6targetE0EEEvT1_,comdat
.Lfunc_end1224:
	.size	_ZN7rocprim17ROCPRIM_400000_NS6detail17trampoline_kernelINS0_14default_configENS1_25partition_config_selectorILNS1_17partition_subalgoE9EsjbEEZZNS1_14partition_implILS5_9ELb0ES3_jN6thrust23THRUST_200600_302600_NS6detail15normal_iteratorINS9_10device_ptrIsEEEENSB_INSC_IjEEEEPNS0_10empty_typeENS0_5tupleIJSE_SH_EEENSJ_IJNS9_16discard_iteratorINS9_11use_defaultEEESI_EEENS0_18inequality_wrapperINS9_8equal_toIsEEEEPmJSH_EEE10hipError_tPvRmT3_T4_T5_T6_T7_T9_mT8_P12ihipStream_tbDpT10_ENKUlT_T0_E_clISt17integral_constantIbLb1EES1C_IbLb0EEEEDaS18_S19_EUlS18_E_NS1_11comp_targetILNS1_3genE3ELNS1_11target_archE908ELNS1_3gpuE7ELNS1_3repE0EEENS1_30default_config_static_selectorELNS0_4arch9wavefront6targetE0EEEvT1_, .Lfunc_end1224-_ZN7rocprim17ROCPRIM_400000_NS6detail17trampoline_kernelINS0_14default_configENS1_25partition_config_selectorILNS1_17partition_subalgoE9EsjbEEZZNS1_14partition_implILS5_9ELb0ES3_jN6thrust23THRUST_200600_302600_NS6detail15normal_iteratorINS9_10device_ptrIsEEEENSB_INSC_IjEEEEPNS0_10empty_typeENS0_5tupleIJSE_SH_EEENSJ_IJNS9_16discard_iteratorINS9_11use_defaultEEESI_EEENS0_18inequality_wrapperINS9_8equal_toIsEEEEPmJSH_EEE10hipError_tPvRmT3_T4_T5_T6_T7_T9_mT8_P12ihipStream_tbDpT10_ENKUlT_T0_E_clISt17integral_constantIbLb1EES1C_IbLb0EEEEDaS18_S19_EUlS18_E_NS1_11comp_targetILNS1_3genE3ELNS1_11target_archE908ELNS1_3gpuE7ELNS1_3repE0EEENS1_30default_config_static_selectorELNS0_4arch9wavefront6targetE0EEEvT1_
                                        ; -- End function
	.section	.AMDGPU.csdata,"",@progbits
; Kernel info:
; codeLenInByte = 0
; NumSgprs: 0
; NumVgprs: 0
; ScratchSize: 0
; MemoryBound: 0
; FloatMode: 240
; IeeeMode: 1
; LDSByteSize: 0 bytes/workgroup (compile time only)
; SGPRBlocks: 0
; VGPRBlocks: 0
; NumSGPRsForWavesPerEU: 1
; NumVGPRsForWavesPerEU: 1
; Occupancy: 16
; WaveLimiterHint : 0
; COMPUTE_PGM_RSRC2:SCRATCH_EN: 0
; COMPUTE_PGM_RSRC2:USER_SGPR: 15
; COMPUTE_PGM_RSRC2:TRAP_HANDLER: 0
; COMPUTE_PGM_RSRC2:TGID_X_EN: 1
; COMPUTE_PGM_RSRC2:TGID_Y_EN: 0
; COMPUTE_PGM_RSRC2:TGID_Z_EN: 0
; COMPUTE_PGM_RSRC2:TIDIG_COMP_CNT: 0
	.section	.text._ZN7rocprim17ROCPRIM_400000_NS6detail17trampoline_kernelINS0_14default_configENS1_25partition_config_selectorILNS1_17partition_subalgoE9EsjbEEZZNS1_14partition_implILS5_9ELb0ES3_jN6thrust23THRUST_200600_302600_NS6detail15normal_iteratorINS9_10device_ptrIsEEEENSB_INSC_IjEEEEPNS0_10empty_typeENS0_5tupleIJSE_SH_EEENSJ_IJNS9_16discard_iteratorINS9_11use_defaultEEESI_EEENS0_18inequality_wrapperINS9_8equal_toIsEEEEPmJSH_EEE10hipError_tPvRmT3_T4_T5_T6_T7_T9_mT8_P12ihipStream_tbDpT10_ENKUlT_T0_E_clISt17integral_constantIbLb1EES1C_IbLb0EEEEDaS18_S19_EUlS18_E_NS1_11comp_targetILNS1_3genE2ELNS1_11target_archE906ELNS1_3gpuE6ELNS1_3repE0EEENS1_30default_config_static_selectorELNS0_4arch9wavefront6targetE0EEEvT1_,"axG",@progbits,_ZN7rocprim17ROCPRIM_400000_NS6detail17trampoline_kernelINS0_14default_configENS1_25partition_config_selectorILNS1_17partition_subalgoE9EsjbEEZZNS1_14partition_implILS5_9ELb0ES3_jN6thrust23THRUST_200600_302600_NS6detail15normal_iteratorINS9_10device_ptrIsEEEENSB_INSC_IjEEEEPNS0_10empty_typeENS0_5tupleIJSE_SH_EEENSJ_IJNS9_16discard_iteratorINS9_11use_defaultEEESI_EEENS0_18inequality_wrapperINS9_8equal_toIsEEEEPmJSH_EEE10hipError_tPvRmT3_T4_T5_T6_T7_T9_mT8_P12ihipStream_tbDpT10_ENKUlT_T0_E_clISt17integral_constantIbLb1EES1C_IbLb0EEEEDaS18_S19_EUlS18_E_NS1_11comp_targetILNS1_3genE2ELNS1_11target_archE906ELNS1_3gpuE6ELNS1_3repE0EEENS1_30default_config_static_selectorELNS0_4arch9wavefront6targetE0EEEvT1_,comdat
	.protected	_ZN7rocprim17ROCPRIM_400000_NS6detail17trampoline_kernelINS0_14default_configENS1_25partition_config_selectorILNS1_17partition_subalgoE9EsjbEEZZNS1_14partition_implILS5_9ELb0ES3_jN6thrust23THRUST_200600_302600_NS6detail15normal_iteratorINS9_10device_ptrIsEEEENSB_INSC_IjEEEEPNS0_10empty_typeENS0_5tupleIJSE_SH_EEENSJ_IJNS9_16discard_iteratorINS9_11use_defaultEEESI_EEENS0_18inequality_wrapperINS9_8equal_toIsEEEEPmJSH_EEE10hipError_tPvRmT3_T4_T5_T6_T7_T9_mT8_P12ihipStream_tbDpT10_ENKUlT_T0_E_clISt17integral_constantIbLb1EES1C_IbLb0EEEEDaS18_S19_EUlS18_E_NS1_11comp_targetILNS1_3genE2ELNS1_11target_archE906ELNS1_3gpuE6ELNS1_3repE0EEENS1_30default_config_static_selectorELNS0_4arch9wavefront6targetE0EEEvT1_ ; -- Begin function _ZN7rocprim17ROCPRIM_400000_NS6detail17trampoline_kernelINS0_14default_configENS1_25partition_config_selectorILNS1_17partition_subalgoE9EsjbEEZZNS1_14partition_implILS5_9ELb0ES3_jN6thrust23THRUST_200600_302600_NS6detail15normal_iteratorINS9_10device_ptrIsEEEENSB_INSC_IjEEEEPNS0_10empty_typeENS0_5tupleIJSE_SH_EEENSJ_IJNS9_16discard_iteratorINS9_11use_defaultEEESI_EEENS0_18inequality_wrapperINS9_8equal_toIsEEEEPmJSH_EEE10hipError_tPvRmT3_T4_T5_T6_T7_T9_mT8_P12ihipStream_tbDpT10_ENKUlT_T0_E_clISt17integral_constantIbLb1EES1C_IbLb0EEEEDaS18_S19_EUlS18_E_NS1_11comp_targetILNS1_3genE2ELNS1_11target_archE906ELNS1_3gpuE6ELNS1_3repE0EEENS1_30default_config_static_selectorELNS0_4arch9wavefront6targetE0EEEvT1_
	.globl	_ZN7rocprim17ROCPRIM_400000_NS6detail17trampoline_kernelINS0_14default_configENS1_25partition_config_selectorILNS1_17partition_subalgoE9EsjbEEZZNS1_14partition_implILS5_9ELb0ES3_jN6thrust23THRUST_200600_302600_NS6detail15normal_iteratorINS9_10device_ptrIsEEEENSB_INSC_IjEEEEPNS0_10empty_typeENS0_5tupleIJSE_SH_EEENSJ_IJNS9_16discard_iteratorINS9_11use_defaultEEESI_EEENS0_18inequality_wrapperINS9_8equal_toIsEEEEPmJSH_EEE10hipError_tPvRmT3_T4_T5_T6_T7_T9_mT8_P12ihipStream_tbDpT10_ENKUlT_T0_E_clISt17integral_constantIbLb1EES1C_IbLb0EEEEDaS18_S19_EUlS18_E_NS1_11comp_targetILNS1_3genE2ELNS1_11target_archE906ELNS1_3gpuE6ELNS1_3repE0EEENS1_30default_config_static_selectorELNS0_4arch9wavefront6targetE0EEEvT1_
	.p2align	8
	.type	_ZN7rocprim17ROCPRIM_400000_NS6detail17trampoline_kernelINS0_14default_configENS1_25partition_config_selectorILNS1_17partition_subalgoE9EsjbEEZZNS1_14partition_implILS5_9ELb0ES3_jN6thrust23THRUST_200600_302600_NS6detail15normal_iteratorINS9_10device_ptrIsEEEENSB_INSC_IjEEEEPNS0_10empty_typeENS0_5tupleIJSE_SH_EEENSJ_IJNS9_16discard_iteratorINS9_11use_defaultEEESI_EEENS0_18inequality_wrapperINS9_8equal_toIsEEEEPmJSH_EEE10hipError_tPvRmT3_T4_T5_T6_T7_T9_mT8_P12ihipStream_tbDpT10_ENKUlT_T0_E_clISt17integral_constantIbLb1EES1C_IbLb0EEEEDaS18_S19_EUlS18_E_NS1_11comp_targetILNS1_3genE2ELNS1_11target_archE906ELNS1_3gpuE6ELNS1_3repE0EEENS1_30default_config_static_selectorELNS0_4arch9wavefront6targetE0EEEvT1_,@function
_ZN7rocprim17ROCPRIM_400000_NS6detail17trampoline_kernelINS0_14default_configENS1_25partition_config_selectorILNS1_17partition_subalgoE9EsjbEEZZNS1_14partition_implILS5_9ELb0ES3_jN6thrust23THRUST_200600_302600_NS6detail15normal_iteratorINS9_10device_ptrIsEEEENSB_INSC_IjEEEEPNS0_10empty_typeENS0_5tupleIJSE_SH_EEENSJ_IJNS9_16discard_iteratorINS9_11use_defaultEEESI_EEENS0_18inequality_wrapperINS9_8equal_toIsEEEEPmJSH_EEE10hipError_tPvRmT3_T4_T5_T6_T7_T9_mT8_P12ihipStream_tbDpT10_ENKUlT_T0_E_clISt17integral_constantIbLb1EES1C_IbLb0EEEEDaS18_S19_EUlS18_E_NS1_11comp_targetILNS1_3genE2ELNS1_11target_archE906ELNS1_3gpuE6ELNS1_3repE0EEENS1_30default_config_static_selectorELNS0_4arch9wavefront6targetE0EEEvT1_: ; @_ZN7rocprim17ROCPRIM_400000_NS6detail17trampoline_kernelINS0_14default_configENS1_25partition_config_selectorILNS1_17partition_subalgoE9EsjbEEZZNS1_14partition_implILS5_9ELb0ES3_jN6thrust23THRUST_200600_302600_NS6detail15normal_iteratorINS9_10device_ptrIsEEEENSB_INSC_IjEEEEPNS0_10empty_typeENS0_5tupleIJSE_SH_EEENSJ_IJNS9_16discard_iteratorINS9_11use_defaultEEESI_EEENS0_18inequality_wrapperINS9_8equal_toIsEEEEPmJSH_EEE10hipError_tPvRmT3_T4_T5_T6_T7_T9_mT8_P12ihipStream_tbDpT10_ENKUlT_T0_E_clISt17integral_constantIbLb1EES1C_IbLb0EEEEDaS18_S19_EUlS18_E_NS1_11comp_targetILNS1_3genE2ELNS1_11target_archE906ELNS1_3gpuE6ELNS1_3repE0EEENS1_30default_config_static_selectorELNS0_4arch9wavefront6targetE0EEEvT1_
; %bb.0:
	.section	.rodata,"a",@progbits
	.p2align	6, 0x0
	.amdhsa_kernel _ZN7rocprim17ROCPRIM_400000_NS6detail17trampoline_kernelINS0_14default_configENS1_25partition_config_selectorILNS1_17partition_subalgoE9EsjbEEZZNS1_14partition_implILS5_9ELb0ES3_jN6thrust23THRUST_200600_302600_NS6detail15normal_iteratorINS9_10device_ptrIsEEEENSB_INSC_IjEEEEPNS0_10empty_typeENS0_5tupleIJSE_SH_EEENSJ_IJNS9_16discard_iteratorINS9_11use_defaultEEESI_EEENS0_18inequality_wrapperINS9_8equal_toIsEEEEPmJSH_EEE10hipError_tPvRmT3_T4_T5_T6_T7_T9_mT8_P12ihipStream_tbDpT10_ENKUlT_T0_E_clISt17integral_constantIbLb1EES1C_IbLb0EEEEDaS18_S19_EUlS18_E_NS1_11comp_targetILNS1_3genE2ELNS1_11target_archE906ELNS1_3gpuE6ELNS1_3repE0EEENS1_30default_config_static_selectorELNS0_4arch9wavefront6targetE0EEEvT1_
		.amdhsa_group_segment_fixed_size 0
		.amdhsa_private_segment_fixed_size 0
		.amdhsa_kernarg_size 120
		.amdhsa_user_sgpr_count 15
		.amdhsa_user_sgpr_dispatch_ptr 0
		.amdhsa_user_sgpr_queue_ptr 0
		.amdhsa_user_sgpr_kernarg_segment_ptr 1
		.amdhsa_user_sgpr_dispatch_id 0
		.amdhsa_user_sgpr_private_segment_size 0
		.amdhsa_wavefront_size32 1
		.amdhsa_uses_dynamic_stack 0
		.amdhsa_enable_private_segment 0
		.amdhsa_system_sgpr_workgroup_id_x 1
		.amdhsa_system_sgpr_workgroup_id_y 0
		.amdhsa_system_sgpr_workgroup_id_z 0
		.amdhsa_system_sgpr_workgroup_info 0
		.amdhsa_system_vgpr_workitem_id 0
		.amdhsa_next_free_vgpr 1
		.amdhsa_next_free_sgpr 1
		.amdhsa_reserve_vcc 0
		.amdhsa_float_round_mode_32 0
		.amdhsa_float_round_mode_16_64 0
		.amdhsa_float_denorm_mode_32 3
		.amdhsa_float_denorm_mode_16_64 3
		.amdhsa_dx10_clamp 1
		.amdhsa_ieee_mode 1
		.amdhsa_fp16_overflow 0
		.amdhsa_workgroup_processor_mode 1
		.amdhsa_memory_ordered 1
		.amdhsa_forward_progress 0
		.amdhsa_shared_vgpr_count 0
		.amdhsa_exception_fp_ieee_invalid_op 0
		.amdhsa_exception_fp_denorm_src 0
		.amdhsa_exception_fp_ieee_div_zero 0
		.amdhsa_exception_fp_ieee_overflow 0
		.amdhsa_exception_fp_ieee_underflow 0
		.amdhsa_exception_fp_ieee_inexact 0
		.amdhsa_exception_int_div_zero 0
	.end_amdhsa_kernel
	.section	.text._ZN7rocprim17ROCPRIM_400000_NS6detail17trampoline_kernelINS0_14default_configENS1_25partition_config_selectorILNS1_17partition_subalgoE9EsjbEEZZNS1_14partition_implILS5_9ELb0ES3_jN6thrust23THRUST_200600_302600_NS6detail15normal_iteratorINS9_10device_ptrIsEEEENSB_INSC_IjEEEEPNS0_10empty_typeENS0_5tupleIJSE_SH_EEENSJ_IJNS9_16discard_iteratorINS9_11use_defaultEEESI_EEENS0_18inequality_wrapperINS9_8equal_toIsEEEEPmJSH_EEE10hipError_tPvRmT3_T4_T5_T6_T7_T9_mT8_P12ihipStream_tbDpT10_ENKUlT_T0_E_clISt17integral_constantIbLb1EES1C_IbLb0EEEEDaS18_S19_EUlS18_E_NS1_11comp_targetILNS1_3genE2ELNS1_11target_archE906ELNS1_3gpuE6ELNS1_3repE0EEENS1_30default_config_static_selectorELNS0_4arch9wavefront6targetE0EEEvT1_,"axG",@progbits,_ZN7rocprim17ROCPRIM_400000_NS6detail17trampoline_kernelINS0_14default_configENS1_25partition_config_selectorILNS1_17partition_subalgoE9EsjbEEZZNS1_14partition_implILS5_9ELb0ES3_jN6thrust23THRUST_200600_302600_NS6detail15normal_iteratorINS9_10device_ptrIsEEEENSB_INSC_IjEEEEPNS0_10empty_typeENS0_5tupleIJSE_SH_EEENSJ_IJNS9_16discard_iteratorINS9_11use_defaultEEESI_EEENS0_18inequality_wrapperINS9_8equal_toIsEEEEPmJSH_EEE10hipError_tPvRmT3_T4_T5_T6_T7_T9_mT8_P12ihipStream_tbDpT10_ENKUlT_T0_E_clISt17integral_constantIbLb1EES1C_IbLb0EEEEDaS18_S19_EUlS18_E_NS1_11comp_targetILNS1_3genE2ELNS1_11target_archE906ELNS1_3gpuE6ELNS1_3repE0EEENS1_30default_config_static_selectorELNS0_4arch9wavefront6targetE0EEEvT1_,comdat
.Lfunc_end1225:
	.size	_ZN7rocprim17ROCPRIM_400000_NS6detail17trampoline_kernelINS0_14default_configENS1_25partition_config_selectorILNS1_17partition_subalgoE9EsjbEEZZNS1_14partition_implILS5_9ELb0ES3_jN6thrust23THRUST_200600_302600_NS6detail15normal_iteratorINS9_10device_ptrIsEEEENSB_INSC_IjEEEEPNS0_10empty_typeENS0_5tupleIJSE_SH_EEENSJ_IJNS9_16discard_iteratorINS9_11use_defaultEEESI_EEENS0_18inequality_wrapperINS9_8equal_toIsEEEEPmJSH_EEE10hipError_tPvRmT3_T4_T5_T6_T7_T9_mT8_P12ihipStream_tbDpT10_ENKUlT_T0_E_clISt17integral_constantIbLb1EES1C_IbLb0EEEEDaS18_S19_EUlS18_E_NS1_11comp_targetILNS1_3genE2ELNS1_11target_archE906ELNS1_3gpuE6ELNS1_3repE0EEENS1_30default_config_static_selectorELNS0_4arch9wavefront6targetE0EEEvT1_, .Lfunc_end1225-_ZN7rocprim17ROCPRIM_400000_NS6detail17trampoline_kernelINS0_14default_configENS1_25partition_config_selectorILNS1_17partition_subalgoE9EsjbEEZZNS1_14partition_implILS5_9ELb0ES3_jN6thrust23THRUST_200600_302600_NS6detail15normal_iteratorINS9_10device_ptrIsEEEENSB_INSC_IjEEEEPNS0_10empty_typeENS0_5tupleIJSE_SH_EEENSJ_IJNS9_16discard_iteratorINS9_11use_defaultEEESI_EEENS0_18inequality_wrapperINS9_8equal_toIsEEEEPmJSH_EEE10hipError_tPvRmT3_T4_T5_T6_T7_T9_mT8_P12ihipStream_tbDpT10_ENKUlT_T0_E_clISt17integral_constantIbLb1EES1C_IbLb0EEEEDaS18_S19_EUlS18_E_NS1_11comp_targetILNS1_3genE2ELNS1_11target_archE906ELNS1_3gpuE6ELNS1_3repE0EEENS1_30default_config_static_selectorELNS0_4arch9wavefront6targetE0EEEvT1_
                                        ; -- End function
	.section	.AMDGPU.csdata,"",@progbits
; Kernel info:
; codeLenInByte = 0
; NumSgprs: 0
; NumVgprs: 0
; ScratchSize: 0
; MemoryBound: 0
; FloatMode: 240
; IeeeMode: 1
; LDSByteSize: 0 bytes/workgroup (compile time only)
; SGPRBlocks: 0
; VGPRBlocks: 0
; NumSGPRsForWavesPerEU: 1
; NumVGPRsForWavesPerEU: 1
; Occupancy: 16
; WaveLimiterHint : 0
; COMPUTE_PGM_RSRC2:SCRATCH_EN: 0
; COMPUTE_PGM_RSRC2:USER_SGPR: 15
; COMPUTE_PGM_RSRC2:TRAP_HANDLER: 0
; COMPUTE_PGM_RSRC2:TGID_X_EN: 1
; COMPUTE_PGM_RSRC2:TGID_Y_EN: 0
; COMPUTE_PGM_RSRC2:TGID_Z_EN: 0
; COMPUTE_PGM_RSRC2:TIDIG_COMP_CNT: 0
	.section	.text._ZN7rocprim17ROCPRIM_400000_NS6detail17trampoline_kernelINS0_14default_configENS1_25partition_config_selectorILNS1_17partition_subalgoE9EsjbEEZZNS1_14partition_implILS5_9ELb0ES3_jN6thrust23THRUST_200600_302600_NS6detail15normal_iteratorINS9_10device_ptrIsEEEENSB_INSC_IjEEEEPNS0_10empty_typeENS0_5tupleIJSE_SH_EEENSJ_IJNS9_16discard_iteratorINS9_11use_defaultEEESI_EEENS0_18inequality_wrapperINS9_8equal_toIsEEEEPmJSH_EEE10hipError_tPvRmT3_T4_T5_T6_T7_T9_mT8_P12ihipStream_tbDpT10_ENKUlT_T0_E_clISt17integral_constantIbLb1EES1C_IbLb0EEEEDaS18_S19_EUlS18_E_NS1_11comp_targetILNS1_3genE10ELNS1_11target_archE1200ELNS1_3gpuE4ELNS1_3repE0EEENS1_30default_config_static_selectorELNS0_4arch9wavefront6targetE0EEEvT1_,"axG",@progbits,_ZN7rocprim17ROCPRIM_400000_NS6detail17trampoline_kernelINS0_14default_configENS1_25partition_config_selectorILNS1_17partition_subalgoE9EsjbEEZZNS1_14partition_implILS5_9ELb0ES3_jN6thrust23THRUST_200600_302600_NS6detail15normal_iteratorINS9_10device_ptrIsEEEENSB_INSC_IjEEEEPNS0_10empty_typeENS0_5tupleIJSE_SH_EEENSJ_IJNS9_16discard_iteratorINS9_11use_defaultEEESI_EEENS0_18inequality_wrapperINS9_8equal_toIsEEEEPmJSH_EEE10hipError_tPvRmT3_T4_T5_T6_T7_T9_mT8_P12ihipStream_tbDpT10_ENKUlT_T0_E_clISt17integral_constantIbLb1EES1C_IbLb0EEEEDaS18_S19_EUlS18_E_NS1_11comp_targetILNS1_3genE10ELNS1_11target_archE1200ELNS1_3gpuE4ELNS1_3repE0EEENS1_30default_config_static_selectorELNS0_4arch9wavefront6targetE0EEEvT1_,comdat
	.protected	_ZN7rocprim17ROCPRIM_400000_NS6detail17trampoline_kernelINS0_14default_configENS1_25partition_config_selectorILNS1_17partition_subalgoE9EsjbEEZZNS1_14partition_implILS5_9ELb0ES3_jN6thrust23THRUST_200600_302600_NS6detail15normal_iteratorINS9_10device_ptrIsEEEENSB_INSC_IjEEEEPNS0_10empty_typeENS0_5tupleIJSE_SH_EEENSJ_IJNS9_16discard_iteratorINS9_11use_defaultEEESI_EEENS0_18inequality_wrapperINS9_8equal_toIsEEEEPmJSH_EEE10hipError_tPvRmT3_T4_T5_T6_T7_T9_mT8_P12ihipStream_tbDpT10_ENKUlT_T0_E_clISt17integral_constantIbLb1EES1C_IbLb0EEEEDaS18_S19_EUlS18_E_NS1_11comp_targetILNS1_3genE10ELNS1_11target_archE1200ELNS1_3gpuE4ELNS1_3repE0EEENS1_30default_config_static_selectorELNS0_4arch9wavefront6targetE0EEEvT1_ ; -- Begin function _ZN7rocprim17ROCPRIM_400000_NS6detail17trampoline_kernelINS0_14default_configENS1_25partition_config_selectorILNS1_17partition_subalgoE9EsjbEEZZNS1_14partition_implILS5_9ELb0ES3_jN6thrust23THRUST_200600_302600_NS6detail15normal_iteratorINS9_10device_ptrIsEEEENSB_INSC_IjEEEEPNS0_10empty_typeENS0_5tupleIJSE_SH_EEENSJ_IJNS9_16discard_iteratorINS9_11use_defaultEEESI_EEENS0_18inequality_wrapperINS9_8equal_toIsEEEEPmJSH_EEE10hipError_tPvRmT3_T4_T5_T6_T7_T9_mT8_P12ihipStream_tbDpT10_ENKUlT_T0_E_clISt17integral_constantIbLb1EES1C_IbLb0EEEEDaS18_S19_EUlS18_E_NS1_11comp_targetILNS1_3genE10ELNS1_11target_archE1200ELNS1_3gpuE4ELNS1_3repE0EEENS1_30default_config_static_selectorELNS0_4arch9wavefront6targetE0EEEvT1_
	.globl	_ZN7rocprim17ROCPRIM_400000_NS6detail17trampoline_kernelINS0_14default_configENS1_25partition_config_selectorILNS1_17partition_subalgoE9EsjbEEZZNS1_14partition_implILS5_9ELb0ES3_jN6thrust23THRUST_200600_302600_NS6detail15normal_iteratorINS9_10device_ptrIsEEEENSB_INSC_IjEEEEPNS0_10empty_typeENS0_5tupleIJSE_SH_EEENSJ_IJNS9_16discard_iteratorINS9_11use_defaultEEESI_EEENS0_18inequality_wrapperINS9_8equal_toIsEEEEPmJSH_EEE10hipError_tPvRmT3_T4_T5_T6_T7_T9_mT8_P12ihipStream_tbDpT10_ENKUlT_T0_E_clISt17integral_constantIbLb1EES1C_IbLb0EEEEDaS18_S19_EUlS18_E_NS1_11comp_targetILNS1_3genE10ELNS1_11target_archE1200ELNS1_3gpuE4ELNS1_3repE0EEENS1_30default_config_static_selectorELNS0_4arch9wavefront6targetE0EEEvT1_
	.p2align	8
	.type	_ZN7rocprim17ROCPRIM_400000_NS6detail17trampoline_kernelINS0_14default_configENS1_25partition_config_selectorILNS1_17partition_subalgoE9EsjbEEZZNS1_14partition_implILS5_9ELb0ES3_jN6thrust23THRUST_200600_302600_NS6detail15normal_iteratorINS9_10device_ptrIsEEEENSB_INSC_IjEEEEPNS0_10empty_typeENS0_5tupleIJSE_SH_EEENSJ_IJNS9_16discard_iteratorINS9_11use_defaultEEESI_EEENS0_18inequality_wrapperINS9_8equal_toIsEEEEPmJSH_EEE10hipError_tPvRmT3_T4_T5_T6_T7_T9_mT8_P12ihipStream_tbDpT10_ENKUlT_T0_E_clISt17integral_constantIbLb1EES1C_IbLb0EEEEDaS18_S19_EUlS18_E_NS1_11comp_targetILNS1_3genE10ELNS1_11target_archE1200ELNS1_3gpuE4ELNS1_3repE0EEENS1_30default_config_static_selectorELNS0_4arch9wavefront6targetE0EEEvT1_,@function
_ZN7rocprim17ROCPRIM_400000_NS6detail17trampoline_kernelINS0_14default_configENS1_25partition_config_selectorILNS1_17partition_subalgoE9EsjbEEZZNS1_14partition_implILS5_9ELb0ES3_jN6thrust23THRUST_200600_302600_NS6detail15normal_iteratorINS9_10device_ptrIsEEEENSB_INSC_IjEEEEPNS0_10empty_typeENS0_5tupleIJSE_SH_EEENSJ_IJNS9_16discard_iteratorINS9_11use_defaultEEESI_EEENS0_18inequality_wrapperINS9_8equal_toIsEEEEPmJSH_EEE10hipError_tPvRmT3_T4_T5_T6_T7_T9_mT8_P12ihipStream_tbDpT10_ENKUlT_T0_E_clISt17integral_constantIbLb1EES1C_IbLb0EEEEDaS18_S19_EUlS18_E_NS1_11comp_targetILNS1_3genE10ELNS1_11target_archE1200ELNS1_3gpuE4ELNS1_3repE0EEENS1_30default_config_static_selectorELNS0_4arch9wavefront6targetE0EEEvT1_: ; @_ZN7rocprim17ROCPRIM_400000_NS6detail17trampoline_kernelINS0_14default_configENS1_25partition_config_selectorILNS1_17partition_subalgoE9EsjbEEZZNS1_14partition_implILS5_9ELb0ES3_jN6thrust23THRUST_200600_302600_NS6detail15normal_iteratorINS9_10device_ptrIsEEEENSB_INSC_IjEEEEPNS0_10empty_typeENS0_5tupleIJSE_SH_EEENSJ_IJNS9_16discard_iteratorINS9_11use_defaultEEESI_EEENS0_18inequality_wrapperINS9_8equal_toIsEEEEPmJSH_EEE10hipError_tPvRmT3_T4_T5_T6_T7_T9_mT8_P12ihipStream_tbDpT10_ENKUlT_T0_E_clISt17integral_constantIbLb1EES1C_IbLb0EEEEDaS18_S19_EUlS18_E_NS1_11comp_targetILNS1_3genE10ELNS1_11target_archE1200ELNS1_3gpuE4ELNS1_3repE0EEENS1_30default_config_static_selectorELNS0_4arch9wavefront6targetE0EEEvT1_
; %bb.0:
	.section	.rodata,"a",@progbits
	.p2align	6, 0x0
	.amdhsa_kernel _ZN7rocprim17ROCPRIM_400000_NS6detail17trampoline_kernelINS0_14default_configENS1_25partition_config_selectorILNS1_17partition_subalgoE9EsjbEEZZNS1_14partition_implILS5_9ELb0ES3_jN6thrust23THRUST_200600_302600_NS6detail15normal_iteratorINS9_10device_ptrIsEEEENSB_INSC_IjEEEEPNS0_10empty_typeENS0_5tupleIJSE_SH_EEENSJ_IJNS9_16discard_iteratorINS9_11use_defaultEEESI_EEENS0_18inequality_wrapperINS9_8equal_toIsEEEEPmJSH_EEE10hipError_tPvRmT3_T4_T5_T6_T7_T9_mT8_P12ihipStream_tbDpT10_ENKUlT_T0_E_clISt17integral_constantIbLb1EES1C_IbLb0EEEEDaS18_S19_EUlS18_E_NS1_11comp_targetILNS1_3genE10ELNS1_11target_archE1200ELNS1_3gpuE4ELNS1_3repE0EEENS1_30default_config_static_selectorELNS0_4arch9wavefront6targetE0EEEvT1_
		.amdhsa_group_segment_fixed_size 0
		.amdhsa_private_segment_fixed_size 0
		.amdhsa_kernarg_size 120
		.amdhsa_user_sgpr_count 15
		.amdhsa_user_sgpr_dispatch_ptr 0
		.amdhsa_user_sgpr_queue_ptr 0
		.amdhsa_user_sgpr_kernarg_segment_ptr 1
		.amdhsa_user_sgpr_dispatch_id 0
		.amdhsa_user_sgpr_private_segment_size 0
		.amdhsa_wavefront_size32 1
		.amdhsa_uses_dynamic_stack 0
		.amdhsa_enable_private_segment 0
		.amdhsa_system_sgpr_workgroup_id_x 1
		.amdhsa_system_sgpr_workgroup_id_y 0
		.amdhsa_system_sgpr_workgroup_id_z 0
		.amdhsa_system_sgpr_workgroup_info 0
		.amdhsa_system_vgpr_workitem_id 0
		.amdhsa_next_free_vgpr 1
		.amdhsa_next_free_sgpr 1
		.amdhsa_reserve_vcc 0
		.amdhsa_float_round_mode_32 0
		.amdhsa_float_round_mode_16_64 0
		.amdhsa_float_denorm_mode_32 3
		.amdhsa_float_denorm_mode_16_64 3
		.amdhsa_dx10_clamp 1
		.amdhsa_ieee_mode 1
		.amdhsa_fp16_overflow 0
		.amdhsa_workgroup_processor_mode 1
		.amdhsa_memory_ordered 1
		.amdhsa_forward_progress 0
		.amdhsa_shared_vgpr_count 0
		.amdhsa_exception_fp_ieee_invalid_op 0
		.amdhsa_exception_fp_denorm_src 0
		.amdhsa_exception_fp_ieee_div_zero 0
		.amdhsa_exception_fp_ieee_overflow 0
		.amdhsa_exception_fp_ieee_underflow 0
		.amdhsa_exception_fp_ieee_inexact 0
		.amdhsa_exception_int_div_zero 0
	.end_amdhsa_kernel
	.section	.text._ZN7rocprim17ROCPRIM_400000_NS6detail17trampoline_kernelINS0_14default_configENS1_25partition_config_selectorILNS1_17partition_subalgoE9EsjbEEZZNS1_14partition_implILS5_9ELb0ES3_jN6thrust23THRUST_200600_302600_NS6detail15normal_iteratorINS9_10device_ptrIsEEEENSB_INSC_IjEEEEPNS0_10empty_typeENS0_5tupleIJSE_SH_EEENSJ_IJNS9_16discard_iteratorINS9_11use_defaultEEESI_EEENS0_18inequality_wrapperINS9_8equal_toIsEEEEPmJSH_EEE10hipError_tPvRmT3_T4_T5_T6_T7_T9_mT8_P12ihipStream_tbDpT10_ENKUlT_T0_E_clISt17integral_constantIbLb1EES1C_IbLb0EEEEDaS18_S19_EUlS18_E_NS1_11comp_targetILNS1_3genE10ELNS1_11target_archE1200ELNS1_3gpuE4ELNS1_3repE0EEENS1_30default_config_static_selectorELNS0_4arch9wavefront6targetE0EEEvT1_,"axG",@progbits,_ZN7rocprim17ROCPRIM_400000_NS6detail17trampoline_kernelINS0_14default_configENS1_25partition_config_selectorILNS1_17partition_subalgoE9EsjbEEZZNS1_14partition_implILS5_9ELb0ES3_jN6thrust23THRUST_200600_302600_NS6detail15normal_iteratorINS9_10device_ptrIsEEEENSB_INSC_IjEEEEPNS0_10empty_typeENS0_5tupleIJSE_SH_EEENSJ_IJNS9_16discard_iteratorINS9_11use_defaultEEESI_EEENS0_18inequality_wrapperINS9_8equal_toIsEEEEPmJSH_EEE10hipError_tPvRmT3_T4_T5_T6_T7_T9_mT8_P12ihipStream_tbDpT10_ENKUlT_T0_E_clISt17integral_constantIbLb1EES1C_IbLb0EEEEDaS18_S19_EUlS18_E_NS1_11comp_targetILNS1_3genE10ELNS1_11target_archE1200ELNS1_3gpuE4ELNS1_3repE0EEENS1_30default_config_static_selectorELNS0_4arch9wavefront6targetE0EEEvT1_,comdat
.Lfunc_end1226:
	.size	_ZN7rocprim17ROCPRIM_400000_NS6detail17trampoline_kernelINS0_14default_configENS1_25partition_config_selectorILNS1_17partition_subalgoE9EsjbEEZZNS1_14partition_implILS5_9ELb0ES3_jN6thrust23THRUST_200600_302600_NS6detail15normal_iteratorINS9_10device_ptrIsEEEENSB_INSC_IjEEEEPNS0_10empty_typeENS0_5tupleIJSE_SH_EEENSJ_IJNS9_16discard_iteratorINS9_11use_defaultEEESI_EEENS0_18inequality_wrapperINS9_8equal_toIsEEEEPmJSH_EEE10hipError_tPvRmT3_T4_T5_T6_T7_T9_mT8_P12ihipStream_tbDpT10_ENKUlT_T0_E_clISt17integral_constantIbLb1EES1C_IbLb0EEEEDaS18_S19_EUlS18_E_NS1_11comp_targetILNS1_3genE10ELNS1_11target_archE1200ELNS1_3gpuE4ELNS1_3repE0EEENS1_30default_config_static_selectorELNS0_4arch9wavefront6targetE0EEEvT1_, .Lfunc_end1226-_ZN7rocprim17ROCPRIM_400000_NS6detail17trampoline_kernelINS0_14default_configENS1_25partition_config_selectorILNS1_17partition_subalgoE9EsjbEEZZNS1_14partition_implILS5_9ELb0ES3_jN6thrust23THRUST_200600_302600_NS6detail15normal_iteratorINS9_10device_ptrIsEEEENSB_INSC_IjEEEEPNS0_10empty_typeENS0_5tupleIJSE_SH_EEENSJ_IJNS9_16discard_iteratorINS9_11use_defaultEEESI_EEENS0_18inequality_wrapperINS9_8equal_toIsEEEEPmJSH_EEE10hipError_tPvRmT3_T4_T5_T6_T7_T9_mT8_P12ihipStream_tbDpT10_ENKUlT_T0_E_clISt17integral_constantIbLb1EES1C_IbLb0EEEEDaS18_S19_EUlS18_E_NS1_11comp_targetILNS1_3genE10ELNS1_11target_archE1200ELNS1_3gpuE4ELNS1_3repE0EEENS1_30default_config_static_selectorELNS0_4arch9wavefront6targetE0EEEvT1_
                                        ; -- End function
	.section	.AMDGPU.csdata,"",@progbits
; Kernel info:
; codeLenInByte = 0
; NumSgprs: 0
; NumVgprs: 0
; ScratchSize: 0
; MemoryBound: 0
; FloatMode: 240
; IeeeMode: 1
; LDSByteSize: 0 bytes/workgroup (compile time only)
; SGPRBlocks: 0
; VGPRBlocks: 0
; NumSGPRsForWavesPerEU: 1
; NumVGPRsForWavesPerEU: 1
; Occupancy: 16
; WaveLimiterHint : 0
; COMPUTE_PGM_RSRC2:SCRATCH_EN: 0
; COMPUTE_PGM_RSRC2:USER_SGPR: 15
; COMPUTE_PGM_RSRC2:TRAP_HANDLER: 0
; COMPUTE_PGM_RSRC2:TGID_X_EN: 1
; COMPUTE_PGM_RSRC2:TGID_Y_EN: 0
; COMPUTE_PGM_RSRC2:TGID_Z_EN: 0
; COMPUTE_PGM_RSRC2:TIDIG_COMP_CNT: 0
	.section	.text._ZN7rocprim17ROCPRIM_400000_NS6detail17trampoline_kernelINS0_14default_configENS1_25partition_config_selectorILNS1_17partition_subalgoE9EsjbEEZZNS1_14partition_implILS5_9ELb0ES3_jN6thrust23THRUST_200600_302600_NS6detail15normal_iteratorINS9_10device_ptrIsEEEENSB_INSC_IjEEEEPNS0_10empty_typeENS0_5tupleIJSE_SH_EEENSJ_IJNS9_16discard_iteratorINS9_11use_defaultEEESI_EEENS0_18inequality_wrapperINS9_8equal_toIsEEEEPmJSH_EEE10hipError_tPvRmT3_T4_T5_T6_T7_T9_mT8_P12ihipStream_tbDpT10_ENKUlT_T0_E_clISt17integral_constantIbLb1EES1C_IbLb0EEEEDaS18_S19_EUlS18_E_NS1_11comp_targetILNS1_3genE9ELNS1_11target_archE1100ELNS1_3gpuE3ELNS1_3repE0EEENS1_30default_config_static_selectorELNS0_4arch9wavefront6targetE0EEEvT1_,"axG",@progbits,_ZN7rocprim17ROCPRIM_400000_NS6detail17trampoline_kernelINS0_14default_configENS1_25partition_config_selectorILNS1_17partition_subalgoE9EsjbEEZZNS1_14partition_implILS5_9ELb0ES3_jN6thrust23THRUST_200600_302600_NS6detail15normal_iteratorINS9_10device_ptrIsEEEENSB_INSC_IjEEEEPNS0_10empty_typeENS0_5tupleIJSE_SH_EEENSJ_IJNS9_16discard_iteratorINS9_11use_defaultEEESI_EEENS0_18inequality_wrapperINS9_8equal_toIsEEEEPmJSH_EEE10hipError_tPvRmT3_T4_T5_T6_T7_T9_mT8_P12ihipStream_tbDpT10_ENKUlT_T0_E_clISt17integral_constantIbLb1EES1C_IbLb0EEEEDaS18_S19_EUlS18_E_NS1_11comp_targetILNS1_3genE9ELNS1_11target_archE1100ELNS1_3gpuE3ELNS1_3repE0EEENS1_30default_config_static_selectorELNS0_4arch9wavefront6targetE0EEEvT1_,comdat
	.protected	_ZN7rocprim17ROCPRIM_400000_NS6detail17trampoline_kernelINS0_14default_configENS1_25partition_config_selectorILNS1_17partition_subalgoE9EsjbEEZZNS1_14partition_implILS5_9ELb0ES3_jN6thrust23THRUST_200600_302600_NS6detail15normal_iteratorINS9_10device_ptrIsEEEENSB_INSC_IjEEEEPNS0_10empty_typeENS0_5tupleIJSE_SH_EEENSJ_IJNS9_16discard_iteratorINS9_11use_defaultEEESI_EEENS0_18inequality_wrapperINS9_8equal_toIsEEEEPmJSH_EEE10hipError_tPvRmT3_T4_T5_T6_T7_T9_mT8_P12ihipStream_tbDpT10_ENKUlT_T0_E_clISt17integral_constantIbLb1EES1C_IbLb0EEEEDaS18_S19_EUlS18_E_NS1_11comp_targetILNS1_3genE9ELNS1_11target_archE1100ELNS1_3gpuE3ELNS1_3repE0EEENS1_30default_config_static_selectorELNS0_4arch9wavefront6targetE0EEEvT1_ ; -- Begin function _ZN7rocprim17ROCPRIM_400000_NS6detail17trampoline_kernelINS0_14default_configENS1_25partition_config_selectorILNS1_17partition_subalgoE9EsjbEEZZNS1_14partition_implILS5_9ELb0ES3_jN6thrust23THRUST_200600_302600_NS6detail15normal_iteratorINS9_10device_ptrIsEEEENSB_INSC_IjEEEEPNS0_10empty_typeENS0_5tupleIJSE_SH_EEENSJ_IJNS9_16discard_iteratorINS9_11use_defaultEEESI_EEENS0_18inequality_wrapperINS9_8equal_toIsEEEEPmJSH_EEE10hipError_tPvRmT3_T4_T5_T6_T7_T9_mT8_P12ihipStream_tbDpT10_ENKUlT_T0_E_clISt17integral_constantIbLb1EES1C_IbLb0EEEEDaS18_S19_EUlS18_E_NS1_11comp_targetILNS1_3genE9ELNS1_11target_archE1100ELNS1_3gpuE3ELNS1_3repE0EEENS1_30default_config_static_selectorELNS0_4arch9wavefront6targetE0EEEvT1_
	.globl	_ZN7rocprim17ROCPRIM_400000_NS6detail17trampoline_kernelINS0_14default_configENS1_25partition_config_selectorILNS1_17partition_subalgoE9EsjbEEZZNS1_14partition_implILS5_9ELb0ES3_jN6thrust23THRUST_200600_302600_NS6detail15normal_iteratorINS9_10device_ptrIsEEEENSB_INSC_IjEEEEPNS0_10empty_typeENS0_5tupleIJSE_SH_EEENSJ_IJNS9_16discard_iteratorINS9_11use_defaultEEESI_EEENS0_18inequality_wrapperINS9_8equal_toIsEEEEPmJSH_EEE10hipError_tPvRmT3_T4_T5_T6_T7_T9_mT8_P12ihipStream_tbDpT10_ENKUlT_T0_E_clISt17integral_constantIbLb1EES1C_IbLb0EEEEDaS18_S19_EUlS18_E_NS1_11comp_targetILNS1_3genE9ELNS1_11target_archE1100ELNS1_3gpuE3ELNS1_3repE0EEENS1_30default_config_static_selectorELNS0_4arch9wavefront6targetE0EEEvT1_
	.p2align	8
	.type	_ZN7rocprim17ROCPRIM_400000_NS6detail17trampoline_kernelINS0_14default_configENS1_25partition_config_selectorILNS1_17partition_subalgoE9EsjbEEZZNS1_14partition_implILS5_9ELb0ES3_jN6thrust23THRUST_200600_302600_NS6detail15normal_iteratorINS9_10device_ptrIsEEEENSB_INSC_IjEEEEPNS0_10empty_typeENS0_5tupleIJSE_SH_EEENSJ_IJNS9_16discard_iteratorINS9_11use_defaultEEESI_EEENS0_18inequality_wrapperINS9_8equal_toIsEEEEPmJSH_EEE10hipError_tPvRmT3_T4_T5_T6_T7_T9_mT8_P12ihipStream_tbDpT10_ENKUlT_T0_E_clISt17integral_constantIbLb1EES1C_IbLb0EEEEDaS18_S19_EUlS18_E_NS1_11comp_targetILNS1_3genE9ELNS1_11target_archE1100ELNS1_3gpuE3ELNS1_3repE0EEENS1_30default_config_static_selectorELNS0_4arch9wavefront6targetE0EEEvT1_,@function
_ZN7rocprim17ROCPRIM_400000_NS6detail17trampoline_kernelINS0_14default_configENS1_25partition_config_selectorILNS1_17partition_subalgoE9EsjbEEZZNS1_14partition_implILS5_9ELb0ES3_jN6thrust23THRUST_200600_302600_NS6detail15normal_iteratorINS9_10device_ptrIsEEEENSB_INSC_IjEEEEPNS0_10empty_typeENS0_5tupleIJSE_SH_EEENSJ_IJNS9_16discard_iteratorINS9_11use_defaultEEESI_EEENS0_18inequality_wrapperINS9_8equal_toIsEEEEPmJSH_EEE10hipError_tPvRmT3_T4_T5_T6_T7_T9_mT8_P12ihipStream_tbDpT10_ENKUlT_T0_E_clISt17integral_constantIbLb1EES1C_IbLb0EEEEDaS18_S19_EUlS18_E_NS1_11comp_targetILNS1_3genE9ELNS1_11target_archE1100ELNS1_3gpuE3ELNS1_3repE0EEENS1_30default_config_static_selectorELNS0_4arch9wavefront6targetE0EEEvT1_: ; @_ZN7rocprim17ROCPRIM_400000_NS6detail17trampoline_kernelINS0_14default_configENS1_25partition_config_selectorILNS1_17partition_subalgoE9EsjbEEZZNS1_14partition_implILS5_9ELb0ES3_jN6thrust23THRUST_200600_302600_NS6detail15normal_iteratorINS9_10device_ptrIsEEEENSB_INSC_IjEEEEPNS0_10empty_typeENS0_5tupleIJSE_SH_EEENSJ_IJNS9_16discard_iteratorINS9_11use_defaultEEESI_EEENS0_18inequality_wrapperINS9_8equal_toIsEEEEPmJSH_EEE10hipError_tPvRmT3_T4_T5_T6_T7_T9_mT8_P12ihipStream_tbDpT10_ENKUlT_T0_E_clISt17integral_constantIbLb1EES1C_IbLb0EEEEDaS18_S19_EUlS18_E_NS1_11comp_targetILNS1_3genE9ELNS1_11target_archE1100ELNS1_3gpuE3ELNS1_3repE0EEENS1_30default_config_static_selectorELNS0_4arch9wavefront6targetE0EEEvT1_
; %bb.0:
	s_clause 0x4
	s_load_b128 s[4:7], s[0:1], 0x8
	s_load_b32 s14, s[0:1], 0x70
	s_load_b128 s[16:19], s[0:1], 0x48
	s_load_b64 s[2:3], s[0:1], 0x58
	s_load_b64 s[8:9], s[0:1], 0x18
	s_waitcnt lgkmcnt(0)
	s_lshl_b64 s[10:11], s[6:7], 1
	s_mul_i32 s20, s14, 0x580
	s_add_u32 s10, s4, s10
	s_addc_u32 s11, s5, s11
	s_add_i32 s4, s20, s6
	s_load_b64 s[12:13], s[18:19], 0x0
	s_sub_i32 s19, s2, s4
	s_add_i32 s14, s14, -1
	s_addk_i32 s19, 0x580
	s_add_u32 s4, s6, s20
	s_addc_u32 s5, s7, 0
	s_cmp_eq_u32 s15, s14
	v_cmp_ge_u64_e64 s2, s[4:5], s[2:3]
	s_cselect_b32 s14, -1, 0
	s_mov_b32 s5, 0
	s_mul_i32 s4, s15, 0x580
	s_delay_alu instid0(VALU_DEP_1)
	s_and_b32 s20, s14, s2
	s_lshl_b64 s[2:3], s[4:5], 1
	s_xor_b32 s18, s20, -1
	s_add_u32 s10, s10, s2
	s_addc_u32 s3, s11, s3
	s_and_b32 vcc_lo, exec_lo, s18
	s_mov_b32 s11, -1
	s_cbranch_vccz .LBB1227_2
; %bb.1:
	v_lshlrev_b32_e32 v3, 1, v0
	s_mov_b32 s11, s5
	s_delay_alu instid0(VALU_DEP_1) | instskip(NEXT) | instid1(VALU_DEP_1)
	v_add_co_u32 v1, s2, s10, v3
	v_add_co_ci_u32_e64 v2, null, s3, 0, s2
	s_clause 0xa
	flat_load_u16 v4, v[1:2]
	flat_load_u16 v5, v[1:2] offset:256
	flat_load_u16 v6, v[1:2] offset:512
	;; [unrolled: 1-line block ×10, first 2 shown]
	s_waitcnt vmcnt(10) lgkmcnt(0)
	ds_store_b16 v3, v4
	s_waitcnt vmcnt(9)
	ds_store_b16 v3, v5 offset:256
	s_waitcnt vmcnt(8)
	ds_store_b16 v3, v6 offset:512
	;; [unrolled: 2-line block ×10, first 2 shown]
	s_waitcnt lgkmcnt(0)
	s_barrier
.LBB1227_2:
	v_cmp_gt_u32_e64 s2, s19, v0
	s_and_not1_b32 vcc_lo, exec_lo, s11
	s_cbranch_vccnz .LBB1227_26
; %bb.3:
                                        ; implicit-def: $vgpr1_vgpr2_vgpr3_vgpr4_vgpr5_vgpr6_vgpr7_vgpr8
	s_delay_alu instid0(VALU_DEP_1)
	s_and_saveexec_b32 s11, s2
	s_cbranch_execz .LBB1227_5
; %bb.4:
	v_lshlrev_b32_e32 v1, 1, v0
	s_delay_alu instid0(VALU_DEP_1) | instskip(NEXT) | instid1(VALU_DEP_1)
	v_add_co_u32 v1, s2, s10, v1
	v_add_co_ci_u32_e64 v2, null, s3, 0, s2
	flat_load_d16_b16 v1, v[1:2]
.LBB1227_5:
	s_or_b32 exec_lo, exec_lo, s11
	v_or_b32_e32 v7, 0x80, v0
	s_mov_b32 s2, exec_lo
	s_delay_alu instid0(VALU_DEP_1)
	v_cmpx_gt_u32_e64 s19, v7
	s_cbranch_execz .LBB1227_7
; %bb.6:
	v_lshlrev_b32_e32 v7, 1, v0
	s_delay_alu instid0(VALU_DEP_1) | instskip(NEXT) | instid1(VALU_DEP_1)
	v_add_co_u32 v7, s11, s10, v7
	v_add_co_ci_u32_e64 v8, null, s3, 0, s11
	s_waitcnt vmcnt(0) lgkmcnt(0)
	flat_load_d16_hi_b16 v1, v[7:8] offset:256
.LBB1227_7:
	s_or_b32 exec_lo, exec_lo, s2
	v_or_b32_e32 v7, 0x100, v0
	s_mov_b32 s2, exec_lo
	s_delay_alu instid0(VALU_DEP_1)
	v_cmpx_gt_u32_e64 s19, v7
	s_cbranch_execz .LBB1227_9
; %bb.8:
	v_lshlrev_b32_e32 v7, 1, v0
	s_delay_alu instid0(VALU_DEP_1) | instskip(NEXT) | instid1(VALU_DEP_1)
	v_add_co_u32 v7, s11, s10, v7
	v_add_co_ci_u32_e64 v8, null, s3, 0, s11
	flat_load_d16_b16 v2, v[7:8] offset:512
.LBB1227_9:
	s_or_b32 exec_lo, exec_lo, s2
	v_or_b32_e32 v7, 0x180, v0
	s_mov_b32 s2, exec_lo
	s_delay_alu instid0(VALU_DEP_1)
	v_cmpx_gt_u32_e64 s19, v7
	s_cbranch_execz .LBB1227_11
; %bb.10:
	v_lshlrev_b32_e32 v7, 1, v0
	s_delay_alu instid0(VALU_DEP_1) | instskip(NEXT) | instid1(VALU_DEP_1)
	v_add_co_u32 v7, s11, s10, v7
	v_add_co_ci_u32_e64 v8, null, s3, 0, s11
	s_waitcnt vmcnt(0) lgkmcnt(0)
	flat_load_d16_hi_b16 v2, v[7:8] offset:768
.LBB1227_11:
	s_or_b32 exec_lo, exec_lo, s2
	v_or_b32_e32 v7, 0x200, v0
	s_mov_b32 s2, exec_lo
	s_delay_alu instid0(VALU_DEP_1)
	v_cmpx_gt_u32_e64 s19, v7
	s_cbranch_execz .LBB1227_13
; %bb.12:
	v_lshlrev_b32_e32 v7, 1, v0
	s_delay_alu instid0(VALU_DEP_1) | instskip(NEXT) | instid1(VALU_DEP_1)
	v_add_co_u32 v7, s11, s10, v7
	v_add_co_ci_u32_e64 v8, null, s3, 0, s11
	flat_load_d16_b16 v3, v[7:8] offset:1024
.LBB1227_13:
	;; [unrolled: 27-line block ×5, first 2 shown]
	s_or_b32 exec_lo, exec_lo, s2
	v_lshlrev_b32_e32 v7, 1, v0
	s_waitcnt vmcnt(0) lgkmcnt(0)
	ds_store_b16 v7, v1
	ds_store_b16_d16_hi v7, v1 offset:256
	ds_store_b16 v7, v2 offset:512
	ds_store_b16_d16_hi v7, v2 offset:768
	ds_store_b16 v7, v3 offset:1024
	;; [unrolled: 2-line block ×5, first 2 shown]
	s_waitcnt lgkmcnt(0)
	s_barrier
.LBB1227_26:
	v_mul_u32_u24_e32 v1, 11, v0
	s_waitcnt lgkmcnt(0)
	buffer_gl0_inv
	s_lshl_b64 s[22:23], s[6:7], 2
	s_delay_alu instid0(SALU_CYCLE_1)
	s_add_u32 s2, s8, s22
	v_lshlrev_b32_e32 v2, 1, v1
	s_addc_u32 s8, s9, s23
	s_lshl_b64 s[4:5], s[4:5], 2
	ds_load_b128 v[13:16], v2
	ds_load_u16 v38, v2 offset:16
	ds_load_u16 v37, v2 offset:18
	;; [unrolled: 1-line block ×3, first 2 shown]
	s_add_u32 s2, s2, s4
	s_addc_u32 s4, s8, s5
	s_and_b32 vcc_lo, exec_lo, s18
	s_mov_b32 s5, -1
	s_waitcnt lgkmcnt(0)
	s_barrier
	buffer_gl0_inv
	s_cbranch_vccz .LBB1227_28
; %bb.27:
	v_lshlrev_b32_e32 v7, 2, v0
	s_delay_alu instid0(VALU_DEP_1) | instskip(NEXT) | instid1(VALU_DEP_1)
	v_add_co_u32 v3, s5, s2, v7
	v_add_co_ci_u32_e64 v4, null, s4, 0, s5
	s_mov_b32 s5, 0
	s_delay_alu instid0(VALU_DEP_2) | instskip(NEXT) | instid1(VALU_DEP_2)
	v_add_co_u32 v5, vcc_lo, 0x1000, v3
	v_add_co_ci_u32_e32 v6, vcc_lo, 0, v4, vcc_lo
	s_clause 0xa
	flat_load_b32 v8, v[3:4]
	flat_load_b32 v9, v[3:4] offset:512
	flat_load_b32 v10, v[3:4] offset:1024
	;; [unrolled: 1-line block ×7, first 2 shown]
	flat_load_b32 v4, v[5:6]
	flat_load_b32 v19, v[5:6] offset:512
	flat_load_b32 v5, v[5:6] offset:1024
	s_waitcnt vmcnt(9) lgkmcnt(9)
	ds_store_2addr_stride64_b32 v7, v8, v9 offset1:2
	s_waitcnt vmcnt(7) lgkmcnt(8)
	ds_store_2addr_stride64_b32 v7, v10, v11 offset0:4 offset1:6
	s_waitcnt vmcnt(5) lgkmcnt(7)
	ds_store_2addr_stride64_b32 v7, v12, v17 offset0:8 offset1:10
	;; [unrolled: 2-line block ×4, first 2 shown]
	s_waitcnt vmcnt(0) lgkmcnt(5)
	ds_store_b32 v7, v5 offset:5120
	s_waitcnt lgkmcnt(0)
	s_barrier
.LBB1227_28:
	s_and_not1_b32 vcc_lo, exec_lo, s5
	s_cbranch_vccnz .LBB1227_52
; %bb.29:
	s_mov_b32 s5, exec_lo
                                        ; implicit-def: $vgpr3
	v_cmpx_gt_u32_e64 s19, v0
	s_cbranch_execz .LBB1227_31
; %bb.30:
	v_lshlrev_b32_e32 v3, 2, v0
	s_delay_alu instid0(VALU_DEP_1) | instskip(NEXT) | instid1(VALU_DEP_1)
	v_add_co_u32 v3, s8, s2, v3
	v_add_co_ci_u32_e64 v4, null, s4, 0, s8
	flat_load_b32 v3, v[3:4]
.LBB1227_31:
	s_or_b32 exec_lo, exec_lo, s5
	v_or_b32_e32 v4, 0x80, v0
	s_delay_alu instid0(VALU_DEP_1)
	v_cmp_gt_u32_e32 vcc_lo, s19, v4
                                        ; implicit-def: $vgpr4
	s_and_saveexec_b32 s5, vcc_lo
	s_cbranch_execz .LBB1227_33
; %bb.32:
	v_lshlrev_b32_e32 v4, 2, v0
	s_delay_alu instid0(VALU_DEP_1) | instskip(NEXT) | instid1(VALU_DEP_1)
	v_add_co_u32 v4, s8, s2, v4
	v_add_co_ci_u32_e64 v5, null, s4, 0, s8
	flat_load_b32 v4, v[4:5] offset:512
.LBB1227_33:
	s_or_b32 exec_lo, exec_lo, s5
	v_or_b32_e32 v5, 0x100, v0
	s_delay_alu instid0(VALU_DEP_1)
	v_cmp_gt_u32_e32 vcc_lo, s19, v5
                                        ; implicit-def: $vgpr5
	s_and_saveexec_b32 s5, vcc_lo
	s_cbranch_execz .LBB1227_35
; %bb.34:
	v_lshlrev_b32_e32 v5, 2, v0
	s_delay_alu instid0(VALU_DEP_1) | instskip(NEXT) | instid1(VALU_DEP_1)
	v_add_co_u32 v5, s8, s2, v5
	v_add_co_ci_u32_e64 v6, null, s4, 0, s8
	flat_load_b32 v5, v[5:6] offset:1024
.LBB1227_35:
	s_or_b32 exec_lo, exec_lo, s5
	v_or_b32_e32 v6, 0x180, v0
	s_delay_alu instid0(VALU_DEP_1)
	v_cmp_gt_u32_e32 vcc_lo, s19, v6
                                        ; implicit-def: $vgpr6
	s_and_saveexec_b32 s5, vcc_lo
	s_cbranch_execz .LBB1227_37
; %bb.36:
	v_lshlrev_b32_e32 v6, 2, v0
	s_delay_alu instid0(VALU_DEP_1) | instskip(NEXT) | instid1(VALU_DEP_1)
	v_add_co_u32 v6, s8, s2, v6
	v_add_co_ci_u32_e64 v7, null, s4, 0, s8
	flat_load_b32 v6, v[6:7] offset:1536
.LBB1227_37:
	s_or_b32 exec_lo, exec_lo, s5
	v_or_b32_e32 v7, 0x200, v0
	s_delay_alu instid0(VALU_DEP_1)
	v_cmp_gt_u32_e32 vcc_lo, s19, v7
                                        ; implicit-def: $vgpr7
	s_and_saveexec_b32 s5, vcc_lo
	s_cbranch_execz .LBB1227_39
; %bb.38:
	v_lshlrev_b32_e32 v7, 2, v0
	s_delay_alu instid0(VALU_DEP_1) | instskip(NEXT) | instid1(VALU_DEP_1)
	v_add_co_u32 v7, s8, s2, v7
	v_add_co_ci_u32_e64 v8, null, s4, 0, s8
	flat_load_b32 v7, v[7:8] offset:2048
.LBB1227_39:
	s_or_b32 exec_lo, exec_lo, s5
	v_or_b32_e32 v8, 0x280, v0
	s_delay_alu instid0(VALU_DEP_1)
	v_cmp_gt_u32_e32 vcc_lo, s19, v8
                                        ; implicit-def: $vgpr8
	s_and_saveexec_b32 s5, vcc_lo
	s_cbranch_execz .LBB1227_41
; %bb.40:
	v_lshlrev_b32_e32 v8, 2, v0
	s_delay_alu instid0(VALU_DEP_1) | instskip(NEXT) | instid1(VALU_DEP_1)
	v_add_co_u32 v8, s8, s2, v8
	v_add_co_ci_u32_e64 v9, null, s4, 0, s8
	flat_load_b32 v8, v[8:9] offset:2560
.LBB1227_41:
	s_or_b32 exec_lo, exec_lo, s5
	v_or_b32_e32 v9, 0x300, v0
	s_delay_alu instid0(VALU_DEP_1)
	v_cmp_gt_u32_e32 vcc_lo, s19, v9
                                        ; implicit-def: $vgpr9
	s_and_saveexec_b32 s5, vcc_lo
	s_cbranch_execz .LBB1227_43
; %bb.42:
	v_lshlrev_b32_e32 v9, 2, v0
	s_delay_alu instid0(VALU_DEP_1) | instskip(NEXT) | instid1(VALU_DEP_1)
	v_add_co_u32 v9, s8, s2, v9
	v_add_co_ci_u32_e64 v10, null, s4, 0, s8
	flat_load_b32 v9, v[9:10] offset:3072
.LBB1227_43:
	s_or_b32 exec_lo, exec_lo, s5
	v_or_b32_e32 v10, 0x380, v0
	s_delay_alu instid0(VALU_DEP_1)
	v_cmp_gt_u32_e32 vcc_lo, s19, v10
                                        ; implicit-def: $vgpr10
	s_and_saveexec_b32 s5, vcc_lo
	s_cbranch_execz .LBB1227_45
; %bb.44:
	v_lshlrev_b32_e32 v10, 2, v0
	s_delay_alu instid0(VALU_DEP_1) | instskip(NEXT) | instid1(VALU_DEP_1)
	v_add_co_u32 v10, s8, s2, v10
	v_add_co_ci_u32_e64 v11, null, s4, 0, s8
	flat_load_b32 v10, v[10:11] offset:3584
.LBB1227_45:
	s_or_b32 exec_lo, exec_lo, s5
	v_or_b32_e32 v12, 0x400, v0
	s_mov_b32 s5, exec_lo
                                        ; implicit-def: $vgpr11
	s_delay_alu instid0(VALU_DEP_1)
	v_cmpx_gt_u32_e64 s19, v12
	s_cbranch_execz .LBB1227_47
; %bb.46:
	v_lshlrev_b32_e32 v11, 2, v12
	s_delay_alu instid0(VALU_DEP_1) | instskip(NEXT) | instid1(VALU_DEP_1)
	v_add_co_u32 v11, s8, s2, v11
	v_add_co_ci_u32_e64 v12, null, s4, 0, s8
	flat_load_b32 v11, v[11:12]
.LBB1227_47:
	s_or_b32 exec_lo, exec_lo, s5
	v_or_b32_e32 v17, 0x480, v0
	s_mov_b32 s5, exec_lo
                                        ; implicit-def: $vgpr12
	s_delay_alu instid0(VALU_DEP_1)
	v_cmpx_gt_u32_e64 s19, v17
	s_cbranch_execz .LBB1227_49
; %bb.48:
	v_lshlrev_b32_e32 v12, 2, v17
	s_delay_alu instid0(VALU_DEP_1) | instskip(NEXT) | instid1(VALU_DEP_1)
	v_add_co_u32 v17, s8, s2, v12
	v_add_co_ci_u32_e64 v18, null, s4, 0, s8
	flat_load_b32 v12, v[17:18]
.LBB1227_49:
	s_or_b32 exec_lo, exec_lo, s5
	v_or_b32_e32 v18, 0x500, v0
	s_mov_b32 s5, exec_lo
                                        ; implicit-def: $vgpr17
	s_delay_alu instid0(VALU_DEP_1)
	v_cmpx_gt_u32_e64 s19, v18
	s_cbranch_execz .LBB1227_51
; %bb.50:
	v_lshlrev_b32_e32 v17, 2, v18
	s_delay_alu instid0(VALU_DEP_1) | instskip(NEXT) | instid1(VALU_DEP_1)
	v_add_co_u32 v17, s2, s2, v17
	v_add_co_ci_u32_e64 v18, null, s4, 0, s2
	flat_load_b32 v17, v[17:18]
.LBB1227_51:
	s_or_b32 exec_lo, exec_lo, s5
	v_mad_i32_i24 v2, 0xffffffee, v0, v2
	s_waitcnt vmcnt(0) lgkmcnt(0)
	ds_store_2addr_stride64_b32 v2, v3, v4 offset1:2
	ds_store_2addr_stride64_b32 v2, v5, v6 offset0:4 offset1:6
	ds_store_2addr_stride64_b32 v2, v7, v8 offset0:8 offset1:10
	;; [unrolled: 1-line block ×4, first 2 shown]
	ds_store_b32 v2, v17 offset:5120
	s_waitcnt lgkmcnt(0)
	s_barrier
.LBB1227_52:
	v_lshlrev_b32_e32 v44, 2, v1
	buffer_gl0_inv
	s_cmp_lg_u32 s15, 0
	v_lshrrev_b32_e32 v42, 16, v13
	s_cselect_b32 s21, -1, 0
	ds_load_2addr_b32 v[28:29], v44 offset1:1
	ds_load_2addr_b32 v[26:27], v44 offset0:2 offset1:3
	ds_load_2addr_b32 v[24:25], v44 offset0:4 offset1:5
	;; [unrolled: 1-line block ×4, first 2 shown]
	ds_load_b32 v36, v44 offset:40
	s_cmp_lg_u64 s[6:7], 0
	v_lshrrev_b32_e32 v41, 16, v14
	s_cselect_b32 s2, -1, 0
	v_lshrrev_b32_e32 v40, 16, v15
	v_lshrrev_b32_e32 v39, 16, v16
	v_add_nc_u32_e32 v5, 1, v1
	v_add_nc_u32_e32 v6, 2, v1
	;; [unrolled: 1-line block ×10, first 2 shown]
	s_or_b32 s2, s21, s2
	s_mov_b32 s22, 0
	s_and_b32 vcc_lo, exec_lo, s2
	s_waitcnt lgkmcnt(0)
	s_barrier
	buffer_gl0_inv
	s_cbranch_vccz .LBB1227_57
; %bb.53:
	v_add_co_u32 v17, s2, -2, s10
	s_delay_alu instid0(VALU_DEP_1)
	v_add_co_ci_u32_e64 v18, null, -1, s3, s2
	s_mov_b32 s3, -1
	s_and_b32 vcc_lo, exec_lo, s18
	flat_load_u16 v17, v[17:18]
	v_lshlrev_b32_e32 v18, 1, v0
	ds_store_b16 v18, v33
	s_cbranch_vccz .LBB1227_59
; %bb.54:
	s_waitcnt vmcnt(0) lgkmcnt(1)
	v_mov_b32_e32 v19, v17
	s_mov_b32 s3, 0
	s_mov_b32 s2, exec_lo
	s_waitcnt lgkmcnt(0)
	s_barrier
	buffer_gl0_inv
	v_cmpx_ne_u32_e32 0, v0
	s_cbranch_execz .LBB1227_56
; %bb.55:
	v_add_nc_u32_e32 v12, -2, v18
	ds_load_u16 v19, v12
.LBB1227_56:
	s_or_b32 exec_lo, exec_lo, s2
	v_cmp_ne_u16_e32 vcc_lo, v16, v39
	s_waitcnt lgkmcnt(0)
	v_cmp_ne_u16_e64 s2, v19, v13
	v_cndmask_b32_e64 v12, 0, 1, vcc_lo
	v_cmp_ne_u16_e32 vcc_lo, v40, v16
	s_delay_alu instid0(VALU_DEP_2) | instskip(SKIP_2) | instid1(VALU_DEP_2)
	v_lshlrev_b16 v12, 8, v12
	v_cndmask_b32_e64 v30, 0, 1, vcc_lo
	v_cmp_ne_u16_e32 vcc_lo, v15, v40
	v_or_b32_e32 v30, v30, v12
	v_cndmask_b32_e64 v31, 0, 1, vcc_lo
	v_cmp_ne_u16_e32 vcc_lo, v41, v15
	s_delay_alu instid0(VALU_DEP_2) | instskip(SKIP_2) | instid1(VALU_DEP_2)
	v_lshlrev_b16 v31, 8, v31
	v_cndmask_b32_e64 v32, 0, 1, vcc_lo
	v_cmp_ne_u16_e32 vcc_lo, v14, v41
	v_or_b32_e32 v31, v32, v31
	v_cndmask_b32_e64 v34, 0, 1, vcc_lo
	v_cmp_ne_u16_e32 vcc_lo, v42, v14
	s_delay_alu instid0(VALU_DEP_3) | instskip(NEXT) | instid1(VALU_DEP_3)
	v_and_b32_e32 v31, 0xffff, v31
	v_lshlrev_b16 v45, 8, v34
	v_cndmask_b32_e64 v35, 0, 1, vcc_lo
	v_cmp_ne_u16_e32 vcc_lo, v13, v42
	s_delay_alu instid0(VALU_DEP_2) | instskip(SKIP_3) | instid1(VALU_DEP_4)
	v_or_b32_e32 v35, v35, v45
	v_cndmask_b32_e64 v43, 0, 1, vcc_lo
	v_cmp_ne_u16_e32 vcc_lo, v37, v33
	v_lshlrev_b32_e32 v45, 16, v30
	v_lshlrev_b32_e32 v35, 16, v35
	s_delay_alu instid0(VALU_DEP_4) | instskip(SKIP_3) | instid1(VALU_DEP_4)
	v_lshlrev_b16 v43, 8, v43
	v_cndmask_b32_e64 v34, 0, 1, vcc_lo
	v_cmp_ne_u16_e32 vcc_lo, v38, v37
	v_or_b32_e32 v31, v31, v45
	v_and_b32_e32 v43, 0xffff, v43
	v_cndmask_b32_e64 v12, 0, 1, vcc_lo
	v_cmp_ne_u16_e32 vcc_lo, v39, v38
	s_delay_alu instid0(VALU_DEP_3)
	v_or_b32_e32 v30, v43, v35
	v_cndmask_b32_e64 v32, 0, 1, vcc_lo
	s_and_b32 vcc_lo, exec_lo, s3
	s_cbranch_vccnz .LBB1227_60
	s_branch .LBB1227_63
.LBB1227_57:
                                        ; implicit-def: $sgpr2
                                        ; implicit-def: $vgpr34
                                        ; implicit-def: $vgpr12
                                        ; implicit-def: $vgpr32
                                        ; implicit-def: $vgpr31
	s_branch .LBB1227_64
.LBB1227_58:
                                        ; implicit-def: $vgpr17_vgpr18_vgpr19
	s_and_saveexec_b32 s3, s22
	s_cbranch_execnz .LBB1227_72
	s_branch .LBB1227_73
.LBB1227_59:
                                        ; implicit-def: $sgpr2
                                        ; implicit-def: $vgpr34
                                        ; implicit-def: $vgpr12
                                        ; implicit-def: $vgpr32
                                        ; implicit-def: $vgpr31
	s_and_b32 vcc_lo, exec_lo, s3
	s_cbranch_vccz .LBB1227_63
.LBB1227_60:
	s_mov_b32 s2, exec_lo
	s_waitcnt vmcnt(0) lgkmcnt(0)
	s_barrier
	buffer_gl0_inv
	v_cmpx_ne_u32_e32 0, v0
	s_cbranch_execz .LBB1227_62
; %bb.61:
	v_add_nc_u32_e32 v12, -2, v18
	ds_load_u16 v17, v12
.LBB1227_62:
	s_or_b32 exec_lo, exec_lo, s2
	v_cmp_gt_u32_e32 vcc_lo, s19, v9
	v_cmp_ne_u16_e64 s2, v37, v33
	v_cmp_gt_u32_e64 s3, s19, v10
	v_cmp_ne_u16_e64 s4, v38, v37
	v_cmp_gt_u32_e64 s5, s19, v5
	v_cmp_ne_u16_e64 s6, v13, v42
	s_and_b32 s2, vcc_lo, s2
	v_cmp_gt_u32_e32 vcc_lo, s19, v2
	v_cndmask_b32_e64 v34, 0, 1, s2
	v_cmp_ne_u16_e64 s2, v16, v39
	s_and_b32 s3, s3, s4
	v_cmp_ne_u16_e64 s4, v40, v16
	v_cndmask_b32_e64 v12, 0, 1, s3
	v_cmp_gt_u32_e64 s3, s19, v4
	s_and_b32 s2, vcc_lo, s2
	v_cmp_gt_u32_e32 vcc_lo, s19, v7
	v_cndmask_b32_e64 v18, 0, 1, s2
	v_cmp_ne_u16_e64 s2, v15, v40
	s_and_b32 s3, s3, s4
	v_cmp_ne_u16_e64 s4, v14, v41
	v_cndmask_b32_e64 v19, 0, 1, s3
	v_cmp_gt_u32_e64 s3, s19, v3
	;; [unrolled: 8-line block ×3, first 2 shown]
	s_and_b32 s2, vcc_lo, s2
	v_lshlrev_b16 v30, 8, v30
	v_cndmask_b32_e64 v32, 0, 1, s2
	v_lshlrev_b16 v31, 8, v31
	s_and_b32 s2, s3, s4
	v_lshlrev_b16 v18, 8, v18
	v_cndmask_b32_e64 v35, 0, 1, s2
	s_and_b32 s2, s5, s6
	v_or_b32_e32 v30, v32, v30
	v_cndmask_b32_e64 v43, 0, 1, s2
	v_or_b32_e32 v18, v19, v18
	v_or_b32_e32 v31, v35, v31
	v_cmp_gt_u32_e32 vcc_lo, s19, v11
	v_cmp_ne_u16_e64 s2, v39, v38
	v_lshlrev_b16 v35, 8, v43
	v_lshlrev_b32_e32 v18, 16, v18
	v_lshlrev_b32_e32 v19, 16, v31
	s_delay_alu instid0(VALU_DEP_4) | instskip(NEXT) | instid1(VALU_DEP_3)
	s_and_b32 s2, vcc_lo, s2
	v_and_b32_e32 v31, 0xffff, v35
	v_and_b32_e32 v35, 0xffff, v30
	v_cndmask_b32_e64 v32, 0, 1, s2
	v_cmp_gt_u32_e32 vcc_lo, s19, v1
	s_waitcnt lgkmcnt(0)
	v_cmp_ne_u16_e64 s2, v17, v13
	v_or_b32_e32 v30, v31, v19
	v_or_b32_e32 v31, v35, v18
	s_delay_alu instid0(VALU_DEP_3)
	s_and_b32 s2, vcc_lo, s2
.LBB1227_63:
	s_mov_b32 s22, -1
	s_cbranch_execnz .LBB1227_58
.LBB1227_64:
	v_mad_i32_i24 v35, 0xffffffd6, v0, v44
	v_cmp_ne_u16_e64 s2, v37, v33
	v_cmp_ne_u16_e64 s9, v38, v37
	;; [unrolled: 1-line block ×10, first 2 shown]
	s_and_b32 vcc_lo, exec_lo, s18
	ds_store_b16 v35, v33
	s_cbranch_vccz .LBB1227_68
; %bb.65:
	s_waitcnt vmcnt(0) lgkmcnt(2)
	v_cndmask_b32_e64 v17, 0, 1, s11
	v_cndmask_b32_e64 v12, 0, 1, s9
	;; [unrolled: 1-line block ×5, first 2 shown]
	v_lshlrev_b16 v17, 8, v17
	v_cndmask_b32_e64 v43, 0, 1, s4
	v_cndmask_b32_e64 v32, 0, 1, s10
	;; [unrolled: 1-line block ×4, first 2 shown]
	v_lshlrev_b16 v18, 8, v18
	v_lshlrev_b16 v45, 8, v12
	v_or_b32_e32 v17, v30, v17
	v_lshlrev_b16 v30, 8, v31
	v_lshlrev_b16 v31, 8, v43
	v_or_b32_e32 v18, v19, v18
	v_or_b32_e32 v19, v32, v45
	v_and_b32_e32 v17, 0xffff, v17
	v_or_b32_e32 v30, v34, v30
	v_or_b32_e32 v31, 1, v31
	v_lshlrev_b32_e32 v18, 16, v18
	v_and_b32_e32 v19, 0xffff, v19
	v_cndmask_b32_e64 v34, 0, 1, s2
	v_lshlrev_b32_e32 v30, 16, v30
	v_and_b32_e32 v43, 0xffff, v31
	v_or_b32_e32 v31, v17, v18
	s_mov_b32 s3, 0
	v_lshl_or_b32 v19, v34, 16, v19
	s_mov_b32 s4, exec_lo
	v_or_b32_e32 v30, v43, v30
	s_waitcnt lgkmcnt(0)
	s_barrier
	buffer_gl0_inv
                                        ; implicit-def: $sgpr2
	v_cmpx_ne_u32_e32 0, v0
	s_xor_b32 s4, exec_lo, s4
	s_cbranch_execz .LBB1227_67
; %bb.66:
	v_add_nc_u32_e32 v17, -2, v35
	s_or_b32 s22, s22, exec_lo
	ds_load_u16 v17, v17
	s_waitcnt lgkmcnt(0)
	v_cmp_ne_u16_e32 vcc_lo, v17, v13
                                        ; implicit-def: $vgpr17_vgpr18_vgpr19
	s_and_b32 s2, vcc_lo, exec_lo
.LBB1227_67:
	s_or_b32 exec_lo, exec_lo, s4
	s_delay_alu instid0(SALU_CYCLE_1)
	s_and_b32 vcc_lo, exec_lo, s3
	s_cbranch_vccnz .LBB1227_69
	s_branch .LBB1227_71
.LBB1227_68:
                                        ; implicit-def: $sgpr2
                                        ; implicit-def: $vgpr34
                                        ; implicit-def: $vgpr12
                                        ; implicit-def: $vgpr32
                                        ; implicit-def: $vgpr31
                                        ; implicit-def: $vgpr17_vgpr18_vgpr19
	s_cbranch_execz .LBB1227_71
.LBB1227_69:
	v_cmp_gt_u32_e32 vcc_lo, s19, v10
	v_cmp_ne_u16_e64 s2, v38, v37
	v_cmp_gt_u32_e64 s5, s19, v11
	v_cmp_ne_u16_e64 s6, v39, v38
	v_cmp_gt_u32_e64 s3, s19, v9
	v_cmp_ne_u16_e64 s4, v37, v33
	s_and_b32 s2, vcc_lo, s2
	v_cmp_gt_u32_e32 vcc_lo, s19, v2
	v_cndmask_b32_e64 v12, 0, 1, s2
	v_cmp_ne_u16_e64 s2, v16, v39
	s_and_b32 s5, s5, s6
	v_cmp_ne_u16_e64 s6, v40, v16
	v_cndmask_b32_e64 v32, 0, 1, s5
	v_cmp_gt_u32_e64 s5, s19, v4
	s_and_b32 s2, vcc_lo, s2
	v_cmp_gt_u32_e32 vcc_lo, s19, v7
	s_waitcnt vmcnt(0) lgkmcnt(2)
	v_cndmask_b32_e64 v17, 0, 1, s2
	v_cmp_ne_u16_e64 s2, v15, v40
	s_and_b32 s5, s5, s6
	v_cmp_ne_u16_e64 s6, v41, v15
	v_cndmask_b32_e64 v18, 0, 1, s5
	v_cmp_gt_u32_e64 s5, s19, v8
	s_and_b32 s2, vcc_lo, s2
	v_cmp_gt_u32_e32 vcc_lo, s19, v3
	v_cndmask_b32_e64 v19, 0, 1, s2
	v_cmp_ne_u16_e64 s2, v14, v41
	s_and_b32 s5, s5, s6
	v_cmp_ne_u16_e64 s6, v42, v14
	v_cndmask_b32_e64 v30, 0, 1, s5
	v_cmp_gt_u32_e64 s5, s19, v6
	s_and_b32 s2, vcc_lo, s2
	v_cmp_gt_u32_e32 vcc_lo, s19, v5
	v_cndmask_b32_e64 v31, 0, 1, s2
	v_cmp_ne_u16_e64 s2, v13, v42
	v_lshlrev_b16 v19, 8, v19
	v_lshlrev_b16 v17, 8, v17
	s_and_b32 s5, s5, s6
	v_lshlrev_b16 v45, 8, v12
	s_and_b32 s2, vcc_lo, s2
	v_cndmask_b32_e64 v34, 0, 1, s5
	v_cndmask_b32_e64 v43, 0, 1, s2
	v_or_b32_e32 v19, v30, v19
	v_or_b32_e32 v17, v18, v17
	v_lshlrev_b16 v18, 8, v31
	v_or_b32_e32 v31, v32, v45
	v_lshlrev_b16 v30, 8, v43
	s_and_b32 s2, s3, s4
	v_and_b32_e32 v19, 0xffff, v19
	v_or_b32_e32 v18, v34, v18
	v_lshlrev_b32_e32 v17, 16, v17
	v_or_b32_e32 v30, 1, v30
	v_and_b32_e32 v43, 0xffff, v31
	v_cndmask_b32_e64 v34, 0, 1, s2
	v_lshlrev_b32_e32 v18, 16, v18
	v_or_b32_e32 v31, v19, v17
	v_and_b32_e32 v30, 0xffff, v30
	s_mov_b32 s3, exec_lo
	v_lshl_or_b32 v19, v34, 16, v43
	s_waitcnt lgkmcnt(0)
	s_barrier
	v_or_b32_e32 v30, v30, v18
	buffer_gl0_inv
                                        ; implicit-def: $sgpr2
	v_cmpx_ne_u32_e32 0, v0
	s_cbranch_execz .LBB1227_217
; %bb.70:
	v_add_nc_u32_e32 v17, -2, v35
	v_cmp_gt_u32_e32 vcc_lo, s19, v1
	s_or_b32 s22, s22, exec_lo
	ds_load_u16 v17, v17
	s_waitcnt lgkmcnt(0)
	v_cmp_ne_u16_e64 s2, v17, v13
                                        ; implicit-def: $vgpr17_vgpr18_vgpr19
	s_delay_alu instid0(VALU_DEP_1) | instskip(NEXT) | instid1(SALU_CYCLE_1)
	s_and_b32 s2, vcc_lo, s2
	s_and_b32 s2, s2, exec_lo
	s_or_b32 exec_lo, exec_lo, s3
.LBB1227_71:
	s_and_saveexec_b32 s3, s22
	s_cbranch_execz .LBB1227_73
.LBB1227_72:
	v_lshrrev_b32_e32 v18, 24, v30
	v_lshrrev_b32_e32 v19, 16, v30
	;; [unrolled: 1-line block ×3, first 2 shown]
	s_waitcnt vmcnt(0) lgkmcnt(1)
	v_cndmask_b32_e64 v17, 0, 1, s2
	v_lshlrev_b16 v12, 8, v12
	v_and_b32_e32 v32, 0xff, v32
	v_lshlrev_b16 v18, 8, v18
	v_and_b32_e32 v19, 0xff, v19
	;; [unrolled: 2-line block ×3, first 2 shown]
	v_or_b32_e32 v12, v32, v12
	s_delay_alu instid0(VALU_DEP_4) | instskip(NEXT) | instid1(VALU_DEP_4)
	v_or_b32_e32 v18, v19, v18
	v_or_b32_e32 v17, v17, v30
	s_delay_alu instid0(VALU_DEP_4) | instskip(NEXT) | instid1(VALU_DEP_4)
	v_lshlrev_b32_e32 v19, 16, v34
	v_and_b32_e32 v12, 0xffff, v12
	s_delay_alu instid0(VALU_DEP_4) | instskip(NEXT) | instid1(VALU_DEP_4)
	v_lshlrev_b32_e32 v18, 16, v18
	v_and_b32_e32 v17, 0xffff, v17
	s_delay_alu instid0(VALU_DEP_3) | instskip(NEXT) | instid1(VALU_DEP_2)
	v_or_b32_e32 v19, v12, v19
	v_or_b32_e32 v30, v17, v18
.LBB1227_73:
	s_or_b32 exec_lo, exec_lo, s3
	s_load_b64 s[10:11], s[0:1], 0x68
	s_and_not1_b32 vcc_lo, exec_lo, s20
	s_cbranch_vccnz .LBB1227_75
; %bb.74:
	v_cmp_gt_u32_e32 vcc_lo, s19, v1
	v_cmp_gt_u32_e64 s2, s19, v5
	v_cmp_gt_u32_e64 s4, s19, v6
	v_and_b32_e32 v5, 0xffffff00, v31
	v_cmp_gt_u32_e64 s3, s19, v10
	v_dual_cndmask_b32 v1, 0, v30 :: v_dual_and_b32 v12, 0xff000000, v19
	v_cmp_gt_u32_e32 vcc_lo, s19, v11
	v_cmp_gt_u32_e64 s6, s19, v3
	v_cmp_gt_u32_e64 s5, s19, v9
	s_delay_alu instid0(VALU_DEP_4) | instskip(SKIP_1) | instid1(VALU_DEP_2)
	v_and_b32_e32 v1, 0xff, v1
	v_cndmask_b32_e32 v11, v12, v19, vcc_lo
	v_cndmask_b32_e64 v1, v1, v30, s2
	v_cmp_gt_u32_e64 s2, s19, v8
	s_delay_alu instid0(VALU_DEP_3) | instskip(NEXT) | instid1(VALU_DEP_3)
	v_and_b32_e32 v11, 0xff0000ff, v11
	v_and_b32_e32 v1, 0xffff, v1
	s_delay_alu instid0(VALU_DEP_3) | instskip(NEXT) | instid1(VALU_DEP_3)
	v_cndmask_b32_e64 v5, v5, v31, s2
	v_cndmask_b32_e64 v8, v11, v19, s3
	s_or_b32 s3, s5, s3
	s_delay_alu instid0(VALU_DEP_3) | instskip(NEXT) | instid1(VALU_DEP_3)
	v_cndmask_b32_e64 v1, v1, v30, s4
	v_and_b32_e32 v5, 0xffff00ff, v5
	s_delay_alu instid0(VALU_DEP_3) | instskip(SKIP_1) | instid1(VALU_DEP_4)
	v_and_b32_e32 v6, 0xff00ffff, v8
	v_cmp_gt_u32_e64 s4, s19, v7
	v_and_b32_e32 v1, 0xffffff, v1
	s_delay_alu instid0(VALU_DEP_3) | instskip(NEXT) | instid1(VALU_DEP_3)
	v_cndmask_b32_e64 v6, v6, v19, s5
	v_cndmask_b32_e64 v5, v5, v31, s4
	s_delay_alu instid0(VALU_DEP_3) | instskip(NEXT) | instid1(VALU_DEP_2)
	v_cndmask_b32_e64 v1, v1, v30, s6
	v_and_b32_e32 v3, 0xff00ffff, v5
	s_delay_alu instid0(VALU_DEP_4) | instskip(NEXT) | instid1(VALU_DEP_3)
	v_lshrrev_b32_e32 v5, 8, v6
	v_cndmask_b32_e64 v1, v1, v30, s2
	v_cmp_gt_u32_e64 s2, s19, v4
	s_delay_alu instid0(VALU_DEP_3) | instskip(NEXT) | instid1(VALU_DEP_3)
	v_lshlrev_b16 v5, 8, v5
	v_cndmask_b32_e64 v1, v1, v30, s4
	v_cmp_gt_u32_e64 s4, s19, v2
	s_delay_alu instid0(VALU_DEP_4) | instskip(NEXT) | instid1(VALU_DEP_3)
	v_cndmask_b32_e64 v3, v3, v31, s2
	v_cndmask_b32_e64 v1, v1, v30, s2
	s_or_b32 s2, s3, vcc_lo
	s_delay_alu instid0(VALU_DEP_3) | instid1(SALU_CYCLE_1)
	s_or_b32 vcc_lo, s2, s4
	s_delay_alu instid0(VALU_DEP_1) | instskip(NEXT) | instid1(VALU_DEP_1)
	v_dual_cndmask_b32 v1, v1, v30 :: v_dual_and_b32 v2, 0xffffff, v3
	v_dual_cndmask_b32 v31, v2, v31 :: v_dual_and_b32 v4, 0xff, v6
	s_delay_alu instid0(VALU_DEP_2) | instskip(NEXT) | instid1(VALU_DEP_2)
	v_perm_b32 v30, v1, v1, 0x3020104
	v_or_b32_e32 v3, v4, v5
	s_delay_alu instid0(VALU_DEP_1) | instskip(NEXT) | instid1(VALU_DEP_1)
	v_and_b32_e32 v2, 0xffff, v3
	v_and_or_b32 v19, 0xff0000, v6, v2
.LBB1227_75:
	s_delay_alu instid0(VALU_DEP_4)
	v_and_b32_e32 v45, 0xff, v30
	v_bfe_u32 v46, v30, 8, 8
	v_alignbit_b32 v1, v31, v30, 24
	v_bfe_u32 v47, v30, 16, 8
	v_and_b32_e32 v48, 0xff, v31
	v_bfe_u32 v50, v31, 8, 8
	v_bfe_u32 v51, v31, 16, 8
	v_and_b32_e32 v49, 0xff, v1
	v_add3_u32 v1, v46, v45, v47
	v_lshrrev_b32_e32 v43, 24, v31
	v_mbcnt_lo_u32_b32 v54, -1, 0
	v_and_b32_e32 v52, 0xff, v19
	v_bfe_u32 v53, v19, 8, 8
	v_add3_u32 v1, v1, v49, v48
	v_bfe_u32 v3, v19, 16, 8
	v_and_b32_e32 v2, 15, v54
	v_or_b32_e32 v4, 31, v0
	v_and_b32_e32 v5, 16, v54
	v_add3_u32 v1, v1, v50, v51
	v_lshrrev_b32_e32 v55, 5, v0
	v_cmp_eq_u32_e64 s7, 0, v2
	v_cmp_lt_u32_e64 s6, 1, v2
	v_cmp_lt_u32_e64 s5, 3, v2
	v_add3_u32 v1, v1, v43, v52
	v_cmp_lt_u32_e64 s4, 7, v2
	v_cmp_eq_u32_e64 s3, 0, v5
	v_cmp_eq_u32_e64 s2, v4, v0
	s_and_b32 vcc_lo, exec_lo, s21
	v_add3_u32 v56, v1, v53, v3
	s_mov_b32 s19, -1
	s_waitcnt vmcnt(0) lgkmcnt(0)
	s_barrier
	buffer_gl0_inv
	s_cbranch_vccz .LBB1227_106
; %bb.76:
	v_mov_b32_dpp v1, v56 row_shr:1 row_mask:0xf bank_mask:0xf
	s_delay_alu instid0(VALU_DEP_1) | instskip(NEXT) | instid1(VALU_DEP_1)
	v_cndmask_b32_e64 v1, v1, 0, s7
	v_add_nc_u32_e32 v1, v1, v56
	s_delay_alu instid0(VALU_DEP_1) | instskip(NEXT) | instid1(VALU_DEP_1)
	v_mov_b32_dpp v2, v1 row_shr:2 row_mask:0xf bank_mask:0xf
	v_cndmask_b32_e64 v2, 0, v2, s6
	s_delay_alu instid0(VALU_DEP_1) | instskip(NEXT) | instid1(VALU_DEP_1)
	v_add_nc_u32_e32 v1, v1, v2
	v_mov_b32_dpp v2, v1 row_shr:4 row_mask:0xf bank_mask:0xf
	s_delay_alu instid0(VALU_DEP_1) | instskip(NEXT) | instid1(VALU_DEP_1)
	v_cndmask_b32_e64 v2, 0, v2, s5
	v_add_nc_u32_e32 v1, v1, v2
	s_delay_alu instid0(VALU_DEP_1) | instskip(NEXT) | instid1(VALU_DEP_1)
	v_mov_b32_dpp v2, v1 row_shr:8 row_mask:0xf bank_mask:0xf
	v_cndmask_b32_e64 v2, 0, v2, s4
	s_delay_alu instid0(VALU_DEP_1) | instskip(SKIP_3) | instid1(VALU_DEP_1)
	v_add_nc_u32_e32 v1, v1, v2
	ds_swizzle_b32 v2, v1 offset:swizzle(BROADCAST,32,15)
	s_waitcnt lgkmcnt(0)
	v_cndmask_b32_e64 v2, v2, 0, s3
	v_add_nc_u32_e32 v1, v1, v2
	s_and_saveexec_b32 s8, s2
	s_cbranch_execz .LBB1227_78
; %bb.77:
	v_lshlrev_b32_e32 v2, 2, v55
	ds_store_b32 v2, v1
.LBB1227_78:
	s_or_b32 exec_lo, exec_lo, s8
	s_delay_alu instid0(SALU_CYCLE_1)
	s_mov_b32 s8, exec_lo
	s_waitcnt lgkmcnt(0)
	s_barrier
	buffer_gl0_inv
	v_cmpx_gt_u32_e32 4, v0
	s_cbranch_execz .LBB1227_80
; %bb.79:
	v_and_b32_e32 v4, 3, v54
	s_delay_alu instid0(VALU_DEP_1) | instskip(SKIP_4) | instid1(VALU_DEP_1)
	v_cmp_ne_u32_e32 vcc_lo, 0, v4
	v_lshlrev_b32_e32 v2, 2, v0
	ds_load_b32 v3, v2
	s_waitcnt lgkmcnt(0)
	v_mov_b32_dpp v5, v3 row_shr:1 row_mask:0xf bank_mask:0xf
	v_cndmask_b32_e32 v5, 0, v5, vcc_lo
	v_cmp_lt_u32_e32 vcc_lo, 1, v4
	s_delay_alu instid0(VALU_DEP_2) | instskip(NEXT) | instid1(VALU_DEP_1)
	v_add_nc_u32_e32 v3, v5, v3
	v_mov_b32_dpp v5, v3 row_shr:2 row_mask:0xf bank_mask:0xf
	s_delay_alu instid0(VALU_DEP_1) | instskip(NEXT) | instid1(VALU_DEP_1)
	v_cndmask_b32_e32 v4, 0, v5, vcc_lo
	v_add_nc_u32_e32 v3, v3, v4
	ds_store_b32 v2, v3
.LBB1227_80:
	s_or_b32 exec_lo, exec_lo, s8
	v_cmp_gt_u32_e32 vcc_lo, 32, v0
	s_mov_b32 s9, exec_lo
	s_waitcnt lgkmcnt(0)
	s_barrier
	buffer_gl0_inv
                                        ; implicit-def: $vgpr9
	v_cmpx_lt_u32_e32 31, v0
	s_cbranch_execz .LBB1227_82
; %bb.81:
	v_lshl_add_u32 v2, v55, 2, -4
	ds_load_b32 v9, v2
	s_waitcnt lgkmcnt(0)
	v_add_nc_u32_e32 v1, v9, v1
.LBB1227_82:
	s_or_b32 exec_lo, exec_lo, s9
	v_add_nc_u32_e32 v2, -1, v54
	s_delay_alu instid0(VALU_DEP_1) | instskip(NEXT) | instid1(VALU_DEP_1)
	v_cmp_gt_i32_e64 s8, 0, v2
	v_cndmask_b32_e64 v2, v2, v54, s8
	v_cmp_eq_u32_e64 s8, 0, v54
	s_delay_alu instid0(VALU_DEP_2)
	v_lshlrev_b32_e32 v2, 2, v2
	ds_bpermute_b32 v10, v2, v1
	s_and_saveexec_b32 s9, vcc_lo
	s_cbranch_execz .LBB1227_105
; %bb.83:
	v_mov_b32_e32 v5, 0
	ds_load_b32 v1, v5 offset:12
	s_and_saveexec_b32 s19, s8
	s_cbranch_execz .LBB1227_85
; %bb.84:
	s_add_i32 s20, s15, 32
	s_mov_b32 s21, 0
	v_mov_b32_e32 v2, 1
	s_lshl_b64 s[20:21], s[20:21], 3
	s_delay_alu instid0(SALU_CYCLE_1)
	s_add_u32 s20, s10, s20
	s_addc_u32 s21, s11, s21
	s_waitcnt lgkmcnt(0)
	global_store_b64 v5, v[1:2], s[20:21]
.LBB1227_85:
	s_or_b32 exec_lo, exec_lo, s19
	v_xad_u32 v3, v54, -1, s15
	s_mov_b32 s20, 0
	s_mov_b32 s19, exec_lo
	s_delay_alu instid0(VALU_DEP_1) | instskip(NEXT) | instid1(VALU_DEP_1)
	v_add_nc_u32_e32 v4, 32, v3
	v_lshlrev_b64 v[4:5], 3, v[4:5]
	s_delay_alu instid0(VALU_DEP_1) | instskip(NEXT) | instid1(VALU_DEP_2)
	v_add_co_u32 v7, vcc_lo, s10, v4
	v_add_co_ci_u32_e32 v8, vcc_lo, s11, v5, vcc_lo
	global_load_b64 v[5:6], v[7:8], off glc
	s_waitcnt vmcnt(0)
	v_and_b32_e32 v2, 0xff, v6
	s_delay_alu instid0(VALU_DEP_1)
	v_cmpx_eq_u16_e32 0, v2
	s_cbranch_execz .LBB1227_91
; %bb.86:
	s_mov_b32 s21, 1
	.p2align	6
.LBB1227_87:                            ; =>This Loop Header: Depth=1
                                        ;     Child Loop BB1227_88 Depth 2
	s_delay_alu instid0(SALU_CYCLE_1)
	s_max_u32 s22, s21, 1
.LBB1227_88:                            ;   Parent Loop BB1227_87 Depth=1
                                        ; =>  This Inner Loop Header: Depth=2
	s_delay_alu instid0(SALU_CYCLE_1)
	s_add_i32 s22, s22, -1
	s_sleep 1
	s_cmp_eq_u32 s22, 0
	s_cbranch_scc0 .LBB1227_88
; %bb.89:                               ;   in Loop: Header=BB1227_87 Depth=1
	global_load_b64 v[5:6], v[7:8], off glc
	s_cmp_lt_u32 s21, 32
	s_cselect_b32 s22, -1, 0
	s_delay_alu instid0(SALU_CYCLE_1) | instskip(SKIP_3) | instid1(VALU_DEP_1)
	s_cmp_lg_u32 s22, 0
	s_addc_u32 s21, s21, 0
	s_waitcnt vmcnt(0)
	v_and_b32_e32 v2, 0xff, v6
	v_cmp_ne_u16_e32 vcc_lo, 0, v2
	s_or_b32 s20, vcc_lo, s20
	s_delay_alu instid0(SALU_CYCLE_1)
	s_and_not1_b32 exec_lo, exec_lo, s20
	s_cbranch_execnz .LBB1227_87
; %bb.90:
	s_or_b32 exec_lo, exec_lo, s20
.LBB1227_91:
	s_delay_alu instid0(SALU_CYCLE_1)
	s_or_b32 exec_lo, exec_lo, s19
	v_cmp_ne_u32_e32 vcc_lo, 31, v54
	v_lshlrev_b32_e64 v12, v54, -1
	v_add_nc_u32_e32 v18, 2, v54
	v_add_nc_u32_e32 v34, 4, v54
	;; [unrolled: 1-line block ×3, first 2 shown]
	v_add_co_ci_u32_e32 v2, vcc_lo, 0, v54, vcc_lo
	v_add_nc_u32_e32 v59, 16, v54
	s_delay_alu instid0(VALU_DEP_2)
	v_lshlrev_b32_e32 v11, 2, v2
	v_and_b32_e32 v2, 0xff, v6
	ds_bpermute_b32 v4, v11, v5
	v_cmp_eq_u16_e32 vcc_lo, 2, v2
	v_and_or_b32 v2, vcc_lo, v12, 0x80000000
	v_cmp_gt_u32_e32 vcc_lo, 30, v54
	s_delay_alu instid0(VALU_DEP_2) | instskip(SKIP_1) | instid1(VALU_DEP_2)
	v_ctz_i32_b32_e32 v2, v2
	v_cndmask_b32_e64 v7, 0, 1, vcc_lo
	v_cmp_lt_u32_e32 vcc_lo, v54, v2
	s_waitcnt lgkmcnt(0)
	s_delay_alu instid0(VALU_DEP_2) | instskip(NEXT) | instid1(VALU_DEP_1)
	v_dual_cndmask_b32 v4, 0, v4 :: v_dual_lshlrev_b32 v7, 1, v7
	v_add_lshl_u32 v17, v7, v54, 2
	v_cmp_gt_u32_e32 vcc_lo, 28, v54
	s_delay_alu instid0(VALU_DEP_3) | instskip(SKIP_4) | instid1(VALU_DEP_1)
	v_add_nc_u32_e32 v4, v4, v5
	v_cndmask_b32_e64 v7, 0, 1, vcc_lo
	v_cmp_le_u32_e32 vcc_lo, v18, v2
	ds_bpermute_b32 v5, v17, v4
	v_lshlrev_b32_e32 v7, 2, v7
	v_add_lshl_u32 v32, v7, v54, 2
	s_waitcnt lgkmcnt(0)
	v_cndmask_b32_e32 v5, 0, v5, vcc_lo
	v_cmp_gt_u32_e32 vcc_lo, 24, v54
	s_delay_alu instid0(VALU_DEP_2) | instskip(SKIP_4) | instid1(VALU_DEP_1)
	v_add_nc_u32_e32 v4, v4, v5
	v_cndmask_b32_e64 v7, 0, 1, vcc_lo
	v_cmp_le_u32_e32 vcc_lo, v34, v2
	ds_bpermute_b32 v5, v32, v4
	v_lshlrev_b32_e32 v7, 3, v7
	v_add_lshl_u32 v35, v7, v54, 2
	s_waitcnt lgkmcnt(0)
	v_cndmask_b32_e32 v5, 0, v5, vcc_lo
	v_cmp_gt_u32_e32 vcc_lo, 16, v54
	s_delay_alu instid0(VALU_DEP_2) | instskip(SKIP_4) | instid1(VALU_DEP_1)
	v_add_nc_u32_e32 v4, v4, v5
	v_cndmask_b32_e64 v7, 0, 1, vcc_lo
	v_cmp_le_u32_e32 vcc_lo, v57, v2
	ds_bpermute_b32 v5, v35, v4
	v_lshlrev_b32_e32 v7, 4, v7
	v_add_lshl_u32 v58, v7, v54, 2
	s_waitcnt lgkmcnt(0)
	v_cndmask_b32_e32 v5, 0, v5, vcc_lo
	v_cmp_le_u32_e32 vcc_lo, v59, v2
	s_delay_alu instid0(VALU_DEP_2) | instskip(SKIP_3) | instid1(VALU_DEP_1)
	v_add_nc_u32_e32 v4, v4, v5
	ds_bpermute_b32 v5, v58, v4
	s_waitcnt lgkmcnt(0)
	v_cndmask_b32_e32 v2, 0, v5, vcc_lo
	v_dual_mov_b32 v4, 0 :: v_dual_add_nc_u32 v5, v4, v2
	s_branch .LBB1227_93
.LBB1227_92:                            ;   in Loop: Header=BB1227_93 Depth=1
	s_or_b32 exec_lo, exec_lo, s19
	ds_bpermute_b32 v8, v11, v5
	v_and_b32_e32 v7, 0xff, v6
	v_subrev_nc_u32_e32 v3, 32, v3
	s_delay_alu instid0(VALU_DEP_2) | instskip(SKIP_1) | instid1(VALU_DEP_1)
	v_cmp_eq_u16_e32 vcc_lo, 2, v7
	v_and_or_b32 v7, vcc_lo, v12, 0x80000000
	v_ctz_i32_b32_e32 v7, v7
	s_delay_alu instid0(VALU_DEP_1) | instskip(SKIP_3) | instid1(VALU_DEP_2)
	v_cmp_lt_u32_e32 vcc_lo, v54, v7
	s_waitcnt lgkmcnt(0)
	v_cndmask_b32_e32 v8, 0, v8, vcc_lo
	v_cmp_le_u32_e32 vcc_lo, v18, v7
	v_add_nc_u32_e32 v5, v8, v5
	ds_bpermute_b32 v8, v17, v5
	s_waitcnt lgkmcnt(0)
	v_cndmask_b32_e32 v8, 0, v8, vcc_lo
	v_cmp_le_u32_e32 vcc_lo, v34, v7
	s_delay_alu instid0(VALU_DEP_2) | instskip(SKIP_4) | instid1(VALU_DEP_2)
	v_add_nc_u32_e32 v5, v5, v8
	ds_bpermute_b32 v8, v32, v5
	s_waitcnt lgkmcnt(0)
	v_cndmask_b32_e32 v8, 0, v8, vcc_lo
	v_cmp_le_u32_e32 vcc_lo, v57, v7
	v_add_nc_u32_e32 v5, v5, v8
	ds_bpermute_b32 v8, v35, v5
	s_waitcnt lgkmcnt(0)
	v_cndmask_b32_e32 v8, 0, v8, vcc_lo
	v_cmp_le_u32_e32 vcc_lo, v59, v7
	s_delay_alu instid0(VALU_DEP_2) | instskip(SKIP_3) | instid1(VALU_DEP_1)
	v_add_nc_u32_e32 v5, v5, v8
	ds_bpermute_b32 v8, v58, v5
	s_waitcnt lgkmcnt(0)
	v_cndmask_b32_e32 v7, 0, v8, vcc_lo
	v_add3_u32 v5, v7, v2, v5
.LBB1227_93:                            ; =>This Loop Header: Depth=1
                                        ;     Child Loop BB1227_96 Depth 2
                                        ;       Child Loop BB1227_97 Depth 3
	v_and_b32_e32 v2, 0xff, v6
	s_delay_alu instid0(VALU_DEP_1) | instskip(SKIP_2) | instid1(VALU_DEP_1)
	v_cmp_ne_u16_e32 vcc_lo, 2, v2
	v_cndmask_b32_e64 v2, 0, 1, vcc_lo
	;;#ASMSTART
	;;#ASMEND
	v_cmp_ne_u32_e32 vcc_lo, 0, v2
	v_mov_b32_e32 v2, v5
	s_cmp_lg_u32 vcc_lo, exec_lo
	s_cbranch_scc1 .LBB1227_100
; %bb.94:                               ;   in Loop: Header=BB1227_93 Depth=1
	v_lshlrev_b64 v[5:6], 3, v[3:4]
	s_mov_b32 s19, exec_lo
	s_delay_alu instid0(VALU_DEP_1) | instskip(NEXT) | instid1(VALU_DEP_2)
	v_add_co_u32 v7, vcc_lo, s10, v5
	v_add_co_ci_u32_e32 v8, vcc_lo, s11, v6, vcc_lo
	global_load_b64 v[5:6], v[7:8], off glc
	s_waitcnt vmcnt(0)
	v_and_b32_e32 v60, 0xff, v6
	s_delay_alu instid0(VALU_DEP_1)
	v_cmpx_eq_u16_e32 0, v60
	s_cbranch_execz .LBB1227_92
; %bb.95:                               ;   in Loop: Header=BB1227_93 Depth=1
	s_mov_b32 s21, 1
	s_mov_b32 s20, 0
	.p2align	6
.LBB1227_96:                            ;   Parent Loop BB1227_93 Depth=1
                                        ; =>  This Loop Header: Depth=2
                                        ;       Child Loop BB1227_97 Depth 3
	s_max_u32 s22, s21, 1
.LBB1227_97:                            ;   Parent Loop BB1227_93 Depth=1
                                        ;     Parent Loop BB1227_96 Depth=2
                                        ; =>    This Inner Loop Header: Depth=3
	s_delay_alu instid0(SALU_CYCLE_1)
	s_add_i32 s22, s22, -1
	s_sleep 1
	s_cmp_eq_u32 s22, 0
	s_cbranch_scc0 .LBB1227_97
; %bb.98:                               ;   in Loop: Header=BB1227_96 Depth=2
	global_load_b64 v[5:6], v[7:8], off glc
	s_cmp_lt_u32 s21, 32
	s_cselect_b32 s22, -1, 0
	s_delay_alu instid0(SALU_CYCLE_1) | instskip(SKIP_3) | instid1(VALU_DEP_1)
	s_cmp_lg_u32 s22, 0
	s_addc_u32 s21, s21, 0
	s_waitcnt vmcnt(0)
	v_and_b32_e32 v60, 0xff, v6
	v_cmp_ne_u16_e32 vcc_lo, 0, v60
	s_or_b32 s20, vcc_lo, s20
	s_delay_alu instid0(SALU_CYCLE_1)
	s_and_not1_b32 exec_lo, exec_lo, s20
	s_cbranch_execnz .LBB1227_96
; %bb.99:                               ;   in Loop: Header=BB1227_93 Depth=1
	s_or_b32 exec_lo, exec_lo, s20
	s_branch .LBB1227_92
.LBB1227_100:                           ;   in Loop: Header=BB1227_93 Depth=1
                                        ; implicit-def: $vgpr5
                                        ; implicit-def: $vgpr6
	s_cbranch_execz .LBB1227_93
; %bb.101:
	s_and_saveexec_b32 s19, s8
	s_cbranch_execz .LBB1227_103
; %bb.102:
	s_add_i32 s20, s15, 32
	s_mov_b32 s21, 0
	v_dual_mov_b32 v4, 2 :: v_dual_add_nc_u32 v3, v2, v1
	s_lshl_b64 s[20:21], s[20:21], 3
	v_mov_b32_e32 v5, 0
	s_add_u32 s20, s10, s20
	s_addc_u32 s21, s11, s21
	global_store_b64 v5, v[3:4], s[20:21]
	ds_store_b64 v5, v[1:2] offset:5632
.LBB1227_103:
	s_or_b32 exec_lo, exec_lo, s19
	v_cmp_eq_u32_e32 vcc_lo, 0, v0
	s_and_b32 exec_lo, exec_lo, vcc_lo
	s_cbranch_execz .LBB1227_105
; %bb.104:
	v_mov_b32_e32 v1, 0
	ds_store_b32 v1, v2 offset:12
.LBB1227_105:
	s_or_b32 exec_lo, exec_lo, s9
	s_waitcnt lgkmcnt(0)
	v_cndmask_b32_e64 v3, v10, v9, s8
	v_cmp_ne_u32_e32 vcc_lo, 0, v0
	s_waitcnt_vscnt null, 0x0
	s_barrier
	buffer_gl0_inv
	v_cndmask_b32_e32 v3, 0, v3, vcc_lo
	v_mov_b32_e32 v1, 0
	ds_load_b32 v2, v1 offset:12
	s_waitcnt lgkmcnt(0)
	s_barrier
	buffer_gl0_inv
	v_add_nc_u32_e32 v2, v2, v3
	ds_load_b64 v[17:18], v1 offset:5632
	v_add_nc_u32_e32 v3, v2, v45
	s_delay_alu instid0(VALU_DEP_1) | instskip(SKIP_1) | instid1(VALU_DEP_1)
	v_add_nc_u32_e32 v4, v3, v46
	s_waitcnt lgkmcnt(0)
	v_dual_mov_b32 v32, v18 :: v_dual_add_nc_u32 v5, v4, v47
	s_delay_alu instid0(VALU_DEP_1) | instskip(NEXT) | instid1(VALU_DEP_1)
	v_add_nc_u32_e32 v6, v5, v49
	v_add_nc_u32_e32 v7, v6, v48
	s_delay_alu instid0(VALU_DEP_1) | instskip(NEXT) | instid1(VALU_DEP_1)
	v_add_nc_u32_e32 v8, v7, v50
	v_add_nc_u32_e32 v9, v8, v51
	;; [unrolled: 3-line block ×3, first 2 shown]
	s_delay_alu instid0(VALU_DEP_1)
	v_add_nc_u32_e32 v12, v11, v53
	s_load_b64 s[8:9], s[0:1], 0x28
	v_lshrrev_b64 v[34:35], 24, v[30:31]
	s_branch .LBB1227_116
.LBB1227_106:
                                        ; implicit-def: $vgpr32
                                        ; implicit-def: $vgpr2_vgpr3_vgpr4_vgpr5_vgpr6_vgpr7_vgpr8_vgpr9_vgpr10_vgpr11_vgpr12
                                        ; implicit-def: $vgpr17
	s_load_b64 s[8:9], s[0:1], 0x28
	v_lshrrev_b64 v[34:35], 24, v[30:31]
	s_and_b32 vcc_lo, exec_lo, s19
	s_cbranch_vccz .LBB1227_116
; %bb.107:
	v_mov_b32_dpp v1, v56 row_shr:1 row_mask:0xf bank_mask:0xf
	s_delay_alu instid0(VALU_DEP_1) | instskip(NEXT) | instid1(VALU_DEP_1)
	v_cndmask_b32_e64 v1, v1, 0, s7
	v_add_nc_u32_e32 v1, v1, v56
	s_delay_alu instid0(VALU_DEP_1) | instskip(NEXT) | instid1(VALU_DEP_1)
	v_mov_b32_dpp v2, v1 row_shr:2 row_mask:0xf bank_mask:0xf
	v_cndmask_b32_e64 v2, 0, v2, s6
	s_delay_alu instid0(VALU_DEP_1) | instskip(NEXT) | instid1(VALU_DEP_1)
	v_add_nc_u32_e32 v1, v1, v2
	v_mov_b32_dpp v2, v1 row_shr:4 row_mask:0xf bank_mask:0xf
	s_delay_alu instid0(VALU_DEP_1) | instskip(NEXT) | instid1(VALU_DEP_1)
	v_cndmask_b32_e64 v2, 0, v2, s5
	v_add_nc_u32_e32 v1, v1, v2
	s_delay_alu instid0(VALU_DEP_1) | instskip(NEXT) | instid1(VALU_DEP_1)
	v_mov_b32_dpp v2, v1 row_shr:8 row_mask:0xf bank_mask:0xf
	v_cndmask_b32_e64 v2, 0, v2, s4
	s_delay_alu instid0(VALU_DEP_1) | instskip(SKIP_3) | instid1(VALU_DEP_1)
	v_add_nc_u32_e32 v1, v1, v2
	ds_swizzle_b32 v2, v1 offset:swizzle(BROADCAST,32,15)
	s_waitcnt lgkmcnt(0)
	v_cndmask_b32_e64 v2, v2, 0, s3
	v_add_nc_u32_e32 v1, v1, v2
	s_and_saveexec_b32 s0, s2
	s_cbranch_execz .LBB1227_109
; %bb.108:
	v_lshlrev_b32_e32 v2, 2, v55
	ds_store_b32 v2, v1
.LBB1227_109:
	s_or_b32 exec_lo, exec_lo, s0
	s_delay_alu instid0(SALU_CYCLE_1)
	s_mov_b32 s0, exec_lo
	s_waitcnt lgkmcnt(0)
	s_barrier
	buffer_gl0_inv
	v_cmpx_gt_u32_e32 4, v0
	s_cbranch_execz .LBB1227_111
; %bb.110:
	v_mad_i32_i24 v2, 0xffffffd8, v0, v44
	ds_load_b32 v3, v2
	s_waitcnt lgkmcnt(0)
	v_mov_b32_dpp v5, v3 row_shr:1 row_mask:0xf bank_mask:0xf
	v_and_b32_e32 v4, 3, v54
	s_delay_alu instid0(VALU_DEP_1) | instskip(NEXT) | instid1(VALU_DEP_3)
	v_cmp_ne_u32_e32 vcc_lo, 0, v4
	v_cndmask_b32_e32 v5, 0, v5, vcc_lo
	v_cmp_lt_u32_e32 vcc_lo, 1, v4
	s_delay_alu instid0(VALU_DEP_2) | instskip(NEXT) | instid1(VALU_DEP_1)
	v_add_nc_u32_e32 v3, v5, v3
	v_mov_b32_dpp v5, v3 row_shr:2 row_mask:0xf bank_mask:0xf
	s_delay_alu instid0(VALU_DEP_1) | instskip(NEXT) | instid1(VALU_DEP_1)
	v_cndmask_b32_e32 v4, 0, v5, vcc_lo
	v_add_nc_u32_e32 v3, v3, v4
	ds_store_b32 v2, v3
.LBB1227_111:
	s_or_b32 exec_lo, exec_lo, s0
	v_dual_mov_b32 v3, 0 :: v_dual_mov_b32 v2, 0
	s_mov_b32 s0, exec_lo
	s_waitcnt lgkmcnt(0)
	s_barrier
	buffer_gl0_inv
	v_cmpx_lt_u32_e32 31, v0
	s_cbranch_execz .LBB1227_113
; %bb.112:
	v_lshl_add_u32 v2, v55, 2, -4
	ds_load_b32 v2, v2
.LBB1227_113:
	s_or_b32 exec_lo, exec_lo, s0
	v_add_nc_u32_e32 v4, -1, v54
	ds_load_b32 v17, v3 offset:12
	s_waitcnt lgkmcnt(1)
	v_add_nc_u32_e32 v1, v2, v1
	v_cmp_gt_i32_e32 vcc_lo, 0, v4
	v_cndmask_b32_e32 v4, v4, v54, vcc_lo
	v_cmp_eq_u32_e32 vcc_lo, 0, v0
	s_delay_alu instid0(VALU_DEP_2)
	v_lshlrev_b32_e32 v4, 2, v4
	ds_bpermute_b32 v1, v4, v1
	s_and_saveexec_b32 s0, vcc_lo
	s_cbranch_execz .LBB1227_115
; %bb.114:
	v_dual_mov_b32 v3, 0 :: v_dual_mov_b32 v18, 2
	s_waitcnt lgkmcnt(1)
	global_store_b64 v3, v[17:18], s[10:11] offset:256
.LBB1227_115:
	s_or_b32 exec_lo, exec_lo, s0
	v_cmp_eq_u32_e64 s0, 0, v54
	s_waitcnt lgkmcnt(0)
	s_waitcnt_vscnt null, 0x0
	s_barrier
	buffer_gl0_inv
	v_mov_b32_e32 v32, 0
	v_cndmask_b32_e64 v1, v1, v2, s0
	s_delay_alu instid0(VALU_DEP_1) | instskip(NEXT) | instid1(VALU_DEP_1)
	v_cndmask_b32_e64 v2, v1, 0, vcc_lo
	v_add_nc_u32_e32 v3, v2, v45
	s_delay_alu instid0(VALU_DEP_1) | instskip(NEXT) | instid1(VALU_DEP_1)
	v_add_nc_u32_e32 v4, v3, v46
	v_add_nc_u32_e32 v5, v4, v47
	s_delay_alu instid0(VALU_DEP_1) | instskip(NEXT) | instid1(VALU_DEP_1)
	v_add_nc_u32_e32 v6, v5, v49
	;; [unrolled: 3-line block ×4, first 2 shown]
	v_add_nc_u32_e32 v11, v10, v52
	s_delay_alu instid0(VALU_DEP_1)
	v_add_nc_u32_e32 v12, v11, v53
.LBB1227_116:
	v_cmp_gt_u32_e32 vcc_lo, 0x81, v17
	v_lshrrev_b32_e32 v18, 16, v19
	v_lshrrev_b32_e32 v46, 16, v30
	;; [unrolled: 1-line block ×6, first 2 shown]
	v_cmp_lt_u32_e64 s0, 0x80, v17
	s_mov_b32 s1, -1
	s_cbranch_vccz .LBB1227_151
; %bb.117:
	v_add_nc_u32_e32 v1, v32, v17
	s_lshl_b64 s[2:3], s[12:13], 1
	s_waitcnt lgkmcnt(0)
	s_add_u32 s1, s8, s2
	s_addc_u32 s2, s9, s3
	v_cmp_lt_u32_e32 vcc_lo, v2, v1
	s_or_b32 s4, s18, vcc_lo
	s_delay_alu instid0(SALU_CYCLE_1)
	s_and_saveexec_b32 s3, s4
	s_cbranch_execz .LBB1227_120
; %bb.118:
	v_and_b32_e32 v48, 1, v30
	s_delay_alu instid0(VALU_DEP_1)
	v_cmp_eq_u32_e32 vcc_lo, 1, v48
	s_and_b32 exec_lo, exec_lo, vcc_lo
	s_cbranch_execz .LBB1227_120
; %bb.119:
	v_dual_mov_b32 v49, 0 :: v_dual_mov_b32 v48, v2
	s_delay_alu instid0(VALU_DEP_1) | instskip(NEXT) | instid1(VALU_DEP_1)
	v_lshlrev_b64 v[48:49], 1, v[48:49]
	v_add_co_u32 v48, vcc_lo, s1, v48
	s_delay_alu instid0(VALU_DEP_2)
	v_add_co_ci_u32_e32 v49, vcc_lo, s2, v49, vcc_lo
	global_store_b16 v[48:49], v13, off
.LBB1227_120:
	s_or_b32 exec_lo, exec_lo, s3
	v_cmp_lt_u32_e32 vcc_lo, v3, v1
	s_or_b32 s4, s18, vcc_lo
	s_delay_alu instid0(SALU_CYCLE_1)
	s_and_saveexec_b32 s3, s4
	s_cbranch_execz .LBB1227_123
; %bb.121:
	v_and_b32_e32 v48, 1, v47
	s_delay_alu instid0(VALU_DEP_1)
	v_cmp_eq_u32_e32 vcc_lo, 1, v48
	s_and_b32 exec_lo, exec_lo, vcc_lo
	s_cbranch_execz .LBB1227_123
; %bb.122:
	v_dual_mov_b32 v49, 0 :: v_dual_mov_b32 v48, v3
	s_delay_alu instid0(VALU_DEP_1) | instskip(NEXT) | instid1(VALU_DEP_1)
	v_lshlrev_b64 v[48:49], 1, v[48:49]
	v_add_co_u32 v48, vcc_lo, s1, v48
	s_delay_alu instid0(VALU_DEP_2)
	v_add_co_ci_u32_e32 v49, vcc_lo, s2, v49, vcc_lo
	global_store_b16 v[48:49], v42, off
.LBB1227_123:
	s_or_b32 exec_lo, exec_lo, s3
	;; [unrolled: 21-line block ×11, first 2 shown]
	s_mov_b32 s1, 0
.LBB1227_151:
	v_and_b32_e32 v30, 1, v30
	s_and_b32 vcc_lo, exec_lo, s1
	s_delay_alu instid0(VALU_DEP_1)
	v_cmp_eq_u32_e64 s1, 1, v30
	s_cbranch_vccz .LBB1227_190
; %bb.152:
	s_delay_alu instid0(VALU_DEP_1)
	s_and_saveexec_b32 s2, s1
	s_cbranch_execz .LBB1227_154
; %bb.153:
	v_sub_nc_u32_e32 v1, v2, v32
	s_delay_alu instid0(VALU_DEP_1)
	v_lshlrev_b32_e32 v1, 1, v1
	ds_store_b16 v1, v13
.LBB1227_154:
	s_or_b32 exec_lo, exec_lo, s2
	v_and_b32_e32 v1, 1, v47
	s_mov_b32 s1, exec_lo
	s_delay_alu instid0(VALU_DEP_1)
	v_cmpx_eq_u32_e32 1, v1
	s_cbranch_execz .LBB1227_156
; %bb.155:
	v_sub_nc_u32_e32 v1, v3, v32
	s_delay_alu instid0(VALU_DEP_1)
	v_lshlrev_b32_e32 v1, 1, v1
	ds_store_b16 v1, v42
.LBB1227_156:
	s_or_b32 exec_lo, exec_lo, s1
	v_and_b32_e32 v1, 1, v46
	s_mov_b32 s1, exec_lo
	s_delay_alu instid0(VALU_DEP_1)
	v_cmpx_eq_u32_e32 1, v1
	;; [unrolled: 12-line block ×10, first 2 shown]
	s_cbranch_execz .LBB1227_174
; %bb.173:
	v_sub_nc_u32_e32 v1, v12, v32
	s_delay_alu instid0(VALU_DEP_1)
	v_lshlrev_b32_e32 v1, 1, v1
	ds_store_b16 v1, v33
.LBB1227_174:
	s_or_b32 exec_lo, exec_lo, s1
	s_delay_alu instid0(SALU_CYCLE_1)
	s_mov_b32 s3, exec_lo
	s_waitcnt lgkmcnt(0)
	s_waitcnt_vscnt null, 0x0
	s_barrier
	buffer_gl0_inv
	v_cmpx_lt_u32_e64 v0, v17
	s_cbranch_execz .LBB1227_189
; %bb.175:
	v_mov_b32_e32 v33, 0
	s_lshl_b64 s[4:5], s[12:13], 1
	v_xad_u32 v1, v0, -1, v17
	s_add_u32 s2, s8, s4
	s_addc_u32 s4, s9, s5
	v_lshlrev_b64 v[13:14], 1, v[32:33]
	s_delay_alu instid0(VALU_DEP_2) | instskip(NEXT) | instid1(VALU_DEP_2)
	v_cmp_gt_u32_e32 vcc_lo, 0xc80, v1
	v_add_co_u32 v33, s2, s2, v13
	s_delay_alu instid0(VALU_DEP_1)
	v_add_co_ci_u32_e64 v37, s2, s4, v14, s2
	v_mov_b32_e32 v13, v0
	s_mov_b32 s2, -1
	s_mov_b32 s4, exec_lo
	v_cmpx_lt_u32_e32 0xc7f, v1
	s_cbranch_execz .LBB1227_186
; %bb.176:
	v_sub_nc_u32_e32 v13, v0, v17
	s_delay_alu instid0(VALU_DEP_1) | instskip(NEXT) | instid1(VALU_DEP_1)
	v_or_b32_e32 v13, 0x7f, v13
	v_cmp_ge_u32_e64 s1, v13, v0
	v_mov_b32_e32 v13, v0
	s_delay_alu instid0(VALU_DEP_2)
	s_and_saveexec_b32 s5, s1
	s_cbranch_execz .LBB1227_185
; %bb.177:
	v_lshrrev_b32_e32 v38, 7, v1
	v_or_b32_e32 v1, 0x80, v0
	v_dual_mov_b32 v48, 0 :: v_dual_lshlrev_b32 v39, 1, v0
	s_delay_alu instid0(VALU_DEP_3) | instskip(NEXT) | instid1(VALU_DEP_1)
	v_add_nc_u32_e32 v13, -1, v38
	v_lshrrev_b32_e32 v14, 1, v13
	v_cmp_lt_u32_e64 s1, 13, v13
	s_delay_alu instid0(VALU_DEP_2) | instskip(SKIP_1) | instid1(VALU_DEP_3)
	v_add_nc_u32_e32 v40, 1, v14
	v_dual_mov_b32 v14, v1 :: v_dual_mov_b32 v13, v0
	s_and_saveexec_b32 s2, s1
	s_cbranch_execz .LBB1227_181
; %bb.178:
	s_delay_alu instid0(VALU_DEP_2)
	v_dual_mov_b32 v14, v1 :: v_dual_and_b32 v41, -8, v40
	v_mov_b32_e32 v16, 0
	v_dual_mov_b32 v42, v39 :: v_dual_mov_b32 v13, v0
	s_mov_b32 s6, 0
	s_mov_b32 s7, 0
.LBB1227_179:                           ; =>This Inner Loop Header: Depth=1
	s_delay_alu instid0(VALU_DEP_1) | instskip(SKIP_2) | instid1(VALU_DEP_3)
	v_dual_mov_b32 v15, v13 :: v_dual_mov_b32 v50, v16
	v_add_nc_u32_e32 v41, -8, v41
	v_dual_mov_b32 v52, v16 :: v_dual_add_nc_u32 v49, 0x100, v14
	v_lshlrev_b64 v[63:64], 1, v[15:16]
	v_dual_mov_b32 v54, v16 :: v_dual_add_nc_u32 v51, 0x200, v14
	s_delay_alu instid0(VALU_DEP_4) | instskip(NEXT) | instid1(VALU_DEP_4)
	v_cmp_eq_u32_e64 s1, 0, v41
	v_lshlrev_b64 v[49:50], 1, v[49:50]
	v_dual_mov_b32 v56, v16 :: v_dual_add_nc_u32 v53, 0x300, v14
	s_add_i32 s7, s7, 16
	v_lshlrev_b64 v[51:52], 1, v[51:52]
	s_or_b32 s6, s1, s6
	v_add_co_u32 v63, s1, v33, v63
	v_dual_mov_b32 v58, v16 :: v_dual_add_nc_u32 v55, 0x400, v14
	v_add_co_ci_u32_e64 v64, s1, v37, v64, s1
	v_lshlrev_b64 v[53:54], 1, v[53:54]
	v_add_co_u32 v49, s1, v33, v49
	v_dual_mov_b32 v60, v16 :: v_dual_add_nc_u32 v57, 0x500, v14
	v_add_co_ci_u32_e64 v50, s1, v37, v50, s1
	v_lshlrev_b64 v[55:56], 1, v[55:56]
	;; [unrolled: 4-line block ×3, first 2 shown]
	v_add_co_u32 v53, s1, v33, v53
	v_dual_mov_b32 v48, s7 :: v_dual_add_nc_u32 v61, 0x700, v14
	ds_load_u16 v1, v42
	ds_load_u16 v69, v42 offset:256
	ds_load_u16 v70, v42 offset:512
	ds_load_u16 v71, v42 offset:768
	ds_load_u16 v72, v42 offset:1024
	ds_load_u16 v73, v42 offset:1280
	ds_load_u16 v74, v42 offset:1536
	ds_load_u16 v75, v42 offset:1792
	ds_load_u16 v76, v42 offset:2048
	ds_load_u16 v77, v42 offset:2304
	ds_load_u16 v78, v42 offset:2560
	ds_load_u16 v79, v42 offset:2816
	ds_load_u16 v80, v42 offset:3072
	ds_load_u16 v81, v42 offset:3328
	ds_load_u16 v82, v42 offset:3584
	ds_load_u16 v83, v42 offset:3840
	v_dual_mov_b32 v15, v14 :: v_dual_add_nc_u32 v42, 0x1000, v42
	v_add_co_ci_u32_e64 v54, s1, v37, v54, s1
	v_lshlrev_b64 v[59:60], 1, v[59:60]
	v_add_co_u32 v55, s1, v33, v55
	s_delay_alu instid0(VALU_DEP_1)
	v_add_co_ci_u32_e64 v56, s1, v37, v56, s1
	v_lshlrev_b64 v[61:62], 1, v[61:62]
	v_add_co_u32 v57, s1, v33, v57
	v_lshlrev_b64 v[65:66], 1, v[15:16]
	v_add_nc_u32_e32 v15, 0x100, v13
	v_add_co_ci_u32_e64 v58, s1, v37, v58, s1
	v_add_co_u32 v59, s1, v33, v59
	s_delay_alu instid0(VALU_DEP_1)
	v_add_co_ci_u32_e64 v60, s1, v37, v60, s1
	v_add_co_u32 v61, s1, v33, v61
	v_lshlrev_b64 v[67:68], 1, v[15:16]
	v_add_nc_u32_e32 v15, 0x200, v13
	v_add_co_ci_u32_e64 v62, s1, v37, v62, s1
	v_add_co_u32 v65, s1, v33, v65
	s_delay_alu instid0(VALU_DEP_1)
	v_add_co_ci_u32_e64 v66, s1, v37, v66, s1
	s_waitcnt lgkmcnt(15)
	global_store_b16 v[63:64], v1, off
	v_lshlrev_b64 v[63:64], 1, v[15:16]
	v_add_nc_u32_e32 v15, 0x300, v13
	v_add_co_u32 v67, s1, v33, v67
	s_delay_alu instid0(VALU_DEP_1)
	v_add_co_ci_u32_e64 v68, s1, v37, v68, s1
	s_waitcnt lgkmcnt(14)
	global_store_b16 v[65:66], v69, off
	v_lshlrev_b64 v[65:66], 1, v[15:16]
	v_add_nc_u32_e32 v15, 0x400, v13
	s_waitcnt lgkmcnt(13)
	global_store_b16 v[67:68], v70, off
	s_waitcnt lgkmcnt(12)
	global_store_b16 v[49:50], v71, off
	v_add_co_u32 v49, s1, v33, v63
	s_delay_alu instid0(VALU_DEP_1) | instskip(SKIP_3) | instid1(VALU_DEP_1)
	v_add_co_ci_u32_e64 v50, s1, v37, v64, s1
	v_lshlrev_b64 v[63:64], 1, v[15:16]
	v_add_nc_u32_e32 v15, 0x500, v13
	v_add_co_u32 v65, s1, v33, v65
	v_add_co_ci_u32_e64 v66, s1, v37, v66, s1
	s_waitcnt lgkmcnt(11)
	global_store_b16 v[49:50], v72, off
	s_waitcnt lgkmcnt(10)
	global_store_b16 v[51:52], v73, off
	v_lshlrev_b64 v[49:50], 1, v[15:16]
	v_add_nc_u32_e32 v15, 0x600, v13
	v_add_co_u32 v51, s1, v33, v63
	s_waitcnt lgkmcnt(9)
	global_store_b16 v[65:66], v74, off
	s_waitcnt lgkmcnt(8)
	global_store_b16 v[53:54], v75, off
	v_add_co_ci_u32_e64 v52, s1, v37, v64, s1
	v_lshlrev_b64 v[53:54], 1, v[15:16]
	v_add_nc_u32_e32 v15, 0x700, v13
	v_add_co_u32 v49, s1, v33, v49
	s_delay_alu instid0(VALU_DEP_1)
	v_add_co_ci_u32_e64 v50, s1, v37, v50, s1
	s_waitcnt lgkmcnt(7)
	global_store_b16 v[51:52], v76, off
	s_waitcnt lgkmcnt(6)
	global_store_b16 v[55:56], v77, off
	v_lshlrev_b64 v[51:52], 1, v[15:16]
	v_add_nc_u32_e32 v14, 0x800, v14
	s_waitcnt lgkmcnt(5)
	global_store_b16 v[49:50], v78, off
	v_add_co_u32 v49, s1, v33, v53
	v_add_nc_u32_e32 v13, 0x800, v13
	v_add_co_ci_u32_e64 v50, s1, v37, v54, s1
	v_add_co_u32 v51, s1, v33, v51
	s_delay_alu instid0(VALU_DEP_1)
	v_add_co_ci_u32_e64 v52, s1, v37, v52, s1
	s_waitcnt lgkmcnt(4)
	global_store_b16 v[57:58], v79, off
	s_waitcnt lgkmcnt(3)
	global_store_b16 v[49:50], v80, off
	;; [unrolled: 2-line block ×5, first 2 shown]
	s_and_not1_b32 exec_lo, exec_lo, s6
	s_cbranch_execnz .LBB1227_179
; %bb.180:
	s_or_b32 exec_lo, exec_lo, s6
.LBB1227_181:
	s_delay_alu instid0(SALU_CYCLE_1) | instskip(SKIP_3) | instid1(VALU_DEP_1)
	s_or_b32 exec_lo, exec_lo, s2
	v_and_b32_e32 v1, 7, v40
	s_mov_b32 s7, 0
	s_mov_b32 s6, exec_lo
	v_cmpx_ne_u32_e32 0, v1
	s_cbranch_execz .LBB1227_184
; %bb.182:
	v_lshl_or_b32 v39, v48, 8, v39
	v_mov_b32_e32 v16, 0
	s_set_inst_prefetch_distance 0x1
	.p2align	6
.LBB1227_183:                           ; =>This Inner Loop Header: Depth=1
	v_mov_b32_e32 v15, v13
	ds_load_u16 v42, v39
	ds_load_u16 v50, v39 offset:256
	v_add_nc_u32_e32 v1, -1, v1
	v_add_nc_u32_e32 v13, 0x100, v13
	v_add_nc_u32_e32 v39, 0x200, v39
	v_lshlrev_b64 v[40:41], 1, v[15:16]
	v_dual_mov_b32 v15, v14 :: v_dual_add_nc_u32 v14, 0x100, v14
	v_cmp_eq_u32_e64 s1, 0, v1
	s_delay_alu instid0(VALU_DEP_2) | instskip(NEXT) | instid1(VALU_DEP_4)
	v_lshlrev_b64 v[48:49], 1, v[15:16]
	v_add_co_u32 v40, s2, v33, v40
	s_delay_alu instid0(VALU_DEP_1) | instskip(NEXT) | instid1(VALU_DEP_4)
	v_add_co_ci_u32_e64 v41, s2, v37, v41, s2
	s_or_b32 s7, s1, s7
	s_delay_alu instid0(VALU_DEP_3) | instskip(NEXT) | instid1(VALU_DEP_1)
	v_add_co_u32 v48, s2, v33, v48
	v_add_co_ci_u32_e64 v49, s2, v37, v49, s2
	s_waitcnt lgkmcnt(1)
	global_store_b16 v[40:41], v42, off
	s_waitcnt lgkmcnt(0)
	global_store_b16 v[48:49], v50, off
	s_and_not1_b32 exec_lo, exec_lo, s7
	s_cbranch_execnz .LBB1227_183
.LBB1227_184:
	s_set_inst_prefetch_distance 0x2
	s_or_b32 exec_lo, exec_lo, s6
	v_add_nc_u32_e32 v1, 1, v38
	s_delay_alu instid0(VALU_DEP_1) | instskip(NEXT) | instid1(VALU_DEP_1)
	v_and_b32_e32 v13, 0x3fffffe, v1
	v_cmp_ne_u32_e64 s1, v1, v13
	v_lshl_or_b32 v13, v13, 7, v0
	s_delay_alu instid0(VALU_DEP_2)
	s_or_not1_b32 s2, s1, exec_lo
.LBB1227_185:
	s_or_b32 exec_lo, exec_lo, s5
	s_delay_alu instid0(SALU_CYCLE_1) | instskip(SKIP_1) | instid1(SALU_CYCLE_1)
	s_and_not1_b32 s1, vcc_lo, exec_lo
	s_and_b32 s2, s2, exec_lo
	s_or_b32 vcc_lo, s1, s2
.LBB1227_186:
	s_or_b32 exec_lo, exec_lo, s4
	s_delay_alu instid0(SALU_CYCLE_1)
	s_and_b32 exec_lo, exec_lo, vcc_lo
	s_cbranch_execz .LBB1227_189
; %bb.187:
	v_dual_mov_b32 v14, 0 :: v_dual_lshlrev_b32 v1, 1, v13
	s_mov_b32 s2, 0
	.p2align	6
.LBB1227_188:                           ; =>This Inner Loop Header: Depth=1
	ds_load_u16 v38, v1
	v_lshlrev_b64 v[15:16], 1, v[13:14]
	v_add_nc_u32_e32 v13, 0x80, v13
	v_add_nc_u32_e32 v1, 0x100, v1
	s_delay_alu instid0(VALU_DEP_2) | instskip(NEXT) | instid1(VALU_DEP_4)
	v_cmp_ge_u32_e32 vcc_lo, v13, v17
	v_add_co_u32 v15, s1, v33, v15
	s_delay_alu instid0(VALU_DEP_1)
	v_add_co_ci_u32_e64 v16, s1, v37, v16, s1
	s_or_b32 s2, vcc_lo, s2
	s_waitcnt lgkmcnt(0)
	global_store_b16 v[15:16], v38, off
	s_and_not1_b32 exec_lo, exec_lo, s2
	s_cbranch_execnz .LBB1227_188
.LBB1227_189:
	s_or_b32 exec_lo, exec_lo, s3
.LBB1227_190:
	s_delay_alu instid0(SALU_CYCLE_1)
	s_and_not1_b32 vcc_lo, exec_lo, s0
	s_waitcnt lgkmcnt(0)
	s_waitcnt_vscnt null, 0x0
	s_barrier
	buffer_gl0_inv
	s_cbranch_vccz .LBB1227_193
; %bb.191:
	v_cmp_eq_u32_e32 vcc_lo, 0, v0
	s_and_b32 s0, vcc_lo, s14
	s_delay_alu instid0(SALU_CYCLE_1)
	s_and_saveexec_b32 s1, s0
	s_cbranch_execnz .LBB1227_216
.LBB1227_192:
	s_endpgm
.LBB1227_193:
	s_mov_b32 s0, exec_lo
	v_cmpx_eq_u32_e32 1, v30
	s_cbranch_execz .LBB1227_195
; %bb.194:
	v_sub_nc_u32_e32 v1, v2, v32
	s_delay_alu instid0(VALU_DEP_1)
	v_lshlrev_b32_e32 v1, 2, v1
	ds_store_b32 v1, v28
.LBB1227_195:
	s_or_b32 exec_lo, exec_lo, s0
	v_and_b32_e32 v1, 1, v47
	s_mov_b32 s0, exec_lo
	s_delay_alu instid0(VALU_DEP_1)
	v_cmpx_eq_u32_e32 1, v1
	s_cbranch_execz .LBB1227_197
; %bb.196:
	v_sub_nc_u32_e32 v1, v3, v32
	s_delay_alu instid0(VALU_DEP_1)
	v_lshlrev_b32_e32 v1, 2, v1
	ds_store_b32 v1, v29
.LBB1227_197:
	s_or_b32 exec_lo, exec_lo, s0
	v_and_b32_e32 v1, 1, v46
	s_mov_b32 s0, exec_lo
	s_delay_alu instid0(VALU_DEP_1)
	;; [unrolled: 12-line block ×10, first 2 shown]
	v_cmpx_eq_u32_e32 1, v1
	s_cbranch_execz .LBB1227_215
; %bb.214:
	v_sub_nc_u32_e32 v1, v12, v32
	s_delay_alu instid0(VALU_DEP_1)
	v_lshlrev_b32_e32 v1, 2, v1
	ds_store_b32 v1, v36
.LBB1227_215:
	s_or_b32 exec_lo, exec_lo, s0
	s_waitcnt lgkmcnt(0)
	s_barrier
	buffer_gl0_inv
	v_cmp_eq_u32_e32 vcc_lo, 0, v0
	s_and_b32 s0, vcc_lo, s14
	s_delay_alu instid0(SALU_CYCLE_1)
	s_and_saveexec_b32 s1, s0
	s_cbranch_execz .LBB1227_192
.LBB1227_216:
	v_add_co_u32 v0, s0, s12, v17
	s_delay_alu instid0(VALU_DEP_1) | instskip(SKIP_1) | instid1(VALU_DEP_3)
	v_add_co_ci_u32_e64 v1, null, s13, 0, s0
	v_mov_b32_e32 v2, 0
	v_add_co_u32 v0, vcc_lo, v0, v32
	s_delay_alu instid0(VALU_DEP_3)
	v_add_co_ci_u32_e32 v1, vcc_lo, 0, v1, vcc_lo
	global_store_b64 v2, v[0:1], s[16:17]
	s_nop 0
	s_sendmsg sendmsg(MSG_DEALLOC_VGPRS)
	s_endpgm
.LBB1227_217:
	s_or_b32 exec_lo, exec_lo, s3
	s_and_saveexec_b32 s3, s22
	s_cbranch_execnz .LBB1227_72
	s_branch .LBB1227_73
	.section	.rodata,"a",@progbits
	.p2align	6, 0x0
	.amdhsa_kernel _ZN7rocprim17ROCPRIM_400000_NS6detail17trampoline_kernelINS0_14default_configENS1_25partition_config_selectorILNS1_17partition_subalgoE9EsjbEEZZNS1_14partition_implILS5_9ELb0ES3_jN6thrust23THRUST_200600_302600_NS6detail15normal_iteratorINS9_10device_ptrIsEEEENSB_INSC_IjEEEEPNS0_10empty_typeENS0_5tupleIJSE_SH_EEENSJ_IJNS9_16discard_iteratorINS9_11use_defaultEEESI_EEENS0_18inequality_wrapperINS9_8equal_toIsEEEEPmJSH_EEE10hipError_tPvRmT3_T4_T5_T6_T7_T9_mT8_P12ihipStream_tbDpT10_ENKUlT_T0_E_clISt17integral_constantIbLb1EES1C_IbLb0EEEEDaS18_S19_EUlS18_E_NS1_11comp_targetILNS1_3genE9ELNS1_11target_archE1100ELNS1_3gpuE3ELNS1_3repE0EEENS1_30default_config_static_selectorELNS0_4arch9wavefront6targetE0EEEvT1_
		.amdhsa_group_segment_fixed_size 5640
		.amdhsa_private_segment_fixed_size 0
		.amdhsa_kernarg_size 120
		.amdhsa_user_sgpr_count 15
		.amdhsa_user_sgpr_dispatch_ptr 0
		.amdhsa_user_sgpr_queue_ptr 0
		.amdhsa_user_sgpr_kernarg_segment_ptr 1
		.amdhsa_user_sgpr_dispatch_id 0
		.amdhsa_user_sgpr_private_segment_size 0
		.amdhsa_wavefront_size32 1
		.amdhsa_uses_dynamic_stack 0
		.amdhsa_enable_private_segment 0
		.amdhsa_system_sgpr_workgroup_id_x 1
		.amdhsa_system_sgpr_workgroup_id_y 0
		.amdhsa_system_sgpr_workgroup_id_z 0
		.amdhsa_system_sgpr_workgroup_info 0
		.amdhsa_system_vgpr_workitem_id 0
		.amdhsa_next_free_vgpr 84
		.amdhsa_next_free_sgpr 24
		.amdhsa_reserve_vcc 1
		.amdhsa_float_round_mode_32 0
		.amdhsa_float_round_mode_16_64 0
		.amdhsa_float_denorm_mode_32 3
		.amdhsa_float_denorm_mode_16_64 3
		.amdhsa_dx10_clamp 1
		.amdhsa_ieee_mode 1
		.amdhsa_fp16_overflow 0
		.amdhsa_workgroup_processor_mode 1
		.amdhsa_memory_ordered 1
		.amdhsa_forward_progress 0
		.amdhsa_shared_vgpr_count 0
		.amdhsa_exception_fp_ieee_invalid_op 0
		.amdhsa_exception_fp_denorm_src 0
		.amdhsa_exception_fp_ieee_div_zero 0
		.amdhsa_exception_fp_ieee_overflow 0
		.amdhsa_exception_fp_ieee_underflow 0
		.amdhsa_exception_fp_ieee_inexact 0
		.amdhsa_exception_int_div_zero 0
	.end_amdhsa_kernel
	.section	.text._ZN7rocprim17ROCPRIM_400000_NS6detail17trampoline_kernelINS0_14default_configENS1_25partition_config_selectorILNS1_17partition_subalgoE9EsjbEEZZNS1_14partition_implILS5_9ELb0ES3_jN6thrust23THRUST_200600_302600_NS6detail15normal_iteratorINS9_10device_ptrIsEEEENSB_INSC_IjEEEEPNS0_10empty_typeENS0_5tupleIJSE_SH_EEENSJ_IJNS9_16discard_iteratorINS9_11use_defaultEEESI_EEENS0_18inequality_wrapperINS9_8equal_toIsEEEEPmJSH_EEE10hipError_tPvRmT3_T4_T5_T6_T7_T9_mT8_P12ihipStream_tbDpT10_ENKUlT_T0_E_clISt17integral_constantIbLb1EES1C_IbLb0EEEEDaS18_S19_EUlS18_E_NS1_11comp_targetILNS1_3genE9ELNS1_11target_archE1100ELNS1_3gpuE3ELNS1_3repE0EEENS1_30default_config_static_selectorELNS0_4arch9wavefront6targetE0EEEvT1_,"axG",@progbits,_ZN7rocprim17ROCPRIM_400000_NS6detail17trampoline_kernelINS0_14default_configENS1_25partition_config_selectorILNS1_17partition_subalgoE9EsjbEEZZNS1_14partition_implILS5_9ELb0ES3_jN6thrust23THRUST_200600_302600_NS6detail15normal_iteratorINS9_10device_ptrIsEEEENSB_INSC_IjEEEEPNS0_10empty_typeENS0_5tupleIJSE_SH_EEENSJ_IJNS9_16discard_iteratorINS9_11use_defaultEEESI_EEENS0_18inequality_wrapperINS9_8equal_toIsEEEEPmJSH_EEE10hipError_tPvRmT3_T4_T5_T6_T7_T9_mT8_P12ihipStream_tbDpT10_ENKUlT_T0_E_clISt17integral_constantIbLb1EES1C_IbLb0EEEEDaS18_S19_EUlS18_E_NS1_11comp_targetILNS1_3genE9ELNS1_11target_archE1100ELNS1_3gpuE3ELNS1_3repE0EEENS1_30default_config_static_selectorELNS0_4arch9wavefront6targetE0EEEvT1_,comdat
.Lfunc_end1227:
	.size	_ZN7rocprim17ROCPRIM_400000_NS6detail17trampoline_kernelINS0_14default_configENS1_25partition_config_selectorILNS1_17partition_subalgoE9EsjbEEZZNS1_14partition_implILS5_9ELb0ES3_jN6thrust23THRUST_200600_302600_NS6detail15normal_iteratorINS9_10device_ptrIsEEEENSB_INSC_IjEEEEPNS0_10empty_typeENS0_5tupleIJSE_SH_EEENSJ_IJNS9_16discard_iteratorINS9_11use_defaultEEESI_EEENS0_18inequality_wrapperINS9_8equal_toIsEEEEPmJSH_EEE10hipError_tPvRmT3_T4_T5_T6_T7_T9_mT8_P12ihipStream_tbDpT10_ENKUlT_T0_E_clISt17integral_constantIbLb1EES1C_IbLb0EEEEDaS18_S19_EUlS18_E_NS1_11comp_targetILNS1_3genE9ELNS1_11target_archE1100ELNS1_3gpuE3ELNS1_3repE0EEENS1_30default_config_static_selectorELNS0_4arch9wavefront6targetE0EEEvT1_, .Lfunc_end1227-_ZN7rocprim17ROCPRIM_400000_NS6detail17trampoline_kernelINS0_14default_configENS1_25partition_config_selectorILNS1_17partition_subalgoE9EsjbEEZZNS1_14partition_implILS5_9ELb0ES3_jN6thrust23THRUST_200600_302600_NS6detail15normal_iteratorINS9_10device_ptrIsEEEENSB_INSC_IjEEEEPNS0_10empty_typeENS0_5tupleIJSE_SH_EEENSJ_IJNS9_16discard_iteratorINS9_11use_defaultEEESI_EEENS0_18inequality_wrapperINS9_8equal_toIsEEEEPmJSH_EEE10hipError_tPvRmT3_T4_T5_T6_T7_T9_mT8_P12ihipStream_tbDpT10_ENKUlT_T0_E_clISt17integral_constantIbLb1EES1C_IbLb0EEEEDaS18_S19_EUlS18_E_NS1_11comp_targetILNS1_3genE9ELNS1_11target_archE1100ELNS1_3gpuE3ELNS1_3repE0EEENS1_30default_config_static_selectorELNS0_4arch9wavefront6targetE0EEEvT1_
                                        ; -- End function
	.section	.AMDGPU.csdata,"",@progbits
; Kernel info:
; codeLenInByte = 10812
; NumSgprs: 26
; NumVgprs: 84
; ScratchSize: 0
; MemoryBound: 0
; FloatMode: 240
; IeeeMode: 1
; LDSByteSize: 5640 bytes/workgroup (compile time only)
; SGPRBlocks: 3
; VGPRBlocks: 10
; NumSGPRsForWavesPerEU: 26
; NumVGPRsForWavesPerEU: 84
; Occupancy: 16
; WaveLimiterHint : 1
; COMPUTE_PGM_RSRC2:SCRATCH_EN: 0
; COMPUTE_PGM_RSRC2:USER_SGPR: 15
; COMPUTE_PGM_RSRC2:TRAP_HANDLER: 0
; COMPUTE_PGM_RSRC2:TGID_X_EN: 1
; COMPUTE_PGM_RSRC2:TGID_Y_EN: 0
; COMPUTE_PGM_RSRC2:TGID_Z_EN: 0
; COMPUTE_PGM_RSRC2:TIDIG_COMP_CNT: 0
	.section	.text._ZN7rocprim17ROCPRIM_400000_NS6detail17trampoline_kernelINS0_14default_configENS1_25partition_config_selectorILNS1_17partition_subalgoE9EsjbEEZZNS1_14partition_implILS5_9ELb0ES3_jN6thrust23THRUST_200600_302600_NS6detail15normal_iteratorINS9_10device_ptrIsEEEENSB_INSC_IjEEEEPNS0_10empty_typeENS0_5tupleIJSE_SH_EEENSJ_IJNS9_16discard_iteratorINS9_11use_defaultEEESI_EEENS0_18inequality_wrapperINS9_8equal_toIsEEEEPmJSH_EEE10hipError_tPvRmT3_T4_T5_T6_T7_T9_mT8_P12ihipStream_tbDpT10_ENKUlT_T0_E_clISt17integral_constantIbLb1EES1C_IbLb0EEEEDaS18_S19_EUlS18_E_NS1_11comp_targetILNS1_3genE8ELNS1_11target_archE1030ELNS1_3gpuE2ELNS1_3repE0EEENS1_30default_config_static_selectorELNS0_4arch9wavefront6targetE0EEEvT1_,"axG",@progbits,_ZN7rocprim17ROCPRIM_400000_NS6detail17trampoline_kernelINS0_14default_configENS1_25partition_config_selectorILNS1_17partition_subalgoE9EsjbEEZZNS1_14partition_implILS5_9ELb0ES3_jN6thrust23THRUST_200600_302600_NS6detail15normal_iteratorINS9_10device_ptrIsEEEENSB_INSC_IjEEEEPNS0_10empty_typeENS0_5tupleIJSE_SH_EEENSJ_IJNS9_16discard_iteratorINS9_11use_defaultEEESI_EEENS0_18inequality_wrapperINS9_8equal_toIsEEEEPmJSH_EEE10hipError_tPvRmT3_T4_T5_T6_T7_T9_mT8_P12ihipStream_tbDpT10_ENKUlT_T0_E_clISt17integral_constantIbLb1EES1C_IbLb0EEEEDaS18_S19_EUlS18_E_NS1_11comp_targetILNS1_3genE8ELNS1_11target_archE1030ELNS1_3gpuE2ELNS1_3repE0EEENS1_30default_config_static_selectorELNS0_4arch9wavefront6targetE0EEEvT1_,comdat
	.protected	_ZN7rocprim17ROCPRIM_400000_NS6detail17trampoline_kernelINS0_14default_configENS1_25partition_config_selectorILNS1_17partition_subalgoE9EsjbEEZZNS1_14partition_implILS5_9ELb0ES3_jN6thrust23THRUST_200600_302600_NS6detail15normal_iteratorINS9_10device_ptrIsEEEENSB_INSC_IjEEEEPNS0_10empty_typeENS0_5tupleIJSE_SH_EEENSJ_IJNS9_16discard_iteratorINS9_11use_defaultEEESI_EEENS0_18inequality_wrapperINS9_8equal_toIsEEEEPmJSH_EEE10hipError_tPvRmT3_T4_T5_T6_T7_T9_mT8_P12ihipStream_tbDpT10_ENKUlT_T0_E_clISt17integral_constantIbLb1EES1C_IbLb0EEEEDaS18_S19_EUlS18_E_NS1_11comp_targetILNS1_3genE8ELNS1_11target_archE1030ELNS1_3gpuE2ELNS1_3repE0EEENS1_30default_config_static_selectorELNS0_4arch9wavefront6targetE0EEEvT1_ ; -- Begin function _ZN7rocprim17ROCPRIM_400000_NS6detail17trampoline_kernelINS0_14default_configENS1_25partition_config_selectorILNS1_17partition_subalgoE9EsjbEEZZNS1_14partition_implILS5_9ELb0ES3_jN6thrust23THRUST_200600_302600_NS6detail15normal_iteratorINS9_10device_ptrIsEEEENSB_INSC_IjEEEEPNS0_10empty_typeENS0_5tupleIJSE_SH_EEENSJ_IJNS9_16discard_iteratorINS9_11use_defaultEEESI_EEENS0_18inequality_wrapperINS9_8equal_toIsEEEEPmJSH_EEE10hipError_tPvRmT3_T4_T5_T6_T7_T9_mT8_P12ihipStream_tbDpT10_ENKUlT_T0_E_clISt17integral_constantIbLb1EES1C_IbLb0EEEEDaS18_S19_EUlS18_E_NS1_11comp_targetILNS1_3genE8ELNS1_11target_archE1030ELNS1_3gpuE2ELNS1_3repE0EEENS1_30default_config_static_selectorELNS0_4arch9wavefront6targetE0EEEvT1_
	.globl	_ZN7rocprim17ROCPRIM_400000_NS6detail17trampoline_kernelINS0_14default_configENS1_25partition_config_selectorILNS1_17partition_subalgoE9EsjbEEZZNS1_14partition_implILS5_9ELb0ES3_jN6thrust23THRUST_200600_302600_NS6detail15normal_iteratorINS9_10device_ptrIsEEEENSB_INSC_IjEEEEPNS0_10empty_typeENS0_5tupleIJSE_SH_EEENSJ_IJNS9_16discard_iteratorINS9_11use_defaultEEESI_EEENS0_18inequality_wrapperINS9_8equal_toIsEEEEPmJSH_EEE10hipError_tPvRmT3_T4_T5_T6_T7_T9_mT8_P12ihipStream_tbDpT10_ENKUlT_T0_E_clISt17integral_constantIbLb1EES1C_IbLb0EEEEDaS18_S19_EUlS18_E_NS1_11comp_targetILNS1_3genE8ELNS1_11target_archE1030ELNS1_3gpuE2ELNS1_3repE0EEENS1_30default_config_static_selectorELNS0_4arch9wavefront6targetE0EEEvT1_
	.p2align	8
	.type	_ZN7rocprim17ROCPRIM_400000_NS6detail17trampoline_kernelINS0_14default_configENS1_25partition_config_selectorILNS1_17partition_subalgoE9EsjbEEZZNS1_14partition_implILS5_9ELb0ES3_jN6thrust23THRUST_200600_302600_NS6detail15normal_iteratorINS9_10device_ptrIsEEEENSB_INSC_IjEEEEPNS0_10empty_typeENS0_5tupleIJSE_SH_EEENSJ_IJNS9_16discard_iteratorINS9_11use_defaultEEESI_EEENS0_18inequality_wrapperINS9_8equal_toIsEEEEPmJSH_EEE10hipError_tPvRmT3_T4_T5_T6_T7_T9_mT8_P12ihipStream_tbDpT10_ENKUlT_T0_E_clISt17integral_constantIbLb1EES1C_IbLb0EEEEDaS18_S19_EUlS18_E_NS1_11comp_targetILNS1_3genE8ELNS1_11target_archE1030ELNS1_3gpuE2ELNS1_3repE0EEENS1_30default_config_static_selectorELNS0_4arch9wavefront6targetE0EEEvT1_,@function
_ZN7rocprim17ROCPRIM_400000_NS6detail17trampoline_kernelINS0_14default_configENS1_25partition_config_selectorILNS1_17partition_subalgoE9EsjbEEZZNS1_14partition_implILS5_9ELb0ES3_jN6thrust23THRUST_200600_302600_NS6detail15normal_iteratorINS9_10device_ptrIsEEEENSB_INSC_IjEEEEPNS0_10empty_typeENS0_5tupleIJSE_SH_EEENSJ_IJNS9_16discard_iteratorINS9_11use_defaultEEESI_EEENS0_18inequality_wrapperINS9_8equal_toIsEEEEPmJSH_EEE10hipError_tPvRmT3_T4_T5_T6_T7_T9_mT8_P12ihipStream_tbDpT10_ENKUlT_T0_E_clISt17integral_constantIbLb1EES1C_IbLb0EEEEDaS18_S19_EUlS18_E_NS1_11comp_targetILNS1_3genE8ELNS1_11target_archE1030ELNS1_3gpuE2ELNS1_3repE0EEENS1_30default_config_static_selectorELNS0_4arch9wavefront6targetE0EEEvT1_: ; @_ZN7rocprim17ROCPRIM_400000_NS6detail17trampoline_kernelINS0_14default_configENS1_25partition_config_selectorILNS1_17partition_subalgoE9EsjbEEZZNS1_14partition_implILS5_9ELb0ES3_jN6thrust23THRUST_200600_302600_NS6detail15normal_iteratorINS9_10device_ptrIsEEEENSB_INSC_IjEEEEPNS0_10empty_typeENS0_5tupleIJSE_SH_EEENSJ_IJNS9_16discard_iteratorINS9_11use_defaultEEESI_EEENS0_18inequality_wrapperINS9_8equal_toIsEEEEPmJSH_EEE10hipError_tPvRmT3_T4_T5_T6_T7_T9_mT8_P12ihipStream_tbDpT10_ENKUlT_T0_E_clISt17integral_constantIbLb1EES1C_IbLb0EEEEDaS18_S19_EUlS18_E_NS1_11comp_targetILNS1_3genE8ELNS1_11target_archE1030ELNS1_3gpuE2ELNS1_3repE0EEENS1_30default_config_static_selectorELNS0_4arch9wavefront6targetE0EEEvT1_
; %bb.0:
	.section	.rodata,"a",@progbits
	.p2align	6, 0x0
	.amdhsa_kernel _ZN7rocprim17ROCPRIM_400000_NS6detail17trampoline_kernelINS0_14default_configENS1_25partition_config_selectorILNS1_17partition_subalgoE9EsjbEEZZNS1_14partition_implILS5_9ELb0ES3_jN6thrust23THRUST_200600_302600_NS6detail15normal_iteratorINS9_10device_ptrIsEEEENSB_INSC_IjEEEEPNS0_10empty_typeENS0_5tupleIJSE_SH_EEENSJ_IJNS9_16discard_iteratorINS9_11use_defaultEEESI_EEENS0_18inequality_wrapperINS9_8equal_toIsEEEEPmJSH_EEE10hipError_tPvRmT3_T4_T5_T6_T7_T9_mT8_P12ihipStream_tbDpT10_ENKUlT_T0_E_clISt17integral_constantIbLb1EES1C_IbLb0EEEEDaS18_S19_EUlS18_E_NS1_11comp_targetILNS1_3genE8ELNS1_11target_archE1030ELNS1_3gpuE2ELNS1_3repE0EEENS1_30default_config_static_selectorELNS0_4arch9wavefront6targetE0EEEvT1_
		.amdhsa_group_segment_fixed_size 0
		.amdhsa_private_segment_fixed_size 0
		.amdhsa_kernarg_size 120
		.amdhsa_user_sgpr_count 15
		.amdhsa_user_sgpr_dispatch_ptr 0
		.amdhsa_user_sgpr_queue_ptr 0
		.amdhsa_user_sgpr_kernarg_segment_ptr 1
		.amdhsa_user_sgpr_dispatch_id 0
		.amdhsa_user_sgpr_private_segment_size 0
		.amdhsa_wavefront_size32 1
		.amdhsa_uses_dynamic_stack 0
		.amdhsa_enable_private_segment 0
		.amdhsa_system_sgpr_workgroup_id_x 1
		.amdhsa_system_sgpr_workgroup_id_y 0
		.amdhsa_system_sgpr_workgroup_id_z 0
		.amdhsa_system_sgpr_workgroup_info 0
		.amdhsa_system_vgpr_workitem_id 0
		.amdhsa_next_free_vgpr 1
		.amdhsa_next_free_sgpr 1
		.amdhsa_reserve_vcc 0
		.amdhsa_float_round_mode_32 0
		.amdhsa_float_round_mode_16_64 0
		.amdhsa_float_denorm_mode_32 3
		.amdhsa_float_denorm_mode_16_64 3
		.amdhsa_dx10_clamp 1
		.amdhsa_ieee_mode 1
		.amdhsa_fp16_overflow 0
		.amdhsa_workgroup_processor_mode 1
		.amdhsa_memory_ordered 1
		.amdhsa_forward_progress 0
		.amdhsa_shared_vgpr_count 0
		.amdhsa_exception_fp_ieee_invalid_op 0
		.amdhsa_exception_fp_denorm_src 0
		.amdhsa_exception_fp_ieee_div_zero 0
		.amdhsa_exception_fp_ieee_overflow 0
		.amdhsa_exception_fp_ieee_underflow 0
		.amdhsa_exception_fp_ieee_inexact 0
		.amdhsa_exception_int_div_zero 0
	.end_amdhsa_kernel
	.section	.text._ZN7rocprim17ROCPRIM_400000_NS6detail17trampoline_kernelINS0_14default_configENS1_25partition_config_selectorILNS1_17partition_subalgoE9EsjbEEZZNS1_14partition_implILS5_9ELb0ES3_jN6thrust23THRUST_200600_302600_NS6detail15normal_iteratorINS9_10device_ptrIsEEEENSB_INSC_IjEEEEPNS0_10empty_typeENS0_5tupleIJSE_SH_EEENSJ_IJNS9_16discard_iteratorINS9_11use_defaultEEESI_EEENS0_18inequality_wrapperINS9_8equal_toIsEEEEPmJSH_EEE10hipError_tPvRmT3_T4_T5_T6_T7_T9_mT8_P12ihipStream_tbDpT10_ENKUlT_T0_E_clISt17integral_constantIbLb1EES1C_IbLb0EEEEDaS18_S19_EUlS18_E_NS1_11comp_targetILNS1_3genE8ELNS1_11target_archE1030ELNS1_3gpuE2ELNS1_3repE0EEENS1_30default_config_static_selectorELNS0_4arch9wavefront6targetE0EEEvT1_,"axG",@progbits,_ZN7rocprim17ROCPRIM_400000_NS6detail17trampoline_kernelINS0_14default_configENS1_25partition_config_selectorILNS1_17partition_subalgoE9EsjbEEZZNS1_14partition_implILS5_9ELb0ES3_jN6thrust23THRUST_200600_302600_NS6detail15normal_iteratorINS9_10device_ptrIsEEEENSB_INSC_IjEEEEPNS0_10empty_typeENS0_5tupleIJSE_SH_EEENSJ_IJNS9_16discard_iteratorINS9_11use_defaultEEESI_EEENS0_18inequality_wrapperINS9_8equal_toIsEEEEPmJSH_EEE10hipError_tPvRmT3_T4_T5_T6_T7_T9_mT8_P12ihipStream_tbDpT10_ENKUlT_T0_E_clISt17integral_constantIbLb1EES1C_IbLb0EEEEDaS18_S19_EUlS18_E_NS1_11comp_targetILNS1_3genE8ELNS1_11target_archE1030ELNS1_3gpuE2ELNS1_3repE0EEENS1_30default_config_static_selectorELNS0_4arch9wavefront6targetE0EEEvT1_,comdat
.Lfunc_end1228:
	.size	_ZN7rocprim17ROCPRIM_400000_NS6detail17trampoline_kernelINS0_14default_configENS1_25partition_config_selectorILNS1_17partition_subalgoE9EsjbEEZZNS1_14partition_implILS5_9ELb0ES3_jN6thrust23THRUST_200600_302600_NS6detail15normal_iteratorINS9_10device_ptrIsEEEENSB_INSC_IjEEEEPNS0_10empty_typeENS0_5tupleIJSE_SH_EEENSJ_IJNS9_16discard_iteratorINS9_11use_defaultEEESI_EEENS0_18inequality_wrapperINS9_8equal_toIsEEEEPmJSH_EEE10hipError_tPvRmT3_T4_T5_T6_T7_T9_mT8_P12ihipStream_tbDpT10_ENKUlT_T0_E_clISt17integral_constantIbLb1EES1C_IbLb0EEEEDaS18_S19_EUlS18_E_NS1_11comp_targetILNS1_3genE8ELNS1_11target_archE1030ELNS1_3gpuE2ELNS1_3repE0EEENS1_30default_config_static_selectorELNS0_4arch9wavefront6targetE0EEEvT1_, .Lfunc_end1228-_ZN7rocprim17ROCPRIM_400000_NS6detail17trampoline_kernelINS0_14default_configENS1_25partition_config_selectorILNS1_17partition_subalgoE9EsjbEEZZNS1_14partition_implILS5_9ELb0ES3_jN6thrust23THRUST_200600_302600_NS6detail15normal_iteratorINS9_10device_ptrIsEEEENSB_INSC_IjEEEEPNS0_10empty_typeENS0_5tupleIJSE_SH_EEENSJ_IJNS9_16discard_iteratorINS9_11use_defaultEEESI_EEENS0_18inequality_wrapperINS9_8equal_toIsEEEEPmJSH_EEE10hipError_tPvRmT3_T4_T5_T6_T7_T9_mT8_P12ihipStream_tbDpT10_ENKUlT_T0_E_clISt17integral_constantIbLb1EES1C_IbLb0EEEEDaS18_S19_EUlS18_E_NS1_11comp_targetILNS1_3genE8ELNS1_11target_archE1030ELNS1_3gpuE2ELNS1_3repE0EEENS1_30default_config_static_selectorELNS0_4arch9wavefront6targetE0EEEvT1_
                                        ; -- End function
	.section	.AMDGPU.csdata,"",@progbits
; Kernel info:
; codeLenInByte = 0
; NumSgprs: 0
; NumVgprs: 0
; ScratchSize: 0
; MemoryBound: 0
; FloatMode: 240
; IeeeMode: 1
; LDSByteSize: 0 bytes/workgroup (compile time only)
; SGPRBlocks: 0
; VGPRBlocks: 0
; NumSGPRsForWavesPerEU: 1
; NumVGPRsForWavesPerEU: 1
; Occupancy: 16
; WaveLimiterHint : 0
; COMPUTE_PGM_RSRC2:SCRATCH_EN: 0
; COMPUTE_PGM_RSRC2:USER_SGPR: 15
; COMPUTE_PGM_RSRC2:TRAP_HANDLER: 0
; COMPUTE_PGM_RSRC2:TGID_X_EN: 1
; COMPUTE_PGM_RSRC2:TGID_Y_EN: 0
; COMPUTE_PGM_RSRC2:TGID_Z_EN: 0
; COMPUTE_PGM_RSRC2:TIDIG_COMP_CNT: 0
	.section	.text._ZN7rocprim17ROCPRIM_400000_NS6detail17trampoline_kernelINS0_14default_configENS1_25partition_config_selectorILNS1_17partition_subalgoE9EsjbEEZZNS1_14partition_implILS5_9ELb0ES3_jN6thrust23THRUST_200600_302600_NS6detail15normal_iteratorINS9_10device_ptrIsEEEENSB_INSC_IjEEEEPNS0_10empty_typeENS0_5tupleIJSE_SH_EEENSJ_IJNS9_16discard_iteratorINS9_11use_defaultEEESI_EEENS0_18inequality_wrapperINS9_8equal_toIsEEEEPmJSH_EEE10hipError_tPvRmT3_T4_T5_T6_T7_T9_mT8_P12ihipStream_tbDpT10_ENKUlT_T0_E_clISt17integral_constantIbLb0EES1C_IbLb1EEEEDaS18_S19_EUlS18_E_NS1_11comp_targetILNS1_3genE0ELNS1_11target_archE4294967295ELNS1_3gpuE0ELNS1_3repE0EEENS1_30default_config_static_selectorELNS0_4arch9wavefront6targetE0EEEvT1_,"axG",@progbits,_ZN7rocprim17ROCPRIM_400000_NS6detail17trampoline_kernelINS0_14default_configENS1_25partition_config_selectorILNS1_17partition_subalgoE9EsjbEEZZNS1_14partition_implILS5_9ELb0ES3_jN6thrust23THRUST_200600_302600_NS6detail15normal_iteratorINS9_10device_ptrIsEEEENSB_INSC_IjEEEEPNS0_10empty_typeENS0_5tupleIJSE_SH_EEENSJ_IJNS9_16discard_iteratorINS9_11use_defaultEEESI_EEENS0_18inequality_wrapperINS9_8equal_toIsEEEEPmJSH_EEE10hipError_tPvRmT3_T4_T5_T6_T7_T9_mT8_P12ihipStream_tbDpT10_ENKUlT_T0_E_clISt17integral_constantIbLb0EES1C_IbLb1EEEEDaS18_S19_EUlS18_E_NS1_11comp_targetILNS1_3genE0ELNS1_11target_archE4294967295ELNS1_3gpuE0ELNS1_3repE0EEENS1_30default_config_static_selectorELNS0_4arch9wavefront6targetE0EEEvT1_,comdat
	.protected	_ZN7rocprim17ROCPRIM_400000_NS6detail17trampoline_kernelINS0_14default_configENS1_25partition_config_selectorILNS1_17partition_subalgoE9EsjbEEZZNS1_14partition_implILS5_9ELb0ES3_jN6thrust23THRUST_200600_302600_NS6detail15normal_iteratorINS9_10device_ptrIsEEEENSB_INSC_IjEEEEPNS0_10empty_typeENS0_5tupleIJSE_SH_EEENSJ_IJNS9_16discard_iteratorINS9_11use_defaultEEESI_EEENS0_18inequality_wrapperINS9_8equal_toIsEEEEPmJSH_EEE10hipError_tPvRmT3_T4_T5_T6_T7_T9_mT8_P12ihipStream_tbDpT10_ENKUlT_T0_E_clISt17integral_constantIbLb0EES1C_IbLb1EEEEDaS18_S19_EUlS18_E_NS1_11comp_targetILNS1_3genE0ELNS1_11target_archE4294967295ELNS1_3gpuE0ELNS1_3repE0EEENS1_30default_config_static_selectorELNS0_4arch9wavefront6targetE0EEEvT1_ ; -- Begin function _ZN7rocprim17ROCPRIM_400000_NS6detail17trampoline_kernelINS0_14default_configENS1_25partition_config_selectorILNS1_17partition_subalgoE9EsjbEEZZNS1_14partition_implILS5_9ELb0ES3_jN6thrust23THRUST_200600_302600_NS6detail15normal_iteratorINS9_10device_ptrIsEEEENSB_INSC_IjEEEEPNS0_10empty_typeENS0_5tupleIJSE_SH_EEENSJ_IJNS9_16discard_iteratorINS9_11use_defaultEEESI_EEENS0_18inequality_wrapperINS9_8equal_toIsEEEEPmJSH_EEE10hipError_tPvRmT3_T4_T5_T6_T7_T9_mT8_P12ihipStream_tbDpT10_ENKUlT_T0_E_clISt17integral_constantIbLb0EES1C_IbLb1EEEEDaS18_S19_EUlS18_E_NS1_11comp_targetILNS1_3genE0ELNS1_11target_archE4294967295ELNS1_3gpuE0ELNS1_3repE0EEENS1_30default_config_static_selectorELNS0_4arch9wavefront6targetE0EEEvT1_
	.globl	_ZN7rocprim17ROCPRIM_400000_NS6detail17trampoline_kernelINS0_14default_configENS1_25partition_config_selectorILNS1_17partition_subalgoE9EsjbEEZZNS1_14partition_implILS5_9ELb0ES3_jN6thrust23THRUST_200600_302600_NS6detail15normal_iteratorINS9_10device_ptrIsEEEENSB_INSC_IjEEEEPNS0_10empty_typeENS0_5tupleIJSE_SH_EEENSJ_IJNS9_16discard_iteratorINS9_11use_defaultEEESI_EEENS0_18inequality_wrapperINS9_8equal_toIsEEEEPmJSH_EEE10hipError_tPvRmT3_T4_T5_T6_T7_T9_mT8_P12ihipStream_tbDpT10_ENKUlT_T0_E_clISt17integral_constantIbLb0EES1C_IbLb1EEEEDaS18_S19_EUlS18_E_NS1_11comp_targetILNS1_3genE0ELNS1_11target_archE4294967295ELNS1_3gpuE0ELNS1_3repE0EEENS1_30default_config_static_selectorELNS0_4arch9wavefront6targetE0EEEvT1_
	.p2align	8
	.type	_ZN7rocprim17ROCPRIM_400000_NS6detail17trampoline_kernelINS0_14default_configENS1_25partition_config_selectorILNS1_17partition_subalgoE9EsjbEEZZNS1_14partition_implILS5_9ELb0ES3_jN6thrust23THRUST_200600_302600_NS6detail15normal_iteratorINS9_10device_ptrIsEEEENSB_INSC_IjEEEEPNS0_10empty_typeENS0_5tupleIJSE_SH_EEENSJ_IJNS9_16discard_iteratorINS9_11use_defaultEEESI_EEENS0_18inequality_wrapperINS9_8equal_toIsEEEEPmJSH_EEE10hipError_tPvRmT3_T4_T5_T6_T7_T9_mT8_P12ihipStream_tbDpT10_ENKUlT_T0_E_clISt17integral_constantIbLb0EES1C_IbLb1EEEEDaS18_S19_EUlS18_E_NS1_11comp_targetILNS1_3genE0ELNS1_11target_archE4294967295ELNS1_3gpuE0ELNS1_3repE0EEENS1_30default_config_static_selectorELNS0_4arch9wavefront6targetE0EEEvT1_,@function
_ZN7rocprim17ROCPRIM_400000_NS6detail17trampoline_kernelINS0_14default_configENS1_25partition_config_selectorILNS1_17partition_subalgoE9EsjbEEZZNS1_14partition_implILS5_9ELb0ES3_jN6thrust23THRUST_200600_302600_NS6detail15normal_iteratorINS9_10device_ptrIsEEEENSB_INSC_IjEEEEPNS0_10empty_typeENS0_5tupleIJSE_SH_EEENSJ_IJNS9_16discard_iteratorINS9_11use_defaultEEESI_EEENS0_18inequality_wrapperINS9_8equal_toIsEEEEPmJSH_EEE10hipError_tPvRmT3_T4_T5_T6_T7_T9_mT8_P12ihipStream_tbDpT10_ENKUlT_T0_E_clISt17integral_constantIbLb0EES1C_IbLb1EEEEDaS18_S19_EUlS18_E_NS1_11comp_targetILNS1_3genE0ELNS1_11target_archE4294967295ELNS1_3gpuE0ELNS1_3repE0EEENS1_30default_config_static_selectorELNS0_4arch9wavefront6targetE0EEEvT1_: ; @_ZN7rocprim17ROCPRIM_400000_NS6detail17trampoline_kernelINS0_14default_configENS1_25partition_config_selectorILNS1_17partition_subalgoE9EsjbEEZZNS1_14partition_implILS5_9ELb0ES3_jN6thrust23THRUST_200600_302600_NS6detail15normal_iteratorINS9_10device_ptrIsEEEENSB_INSC_IjEEEEPNS0_10empty_typeENS0_5tupleIJSE_SH_EEENSJ_IJNS9_16discard_iteratorINS9_11use_defaultEEESI_EEENS0_18inequality_wrapperINS9_8equal_toIsEEEEPmJSH_EEE10hipError_tPvRmT3_T4_T5_T6_T7_T9_mT8_P12ihipStream_tbDpT10_ENKUlT_T0_E_clISt17integral_constantIbLb0EES1C_IbLb1EEEEDaS18_S19_EUlS18_E_NS1_11comp_targetILNS1_3genE0ELNS1_11target_archE4294967295ELNS1_3gpuE0ELNS1_3repE0EEENS1_30default_config_static_selectorELNS0_4arch9wavefront6targetE0EEEvT1_
; %bb.0:
	.section	.rodata,"a",@progbits
	.p2align	6, 0x0
	.amdhsa_kernel _ZN7rocprim17ROCPRIM_400000_NS6detail17trampoline_kernelINS0_14default_configENS1_25partition_config_selectorILNS1_17partition_subalgoE9EsjbEEZZNS1_14partition_implILS5_9ELb0ES3_jN6thrust23THRUST_200600_302600_NS6detail15normal_iteratorINS9_10device_ptrIsEEEENSB_INSC_IjEEEEPNS0_10empty_typeENS0_5tupleIJSE_SH_EEENSJ_IJNS9_16discard_iteratorINS9_11use_defaultEEESI_EEENS0_18inequality_wrapperINS9_8equal_toIsEEEEPmJSH_EEE10hipError_tPvRmT3_T4_T5_T6_T7_T9_mT8_P12ihipStream_tbDpT10_ENKUlT_T0_E_clISt17integral_constantIbLb0EES1C_IbLb1EEEEDaS18_S19_EUlS18_E_NS1_11comp_targetILNS1_3genE0ELNS1_11target_archE4294967295ELNS1_3gpuE0ELNS1_3repE0EEENS1_30default_config_static_selectorELNS0_4arch9wavefront6targetE0EEEvT1_
		.amdhsa_group_segment_fixed_size 0
		.amdhsa_private_segment_fixed_size 0
		.amdhsa_kernarg_size 136
		.amdhsa_user_sgpr_count 15
		.amdhsa_user_sgpr_dispatch_ptr 0
		.amdhsa_user_sgpr_queue_ptr 0
		.amdhsa_user_sgpr_kernarg_segment_ptr 1
		.amdhsa_user_sgpr_dispatch_id 0
		.amdhsa_user_sgpr_private_segment_size 0
		.amdhsa_wavefront_size32 1
		.amdhsa_uses_dynamic_stack 0
		.amdhsa_enable_private_segment 0
		.amdhsa_system_sgpr_workgroup_id_x 1
		.amdhsa_system_sgpr_workgroup_id_y 0
		.amdhsa_system_sgpr_workgroup_id_z 0
		.amdhsa_system_sgpr_workgroup_info 0
		.amdhsa_system_vgpr_workitem_id 0
		.amdhsa_next_free_vgpr 1
		.amdhsa_next_free_sgpr 1
		.amdhsa_reserve_vcc 0
		.amdhsa_float_round_mode_32 0
		.amdhsa_float_round_mode_16_64 0
		.amdhsa_float_denorm_mode_32 3
		.amdhsa_float_denorm_mode_16_64 3
		.amdhsa_dx10_clamp 1
		.amdhsa_ieee_mode 1
		.amdhsa_fp16_overflow 0
		.amdhsa_workgroup_processor_mode 1
		.amdhsa_memory_ordered 1
		.amdhsa_forward_progress 0
		.amdhsa_shared_vgpr_count 0
		.amdhsa_exception_fp_ieee_invalid_op 0
		.amdhsa_exception_fp_denorm_src 0
		.amdhsa_exception_fp_ieee_div_zero 0
		.amdhsa_exception_fp_ieee_overflow 0
		.amdhsa_exception_fp_ieee_underflow 0
		.amdhsa_exception_fp_ieee_inexact 0
		.amdhsa_exception_int_div_zero 0
	.end_amdhsa_kernel
	.section	.text._ZN7rocprim17ROCPRIM_400000_NS6detail17trampoline_kernelINS0_14default_configENS1_25partition_config_selectorILNS1_17partition_subalgoE9EsjbEEZZNS1_14partition_implILS5_9ELb0ES3_jN6thrust23THRUST_200600_302600_NS6detail15normal_iteratorINS9_10device_ptrIsEEEENSB_INSC_IjEEEEPNS0_10empty_typeENS0_5tupleIJSE_SH_EEENSJ_IJNS9_16discard_iteratorINS9_11use_defaultEEESI_EEENS0_18inequality_wrapperINS9_8equal_toIsEEEEPmJSH_EEE10hipError_tPvRmT3_T4_T5_T6_T7_T9_mT8_P12ihipStream_tbDpT10_ENKUlT_T0_E_clISt17integral_constantIbLb0EES1C_IbLb1EEEEDaS18_S19_EUlS18_E_NS1_11comp_targetILNS1_3genE0ELNS1_11target_archE4294967295ELNS1_3gpuE0ELNS1_3repE0EEENS1_30default_config_static_selectorELNS0_4arch9wavefront6targetE0EEEvT1_,"axG",@progbits,_ZN7rocprim17ROCPRIM_400000_NS6detail17trampoline_kernelINS0_14default_configENS1_25partition_config_selectorILNS1_17partition_subalgoE9EsjbEEZZNS1_14partition_implILS5_9ELb0ES3_jN6thrust23THRUST_200600_302600_NS6detail15normal_iteratorINS9_10device_ptrIsEEEENSB_INSC_IjEEEEPNS0_10empty_typeENS0_5tupleIJSE_SH_EEENSJ_IJNS9_16discard_iteratorINS9_11use_defaultEEESI_EEENS0_18inequality_wrapperINS9_8equal_toIsEEEEPmJSH_EEE10hipError_tPvRmT3_T4_T5_T6_T7_T9_mT8_P12ihipStream_tbDpT10_ENKUlT_T0_E_clISt17integral_constantIbLb0EES1C_IbLb1EEEEDaS18_S19_EUlS18_E_NS1_11comp_targetILNS1_3genE0ELNS1_11target_archE4294967295ELNS1_3gpuE0ELNS1_3repE0EEENS1_30default_config_static_selectorELNS0_4arch9wavefront6targetE0EEEvT1_,comdat
.Lfunc_end1229:
	.size	_ZN7rocprim17ROCPRIM_400000_NS6detail17trampoline_kernelINS0_14default_configENS1_25partition_config_selectorILNS1_17partition_subalgoE9EsjbEEZZNS1_14partition_implILS5_9ELb0ES3_jN6thrust23THRUST_200600_302600_NS6detail15normal_iteratorINS9_10device_ptrIsEEEENSB_INSC_IjEEEEPNS0_10empty_typeENS0_5tupleIJSE_SH_EEENSJ_IJNS9_16discard_iteratorINS9_11use_defaultEEESI_EEENS0_18inequality_wrapperINS9_8equal_toIsEEEEPmJSH_EEE10hipError_tPvRmT3_T4_T5_T6_T7_T9_mT8_P12ihipStream_tbDpT10_ENKUlT_T0_E_clISt17integral_constantIbLb0EES1C_IbLb1EEEEDaS18_S19_EUlS18_E_NS1_11comp_targetILNS1_3genE0ELNS1_11target_archE4294967295ELNS1_3gpuE0ELNS1_3repE0EEENS1_30default_config_static_selectorELNS0_4arch9wavefront6targetE0EEEvT1_, .Lfunc_end1229-_ZN7rocprim17ROCPRIM_400000_NS6detail17trampoline_kernelINS0_14default_configENS1_25partition_config_selectorILNS1_17partition_subalgoE9EsjbEEZZNS1_14partition_implILS5_9ELb0ES3_jN6thrust23THRUST_200600_302600_NS6detail15normal_iteratorINS9_10device_ptrIsEEEENSB_INSC_IjEEEEPNS0_10empty_typeENS0_5tupleIJSE_SH_EEENSJ_IJNS9_16discard_iteratorINS9_11use_defaultEEESI_EEENS0_18inequality_wrapperINS9_8equal_toIsEEEEPmJSH_EEE10hipError_tPvRmT3_T4_T5_T6_T7_T9_mT8_P12ihipStream_tbDpT10_ENKUlT_T0_E_clISt17integral_constantIbLb0EES1C_IbLb1EEEEDaS18_S19_EUlS18_E_NS1_11comp_targetILNS1_3genE0ELNS1_11target_archE4294967295ELNS1_3gpuE0ELNS1_3repE0EEENS1_30default_config_static_selectorELNS0_4arch9wavefront6targetE0EEEvT1_
                                        ; -- End function
	.section	.AMDGPU.csdata,"",@progbits
; Kernel info:
; codeLenInByte = 0
; NumSgprs: 0
; NumVgprs: 0
; ScratchSize: 0
; MemoryBound: 0
; FloatMode: 240
; IeeeMode: 1
; LDSByteSize: 0 bytes/workgroup (compile time only)
; SGPRBlocks: 0
; VGPRBlocks: 0
; NumSGPRsForWavesPerEU: 1
; NumVGPRsForWavesPerEU: 1
; Occupancy: 16
; WaveLimiterHint : 0
; COMPUTE_PGM_RSRC2:SCRATCH_EN: 0
; COMPUTE_PGM_RSRC2:USER_SGPR: 15
; COMPUTE_PGM_RSRC2:TRAP_HANDLER: 0
; COMPUTE_PGM_RSRC2:TGID_X_EN: 1
; COMPUTE_PGM_RSRC2:TGID_Y_EN: 0
; COMPUTE_PGM_RSRC2:TGID_Z_EN: 0
; COMPUTE_PGM_RSRC2:TIDIG_COMP_CNT: 0
	.section	.text._ZN7rocprim17ROCPRIM_400000_NS6detail17trampoline_kernelINS0_14default_configENS1_25partition_config_selectorILNS1_17partition_subalgoE9EsjbEEZZNS1_14partition_implILS5_9ELb0ES3_jN6thrust23THRUST_200600_302600_NS6detail15normal_iteratorINS9_10device_ptrIsEEEENSB_INSC_IjEEEEPNS0_10empty_typeENS0_5tupleIJSE_SH_EEENSJ_IJNS9_16discard_iteratorINS9_11use_defaultEEESI_EEENS0_18inequality_wrapperINS9_8equal_toIsEEEEPmJSH_EEE10hipError_tPvRmT3_T4_T5_T6_T7_T9_mT8_P12ihipStream_tbDpT10_ENKUlT_T0_E_clISt17integral_constantIbLb0EES1C_IbLb1EEEEDaS18_S19_EUlS18_E_NS1_11comp_targetILNS1_3genE5ELNS1_11target_archE942ELNS1_3gpuE9ELNS1_3repE0EEENS1_30default_config_static_selectorELNS0_4arch9wavefront6targetE0EEEvT1_,"axG",@progbits,_ZN7rocprim17ROCPRIM_400000_NS6detail17trampoline_kernelINS0_14default_configENS1_25partition_config_selectorILNS1_17partition_subalgoE9EsjbEEZZNS1_14partition_implILS5_9ELb0ES3_jN6thrust23THRUST_200600_302600_NS6detail15normal_iteratorINS9_10device_ptrIsEEEENSB_INSC_IjEEEEPNS0_10empty_typeENS0_5tupleIJSE_SH_EEENSJ_IJNS9_16discard_iteratorINS9_11use_defaultEEESI_EEENS0_18inequality_wrapperINS9_8equal_toIsEEEEPmJSH_EEE10hipError_tPvRmT3_T4_T5_T6_T7_T9_mT8_P12ihipStream_tbDpT10_ENKUlT_T0_E_clISt17integral_constantIbLb0EES1C_IbLb1EEEEDaS18_S19_EUlS18_E_NS1_11comp_targetILNS1_3genE5ELNS1_11target_archE942ELNS1_3gpuE9ELNS1_3repE0EEENS1_30default_config_static_selectorELNS0_4arch9wavefront6targetE0EEEvT1_,comdat
	.protected	_ZN7rocprim17ROCPRIM_400000_NS6detail17trampoline_kernelINS0_14default_configENS1_25partition_config_selectorILNS1_17partition_subalgoE9EsjbEEZZNS1_14partition_implILS5_9ELb0ES3_jN6thrust23THRUST_200600_302600_NS6detail15normal_iteratorINS9_10device_ptrIsEEEENSB_INSC_IjEEEEPNS0_10empty_typeENS0_5tupleIJSE_SH_EEENSJ_IJNS9_16discard_iteratorINS9_11use_defaultEEESI_EEENS0_18inequality_wrapperINS9_8equal_toIsEEEEPmJSH_EEE10hipError_tPvRmT3_T4_T5_T6_T7_T9_mT8_P12ihipStream_tbDpT10_ENKUlT_T0_E_clISt17integral_constantIbLb0EES1C_IbLb1EEEEDaS18_S19_EUlS18_E_NS1_11comp_targetILNS1_3genE5ELNS1_11target_archE942ELNS1_3gpuE9ELNS1_3repE0EEENS1_30default_config_static_selectorELNS0_4arch9wavefront6targetE0EEEvT1_ ; -- Begin function _ZN7rocprim17ROCPRIM_400000_NS6detail17trampoline_kernelINS0_14default_configENS1_25partition_config_selectorILNS1_17partition_subalgoE9EsjbEEZZNS1_14partition_implILS5_9ELb0ES3_jN6thrust23THRUST_200600_302600_NS6detail15normal_iteratorINS9_10device_ptrIsEEEENSB_INSC_IjEEEEPNS0_10empty_typeENS0_5tupleIJSE_SH_EEENSJ_IJNS9_16discard_iteratorINS9_11use_defaultEEESI_EEENS0_18inequality_wrapperINS9_8equal_toIsEEEEPmJSH_EEE10hipError_tPvRmT3_T4_T5_T6_T7_T9_mT8_P12ihipStream_tbDpT10_ENKUlT_T0_E_clISt17integral_constantIbLb0EES1C_IbLb1EEEEDaS18_S19_EUlS18_E_NS1_11comp_targetILNS1_3genE5ELNS1_11target_archE942ELNS1_3gpuE9ELNS1_3repE0EEENS1_30default_config_static_selectorELNS0_4arch9wavefront6targetE0EEEvT1_
	.globl	_ZN7rocprim17ROCPRIM_400000_NS6detail17trampoline_kernelINS0_14default_configENS1_25partition_config_selectorILNS1_17partition_subalgoE9EsjbEEZZNS1_14partition_implILS5_9ELb0ES3_jN6thrust23THRUST_200600_302600_NS6detail15normal_iteratorINS9_10device_ptrIsEEEENSB_INSC_IjEEEEPNS0_10empty_typeENS0_5tupleIJSE_SH_EEENSJ_IJNS9_16discard_iteratorINS9_11use_defaultEEESI_EEENS0_18inequality_wrapperINS9_8equal_toIsEEEEPmJSH_EEE10hipError_tPvRmT3_T4_T5_T6_T7_T9_mT8_P12ihipStream_tbDpT10_ENKUlT_T0_E_clISt17integral_constantIbLb0EES1C_IbLb1EEEEDaS18_S19_EUlS18_E_NS1_11comp_targetILNS1_3genE5ELNS1_11target_archE942ELNS1_3gpuE9ELNS1_3repE0EEENS1_30default_config_static_selectorELNS0_4arch9wavefront6targetE0EEEvT1_
	.p2align	8
	.type	_ZN7rocprim17ROCPRIM_400000_NS6detail17trampoline_kernelINS0_14default_configENS1_25partition_config_selectorILNS1_17partition_subalgoE9EsjbEEZZNS1_14partition_implILS5_9ELb0ES3_jN6thrust23THRUST_200600_302600_NS6detail15normal_iteratorINS9_10device_ptrIsEEEENSB_INSC_IjEEEEPNS0_10empty_typeENS0_5tupleIJSE_SH_EEENSJ_IJNS9_16discard_iteratorINS9_11use_defaultEEESI_EEENS0_18inequality_wrapperINS9_8equal_toIsEEEEPmJSH_EEE10hipError_tPvRmT3_T4_T5_T6_T7_T9_mT8_P12ihipStream_tbDpT10_ENKUlT_T0_E_clISt17integral_constantIbLb0EES1C_IbLb1EEEEDaS18_S19_EUlS18_E_NS1_11comp_targetILNS1_3genE5ELNS1_11target_archE942ELNS1_3gpuE9ELNS1_3repE0EEENS1_30default_config_static_selectorELNS0_4arch9wavefront6targetE0EEEvT1_,@function
_ZN7rocprim17ROCPRIM_400000_NS6detail17trampoline_kernelINS0_14default_configENS1_25partition_config_selectorILNS1_17partition_subalgoE9EsjbEEZZNS1_14partition_implILS5_9ELb0ES3_jN6thrust23THRUST_200600_302600_NS6detail15normal_iteratorINS9_10device_ptrIsEEEENSB_INSC_IjEEEEPNS0_10empty_typeENS0_5tupleIJSE_SH_EEENSJ_IJNS9_16discard_iteratorINS9_11use_defaultEEESI_EEENS0_18inequality_wrapperINS9_8equal_toIsEEEEPmJSH_EEE10hipError_tPvRmT3_T4_T5_T6_T7_T9_mT8_P12ihipStream_tbDpT10_ENKUlT_T0_E_clISt17integral_constantIbLb0EES1C_IbLb1EEEEDaS18_S19_EUlS18_E_NS1_11comp_targetILNS1_3genE5ELNS1_11target_archE942ELNS1_3gpuE9ELNS1_3repE0EEENS1_30default_config_static_selectorELNS0_4arch9wavefront6targetE0EEEvT1_: ; @_ZN7rocprim17ROCPRIM_400000_NS6detail17trampoline_kernelINS0_14default_configENS1_25partition_config_selectorILNS1_17partition_subalgoE9EsjbEEZZNS1_14partition_implILS5_9ELb0ES3_jN6thrust23THRUST_200600_302600_NS6detail15normal_iteratorINS9_10device_ptrIsEEEENSB_INSC_IjEEEEPNS0_10empty_typeENS0_5tupleIJSE_SH_EEENSJ_IJNS9_16discard_iteratorINS9_11use_defaultEEESI_EEENS0_18inequality_wrapperINS9_8equal_toIsEEEEPmJSH_EEE10hipError_tPvRmT3_T4_T5_T6_T7_T9_mT8_P12ihipStream_tbDpT10_ENKUlT_T0_E_clISt17integral_constantIbLb0EES1C_IbLb1EEEEDaS18_S19_EUlS18_E_NS1_11comp_targetILNS1_3genE5ELNS1_11target_archE942ELNS1_3gpuE9ELNS1_3repE0EEENS1_30default_config_static_selectorELNS0_4arch9wavefront6targetE0EEEvT1_
; %bb.0:
	.section	.rodata,"a",@progbits
	.p2align	6, 0x0
	.amdhsa_kernel _ZN7rocprim17ROCPRIM_400000_NS6detail17trampoline_kernelINS0_14default_configENS1_25partition_config_selectorILNS1_17partition_subalgoE9EsjbEEZZNS1_14partition_implILS5_9ELb0ES3_jN6thrust23THRUST_200600_302600_NS6detail15normal_iteratorINS9_10device_ptrIsEEEENSB_INSC_IjEEEEPNS0_10empty_typeENS0_5tupleIJSE_SH_EEENSJ_IJNS9_16discard_iteratorINS9_11use_defaultEEESI_EEENS0_18inequality_wrapperINS9_8equal_toIsEEEEPmJSH_EEE10hipError_tPvRmT3_T4_T5_T6_T7_T9_mT8_P12ihipStream_tbDpT10_ENKUlT_T0_E_clISt17integral_constantIbLb0EES1C_IbLb1EEEEDaS18_S19_EUlS18_E_NS1_11comp_targetILNS1_3genE5ELNS1_11target_archE942ELNS1_3gpuE9ELNS1_3repE0EEENS1_30default_config_static_selectorELNS0_4arch9wavefront6targetE0EEEvT1_
		.amdhsa_group_segment_fixed_size 0
		.amdhsa_private_segment_fixed_size 0
		.amdhsa_kernarg_size 136
		.amdhsa_user_sgpr_count 15
		.amdhsa_user_sgpr_dispatch_ptr 0
		.amdhsa_user_sgpr_queue_ptr 0
		.amdhsa_user_sgpr_kernarg_segment_ptr 1
		.amdhsa_user_sgpr_dispatch_id 0
		.amdhsa_user_sgpr_private_segment_size 0
		.amdhsa_wavefront_size32 1
		.amdhsa_uses_dynamic_stack 0
		.amdhsa_enable_private_segment 0
		.amdhsa_system_sgpr_workgroup_id_x 1
		.amdhsa_system_sgpr_workgroup_id_y 0
		.amdhsa_system_sgpr_workgroup_id_z 0
		.amdhsa_system_sgpr_workgroup_info 0
		.amdhsa_system_vgpr_workitem_id 0
		.amdhsa_next_free_vgpr 1
		.amdhsa_next_free_sgpr 1
		.amdhsa_reserve_vcc 0
		.amdhsa_float_round_mode_32 0
		.amdhsa_float_round_mode_16_64 0
		.amdhsa_float_denorm_mode_32 3
		.amdhsa_float_denorm_mode_16_64 3
		.amdhsa_dx10_clamp 1
		.amdhsa_ieee_mode 1
		.amdhsa_fp16_overflow 0
		.amdhsa_workgroup_processor_mode 1
		.amdhsa_memory_ordered 1
		.amdhsa_forward_progress 0
		.amdhsa_shared_vgpr_count 0
		.amdhsa_exception_fp_ieee_invalid_op 0
		.amdhsa_exception_fp_denorm_src 0
		.amdhsa_exception_fp_ieee_div_zero 0
		.amdhsa_exception_fp_ieee_overflow 0
		.amdhsa_exception_fp_ieee_underflow 0
		.amdhsa_exception_fp_ieee_inexact 0
		.amdhsa_exception_int_div_zero 0
	.end_amdhsa_kernel
	.section	.text._ZN7rocprim17ROCPRIM_400000_NS6detail17trampoline_kernelINS0_14default_configENS1_25partition_config_selectorILNS1_17partition_subalgoE9EsjbEEZZNS1_14partition_implILS5_9ELb0ES3_jN6thrust23THRUST_200600_302600_NS6detail15normal_iteratorINS9_10device_ptrIsEEEENSB_INSC_IjEEEEPNS0_10empty_typeENS0_5tupleIJSE_SH_EEENSJ_IJNS9_16discard_iteratorINS9_11use_defaultEEESI_EEENS0_18inequality_wrapperINS9_8equal_toIsEEEEPmJSH_EEE10hipError_tPvRmT3_T4_T5_T6_T7_T9_mT8_P12ihipStream_tbDpT10_ENKUlT_T0_E_clISt17integral_constantIbLb0EES1C_IbLb1EEEEDaS18_S19_EUlS18_E_NS1_11comp_targetILNS1_3genE5ELNS1_11target_archE942ELNS1_3gpuE9ELNS1_3repE0EEENS1_30default_config_static_selectorELNS0_4arch9wavefront6targetE0EEEvT1_,"axG",@progbits,_ZN7rocprim17ROCPRIM_400000_NS6detail17trampoline_kernelINS0_14default_configENS1_25partition_config_selectorILNS1_17partition_subalgoE9EsjbEEZZNS1_14partition_implILS5_9ELb0ES3_jN6thrust23THRUST_200600_302600_NS6detail15normal_iteratorINS9_10device_ptrIsEEEENSB_INSC_IjEEEEPNS0_10empty_typeENS0_5tupleIJSE_SH_EEENSJ_IJNS9_16discard_iteratorINS9_11use_defaultEEESI_EEENS0_18inequality_wrapperINS9_8equal_toIsEEEEPmJSH_EEE10hipError_tPvRmT3_T4_T5_T6_T7_T9_mT8_P12ihipStream_tbDpT10_ENKUlT_T0_E_clISt17integral_constantIbLb0EES1C_IbLb1EEEEDaS18_S19_EUlS18_E_NS1_11comp_targetILNS1_3genE5ELNS1_11target_archE942ELNS1_3gpuE9ELNS1_3repE0EEENS1_30default_config_static_selectorELNS0_4arch9wavefront6targetE0EEEvT1_,comdat
.Lfunc_end1230:
	.size	_ZN7rocprim17ROCPRIM_400000_NS6detail17trampoline_kernelINS0_14default_configENS1_25partition_config_selectorILNS1_17partition_subalgoE9EsjbEEZZNS1_14partition_implILS5_9ELb0ES3_jN6thrust23THRUST_200600_302600_NS6detail15normal_iteratorINS9_10device_ptrIsEEEENSB_INSC_IjEEEEPNS0_10empty_typeENS0_5tupleIJSE_SH_EEENSJ_IJNS9_16discard_iteratorINS9_11use_defaultEEESI_EEENS0_18inequality_wrapperINS9_8equal_toIsEEEEPmJSH_EEE10hipError_tPvRmT3_T4_T5_T6_T7_T9_mT8_P12ihipStream_tbDpT10_ENKUlT_T0_E_clISt17integral_constantIbLb0EES1C_IbLb1EEEEDaS18_S19_EUlS18_E_NS1_11comp_targetILNS1_3genE5ELNS1_11target_archE942ELNS1_3gpuE9ELNS1_3repE0EEENS1_30default_config_static_selectorELNS0_4arch9wavefront6targetE0EEEvT1_, .Lfunc_end1230-_ZN7rocprim17ROCPRIM_400000_NS6detail17trampoline_kernelINS0_14default_configENS1_25partition_config_selectorILNS1_17partition_subalgoE9EsjbEEZZNS1_14partition_implILS5_9ELb0ES3_jN6thrust23THRUST_200600_302600_NS6detail15normal_iteratorINS9_10device_ptrIsEEEENSB_INSC_IjEEEEPNS0_10empty_typeENS0_5tupleIJSE_SH_EEENSJ_IJNS9_16discard_iteratorINS9_11use_defaultEEESI_EEENS0_18inequality_wrapperINS9_8equal_toIsEEEEPmJSH_EEE10hipError_tPvRmT3_T4_T5_T6_T7_T9_mT8_P12ihipStream_tbDpT10_ENKUlT_T0_E_clISt17integral_constantIbLb0EES1C_IbLb1EEEEDaS18_S19_EUlS18_E_NS1_11comp_targetILNS1_3genE5ELNS1_11target_archE942ELNS1_3gpuE9ELNS1_3repE0EEENS1_30default_config_static_selectorELNS0_4arch9wavefront6targetE0EEEvT1_
                                        ; -- End function
	.section	.AMDGPU.csdata,"",@progbits
; Kernel info:
; codeLenInByte = 0
; NumSgprs: 0
; NumVgprs: 0
; ScratchSize: 0
; MemoryBound: 0
; FloatMode: 240
; IeeeMode: 1
; LDSByteSize: 0 bytes/workgroup (compile time only)
; SGPRBlocks: 0
; VGPRBlocks: 0
; NumSGPRsForWavesPerEU: 1
; NumVGPRsForWavesPerEU: 1
; Occupancy: 16
; WaveLimiterHint : 0
; COMPUTE_PGM_RSRC2:SCRATCH_EN: 0
; COMPUTE_PGM_RSRC2:USER_SGPR: 15
; COMPUTE_PGM_RSRC2:TRAP_HANDLER: 0
; COMPUTE_PGM_RSRC2:TGID_X_EN: 1
; COMPUTE_PGM_RSRC2:TGID_Y_EN: 0
; COMPUTE_PGM_RSRC2:TGID_Z_EN: 0
; COMPUTE_PGM_RSRC2:TIDIG_COMP_CNT: 0
	.section	.text._ZN7rocprim17ROCPRIM_400000_NS6detail17trampoline_kernelINS0_14default_configENS1_25partition_config_selectorILNS1_17partition_subalgoE9EsjbEEZZNS1_14partition_implILS5_9ELb0ES3_jN6thrust23THRUST_200600_302600_NS6detail15normal_iteratorINS9_10device_ptrIsEEEENSB_INSC_IjEEEEPNS0_10empty_typeENS0_5tupleIJSE_SH_EEENSJ_IJNS9_16discard_iteratorINS9_11use_defaultEEESI_EEENS0_18inequality_wrapperINS9_8equal_toIsEEEEPmJSH_EEE10hipError_tPvRmT3_T4_T5_T6_T7_T9_mT8_P12ihipStream_tbDpT10_ENKUlT_T0_E_clISt17integral_constantIbLb0EES1C_IbLb1EEEEDaS18_S19_EUlS18_E_NS1_11comp_targetILNS1_3genE4ELNS1_11target_archE910ELNS1_3gpuE8ELNS1_3repE0EEENS1_30default_config_static_selectorELNS0_4arch9wavefront6targetE0EEEvT1_,"axG",@progbits,_ZN7rocprim17ROCPRIM_400000_NS6detail17trampoline_kernelINS0_14default_configENS1_25partition_config_selectorILNS1_17partition_subalgoE9EsjbEEZZNS1_14partition_implILS5_9ELb0ES3_jN6thrust23THRUST_200600_302600_NS6detail15normal_iteratorINS9_10device_ptrIsEEEENSB_INSC_IjEEEEPNS0_10empty_typeENS0_5tupleIJSE_SH_EEENSJ_IJNS9_16discard_iteratorINS9_11use_defaultEEESI_EEENS0_18inequality_wrapperINS9_8equal_toIsEEEEPmJSH_EEE10hipError_tPvRmT3_T4_T5_T6_T7_T9_mT8_P12ihipStream_tbDpT10_ENKUlT_T0_E_clISt17integral_constantIbLb0EES1C_IbLb1EEEEDaS18_S19_EUlS18_E_NS1_11comp_targetILNS1_3genE4ELNS1_11target_archE910ELNS1_3gpuE8ELNS1_3repE0EEENS1_30default_config_static_selectorELNS0_4arch9wavefront6targetE0EEEvT1_,comdat
	.protected	_ZN7rocprim17ROCPRIM_400000_NS6detail17trampoline_kernelINS0_14default_configENS1_25partition_config_selectorILNS1_17partition_subalgoE9EsjbEEZZNS1_14partition_implILS5_9ELb0ES3_jN6thrust23THRUST_200600_302600_NS6detail15normal_iteratorINS9_10device_ptrIsEEEENSB_INSC_IjEEEEPNS0_10empty_typeENS0_5tupleIJSE_SH_EEENSJ_IJNS9_16discard_iteratorINS9_11use_defaultEEESI_EEENS0_18inequality_wrapperINS9_8equal_toIsEEEEPmJSH_EEE10hipError_tPvRmT3_T4_T5_T6_T7_T9_mT8_P12ihipStream_tbDpT10_ENKUlT_T0_E_clISt17integral_constantIbLb0EES1C_IbLb1EEEEDaS18_S19_EUlS18_E_NS1_11comp_targetILNS1_3genE4ELNS1_11target_archE910ELNS1_3gpuE8ELNS1_3repE0EEENS1_30default_config_static_selectorELNS0_4arch9wavefront6targetE0EEEvT1_ ; -- Begin function _ZN7rocprim17ROCPRIM_400000_NS6detail17trampoline_kernelINS0_14default_configENS1_25partition_config_selectorILNS1_17partition_subalgoE9EsjbEEZZNS1_14partition_implILS5_9ELb0ES3_jN6thrust23THRUST_200600_302600_NS6detail15normal_iteratorINS9_10device_ptrIsEEEENSB_INSC_IjEEEEPNS0_10empty_typeENS0_5tupleIJSE_SH_EEENSJ_IJNS9_16discard_iteratorINS9_11use_defaultEEESI_EEENS0_18inequality_wrapperINS9_8equal_toIsEEEEPmJSH_EEE10hipError_tPvRmT3_T4_T5_T6_T7_T9_mT8_P12ihipStream_tbDpT10_ENKUlT_T0_E_clISt17integral_constantIbLb0EES1C_IbLb1EEEEDaS18_S19_EUlS18_E_NS1_11comp_targetILNS1_3genE4ELNS1_11target_archE910ELNS1_3gpuE8ELNS1_3repE0EEENS1_30default_config_static_selectorELNS0_4arch9wavefront6targetE0EEEvT1_
	.globl	_ZN7rocprim17ROCPRIM_400000_NS6detail17trampoline_kernelINS0_14default_configENS1_25partition_config_selectorILNS1_17partition_subalgoE9EsjbEEZZNS1_14partition_implILS5_9ELb0ES3_jN6thrust23THRUST_200600_302600_NS6detail15normal_iteratorINS9_10device_ptrIsEEEENSB_INSC_IjEEEEPNS0_10empty_typeENS0_5tupleIJSE_SH_EEENSJ_IJNS9_16discard_iteratorINS9_11use_defaultEEESI_EEENS0_18inequality_wrapperINS9_8equal_toIsEEEEPmJSH_EEE10hipError_tPvRmT3_T4_T5_T6_T7_T9_mT8_P12ihipStream_tbDpT10_ENKUlT_T0_E_clISt17integral_constantIbLb0EES1C_IbLb1EEEEDaS18_S19_EUlS18_E_NS1_11comp_targetILNS1_3genE4ELNS1_11target_archE910ELNS1_3gpuE8ELNS1_3repE0EEENS1_30default_config_static_selectorELNS0_4arch9wavefront6targetE0EEEvT1_
	.p2align	8
	.type	_ZN7rocprim17ROCPRIM_400000_NS6detail17trampoline_kernelINS0_14default_configENS1_25partition_config_selectorILNS1_17partition_subalgoE9EsjbEEZZNS1_14partition_implILS5_9ELb0ES3_jN6thrust23THRUST_200600_302600_NS6detail15normal_iteratorINS9_10device_ptrIsEEEENSB_INSC_IjEEEEPNS0_10empty_typeENS0_5tupleIJSE_SH_EEENSJ_IJNS9_16discard_iteratorINS9_11use_defaultEEESI_EEENS0_18inequality_wrapperINS9_8equal_toIsEEEEPmJSH_EEE10hipError_tPvRmT3_T4_T5_T6_T7_T9_mT8_P12ihipStream_tbDpT10_ENKUlT_T0_E_clISt17integral_constantIbLb0EES1C_IbLb1EEEEDaS18_S19_EUlS18_E_NS1_11comp_targetILNS1_3genE4ELNS1_11target_archE910ELNS1_3gpuE8ELNS1_3repE0EEENS1_30default_config_static_selectorELNS0_4arch9wavefront6targetE0EEEvT1_,@function
_ZN7rocprim17ROCPRIM_400000_NS6detail17trampoline_kernelINS0_14default_configENS1_25partition_config_selectorILNS1_17partition_subalgoE9EsjbEEZZNS1_14partition_implILS5_9ELb0ES3_jN6thrust23THRUST_200600_302600_NS6detail15normal_iteratorINS9_10device_ptrIsEEEENSB_INSC_IjEEEEPNS0_10empty_typeENS0_5tupleIJSE_SH_EEENSJ_IJNS9_16discard_iteratorINS9_11use_defaultEEESI_EEENS0_18inequality_wrapperINS9_8equal_toIsEEEEPmJSH_EEE10hipError_tPvRmT3_T4_T5_T6_T7_T9_mT8_P12ihipStream_tbDpT10_ENKUlT_T0_E_clISt17integral_constantIbLb0EES1C_IbLb1EEEEDaS18_S19_EUlS18_E_NS1_11comp_targetILNS1_3genE4ELNS1_11target_archE910ELNS1_3gpuE8ELNS1_3repE0EEENS1_30default_config_static_selectorELNS0_4arch9wavefront6targetE0EEEvT1_: ; @_ZN7rocprim17ROCPRIM_400000_NS6detail17trampoline_kernelINS0_14default_configENS1_25partition_config_selectorILNS1_17partition_subalgoE9EsjbEEZZNS1_14partition_implILS5_9ELb0ES3_jN6thrust23THRUST_200600_302600_NS6detail15normal_iteratorINS9_10device_ptrIsEEEENSB_INSC_IjEEEEPNS0_10empty_typeENS0_5tupleIJSE_SH_EEENSJ_IJNS9_16discard_iteratorINS9_11use_defaultEEESI_EEENS0_18inequality_wrapperINS9_8equal_toIsEEEEPmJSH_EEE10hipError_tPvRmT3_T4_T5_T6_T7_T9_mT8_P12ihipStream_tbDpT10_ENKUlT_T0_E_clISt17integral_constantIbLb0EES1C_IbLb1EEEEDaS18_S19_EUlS18_E_NS1_11comp_targetILNS1_3genE4ELNS1_11target_archE910ELNS1_3gpuE8ELNS1_3repE0EEENS1_30default_config_static_selectorELNS0_4arch9wavefront6targetE0EEEvT1_
; %bb.0:
	.section	.rodata,"a",@progbits
	.p2align	6, 0x0
	.amdhsa_kernel _ZN7rocprim17ROCPRIM_400000_NS6detail17trampoline_kernelINS0_14default_configENS1_25partition_config_selectorILNS1_17partition_subalgoE9EsjbEEZZNS1_14partition_implILS5_9ELb0ES3_jN6thrust23THRUST_200600_302600_NS6detail15normal_iteratorINS9_10device_ptrIsEEEENSB_INSC_IjEEEEPNS0_10empty_typeENS0_5tupleIJSE_SH_EEENSJ_IJNS9_16discard_iteratorINS9_11use_defaultEEESI_EEENS0_18inequality_wrapperINS9_8equal_toIsEEEEPmJSH_EEE10hipError_tPvRmT3_T4_T5_T6_T7_T9_mT8_P12ihipStream_tbDpT10_ENKUlT_T0_E_clISt17integral_constantIbLb0EES1C_IbLb1EEEEDaS18_S19_EUlS18_E_NS1_11comp_targetILNS1_3genE4ELNS1_11target_archE910ELNS1_3gpuE8ELNS1_3repE0EEENS1_30default_config_static_selectorELNS0_4arch9wavefront6targetE0EEEvT1_
		.amdhsa_group_segment_fixed_size 0
		.amdhsa_private_segment_fixed_size 0
		.amdhsa_kernarg_size 136
		.amdhsa_user_sgpr_count 15
		.amdhsa_user_sgpr_dispatch_ptr 0
		.amdhsa_user_sgpr_queue_ptr 0
		.amdhsa_user_sgpr_kernarg_segment_ptr 1
		.amdhsa_user_sgpr_dispatch_id 0
		.amdhsa_user_sgpr_private_segment_size 0
		.amdhsa_wavefront_size32 1
		.amdhsa_uses_dynamic_stack 0
		.amdhsa_enable_private_segment 0
		.amdhsa_system_sgpr_workgroup_id_x 1
		.amdhsa_system_sgpr_workgroup_id_y 0
		.amdhsa_system_sgpr_workgroup_id_z 0
		.amdhsa_system_sgpr_workgroup_info 0
		.amdhsa_system_vgpr_workitem_id 0
		.amdhsa_next_free_vgpr 1
		.amdhsa_next_free_sgpr 1
		.amdhsa_reserve_vcc 0
		.amdhsa_float_round_mode_32 0
		.amdhsa_float_round_mode_16_64 0
		.amdhsa_float_denorm_mode_32 3
		.amdhsa_float_denorm_mode_16_64 3
		.amdhsa_dx10_clamp 1
		.amdhsa_ieee_mode 1
		.amdhsa_fp16_overflow 0
		.amdhsa_workgroup_processor_mode 1
		.amdhsa_memory_ordered 1
		.amdhsa_forward_progress 0
		.amdhsa_shared_vgpr_count 0
		.amdhsa_exception_fp_ieee_invalid_op 0
		.amdhsa_exception_fp_denorm_src 0
		.amdhsa_exception_fp_ieee_div_zero 0
		.amdhsa_exception_fp_ieee_overflow 0
		.amdhsa_exception_fp_ieee_underflow 0
		.amdhsa_exception_fp_ieee_inexact 0
		.amdhsa_exception_int_div_zero 0
	.end_amdhsa_kernel
	.section	.text._ZN7rocprim17ROCPRIM_400000_NS6detail17trampoline_kernelINS0_14default_configENS1_25partition_config_selectorILNS1_17partition_subalgoE9EsjbEEZZNS1_14partition_implILS5_9ELb0ES3_jN6thrust23THRUST_200600_302600_NS6detail15normal_iteratorINS9_10device_ptrIsEEEENSB_INSC_IjEEEEPNS0_10empty_typeENS0_5tupleIJSE_SH_EEENSJ_IJNS9_16discard_iteratorINS9_11use_defaultEEESI_EEENS0_18inequality_wrapperINS9_8equal_toIsEEEEPmJSH_EEE10hipError_tPvRmT3_T4_T5_T6_T7_T9_mT8_P12ihipStream_tbDpT10_ENKUlT_T0_E_clISt17integral_constantIbLb0EES1C_IbLb1EEEEDaS18_S19_EUlS18_E_NS1_11comp_targetILNS1_3genE4ELNS1_11target_archE910ELNS1_3gpuE8ELNS1_3repE0EEENS1_30default_config_static_selectorELNS0_4arch9wavefront6targetE0EEEvT1_,"axG",@progbits,_ZN7rocprim17ROCPRIM_400000_NS6detail17trampoline_kernelINS0_14default_configENS1_25partition_config_selectorILNS1_17partition_subalgoE9EsjbEEZZNS1_14partition_implILS5_9ELb0ES3_jN6thrust23THRUST_200600_302600_NS6detail15normal_iteratorINS9_10device_ptrIsEEEENSB_INSC_IjEEEEPNS0_10empty_typeENS0_5tupleIJSE_SH_EEENSJ_IJNS9_16discard_iteratorINS9_11use_defaultEEESI_EEENS0_18inequality_wrapperINS9_8equal_toIsEEEEPmJSH_EEE10hipError_tPvRmT3_T4_T5_T6_T7_T9_mT8_P12ihipStream_tbDpT10_ENKUlT_T0_E_clISt17integral_constantIbLb0EES1C_IbLb1EEEEDaS18_S19_EUlS18_E_NS1_11comp_targetILNS1_3genE4ELNS1_11target_archE910ELNS1_3gpuE8ELNS1_3repE0EEENS1_30default_config_static_selectorELNS0_4arch9wavefront6targetE0EEEvT1_,comdat
.Lfunc_end1231:
	.size	_ZN7rocprim17ROCPRIM_400000_NS6detail17trampoline_kernelINS0_14default_configENS1_25partition_config_selectorILNS1_17partition_subalgoE9EsjbEEZZNS1_14partition_implILS5_9ELb0ES3_jN6thrust23THRUST_200600_302600_NS6detail15normal_iteratorINS9_10device_ptrIsEEEENSB_INSC_IjEEEEPNS0_10empty_typeENS0_5tupleIJSE_SH_EEENSJ_IJNS9_16discard_iteratorINS9_11use_defaultEEESI_EEENS0_18inequality_wrapperINS9_8equal_toIsEEEEPmJSH_EEE10hipError_tPvRmT3_T4_T5_T6_T7_T9_mT8_P12ihipStream_tbDpT10_ENKUlT_T0_E_clISt17integral_constantIbLb0EES1C_IbLb1EEEEDaS18_S19_EUlS18_E_NS1_11comp_targetILNS1_3genE4ELNS1_11target_archE910ELNS1_3gpuE8ELNS1_3repE0EEENS1_30default_config_static_selectorELNS0_4arch9wavefront6targetE0EEEvT1_, .Lfunc_end1231-_ZN7rocprim17ROCPRIM_400000_NS6detail17trampoline_kernelINS0_14default_configENS1_25partition_config_selectorILNS1_17partition_subalgoE9EsjbEEZZNS1_14partition_implILS5_9ELb0ES3_jN6thrust23THRUST_200600_302600_NS6detail15normal_iteratorINS9_10device_ptrIsEEEENSB_INSC_IjEEEEPNS0_10empty_typeENS0_5tupleIJSE_SH_EEENSJ_IJNS9_16discard_iteratorINS9_11use_defaultEEESI_EEENS0_18inequality_wrapperINS9_8equal_toIsEEEEPmJSH_EEE10hipError_tPvRmT3_T4_T5_T6_T7_T9_mT8_P12ihipStream_tbDpT10_ENKUlT_T0_E_clISt17integral_constantIbLb0EES1C_IbLb1EEEEDaS18_S19_EUlS18_E_NS1_11comp_targetILNS1_3genE4ELNS1_11target_archE910ELNS1_3gpuE8ELNS1_3repE0EEENS1_30default_config_static_selectorELNS0_4arch9wavefront6targetE0EEEvT1_
                                        ; -- End function
	.section	.AMDGPU.csdata,"",@progbits
; Kernel info:
; codeLenInByte = 0
; NumSgprs: 0
; NumVgprs: 0
; ScratchSize: 0
; MemoryBound: 0
; FloatMode: 240
; IeeeMode: 1
; LDSByteSize: 0 bytes/workgroup (compile time only)
; SGPRBlocks: 0
; VGPRBlocks: 0
; NumSGPRsForWavesPerEU: 1
; NumVGPRsForWavesPerEU: 1
; Occupancy: 15
; WaveLimiterHint : 0
; COMPUTE_PGM_RSRC2:SCRATCH_EN: 0
; COMPUTE_PGM_RSRC2:USER_SGPR: 15
; COMPUTE_PGM_RSRC2:TRAP_HANDLER: 0
; COMPUTE_PGM_RSRC2:TGID_X_EN: 1
; COMPUTE_PGM_RSRC2:TGID_Y_EN: 0
; COMPUTE_PGM_RSRC2:TGID_Z_EN: 0
; COMPUTE_PGM_RSRC2:TIDIG_COMP_CNT: 0
	.section	.text._ZN7rocprim17ROCPRIM_400000_NS6detail17trampoline_kernelINS0_14default_configENS1_25partition_config_selectorILNS1_17partition_subalgoE9EsjbEEZZNS1_14partition_implILS5_9ELb0ES3_jN6thrust23THRUST_200600_302600_NS6detail15normal_iteratorINS9_10device_ptrIsEEEENSB_INSC_IjEEEEPNS0_10empty_typeENS0_5tupleIJSE_SH_EEENSJ_IJNS9_16discard_iteratorINS9_11use_defaultEEESI_EEENS0_18inequality_wrapperINS9_8equal_toIsEEEEPmJSH_EEE10hipError_tPvRmT3_T4_T5_T6_T7_T9_mT8_P12ihipStream_tbDpT10_ENKUlT_T0_E_clISt17integral_constantIbLb0EES1C_IbLb1EEEEDaS18_S19_EUlS18_E_NS1_11comp_targetILNS1_3genE3ELNS1_11target_archE908ELNS1_3gpuE7ELNS1_3repE0EEENS1_30default_config_static_selectorELNS0_4arch9wavefront6targetE0EEEvT1_,"axG",@progbits,_ZN7rocprim17ROCPRIM_400000_NS6detail17trampoline_kernelINS0_14default_configENS1_25partition_config_selectorILNS1_17partition_subalgoE9EsjbEEZZNS1_14partition_implILS5_9ELb0ES3_jN6thrust23THRUST_200600_302600_NS6detail15normal_iteratorINS9_10device_ptrIsEEEENSB_INSC_IjEEEEPNS0_10empty_typeENS0_5tupleIJSE_SH_EEENSJ_IJNS9_16discard_iteratorINS9_11use_defaultEEESI_EEENS0_18inequality_wrapperINS9_8equal_toIsEEEEPmJSH_EEE10hipError_tPvRmT3_T4_T5_T6_T7_T9_mT8_P12ihipStream_tbDpT10_ENKUlT_T0_E_clISt17integral_constantIbLb0EES1C_IbLb1EEEEDaS18_S19_EUlS18_E_NS1_11comp_targetILNS1_3genE3ELNS1_11target_archE908ELNS1_3gpuE7ELNS1_3repE0EEENS1_30default_config_static_selectorELNS0_4arch9wavefront6targetE0EEEvT1_,comdat
	.protected	_ZN7rocprim17ROCPRIM_400000_NS6detail17trampoline_kernelINS0_14default_configENS1_25partition_config_selectorILNS1_17partition_subalgoE9EsjbEEZZNS1_14partition_implILS5_9ELb0ES3_jN6thrust23THRUST_200600_302600_NS6detail15normal_iteratorINS9_10device_ptrIsEEEENSB_INSC_IjEEEEPNS0_10empty_typeENS0_5tupleIJSE_SH_EEENSJ_IJNS9_16discard_iteratorINS9_11use_defaultEEESI_EEENS0_18inequality_wrapperINS9_8equal_toIsEEEEPmJSH_EEE10hipError_tPvRmT3_T4_T5_T6_T7_T9_mT8_P12ihipStream_tbDpT10_ENKUlT_T0_E_clISt17integral_constantIbLb0EES1C_IbLb1EEEEDaS18_S19_EUlS18_E_NS1_11comp_targetILNS1_3genE3ELNS1_11target_archE908ELNS1_3gpuE7ELNS1_3repE0EEENS1_30default_config_static_selectorELNS0_4arch9wavefront6targetE0EEEvT1_ ; -- Begin function _ZN7rocprim17ROCPRIM_400000_NS6detail17trampoline_kernelINS0_14default_configENS1_25partition_config_selectorILNS1_17partition_subalgoE9EsjbEEZZNS1_14partition_implILS5_9ELb0ES3_jN6thrust23THRUST_200600_302600_NS6detail15normal_iteratorINS9_10device_ptrIsEEEENSB_INSC_IjEEEEPNS0_10empty_typeENS0_5tupleIJSE_SH_EEENSJ_IJNS9_16discard_iteratorINS9_11use_defaultEEESI_EEENS0_18inequality_wrapperINS9_8equal_toIsEEEEPmJSH_EEE10hipError_tPvRmT3_T4_T5_T6_T7_T9_mT8_P12ihipStream_tbDpT10_ENKUlT_T0_E_clISt17integral_constantIbLb0EES1C_IbLb1EEEEDaS18_S19_EUlS18_E_NS1_11comp_targetILNS1_3genE3ELNS1_11target_archE908ELNS1_3gpuE7ELNS1_3repE0EEENS1_30default_config_static_selectorELNS0_4arch9wavefront6targetE0EEEvT1_
	.globl	_ZN7rocprim17ROCPRIM_400000_NS6detail17trampoline_kernelINS0_14default_configENS1_25partition_config_selectorILNS1_17partition_subalgoE9EsjbEEZZNS1_14partition_implILS5_9ELb0ES3_jN6thrust23THRUST_200600_302600_NS6detail15normal_iteratorINS9_10device_ptrIsEEEENSB_INSC_IjEEEEPNS0_10empty_typeENS0_5tupleIJSE_SH_EEENSJ_IJNS9_16discard_iteratorINS9_11use_defaultEEESI_EEENS0_18inequality_wrapperINS9_8equal_toIsEEEEPmJSH_EEE10hipError_tPvRmT3_T4_T5_T6_T7_T9_mT8_P12ihipStream_tbDpT10_ENKUlT_T0_E_clISt17integral_constantIbLb0EES1C_IbLb1EEEEDaS18_S19_EUlS18_E_NS1_11comp_targetILNS1_3genE3ELNS1_11target_archE908ELNS1_3gpuE7ELNS1_3repE0EEENS1_30default_config_static_selectorELNS0_4arch9wavefront6targetE0EEEvT1_
	.p2align	8
	.type	_ZN7rocprim17ROCPRIM_400000_NS6detail17trampoline_kernelINS0_14default_configENS1_25partition_config_selectorILNS1_17partition_subalgoE9EsjbEEZZNS1_14partition_implILS5_9ELb0ES3_jN6thrust23THRUST_200600_302600_NS6detail15normal_iteratorINS9_10device_ptrIsEEEENSB_INSC_IjEEEEPNS0_10empty_typeENS0_5tupleIJSE_SH_EEENSJ_IJNS9_16discard_iteratorINS9_11use_defaultEEESI_EEENS0_18inequality_wrapperINS9_8equal_toIsEEEEPmJSH_EEE10hipError_tPvRmT3_T4_T5_T6_T7_T9_mT8_P12ihipStream_tbDpT10_ENKUlT_T0_E_clISt17integral_constantIbLb0EES1C_IbLb1EEEEDaS18_S19_EUlS18_E_NS1_11comp_targetILNS1_3genE3ELNS1_11target_archE908ELNS1_3gpuE7ELNS1_3repE0EEENS1_30default_config_static_selectorELNS0_4arch9wavefront6targetE0EEEvT1_,@function
_ZN7rocprim17ROCPRIM_400000_NS6detail17trampoline_kernelINS0_14default_configENS1_25partition_config_selectorILNS1_17partition_subalgoE9EsjbEEZZNS1_14partition_implILS5_9ELb0ES3_jN6thrust23THRUST_200600_302600_NS6detail15normal_iteratorINS9_10device_ptrIsEEEENSB_INSC_IjEEEEPNS0_10empty_typeENS0_5tupleIJSE_SH_EEENSJ_IJNS9_16discard_iteratorINS9_11use_defaultEEESI_EEENS0_18inequality_wrapperINS9_8equal_toIsEEEEPmJSH_EEE10hipError_tPvRmT3_T4_T5_T6_T7_T9_mT8_P12ihipStream_tbDpT10_ENKUlT_T0_E_clISt17integral_constantIbLb0EES1C_IbLb1EEEEDaS18_S19_EUlS18_E_NS1_11comp_targetILNS1_3genE3ELNS1_11target_archE908ELNS1_3gpuE7ELNS1_3repE0EEENS1_30default_config_static_selectorELNS0_4arch9wavefront6targetE0EEEvT1_: ; @_ZN7rocprim17ROCPRIM_400000_NS6detail17trampoline_kernelINS0_14default_configENS1_25partition_config_selectorILNS1_17partition_subalgoE9EsjbEEZZNS1_14partition_implILS5_9ELb0ES3_jN6thrust23THRUST_200600_302600_NS6detail15normal_iteratorINS9_10device_ptrIsEEEENSB_INSC_IjEEEEPNS0_10empty_typeENS0_5tupleIJSE_SH_EEENSJ_IJNS9_16discard_iteratorINS9_11use_defaultEEESI_EEENS0_18inequality_wrapperINS9_8equal_toIsEEEEPmJSH_EEE10hipError_tPvRmT3_T4_T5_T6_T7_T9_mT8_P12ihipStream_tbDpT10_ENKUlT_T0_E_clISt17integral_constantIbLb0EES1C_IbLb1EEEEDaS18_S19_EUlS18_E_NS1_11comp_targetILNS1_3genE3ELNS1_11target_archE908ELNS1_3gpuE7ELNS1_3repE0EEENS1_30default_config_static_selectorELNS0_4arch9wavefront6targetE0EEEvT1_
; %bb.0:
	.section	.rodata,"a",@progbits
	.p2align	6, 0x0
	.amdhsa_kernel _ZN7rocprim17ROCPRIM_400000_NS6detail17trampoline_kernelINS0_14default_configENS1_25partition_config_selectorILNS1_17partition_subalgoE9EsjbEEZZNS1_14partition_implILS5_9ELb0ES3_jN6thrust23THRUST_200600_302600_NS6detail15normal_iteratorINS9_10device_ptrIsEEEENSB_INSC_IjEEEEPNS0_10empty_typeENS0_5tupleIJSE_SH_EEENSJ_IJNS9_16discard_iteratorINS9_11use_defaultEEESI_EEENS0_18inequality_wrapperINS9_8equal_toIsEEEEPmJSH_EEE10hipError_tPvRmT3_T4_T5_T6_T7_T9_mT8_P12ihipStream_tbDpT10_ENKUlT_T0_E_clISt17integral_constantIbLb0EES1C_IbLb1EEEEDaS18_S19_EUlS18_E_NS1_11comp_targetILNS1_3genE3ELNS1_11target_archE908ELNS1_3gpuE7ELNS1_3repE0EEENS1_30default_config_static_selectorELNS0_4arch9wavefront6targetE0EEEvT1_
		.amdhsa_group_segment_fixed_size 0
		.amdhsa_private_segment_fixed_size 0
		.amdhsa_kernarg_size 136
		.amdhsa_user_sgpr_count 15
		.amdhsa_user_sgpr_dispatch_ptr 0
		.amdhsa_user_sgpr_queue_ptr 0
		.amdhsa_user_sgpr_kernarg_segment_ptr 1
		.amdhsa_user_sgpr_dispatch_id 0
		.amdhsa_user_sgpr_private_segment_size 0
		.amdhsa_wavefront_size32 1
		.amdhsa_uses_dynamic_stack 0
		.amdhsa_enable_private_segment 0
		.amdhsa_system_sgpr_workgroup_id_x 1
		.amdhsa_system_sgpr_workgroup_id_y 0
		.amdhsa_system_sgpr_workgroup_id_z 0
		.amdhsa_system_sgpr_workgroup_info 0
		.amdhsa_system_vgpr_workitem_id 0
		.amdhsa_next_free_vgpr 1
		.amdhsa_next_free_sgpr 1
		.amdhsa_reserve_vcc 0
		.amdhsa_float_round_mode_32 0
		.amdhsa_float_round_mode_16_64 0
		.amdhsa_float_denorm_mode_32 3
		.amdhsa_float_denorm_mode_16_64 3
		.amdhsa_dx10_clamp 1
		.amdhsa_ieee_mode 1
		.amdhsa_fp16_overflow 0
		.amdhsa_workgroup_processor_mode 1
		.amdhsa_memory_ordered 1
		.amdhsa_forward_progress 0
		.amdhsa_shared_vgpr_count 0
		.amdhsa_exception_fp_ieee_invalid_op 0
		.amdhsa_exception_fp_denorm_src 0
		.amdhsa_exception_fp_ieee_div_zero 0
		.amdhsa_exception_fp_ieee_overflow 0
		.amdhsa_exception_fp_ieee_underflow 0
		.amdhsa_exception_fp_ieee_inexact 0
		.amdhsa_exception_int_div_zero 0
	.end_amdhsa_kernel
	.section	.text._ZN7rocprim17ROCPRIM_400000_NS6detail17trampoline_kernelINS0_14default_configENS1_25partition_config_selectorILNS1_17partition_subalgoE9EsjbEEZZNS1_14partition_implILS5_9ELb0ES3_jN6thrust23THRUST_200600_302600_NS6detail15normal_iteratorINS9_10device_ptrIsEEEENSB_INSC_IjEEEEPNS0_10empty_typeENS0_5tupleIJSE_SH_EEENSJ_IJNS9_16discard_iteratorINS9_11use_defaultEEESI_EEENS0_18inequality_wrapperINS9_8equal_toIsEEEEPmJSH_EEE10hipError_tPvRmT3_T4_T5_T6_T7_T9_mT8_P12ihipStream_tbDpT10_ENKUlT_T0_E_clISt17integral_constantIbLb0EES1C_IbLb1EEEEDaS18_S19_EUlS18_E_NS1_11comp_targetILNS1_3genE3ELNS1_11target_archE908ELNS1_3gpuE7ELNS1_3repE0EEENS1_30default_config_static_selectorELNS0_4arch9wavefront6targetE0EEEvT1_,"axG",@progbits,_ZN7rocprim17ROCPRIM_400000_NS6detail17trampoline_kernelINS0_14default_configENS1_25partition_config_selectorILNS1_17partition_subalgoE9EsjbEEZZNS1_14partition_implILS5_9ELb0ES3_jN6thrust23THRUST_200600_302600_NS6detail15normal_iteratorINS9_10device_ptrIsEEEENSB_INSC_IjEEEEPNS0_10empty_typeENS0_5tupleIJSE_SH_EEENSJ_IJNS9_16discard_iteratorINS9_11use_defaultEEESI_EEENS0_18inequality_wrapperINS9_8equal_toIsEEEEPmJSH_EEE10hipError_tPvRmT3_T4_T5_T6_T7_T9_mT8_P12ihipStream_tbDpT10_ENKUlT_T0_E_clISt17integral_constantIbLb0EES1C_IbLb1EEEEDaS18_S19_EUlS18_E_NS1_11comp_targetILNS1_3genE3ELNS1_11target_archE908ELNS1_3gpuE7ELNS1_3repE0EEENS1_30default_config_static_selectorELNS0_4arch9wavefront6targetE0EEEvT1_,comdat
.Lfunc_end1232:
	.size	_ZN7rocprim17ROCPRIM_400000_NS6detail17trampoline_kernelINS0_14default_configENS1_25partition_config_selectorILNS1_17partition_subalgoE9EsjbEEZZNS1_14partition_implILS5_9ELb0ES3_jN6thrust23THRUST_200600_302600_NS6detail15normal_iteratorINS9_10device_ptrIsEEEENSB_INSC_IjEEEEPNS0_10empty_typeENS0_5tupleIJSE_SH_EEENSJ_IJNS9_16discard_iteratorINS9_11use_defaultEEESI_EEENS0_18inequality_wrapperINS9_8equal_toIsEEEEPmJSH_EEE10hipError_tPvRmT3_T4_T5_T6_T7_T9_mT8_P12ihipStream_tbDpT10_ENKUlT_T0_E_clISt17integral_constantIbLb0EES1C_IbLb1EEEEDaS18_S19_EUlS18_E_NS1_11comp_targetILNS1_3genE3ELNS1_11target_archE908ELNS1_3gpuE7ELNS1_3repE0EEENS1_30default_config_static_selectorELNS0_4arch9wavefront6targetE0EEEvT1_, .Lfunc_end1232-_ZN7rocprim17ROCPRIM_400000_NS6detail17trampoline_kernelINS0_14default_configENS1_25partition_config_selectorILNS1_17partition_subalgoE9EsjbEEZZNS1_14partition_implILS5_9ELb0ES3_jN6thrust23THRUST_200600_302600_NS6detail15normal_iteratorINS9_10device_ptrIsEEEENSB_INSC_IjEEEEPNS0_10empty_typeENS0_5tupleIJSE_SH_EEENSJ_IJNS9_16discard_iteratorINS9_11use_defaultEEESI_EEENS0_18inequality_wrapperINS9_8equal_toIsEEEEPmJSH_EEE10hipError_tPvRmT3_T4_T5_T6_T7_T9_mT8_P12ihipStream_tbDpT10_ENKUlT_T0_E_clISt17integral_constantIbLb0EES1C_IbLb1EEEEDaS18_S19_EUlS18_E_NS1_11comp_targetILNS1_3genE3ELNS1_11target_archE908ELNS1_3gpuE7ELNS1_3repE0EEENS1_30default_config_static_selectorELNS0_4arch9wavefront6targetE0EEEvT1_
                                        ; -- End function
	.section	.AMDGPU.csdata,"",@progbits
; Kernel info:
; codeLenInByte = 0
; NumSgprs: 0
; NumVgprs: 0
; ScratchSize: 0
; MemoryBound: 0
; FloatMode: 240
; IeeeMode: 1
; LDSByteSize: 0 bytes/workgroup (compile time only)
; SGPRBlocks: 0
; VGPRBlocks: 0
; NumSGPRsForWavesPerEU: 1
; NumVGPRsForWavesPerEU: 1
; Occupancy: 16
; WaveLimiterHint : 0
; COMPUTE_PGM_RSRC2:SCRATCH_EN: 0
; COMPUTE_PGM_RSRC2:USER_SGPR: 15
; COMPUTE_PGM_RSRC2:TRAP_HANDLER: 0
; COMPUTE_PGM_RSRC2:TGID_X_EN: 1
; COMPUTE_PGM_RSRC2:TGID_Y_EN: 0
; COMPUTE_PGM_RSRC2:TGID_Z_EN: 0
; COMPUTE_PGM_RSRC2:TIDIG_COMP_CNT: 0
	.section	.text._ZN7rocprim17ROCPRIM_400000_NS6detail17trampoline_kernelINS0_14default_configENS1_25partition_config_selectorILNS1_17partition_subalgoE9EsjbEEZZNS1_14partition_implILS5_9ELb0ES3_jN6thrust23THRUST_200600_302600_NS6detail15normal_iteratorINS9_10device_ptrIsEEEENSB_INSC_IjEEEEPNS0_10empty_typeENS0_5tupleIJSE_SH_EEENSJ_IJNS9_16discard_iteratorINS9_11use_defaultEEESI_EEENS0_18inequality_wrapperINS9_8equal_toIsEEEEPmJSH_EEE10hipError_tPvRmT3_T4_T5_T6_T7_T9_mT8_P12ihipStream_tbDpT10_ENKUlT_T0_E_clISt17integral_constantIbLb0EES1C_IbLb1EEEEDaS18_S19_EUlS18_E_NS1_11comp_targetILNS1_3genE2ELNS1_11target_archE906ELNS1_3gpuE6ELNS1_3repE0EEENS1_30default_config_static_selectorELNS0_4arch9wavefront6targetE0EEEvT1_,"axG",@progbits,_ZN7rocprim17ROCPRIM_400000_NS6detail17trampoline_kernelINS0_14default_configENS1_25partition_config_selectorILNS1_17partition_subalgoE9EsjbEEZZNS1_14partition_implILS5_9ELb0ES3_jN6thrust23THRUST_200600_302600_NS6detail15normal_iteratorINS9_10device_ptrIsEEEENSB_INSC_IjEEEEPNS0_10empty_typeENS0_5tupleIJSE_SH_EEENSJ_IJNS9_16discard_iteratorINS9_11use_defaultEEESI_EEENS0_18inequality_wrapperINS9_8equal_toIsEEEEPmJSH_EEE10hipError_tPvRmT3_T4_T5_T6_T7_T9_mT8_P12ihipStream_tbDpT10_ENKUlT_T0_E_clISt17integral_constantIbLb0EES1C_IbLb1EEEEDaS18_S19_EUlS18_E_NS1_11comp_targetILNS1_3genE2ELNS1_11target_archE906ELNS1_3gpuE6ELNS1_3repE0EEENS1_30default_config_static_selectorELNS0_4arch9wavefront6targetE0EEEvT1_,comdat
	.protected	_ZN7rocprim17ROCPRIM_400000_NS6detail17trampoline_kernelINS0_14default_configENS1_25partition_config_selectorILNS1_17partition_subalgoE9EsjbEEZZNS1_14partition_implILS5_9ELb0ES3_jN6thrust23THRUST_200600_302600_NS6detail15normal_iteratorINS9_10device_ptrIsEEEENSB_INSC_IjEEEEPNS0_10empty_typeENS0_5tupleIJSE_SH_EEENSJ_IJNS9_16discard_iteratorINS9_11use_defaultEEESI_EEENS0_18inequality_wrapperINS9_8equal_toIsEEEEPmJSH_EEE10hipError_tPvRmT3_T4_T5_T6_T7_T9_mT8_P12ihipStream_tbDpT10_ENKUlT_T0_E_clISt17integral_constantIbLb0EES1C_IbLb1EEEEDaS18_S19_EUlS18_E_NS1_11comp_targetILNS1_3genE2ELNS1_11target_archE906ELNS1_3gpuE6ELNS1_3repE0EEENS1_30default_config_static_selectorELNS0_4arch9wavefront6targetE0EEEvT1_ ; -- Begin function _ZN7rocprim17ROCPRIM_400000_NS6detail17trampoline_kernelINS0_14default_configENS1_25partition_config_selectorILNS1_17partition_subalgoE9EsjbEEZZNS1_14partition_implILS5_9ELb0ES3_jN6thrust23THRUST_200600_302600_NS6detail15normal_iteratorINS9_10device_ptrIsEEEENSB_INSC_IjEEEEPNS0_10empty_typeENS0_5tupleIJSE_SH_EEENSJ_IJNS9_16discard_iteratorINS9_11use_defaultEEESI_EEENS0_18inequality_wrapperINS9_8equal_toIsEEEEPmJSH_EEE10hipError_tPvRmT3_T4_T5_T6_T7_T9_mT8_P12ihipStream_tbDpT10_ENKUlT_T0_E_clISt17integral_constantIbLb0EES1C_IbLb1EEEEDaS18_S19_EUlS18_E_NS1_11comp_targetILNS1_3genE2ELNS1_11target_archE906ELNS1_3gpuE6ELNS1_3repE0EEENS1_30default_config_static_selectorELNS0_4arch9wavefront6targetE0EEEvT1_
	.globl	_ZN7rocprim17ROCPRIM_400000_NS6detail17trampoline_kernelINS0_14default_configENS1_25partition_config_selectorILNS1_17partition_subalgoE9EsjbEEZZNS1_14partition_implILS5_9ELb0ES3_jN6thrust23THRUST_200600_302600_NS6detail15normal_iteratorINS9_10device_ptrIsEEEENSB_INSC_IjEEEEPNS0_10empty_typeENS0_5tupleIJSE_SH_EEENSJ_IJNS9_16discard_iteratorINS9_11use_defaultEEESI_EEENS0_18inequality_wrapperINS9_8equal_toIsEEEEPmJSH_EEE10hipError_tPvRmT3_T4_T5_T6_T7_T9_mT8_P12ihipStream_tbDpT10_ENKUlT_T0_E_clISt17integral_constantIbLb0EES1C_IbLb1EEEEDaS18_S19_EUlS18_E_NS1_11comp_targetILNS1_3genE2ELNS1_11target_archE906ELNS1_3gpuE6ELNS1_3repE0EEENS1_30default_config_static_selectorELNS0_4arch9wavefront6targetE0EEEvT1_
	.p2align	8
	.type	_ZN7rocprim17ROCPRIM_400000_NS6detail17trampoline_kernelINS0_14default_configENS1_25partition_config_selectorILNS1_17partition_subalgoE9EsjbEEZZNS1_14partition_implILS5_9ELb0ES3_jN6thrust23THRUST_200600_302600_NS6detail15normal_iteratorINS9_10device_ptrIsEEEENSB_INSC_IjEEEEPNS0_10empty_typeENS0_5tupleIJSE_SH_EEENSJ_IJNS9_16discard_iteratorINS9_11use_defaultEEESI_EEENS0_18inequality_wrapperINS9_8equal_toIsEEEEPmJSH_EEE10hipError_tPvRmT3_T4_T5_T6_T7_T9_mT8_P12ihipStream_tbDpT10_ENKUlT_T0_E_clISt17integral_constantIbLb0EES1C_IbLb1EEEEDaS18_S19_EUlS18_E_NS1_11comp_targetILNS1_3genE2ELNS1_11target_archE906ELNS1_3gpuE6ELNS1_3repE0EEENS1_30default_config_static_selectorELNS0_4arch9wavefront6targetE0EEEvT1_,@function
_ZN7rocprim17ROCPRIM_400000_NS6detail17trampoline_kernelINS0_14default_configENS1_25partition_config_selectorILNS1_17partition_subalgoE9EsjbEEZZNS1_14partition_implILS5_9ELb0ES3_jN6thrust23THRUST_200600_302600_NS6detail15normal_iteratorINS9_10device_ptrIsEEEENSB_INSC_IjEEEEPNS0_10empty_typeENS0_5tupleIJSE_SH_EEENSJ_IJNS9_16discard_iteratorINS9_11use_defaultEEESI_EEENS0_18inequality_wrapperINS9_8equal_toIsEEEEPmJSH_EEE10hipError_tPvRmT3_T4_T5_T6_T7_T9_mT8_P12ihipStream_tbDpT10_ENKUlT_T0_E_clISt17integral_constantIbLb0EES1C_IbLb1EEEEDaS18_S19_EUlS18_E_NS1_11comp_targetILNS1_3genE2ELNS1_11target_archE906ELNS1_3gpuE6ELNS1_3repE0EEENS1_30default_config_static_selectorELNS0_4arch9wavefront6targetE0EEEvT1_: ; @_ZN7rocprim17ROCPRIM_400000_NS6detail17trampoline_kernelINS0_14default_configENS1_25partition_config_selectorILNS1_17partition_subalgoE9EsjbEEZZNS1_14partition_implILS5_9ELb0ES3_jN6thrust23THRUST_200600_302600_NS6detail15normal_iteratorINS9_10device_ptrIsEEEENSB_INSC_IjEEEEPNS0_10empty_typeENS0_5tupleIJSE_SH_EEENSJ_IJNS9_16discard_iteratorINS9_11use_defaultEEESI_EEENS0_18inequality_wrapperINS9_8equal_toIsEEEEPmJSH_EEE10hipError_tPvRmT3_T4_T5_T6_T7_T9_mT8_P12ihipStream_tbDpT10_ENKUlT_T0_E_clISt17integral_constantIbLb0EES1C_IbLb1EEEEDaS18_S19_EUlS18_E_NS1_11comp_targetILNS1_3genE2ELNS1_11target_archE906ELNS1_3gpuE6ELNS1_3repE0EEENS1_30default_config_static_selectorELNS0_4arch9wavefront6targetE0EEEvT1_
; %bb.0:
	.section	.rodata,"a",@progbits
	.p2align	6, 0x0
	.amdhsa_kernel _ZN7rocprim17ROCPRIM_400000_NS6detail17trampoline_kernelINS0_14default_configENS1_25partition_config_selectorILNS1_17partition_subalgoE9EsjbEEZZNS1_14partition_implILS5_9ELb0ES3_jN6thrust23THRUST_200600_302600_NS6detail15normal_iteratorINS9_10device_ptrIsEEEENSB_INSC_IjEEEEPNS0_10empty_typeENS0_5tupleIJSE_SH_EEENSJ_IJNS9_16discard_iteratorINS9_11use_defaultEEESI_EEENS0_18inequality_wrapperINS9_8equal_toIsEEEEPmJSH_EEE10hipError_tPvRmT3_T4_T5_T6_T7_T9_mT8_P12ihipStream_tbDpT10_ENKUlT_T0_E_clISt17integral_constantIbLb0EES1C_IbLb1EEEEDaS18_S19_EUlS18_E_NS1_11comp_targetILNS1_3genE2ELNS1_11target_archE906ELNS1_3gpuE6ELNS1_3repE0EEENS1_30default_config_static_selectorELNS0_4arch9wavefront6targetE0EEEvT1_
		.amdhsa_group_segment_fixed_size 0
		.amdhsa_private_segment_fixed_size 0
		.amdhsa_kernarg_size 136
		.amdhsa_user_sgpr_count 15
		.amdhsa_user_sgpr_dispatch_ptr 0
		.amdhsa_user_sgpr_queue_ptr 0
		.amdhsa_user_sgpr_kernarg_segment_ptr 1
		.amdhsa_user_sgpr_dispatch_id 0
		.amdhsa_user_sgpr_private_segment_size 0
		.amdhsa_wavefront_size32 1
		.amdhsa_uses_dynamic_stack 0
		.amdhsa_enable_private_segment 0
		.amdhsa_system_sgpr_workgroup_id_x 1
		.amdhsa_system_sgpr_workgroup_id_y 0
		.amdhsa_system_sgpr_workgroup_id_z 0
		.amdhsa_system_sgpr_workgroup_info 0
		.amdhsa_system_vgpr_workitem_id 0
		.amdhsa_next_free_vgpr 1
		.amdhsa_next_free_sgpr 1
		.amdhsa_reserve_vcc 0
		.amdhsa_float_round_mode_32 0
		.amdhsa_float_round_mode_16_64 0
		.amdhsa_float_denorm_mode_32 3
		.amdhsa_float_denorm_mode_16_64 3
		.amdhsa_dx10_clamp 1
		.amdhsa_ieee_mode 1
		.amdhsa_fp16_overflow 0
		.amdhsa_workgroup_processor_mode 1
		.amdhsa_memory_ordered 1
		.amdhsa_forward_progress 0
		.amdhsa_shared_vgpr_count 0
		.amdhsa_exception_fp_ieee_invalid_op 0
		.amdhsa_exception_fp_denorm_src 0
		.amdhsa_exception_fp_ieee_div_zero 0
		.amdhsa_exception_fp_ieee_overflow 0
		.amdhsa_exception_fp_ieee_underflow 0
		.amdhsa_exception_fp_ieee_inexact 0
		.amdhsa_exception_int_div_zero 0
	.end_amdhsa_kernel
	.section	.text._ZN7rocprim17ROCPRIM_400000_NS6detail17trampoline_kernelINS0_14default_configENS1_25partition_config_selectorILNS1_17partition_subalgoE9EsjbEEZZNS1_14partition_implILS5_9ELb0ES3_jN6thrust23THRUST_200600_302600_NS6detail15normal_iteratorINS9_10device_ptrIsEEEENSB_INSC_IjEEEEPNS0_10empty_typeENS0_5tupleIJSE_SH_EEENSJ_IJNS9_16discard_iteratorINS9_11use_defaultEEESI_EEENS0_18inequality_wrapperINS9_8equal_toIsEEEEPmJSH_EEE10hipError_tPvRmT3_T4_T5_T6_T7_T9_mT8_P12ihipStream_tbDpT10_ENKUlT_T0_E_clISt17integral_constantIbLb0EES1C_IbLb1EEEEDaS18_S19_EUlS18_E_NS1_11comp_targetILNS1_3genE2ELNS1_11target_archE906ELNS1_3gpuE6ELNS1_3repE0EEENS1_30default_config_static_selectorELNS0_4arch9wavefront6targetE0EEEvT1_,"axG",@progbits,_ZN7rocprim17ROCPRIM_400000_NS6detail17trampoline_kernelINS0_14default_configENS1_25partition_config_selectorILNS1_17partition_subalgoE9EsjbEEZZNS1_14partition_implILS5_9ELb0ES3_jN6thrust23THRUST_200600_302600_NS6detail15normal_iteratorINS9_10device_ptrIsEEEENSB_INSC_IjEEEEPNS0_10empty_typeENS0_5tupleIJSE_SH_EEENSJ_IJNS9_16discard_iteratorINS9_11use_defaultEEESI_EEENS0_18inequality_wrapperINS9_8equal_toIsEEEEPmJSH_EEE10hipError_tPvRmT3_T4_T5_T6_T7_T9_mT8_P12ihipStream_tbDpT10_ENKUlT_T0_E_clISt17integral_constantIbLb0EES1C_IbLb1EEEEDaS18_S19_EUlS18_E_NS1_11comp_targetILNS1_3genE2ELNS1_11target_archE906ELNS1_3gpuE6ELNS1_3repE0EEENS1_30default_config_static_selectorELNS0_4arch9wavefront6targetE0EEEvT1_,comdat
.Lfunc_end1233:
	.size	_ZN7rocprim17ROCPRIM_400000_NS6detail17trampoline_kernelINS0_14default_configENS1_25partition_config_selectorILNS1_17partition_subalgoE9EsjbEEZZNS1_14partition_implILS5_9ELb0ES3_jN6thrust23THRUST_200600_302600_NS6detail15normal_iteratorINS9_10device_ptrIsEEEENSB_INSC_IjEEEEPNS0_10empty_typeENS0_5tupleIJSE_SH_EEENSJ_IJNS9_16discard_iteratorINS9_11use_defaultEEESI_EEENS0_18inequality_wrapperINS9_8equal_toIsEEEEPmJSH_EEE10hipError_tPvRmT3_T4_T5_T6_T7_T9_mT8_P12ihipStream_tbDpT10_ENKUlT_T0_E_clISt17integral_constantIbLb0EES1C_IbLb1EEEEDaS18_S19_EUlS18_E_NS1_11comp_targetILNS1_3genE2ELNS1_11target_archE906ELNS1_3gpuE6ELNS1_3repE0EEENS1_30default_config_static_selectorELNS0_4arch9wavefront6targetE0EEEvT1_, .Lfunc_end1233-_ZN7rocprim17ROCPRIM_400000_NS6detail17trampoline_kernelINS0_14default_configENS1_25partition_config_selectorILNS1_17partition_subalgoE9EsjbEEZZNS1_14partition_implILS5_9ELb0ES3_jN6thrust23THRUST_200600_302600_NS6detail15normal_iteratorINS9_10device_ptrIsEEEENSB_INSC_IjEEEEPNS0_10empty_typeENS0_5tupleIJSE_SH_EEENSJ_IJNS9_16discard_iteratorINS9_11use_defaultEEESI_EEENS0_18inequality_wrapperINS9_8equal_toIsEEEEPmJSH_EEE10hipError_tPvRmT3_T4_T5_T6_T7_T9_mT8_P12ihipStream_tbDpT10_ENKUlT_T0_E_clISt17integral_constantIbLb0EES1C_IbLb1EEEEDaS18_S19_EUlS18_E_NS1_11comp_targetILNS1_3genE2ELNS1_11target_archE906ELNS1_3gpuE6ELNS1_3repE0EEENS1_30default_config_static_selectorELNS0_4arch9wavefront6targetE0EEEvT1_
                                        ; -- End function
	.section	.AMDGPU.csdata,"",@progbits
; Kernel info:
; codeLenInByte = 0
; NumSgprs: 0
; NumVgprs: 0
; ScratchSize: 0
; MemoryBound: 0
; FloatMode: 240
; IeeeMode: 1
; LDSByteSize: 0 bytes/workgroup (compile time only)
; SGPRBlocks: 0
; VGPRBlocks: 0
; NumSGPRsForWavesPerEU: 1
; NumVGPRsForWavesPerEU: 1
; Occupancy: 16
; WaveLimiterHint : 0
; COMPUTE_PGM_RSRC2:SCRATCH_EN: 0
; COMPUTE_PGM_RSRC2:USER_SGPR: 15
; COMPUTE_PGM_RSRC2:TRAP_HANDLER: 0
; COMPUTE_PGM_RSRC2:TGID_X_EN: 1
; COMPUTE_PGM_RSRC2:TGID_Y_EN: 0
; COMPUTE_PGM_RSRC2:TGID_Z_EN: 0
; COMPUTE_PGM_RSRC2:TIDIG_COMP_CNT: 0
	.section	.text._ZN7rocprim17ROCPRIM_400000_NS6detail17trampoline_kernelINS0_14default_configENS1_25partition_config_selectorILNS1_17partition_subalgoE9EsjbEEZZNS1_14partition_implILS5_9ELb0ES3_jN6thrust23THRUST_200600_302600_NS6detail15normal_iteratorINS9_10device_ptrIsEEEENSB_INSC_IjEEEEPNS0_10empty_typeENS0_5tupleIJSE_SH_EEENSJ_IJNS9_16discard_iteratorINS9_11use_defaultEEESI_EEENS0_18inequality_wrapperINS9_8equal_toIsEEEEPmJSH_EEE10hipError_tPvRmT3_T4_T5_T6_T7_T9_mT8_P12ihipStream_tbDpT10_ENKUlT_T0_E_clISt17integral_constantIbLb0EES1C_IbLb1EEEEDaS18_S19_EUlS18_E_NS1_11comp_targetILNS1_3genE10ELNS1_11target_archE1200ELNS1_3gpuE4ELNS1_3repE0EEENS1_30default_config_static_selectorELNS0_4arch9wavefront6targetE0EEEvT1_,"axG",@progbits,_ZN7rocprim17ROCPRIM_400000_NS6detail17trampoline_kernelINS0_14default_configENS1_25partition_config_selectorILNS1_17partition_subalgoE9EsjbEEZZNS1_14partition_implILS5_9ELb0ES3_jN6thrust23THRUST_200600_302600_NS6detail15normal_iteratorINS9_10device_ptrIsEEEENSB_INSC_IjEEEEPNS0_10empty_typeENS0_5tupleIJSE_SH_EEENSJ_IJNS9_16discard_iteratorINS9_11use_defaultEEESI_EEENS0_18inequality_wrapperINS9_8equal_toIsEEEEPmJSH_EEE10hipError_tPvRmT3_T4_T5_T6_T7_T9_mT8_P12ihipStream_tbDpT10_ENKUlT_T0_E_clISt17integral_constantIbLb0EES1C_IbLb1EEEEDaS18_S19_EUlS18_E_NS1_11comp_targetILNS1_3genE10ELNS1_11target_archE1200ELNS1_3gpuE4ELNS1_3repE0EEENS1_30default_config_static_selectorELNS0_4arch9wavefront6targetE0EEEvT1_,comdat
	.protected	_ZN7rocprim17ROCPRIM_400000_NS6detail17trampoline_kernelINS0_14default_configENS1_25partition_config_selectorILNS1_17partition_subalgoE9EsjbEEZZNS1_14partition_implILS5_9ELb0ES3_jN6thrust23THRUST_200600_302600_NS6detail15normal_iteratorINS9_10device_ptrIsEEEENSB_INSC_IjEEEEPNS0_10empty_typeENS0_5tupleIJSE_SH_EEENSJ_IJNS9_16discard_iteratorINS9_11use_defaultEEESI_EEENS0_18inequality_wrapperINS9_8equal_toIsEEEEPmJSH_EEE10hipError_tPvRmT3_T4_T5_T6_T7_T9_mT8_P12ihipStream_tbDpT10_ENKUlT_T0_E_clISt17integral_constantIbLb0EES1C_IbLb1EEEEDaS18_S19_EUlS18_E_NS1_11comp_targetILNS1_3genE10ELNS1_11target_archE1200ELNS1_3gpuE4ELNS1_3repE0EEENS1_30default_config_static_selectorELNS0_4arch9wavefront6targetE0EEEvT1_ ; -- Begin function _ZN7rocprim17ROCPRIM_400000_NS6detail17trampoline_kernelINS0_14default_configENS1_25partition_config_selectorILNS1_17partition_subalgoE9EsjbEEZZNS1_14partition_implILS5_9ELb0ES3_jN6thrust23THRUST_200600_302600_NS6detail15normal_iteratorINS9_10device_ptrIsEEEENSB_INSC_IjEEEEPNS0_10empty_typeENS0_5tupleIJSE_SH_EEENSJ_IJNS9_16discard_iteratorINS9_11use_defaultEEESI_EEENS0_18inequality_wrapperINS9_8equal_toIsEEEEPmJSH_EEE10hipError_tPvRmT3_T4_T5_T6_T7_T9_mT8_P12ihipStream_tbDpT10_ENKUlT_T0_E_clISt17integral_constantIbLb0EES1C_IbLb1EEEEDaS18_S19_EUlS18_E_NS1_11comp_targetILNS1_3genE10ELNS1_11target_archE1200ELNS1_3gpuE4ELNS1_3repE0EEENS1_30default_config_static_selectorELNS0_4arch9wavefront6targetE0EEEvT1_
	.globl	_ZN7rocprim17ROCPRIM_400000_NS6detail17trampoline_kernelINS0_14default_configENS1_25partition_config_selectorILNS1_17partition_subalgoE9EsjbEEZZNS1_14partition_implILS5_9ELb0ES3_jN6thrust23THRUST_200600_302600_NS6detail15normal_iteratorINS9_10device_ptrIsEEEENSB_INSC_IjEEEEPNS0_10empty_typeENS0_5tupleIJSE_SH_EEENSJ_IJNS9_16discard_iteratorINS9_11use_defaultEEESI_EEENS0_18inequality_wrapperINS9_8equal_toIsEEEEPmJSH_EEE10hipError_tPvRmT3_T4_T5_T6_T7_T9_mT8_P12ihipStream_tbDpT10_ENKUlT_T0_E_clISt17integral_constantIbLb0EES1C_IbLb1EEEEDaS18_S19_EUlS18_E_NS1_11comp_targetILNS1_3genE10ELNS1_11target_archE1200ELNS1_3gpuE4ELNS1_3repE0EEENS1_30default_config_static_selectorELNS0_4arch9wavefront6targetE0EEEvT1_
	.p2align	8
	.type	_ZN7rocprim17ROCPRIM_400000_NS6detail17trampoline_kernelINS0_14default_configENS1_25partition_config_selectorILNS1_17partition_subalgoE9EsjbEEZZNS1_14partition_implILS5_9ELb0ES3_jN6thrust23THRUST_200600_302600_NS6detail15normal_iteratorINS9_10device_ptrIsEEEENSB_INSC_IjEEEEPNS0_10empty_typeENS0_5tupleIJSE_SH_EEENSJ_IJNS9_16discard_iteratorINS9_11use_defaultEEESI_EEENS0_18inequality_wrapperINS9_8equal_toIsEEEEPmJSH_EEE10hipError_tPvRmT3_T4_T5_T6_T7_T9_mT8_P12ihipStream_tbDpT10_ENKUlT_T0_E_clISt17integral_constantIbLb0EES1C_IbLb1EEEEDaS18_S19_EUlS18_E_NS1_11comp_targetILNS1_3genE10ELNS1_11target_archE1200ELNS1_3gpuE4ELNS1_3repE0EEENS1_30default_config_static_selectorELNS0_4arch9wavefront6targetE0EEEvT1_,@function
_ZN7rocprim17ROCPRIM_400000_NS6detail17trampoline_kernelINS0_14default_configENS1_25partition_config_selectorILNS1_17partition_subalgoE9EsjbEEZZNS1_14partition_implILS5_9ELb0ES3_jN6thrust23THRUST_200600_302600_NS6detail15normal_iteratorINS9_10device_ptrIsEEEENSB_INSC_IjEEEEPNS0_10empty_typeENS0_5tupleIJSE_SH_EEENSJ_IJNS9_16discard_iteratorINS9_11use_defaultEEESI_EEENS0_18inequality_wrapperINS9_8equal_toIsEEEEPmJSH_EEE10hipError_tPvRmT3_T4_T5_T6_T7_T9_mT8_P12ihipStream_tbDpT10_ENKUlT_T0_E_clISt17integral_constantIbLb0EES1C_IbLb1EEEEDaS18_S19_EUlS18_E_NS1_11comp_targetILNS1_3genE10ELNS1_11target_archE1200ELNS1_3gpuE4ELNS1_3repE0EEENS1_30default_config_static_selectorELNS0_4arch9wavefront6targetE0EEEvT1_: ; @_ZN7rocprim17ROCPRIM_400000_NS6detail17trampoline_kernelINS0_14default_configENS1_25partition_config_selectorILNS1_17partition_subalgoE9EsjbEEZZNS1_14partition_implILS5_9ELb0ES3_jN6thrust23THRUST_200600_302600_NS6detail15normal_iteratorINS9_10device_ptrIsEEEENSB_INSC_IjEEEEPNS0_10empty_typeENS0_5tupleIJSE_SH_EEENSJ_IJNS9_16discard_iteratorINS9_11use_defaultEEESI_EEENS0_18inequality_wrapperINS9_8equal_toIsEEEEPmJSH_EEE10hipError_tPvRmT3_T4_T5_T6_T7_T9_mT8_P12ihipStream_tbDpT10_ENKUlT_T0_E_clISt17integral_constantIbLb0EES1C_IbLb1EEEEDaS18_S19_EUlS18_E_NS1_11comp_targetILNS1_3genE10ELNS1_11target_archE1200ELNS1_3gpuE4ELNS1_3repE0EEENS1_30default_config_static_selectorELNS0_4arch9wavefront6targetE0EEEvT1_
; %bb.0:
	.section	.rodata,"a",@progbits
	.p2align	6, 0x0
	.amdhsa_kernel _ZN7rocprim17ROCPRIM_400000_NS6detail17trampoline_kernelINS0_14default_configENS1_25partition_config_selectorILNS1_17partition_subalgoE9EsjbEEZZNS1_14partition_implILS5_9ELb0ES3_jN6thrust23THRUST_200600_302600_NS6detail15normal_iteratorINS9_10device_ptrIsEEEENSB_INSC_IjEEEEPNS0_10empty_typeENS0_5tupleIJSE_SH_EEENSJ_IJNS9_16discard_iteratorINS9_11use_defaultEEESI_EEENS0_18inequality_wrapperINS9_8equal_toIsEEEEPmJSH_EEE10hipError_tPvRmT3_T4_T5_T6_T7_T9_mT8_P12ihipStream_tbDpT10_ENKUlT_T0_E_clISt17integral_constantIbLb0EES1C_IbLb1EEEEDaS18_S19_EUlS18_E_NS1_11comp_targetILNS1_3genE10ELNS1_11target_archE1200ELNS1_3gpuE4ELNS1_3repE0EEENS1_30default_config_static_selectorELNS0_4arch9wavefront6targetE0EEEvT1_
		.amdhsa_group_segment_fixed_size 0
		.amdhsa_private_segment_fixed_size 0
		.amdhsa_kernarg_size 136
		.amdhsa_user_sgpr_count 15
		.amdhsa_user_sgpr_dispatch_ptr 0
		.amdhsa_user_sgpr_queue_ptr 0
		.amdhsa_user_sgpr_kernarg_segment_ptr 1
		.amdhsa_user_sgpr_dispatch_id 0
		.amdhsa_user_sgpr_private_segment_size 0
		.amdhsa_wavefront_size32 1
		.amdhsa_uses_dynamic_stack 0
		.amdhsa_enable_private_segment 0
		.amdhsa_system_sgpr_workgroup_id_x 1
		.amdhsa_system_sgpr_workgroup_id_y 0
		.amdhsa_system_sgpr_workgroup_id_z 0
		.amdhsa_system_sgpr_workgroup_info 0
		.amdhsa_system_vgpr_workitem_id 0
		.amdhsa_next_free_vgpr 1
		.amdhsa_next_free_sgpr 1
		.amdhsa_reserve_vcc 0
		.amdhsa_float_round_mode_32 0
		.amdhsa_float_round_mode_16_64 0
		.amdhsa_float_denorm_mode_32 3
		.amdhsa_float_denorm_mode_16_64 3
		.amdhsa_dx10_clamp 1
		.amdhsa_ieee_mode 1
		.amdhsa_fp16_overflow 0
		.amdhsa_workgroup_processor_mode 1
		.amdhsa_memory_ordered 1
		.amdhsa_forward_progress 0
		.amdhsa_shared_vgpr_count 0
		.amdhsa_exception_fp_ieee_invalid_op 0
		.amdhsa_exception_fp_denorm_src 0
		.amdhsa_exception_fp_ieee_div_zero 0
		.amdhsa_exception_fp_ieee_overflow 0
		.amdhsa_exception_fp_ieee_underflow 0
		.amdhsa_exception_fp_ieee_inexact 0
		.amdhsa_exception_int_div_zero 0
	.end_amdhsa_kernel
	.section	.text._ZN7rocprim17ROCPRIM_400000_NS6detail17trampoline_kernelINS0_14default_configENS1_25partition_config_selectorILNS1_17partition_subalgoE9EsjbEEZZNS1_14partition_implILS5_9ELb0ES3_jN6thrust23THRUST_200600_302600_NS6detail15normal_iteratorINS9_10device_ptrIsEEEENSB_INSC_IjEEEEPNS0_10empty_typeENS0_5tupleIJSE_SH_EEENSJ_IJNS9_16discard_iteratorINS9_11use_defaultEEESI_EEENS0_18inequality_wrapperINS9_8equal_toIsEEEEPmJSH_EEE10hipError_tPvRmT3_T4_T5_T6_T7_T9_mT8_P12ihipStream_tbDpT10_ENKUlT_T0_E_clISt17integral_constantIbLb0EES1C_IbLb1EEEEDaS18_S19_EUlS18_E_NS1_11comp_targetILNS1_3genE10ELNS1_11target_archE1200ELNS1_3gpuE4ELNS1_3repE0EEENS1_30default_config_static_selectorELNS0_4arch9wavefront6targetE0EEEvT1_,"axG",@progbits,_ZN7rocprim17ROCPRIM_400000_NS6detail17trampoline_kernelINS0_14default_configENS1_25partition_config_selectorILNS1_17partition_subalgoE9EsjbEEZZNS1_14partition_implILS5_9ELb0ES3_jN6thrust23THRUST_200600_302600_NS6detail15normal_iteratorINS9_10device_ptrIsEEEENSB_INSC_IjEEEEPNS0_10empty_typeENS0_5tupleIJSE_SH_EEENSJ_IJNS9_16discard_iteratorINS9_11use_defaultEEESI_EEENS0_18inequality_wrapperINS9_8equal_toIsEEEEPmJSH_EEE10hipError_tPvRmT3_T4_T5_T6_T7_T9_mT8_P12ihipStream_tbDpT10_ENKUlT_T0_E_clISt17integral_constantIbLb0EES1C_IbLb1EEEEDaS18_S19_EUlS18_E_NS1_11comp_targetILNS1_3genE10ELNS1_11target_archE1200ELNS1_3gpuE4ELNS1_3repE0EEENS1_30default_config_static_selectorELNS0_4arch9wavefront6targetE0EEEvT1_,comdat
.Lfunc_end1234:
	.size	_ZN7rocprim17ROCPRIM_400000_NS6detail17trampoline_kernelINS0_14default_configENS1_25partition_config_selectorILNS1_17partition_subalgoE9EsjbEEZZNS1_14partition_implILS5_9ELb0ES3_jN6thrust23THRUST_200600_302600_NS6detail15normal_iteratorINS9_10device_ptrIsEEEENSB_INSC_IjEEEEPNS0_10empty_typeENS0_5tupleIJSE_SH_EEENSJ_IJNS9_16discard_iteratorINS9_11use_defaultEEESI_EEENS0_18inequality_wrapperINS9_8equal_toIsEEEEPmJSH_EEE10hipError_tPvRmT3_T4_T5_T6_T7_T9_mT8_P12ihipStream_tbDpT10_ENKUlT_T0_E_clISt17integral_constantIbLb0EES1C_IbLb1EEEEDaS18_S19_EUlS18_E_NS1_11comp_targetILNS1_3genE10ELNS1_11target_archE1200ELNS1_3gpuE4ELNS1_3repE0EEENS1_30default_config_static_selectorELNS0_4arch9wavefront6targetE0EEEvT1_, .Lfunc_end1234-_ZN7rocprim17ROCPRIM_400000_NS6detail17trampoline_kernelINS0_14default_configENS1_25partition_config_selectorILNS1_17partition_subalgoE9EsjbEEZZNS1_14partition_implILS5_9ELb0ES3_jN6thrust23THRUST_200600_302600_NS6detail15normal_iteratorINS9_10device_ptrIsEEEENSB_INSC_IjEEEEPNS0_10empty_typeENS0_5tupleIJSE_SH_EEENSJ_IJNS9_16discard_iteratorINS9_11use_defaultEEESI_EEENS0_18inequality_wrapperINS9_8equal_toIsEEEEPmJSH_EEE10hipError_tPvRmT3_T4_T5_T6_T7_T9_mT8_P12ihipStream_tbDpT10_ENKUlT_T0_E_clISt17integral_constantIbLb0EES1C_IbLb1EEEEDaS18_S19_EUlS18_E_NS1_11comp_targetILNS1_3genE10ELNS1_11target_archE1200ELNS1_3gpuE4ELNS1_3repE0EEENS1_30default_config_static_selectorELNS0_4arch9wavefront6targetE0EEEvT1_
                                        ; -- End function
	.section	.AMDGPU.csdata,"",@progbits
; Kernel info:
; codeLenInByte = 0
; NumSgprs: 0
; NumVgprs: 0
; ScratchSize: 0
; MemoryBound: 0
; FloatMode: 240
; IeeeMode: 1
; LDSByteSize: 0 bytes/workgroup (compile time only)
; SGPRBlocks: 0
; VGPRBlocks: 0
; NumSGPRsForWavesPerEU: 1
; NumVGPRsForWavesPerEU: 1
; Occupancy: 16
; WaveLimiterHint : 0
; COMPUTE_PGM_RSRC2:SCRATCH_EN: 0
; COMPUTE_PGM_RSRC2:USER_SGPR: 15
; COMPUTE_PGM_RSRC2:TRAP_HANDLER: 0
; COMPUTE_PGM_RSRC2:TGID_X_EN: 1
; COMPUTE_PGM_RSRC2:TGID_Y_EN: 0
; COMPUTE_PGM_RSRC2:TGID_Z_EN: 0
; COMPUTE_PGM_RSRC2:TIDIG_COMP_CNT: 0
	.section	.text._ZN7rocprim17ROCPRIM_400000_NS6detail17trampoline_kernelINS0_14default_configENS1_25partition_config_selectorILNS1_17partition_subalgoE9EsjbEEZZNS1_14partition_implILS5_9ELb0ES3_jN6thrust23THRUST_200600_302600_NS6detail15normal_iteratorINS9_10device_ptrIsEEEENSB_INSC_IjEEEEPNS0_10empty_typeENS0_5tupleIJSE_SH_EEENSJ_IJNS9_16discard_iteratorINS9_11use_defaultEEESI_EEENS0_18inequality_wrapperINS9_8equal_toIsEEEEPmJSH_EEE10hipError_tPvRmT3_T4_T5_T6_T7_T9_mT8_P12ihipStream_tbDpT10_ENKUlT_T0_E_clISt17integral_constantIbLb0EES1C_IbLb1EEEEDaS18_S19_EUlS18_E_NS1_11comp_targetILNS1_3genE9ELNS1_11target_archE1100ELNS1_3gpuE3ELNS1_3repE0EEENS1_30default_config_static_selectorELNS0_4arch9wavefront6targetE0EEEvT1_,"axG",@progbits,_ZN7rocprim17ROCPRIM_400000_NS6detail17trampoline_kernelINS0_14default_configENS1_25partition_config_selectorILNS1_17partition_subalgoE9EsjbEEZZNS1_14partition_implILS5_9ELb0ES3_jN6thrust23THRUST_200600_302600_NS6detail15normal_iteratorINS9_10device_ptrIsEEEENSB_INSC_IjEEEEPNS0_10empty_typeENS0_5tupleIJSE_SH_EEENSJ_IJNS9_16discard_iteratorINS9_11use_defaultEEESI_EEENS0_18inequality_wrapperINS9_8equal_toIsEEEEPmJSH_EEE10hipError_tPvRmT3_T4_T5_T6_T7_T9_mT8_P12ihipStream_tbDpT10_ENKUlT_T0_E_clISt17integral_constantIbLb0EES1C_IbLb1EEEEDaS18_S19_EUlS18_E_NS1_11comp_targetILNS1_3genE9ELNS1_11target_archE1100ELNS1_3gpuE3ELNS1_3repE0EEENS1_30default_config_static_selectorELNS0_4arch9wavefront6targetE0EEEvT1_,comdat
	.protected	_ZN7rocprim17ROCPRIM_400000_NS6detail17trampoline_kernelINS0_14default_configENS1_25partition_config_selectorILNS1_17partition_subalgoE9EsjbEEZZNS1_14partition_implILS5_9ELb0ES3_jN6thrust23THRUST_200600_302600_NS6detail15normal_iteratorINS9_10device_ptrIsEEEENSB_INSC_IjEEEEPNS0_10empty_typeENS0_5tupleIJSE_SH_EEENSJ_IJNS9_16discard_iteratorINS9_11use_defaultEEESI_EEENS0_18inequality_wrapperINS9_8equal_toIsEEEEPmJSH_EEE10hipError_tPvRmT3_T4_T5_T6_T7_T9_mT8_P12ihipStream_tbDpT10_ENKUlT_T0_E_clISt17integral_constantIbLb0EES1C_IbLb1EEEEDaS18_S19_EUlS18_E_NS1_11comp_targetILNS1_3genE9ELNS1_11target_archE1100ELNS1_3gpuE3ELNS1_3repE0EEENS1_30default_config_static_selectorELNS0_4arch9wavefront6targetE0EEEvT1_ ; -- Begin function _ZN7rocprim17ROCPRIM_400000_NS6detail17trampoline_kernelINS0_14default_configENS1_25partition_config_selectorILNS1_17partition_subalgoE9EsjbEEZZNS1_14partition_implILS5_9ELb0ES3_jN6thrust23THRUST_200600_302600_NS6detail15normal_iteratorINS9_10device_ptrIsEEEENSB_INSC_IjEEEEPNS0_10empty_typeENS0_5tupleIJSE_SH_EEENSJ_IJNS9_16discard_iteratorINS9_11use_defaultEEESI_EEENS0_18inequality_wrapperINS9_8equal_toIsEEEEPmJSH_EEE10hipError_tPvRmT3_T4_T5_T6_T7_T9_mT8_P12ihipStream_tbDpT10_ENKUlT_T0_E_clISt17integral_constantIbLb0EES1C_IbLb1EEEEDaS18_S19_EUlS18_E_NS1_11comp_targetILNS1_3genE9ELNS1_11target_archE1100ELNS1_3gpuE3ELNS1_3repE0EEENS1_30default_config_static_selectorELNS0_4arch9wavefront6targetE0EEEvT1_
	.globl	_ZN7rocprim17ROCPRIM_400000_NS6detail17trampoline_kernelINS0_14default_configENS1_25partition_config_selectorILNS1_17partition_subalgoE9EsjbEEZZNS1_14partition_implILS5_9ELb0ES3_jN6thrust23THRUST_200600_302600_NS6detail15normal_iteratorINS9_10device_ptrIsEEEENSB_INSC_IjEEEEPNS0_10empty_typeENS0_5tupleIJSE_SH_EEENSJ_IJNS9_16discard_iteratorINS9_11use_defaultEEESI_EEENS0_18inequality_wrapperINS9_8equal_toIsEEEEPmJSH_EEE10hipError_tPvRmT3_T4_T5_T6_T7_T9_mT8_P12ihipStream_tbDpT10_ENKUlT_T0_E_clISt17integral_constantIbLb0EES1C_IbLb1EEEEDaS18_S19_EUlS18_E_NS1_11comp_targetILNS1_3genE9ELNS1_11target_archE1100ELNS1_3gpuE3ELNS1_3repE0EEENS1_30default_config_static_selectorELNS0_4arch9wavefront6targetE0EEEvT1_
	.p2align	8
	.type	_ZN7rocprim17ROCPRIM_400000_NS6detail17trampoline_kernelINS0_14default_configENS1_25partition_config_selectorILNS1_17partition_subalgoE9EsjbEEZZNS1_14partition_implILS5_9ELb0ES3_jN6thrust23THRUST_200600_302600_NS6detail15normal_iteratorINS9_10device_ptrIsEEEENSB_INSC_IjEEEEPNS0_10empty_typeENS0_5tupleIJSE_SH_EEENSJ_IJNS9_16discard_iteratorINS9_11use_defaultEEESI_EEENS0_18inequality_wrapperINS9_8equal_toIsEEEEPmJSH_EEE10hipError_tPvRmT3_T4_T5_T6_T7_T9_mT8_P12ihipStream_tbDpT10_ENKUlT_T0_E_clISt17integral_constantIbLb0EES1C_IbLb1EEEEDaS18_S19_EUlS18_E_NS1_11comp_targetILNS1_3genE9ELNS1_11target_archE1100ELNS1_3gpuE3ELNS1_3repE0EEENS1_30default_config_static_selectorELNS0_4arch9wavefront6targetE0EEEvT1_,@function
_ZN7rocprim17ROCPRIM_400000_NS6detail17trampoline_kernelINS0_14default_configENS1_25partition_config_selectorILNS1_17partition_subalgoE9EsjbEEZZNS1_14partition_implILS5_9ELb0ES3_jN6thrust23THRUST_200600_302600_NS6detail15normal_iteratorINS9_10device_ptrIsEEEENSB_INSC_IjEEEEPNS0_10empty_typeENS0_5tupleIJSE_SH_EEENSJ_IJNS9_16discard_iteratorINS9_11use_defaultEEESI_EEENS0_18inequality_wrapperINS9_8equal_toIsEEEEPmJSH_EEE10hipError_tPvRmT3_T4_T5_T6_T7_T9_mT8_P12ihipStream_tbDpT10_ENKUlT_T0_E_clISt17integral_constantIbLb0EES1C_IbLb1EEEEDaS18_S19_EUlS18_E_NS1_11comp_targetILNS1_3genE9ELNS1_11target_archE1100ELNS1_3gpuE3ELNS1_3repE0EEENS1_30default_config_static_selectorELNS0_4arch9wavefront6targetE0EEEvT1_: ; @_ZN7rocprim17ROCPRIM_400000_NS6detail17trampoline_kernelINS0_14default_configENS1_25partition_config_selectorILNS1_17partition_subalgoE9EsjbEEZZNS1_14partition_implILS5_9ELb0ES3_jN6thrust23THRUST_200600_302600_NS6detail15normal_iteratorINS9_10device_ptrIsEEEENSB_INSC_IjEEEEPNS0_10empty_typeENS0_5tupleIJSE_SH_EEENSJ_IJNS9_16discard_iteratorINS9_11use_defaultEEESI_EEENS0_18inequality_wrapperINS9_8equal_toIsEEEEPmJSH_EEE10hipError_tPvRmT3_T4_T5_T6_T7_T9_mT8_P12ihipStream_tbDpT10_ENKUlT_T0_E_clISt17integral_constantIbLb0EES1C_IbLb1EEEEDaS18_S19_EUlS18_E_NS1_11comp_targetILNS1_3genE9ELNS1_11target_archE1100ELNS1_3gpuE3ELNS1_3repE0EEENS1_30default_config_static_selectorELNS0_4arch9wavefront6targetE0EEEvT1_
; %bb.0:
	s_clause 0x5
	s_load_b128 s[4:7], s[0:1], 0x8
	s_load_b64 s[8:9], s[0:1], 0x18
	s_load_b64 s[16:17], s[0:1], 0x28
	s_load_b128 s[12:15], s[0:1], 0x48
	s_load_b64 s[10:11], s[0:1], 0x58
	s_load_b64 s[18:19], s[0:1], 0x68
	v_cmp_ne_u32_e64 s3, 0, v0
	v_cmp_eq_u32_e64 s2, 0, v0
	s_delay_alu instid0(VALU_DEP_1)
	s_and_saveexec_b32 s20, s2
	s_cbranch_execz .LBB1235_4
; %bb.1:
	s_mov_b32 s22, exec_lo
	s_mov_b32 s21, exec_lo
	v_mbcnt_lo_u32_b32 v1, s22, 0
                                        ; implicit-def: $vgpr2
	s_delay_alu instid0(VALU_DEP_1)
	v_cmpx_eq_u32_e32 0, v1
	s_cbranch_execz .LBB1235_3
; %bb.2:
	s_load_b64 s[24:25], s[0:1], 0x78
	s_bcnt1_i32_b32 s22, s22
	s_delay_alu instid0(SALU_CYCLE_1)
	v_dual_mov_b32 v2, 0 :: v_dual_mov_b32 v3, s22
	s_waitcnt lgkmcnt(0)
	global_atomic_add_u32 v2, v2, v3, s[24:25] glc
.LBB1235_3:
	s_or_b32 exec_lo, exec_lo, s21
	s_waitcnt vmcnt(0)
	v_readfirstlane_b32 s21, v2
	s_delay_alu instid0(VALU_DEP_1)
	v_dual_mov_b32 v2, 0 :: v_dual_add_nc_u32 v1, s21, v1
	ds_store_b32 v2, v1
.LBB1235_4:
	s_or_b32 exec_lo, exec_lo, s20
	v_mov_b32_e32 v1, 0
	s_waitcnt lgkmcnt(0)
	s_barrier
	buffer_gl0_inv
	s_load_b32 s0, s[0:1], 0x70
	ds_load_b32 v2, v1
	s_waitcnt lgkmcnt(0)
	s_barrier
	buffer_gl0_inv
	global_load_b64 v[20:21], v1, s[14:15]
	s_lshl_b64 s[14:15], s[6:7], 1
	s_delay_alu instid0(SALU_CYCLE_1)
	s_add_u32 s23, s4, s14
	s_addc_u32 s24, s5, s15
	s_mov_b32 s5, 0
	s_mul_i32 s1, s0, 0x580
	v_readfirstlane_b32 s20, v2
	s_add_i32 s4, s1, s6
	s_delay_alu instid0(SALU_CYCLE_1)
	s_sub_i32 s21, s10, s4
	s_add_i32 s4, s0, -1
	s_addk_i32 s21, 0x580
	s_add_u32 s0, s6, s1
	s_addc_u32 s1, s7, 0
	s_cmp_eq_u32 s20, s4
	v_cmp_ge_u64_e64 s0, s[0:1], s[10:11]
	s_cselect_b32 s14, -1, 0
	s_mul_i32 s4, s20, 0x580
	s_mov_b32 s11, -1
	s_delay_alu instid0(VALU_DEP_1)
	s_and_b32 s22, s0, s14
	s_lshl_b64 s[0:1], s[4:5], 1
	s_xor_b32 s15, s22, -1
	s_add_u32 s10, s23, s0
	s_addc_u32 s1, s24, s1
	s_and_b32 vcc_lo, exec_lo, s15
	s_cbranch_vccz .LBB1235_6
; %bb.5:
	v_lshlrev_b32_e32 v3, 1, v0
	s_mov_b32 s11, s5
	s_delay_alu instid0(VALU_DEP_1) | instskip(NEXT) | instid1(VALU_DEP_1)
	v_add_co_u32 v1, s0, s10, v3
	v_add_co_ci_u32_e64 v2, null, s1, 0, s0
	s_clause 0xa
	flat_load_u16 v4, v[1:2]
	flat_load_u16 v5, v[1:2] offset:256
	flat_load_u16 v6, v[1:2] offset:512
	;; [unrolled: 1-line block ×10, first 2 shown]
	s_waitcnt vmcnt(10) lgkmcnt(10)
	ds_store_b16 v3, v4
	s_waitcnt vmcnt(9) lgkmcnt(10)
	ds_store_b16 v3, v5 offset:256
	s_waitcnt vmcnt(8) lgkmcnt(10)
	ds_store_b16 v3, v6 offset:512
	;; [unrolled: 2-line block ×10, first 2 shown]
	s_waitcnt lgkmcnt(0)
	s_barrier
.LBB1235_6:
	v_cmp_gt_u32_e64 s0, s21, v0
	s_and_not1_b32 vcc_lo, exec_lo, s11
	s_cbranch_vccnz .LBB1235_30
; %bb.7:
                                        ; implicit-def: $vgpr1_vgpr2_vgpr3_vgpr4_vgpr5_vgpr6_vgpr7_vgpr8
	s_delay_alu instid0(VALU_DEP_1)
	s_and_saveexec_b32 s11, s0
	s_cbranch_execz .LBB1235_9
; %bb.8:
	v_lshlrev_b32_e32 v1, 1, v0
	s_delay_alu instid0(VALU_DEP_1) | instskip(NEXT) | instid1(VALU_DEP_1)
	v_add_co_u32 v1, s0, s10, v1
	v_add_co_ci_u32_e64 v2, null, s1, 0, s0
	flat_load_d16_b16 v1, v[1:2]
.LBB1235_9:
	s_or_b32 exec_lo, exec_lo, s11
	v_or_b32_e32 v7, 0x80, v0
	s_mov_b32 s0, exec_lo
	s_delay_alu instid0(VALU_DEP_1)
	v_cmpx_gt_u32_e64 s21, v7
	s_cbranch_execz .LBB1235_11
; %bb.10:
	v_lshlrev_b32_e32 v7, 1, v0
	s_delay_alu instid0(VALU_DEP_1) | instskip(NEXT) | instid1(VALU_DEP_1)
	v_add_co_u32 v7, s11, s10, v7
	v_add_co_ci_u32_e64 v8, null, s1, 0, s11
	s_waitcnt vmcnt(0) lgkmcnt(0)
	flat_load_d16_hi_b16 v1, v[7:8] offset:256
.LBB1235_11:
	s_or_b32 exec_lo, exec_lo, s0
	v_or_b32_e32 v7, 0x100, v0
	s_mov_b32 s0, exec_lo
	s_delay_alu instid0(VALU_DEP_1)
	v_cmpx_gt_u32_e64 s21, v7
	s_cbranch_execz .LBB1235_13
; %bb.12:
	v_lshlrev_b32_e32 v7, 1, v0
	s_delay_alu instid0(VALU_DEP_1) | instskip(NEXT) | instid1(VALU_DEP_1)
	v_add_co_u32 v7, s11, s10, v7
	v_add_co_ci_u32_e64 v8, null, s1, 0, s11
	flat_load_d16_b16 v2, v[7:8] offset:512
.LBB1235_13:
	s_or_b32 exec_lo, exec_lo, s0
	v_or_b32_e32 v7, 0x180, v0
	s_mov_b32 s0, exec_lo
	s_delay_alu instid0(VALU_DEP_1)
	v_cmpx_gt_u32_e64 s21, v7
	s_cbranch_execz .LBB1235_15
; %bb.14:
	v_lshlrev_b32_e32 v7, 1, v0
	s_delay_alu instid0(VALU_DEP_1) | instskip(NEXT) | instid1(VALU_DEP_1)
	v_add_co_u32 v7, s11, s10, v7
	v_add_co_ci_u32_e64 v8, null, s1, 0, s11
	s_waitcnt vmcnt(0) lgkmcnt(0)
	flat_load_d16_hi_b16 v2, v[7:8] offset:768
.LBB1235_15:
	s_or_b32 exec_lo, exec_lo, s0
	v_or_b32_e32 v7, 0x200, v0
	s_mov_b32 s0, exec_lo
	s_delay_alu instid0(VALU_DEP_1)
	v_cmpx_gt_u32_e64 s21, v7
	s_cbranch_execz .LBB1235_17
; %bb.16:
	v_lshlrev_b32_e32 v7, 1, v0
	s_delay_alu instid0(VALU_DEP_1) | instskip(NEXT) | instid1(VALU_DEP_1)
	v_add_co_u32 v7, s11, s10, v7
	v_add_co_ci_u32_e64 v8, null, s1, 0, s11
	flat_load_d16_b16 v3, v[7:8] offset:1024
.LBB1235_17:
	;; [unrolled: 27-line block ×5, first 2 shown]
	s_or_b32 exec_lo, exec_lo, s0
	v_lshlrev_b32_e32 v7, 1, v0
	s_waitcnt vmcnt(0) lgkmcnt(0)
	ds_store_b16 v7, v1
	ds_store_b16_d16_hi v7, v1 offset:256
	ds_store_b16 v7, v2 offset:512
	ds_store_b16_d16_hi v7, v2 offset:768
	ds_store_b16 v7, v3 offset:1024
	;; [unrolled: 2-line block ×5, first 2 shown]
	s_waitcnt lgkmcnt(0)
	s_barrier
.LBB1235_30:
	v_mul_u32_u24_e32 v1, 11, v0
	s_waitcnt vmcnt(0)
	buffer_gl0_inv
	s_lshl_b64 s[24:25], s[6:7], 2
	s_delay_alu instid0(SALU_CYCLE_1)
	s_add_u32 s0, s8, s24
	v_lshlrev_b32_e32 v2, 1, v1
	s_addc_u32 s8, s9, s25
	s_lshl_b64 s[4:5], s[4:5], 2
	ds_load_b128 v[13:16], v2
	ds_load_u16 v40, v2 offset:16
	ds_load_u16 v39, v2 offset:18
	;; [unrolled: 1-line block ×3, first 2 shown]
	s_add_u32 s0, s0, s4
	s_addc_u32 s4, s8, s5
	s_and_b32 vcc_lo, exec_lo, s15
	s_mov_b32 s5, -1
	s_waitcnt lgkmcnt(0)
	s_barrier
	buffer_gl0_inv
	s_cbranch_vccz .LBB1235_32
; %bb.31:
	v_lshlrev_b32_e32 v7, 2, v0
	s_delay_alu instid0(VALU_DEP_1) | instskip(NEXT) | instid1(VALU_DEP_1)
	v_add_co_u32 v3, s5, s0, v7
	v_add_co_ci_u32_e64 v4, null, s4, 0, s5
	s_mov_b32 s5, 0
	s_delay_alu instid0(VALU_DEP_2) | instskip(NEXT) | instid1(VALU_DEP_2)
	v_add_co_u32 v5, vcc_lo, 0x1000, v3
	v_add_co_ci_u32_e32 v6, vcc_lo, 0, v4, vcc_lo
	s_clause 0xa
	flat_load_b32 v8, v[3:4]
	flat_load_b32 v9, v[3:4] offset:512
	flat_load_b32 v10, v[3:4] offset:1024
	;; [unrolled: 1-line block ×7, first 2 shown]
	flat_load_b32 v4, v[5:6]
	flat_load_b32 v19, v[5:6] offset:512
	flat_load_b32 v5, v[5:6] offset:1024
	s_waitcnt vmcnt(9) lgkmcnt(9)
	ds_store_2addr_stride64_b32 v7, v8, v9 offset1:2
	s_waitcnt vmcnt(7) lgkmcnt(8)
	ds_store_2addr_stride64_b32 v7, v10, v11 offset0:4 offset1:6
	s_waitcnt vmcnt(5) lgkmcnt(7)
	ds_store_2addr_stride64_b32 v7, v12, v17 offset0:8 offset1:10
	;; [unrolled: 2-line block ×4, first 2 shown]
	s_waitcnt vmcnt(0) lgkmcnt(5)
	ds_store_b32 v7, v5 offset:5120
	s_waitcnt lgkmcnt(0)
	s_barrier
.LBB1235_32:
	s_and_not1_b32 vcc_lo, exec_lo, s5
	s_cbranch_vccnz .LBB1235_56
; %bb.33:
	s_mov_b32 s5, exec_lo
                                        ; implicit-def: $vgpr3
	v_cmpx_gt_u32_e64 s21, v0
	s_cbranch_execz .LBB1235_35
; %bb.34:
	v_lshlrev_b32_e32 v3, 2, v0
	s_delay_alu instid0(VALU_DEP_1) | instskip(NEXT) | instid1(VALU_DEP_1)
	v_add_co_u32 v3, s8, s0, v3
	v_add_co_ci_u32_e64 v4, null, s4, 0, s8
	flat_load_b32 v3, v[3:4]
.LBB1235_35:
	s_or_b32 exec_lo, exec_lo, s5
	v_or_b32_e32 v4, 0x80, v0
	s_delay_alu instid0(VALU_DEP_1)
	v_cmp_gt_u32_e32 vcc_lo, s21, v4
                                        ; implicit-def: $vgpr4
	s_and_saveexec_b32 s5, vcc_lo
	s_cbranch_execz .LBB1235_37
; %bb.36:
	v_lshlrev_b32_e32 v4, 2, v0
	s_delay_alu instid0(VALU_DEP_1) | instskip(NEXT) | instid1(VALU_DEP_1)
	v_add_co_u32 v4, s8, s0, v4
	v_add_co_ci_u32_e64 v5, null, s4, 0, s8
	flat_load_b32 v4, v[4:5] offset:512
.LBB1235_37:
	s_or_b32 exec_lo, exec_lo, s5
	v_or_b32_e32 v5, 0x100, v0
	s_delay_alu instid0(VALU_DEP_1)
	v_cmp_gt_u32_e32 vcc_lo, s21, v5
                                        ; implicit-def: $vgpr5
	s_and_saveexec_b32 s5, vcc_lo
	s_cbranch_execz .LBB1235_39
; %bb.38:
	v_lshlrev_b32_e32 v5, 2, v0
	s_delay_alu instid0(VALU_DEP_1) | instskip(NEXT) | instid1(VALU_DEP_1)
	v_add_co_u32 v5, s8, s0, v5
	v_add_co_ci_u32_e64 v6, null, s4, 0, s8
	flat_load_b32 v5, v[5:6] offset:1024
.LBB1235_39:
	s_or_b32 exec_lo, exec_lo, s5
	v_or_b32_e32 v6, 0x180, v0
	s_delay_alu instid0(VALU_DEP_1)
	v_cmp_gt_u32_e32 vcc_lo, s21, v6
                                        ; implicit-def: $vgpr6
	s_and_saveexec_b32 s5, vcc_lo
	s_cbranch_execz .LBB1235_41
; %bb.40:
	v_lshlrev_b32_e32 v6, 2, v0
	s_delay_alu instid0(VALU_DEP_1) | instskip(NEXT) | instid1(VALU_DEP_1)
	v_add_co_u32 v6, s8, s0, v6
	v_add_co_ci_u32_e64 v7, null, s4, 0, s8
	flat_load_b32 v6, v[6:7] offset:1536
.LBB1235_41:
	s_or_b32 exec_lo, exec_lo, s5
	v_or_b32_e32 v7, 0x200, v0
	s_delay_alu instid0(VALU_DEP_1)
	v_cmp_gt_u32_e32 vcc_lo, s21, v7
                                        ; implicit-def: $vgpr7
	s_and_saveexec_b32 s5, vcc_lo
	s_cbranch_execz .LBB1235_43
; %bb.42:
	v_lshlrev_b32_e32 v7, 2, v0
	s_delay_alu instid0(VALU_DEP_1) | instskip(NEXT) | instid1(VALU_DEP_1)
	v_add_co_u32 v7, s8, s0, v7
	v_add_co_ci_u32_e64 v8, null, s4, 0, s8
	flat_load_b32 v7, v[7:8] offset:2048
.LBB1235_43:
	s_or_b32 exec_lo, exec_lo, s5
	v_or_b32_e32 v8, 0x280, v0
	s_delay_alu instid0(VALU_DEP_1)
	v_cmp_gt_u32_e32 vcc_lo, s21, v8
                                        ; implicit-def: $vgpr8
	s_and_saveexec_b32 s5, vcc_lo
	s_cbranch_execz .LBB1235_45
; %bb.44:
	v_lshlrev_b32_e32 v8, 2, v0
	s_delay_alu instid0(VALU_DEP_1) | instskip(NEXT) | instid1(VALU_DEP_1)
	v_add_co_u32 v8, s8, s0, v8
	v_add_co_ci_u32_e64 v9, null, s4, 0, s8
	flat_load_b32 v8, v[8:9] offset:2560
.LBB1235_45:
	s_or_b32 exec_lo, exec_lo, s5
	v_or_b32_e32 v9, 0x300, v0
	s_delay_alu instid0(VALU_DEP_1)
	v_cmp_gt_u32_e32 vcc_lo, s21, v9
                                        ; implicit-def: $vgpr9
	s_and_saveexec_b32 s5, vcc_lo
	s_cbranch_execz .LBB1235_47
; %bb.46:
	v_lshlrev_b32_e32 v9, 2, v0
	s_delay_alu instid0(VALU_DEP_1) | instskip(NEXT) | instid1(VALU_DEP_1)
	v_add_co_u32 v9, s8, s0, v9
	v_add_co_ci_u32_e64 v10, null, s4, 0, s8
	flat_load_b32 v9, v[9:10] offset:3072
.LBB1235_47:
	s_or_b32 exec_lo, exec_lo, s5
	v_or_b32_e32 v10, 0x380, v0
	s_delay_alu instid0(VALU_DEP_1)
	v_cmp_gt_u32_e32 vcc_lo, s21, v10
                                        ; implicit-def: $vgpr10
	s_and_saveexec_b32 s5, vcc_lo
	s_cbranch_execz .LBB1235_49
; %bb.48:
	v_lshlrev_b32_e32 v10, 2, v0
	s_delay_alu instid0(VALU_DEP_1) | instskip(NEXT) | instid1(VALU_DEP_1)
	v_add_co_u32 v10, s8, s0, v10
	v_add_co_ci_u32_e64 v11, null, s4, 0, s8
	flat_load_b32 v10, v[10:11] offset:3584
.LBB1235_49:
	s_or_b32 exec_lo, exec_lo, s5
	v_or_b32_e32 v12, 0x400, v0
	s_mov_b32 s5, exec_lo
                                        ; implicit-def: $vgpr11
	s_delay_alu instid0(VALU_DEP_1)
	v_cmpx_gt_u32_e64 s21, v12
	s_cbranch_execz .LBB1235_51
; %bb.50:
	v_lshlrev_b32_e32 v11, 2, v12
	s_delay_alu instid0(VALU_DEP_1) | instskip(NEXT) | instid1(VALU_DEP_1)
	v_add_co_u32 v11, s8, s0, v11
	v_add_co_ci_u32_e64 v12, null, s4, 0, s8
	flat_load_b32 v11, v[11:12]
.LBB1235_51:
	s_or_b32 exec_lo, exec_lo, s5
	v_or_b32_e32 v17, 0x480, v0
	s_mov_b32 s5, exec_lo
                                        ; implicit-def: $vgpr12
	s_delay_alu instid0(VALU_DEP_1)
	v_cmpx_gt_u32_e64 s21, v17
	s_cbranch_execz .LBB1235_53
; %bb.52:
	v_lshlrev_b32_e32 v12, 2, v17
	s_delay_alu instid0(VALU_DEP_1) | instskip(NEXT) | instid1(VALU_DEP_1)
	v_add_co_u32 v17, s8, s0, v12
	v_add_co_ci_u32_e64 v18, null, s4, 0, s8
	flat_load_b32 v12, v[17:18]
.LBB1235_53:
	s_or_b32 exec_lo, exec_lo, s5
	v_or_b32_e32 v18, 0x500, v0
	s_mov_b32 s5, exec_lo
                                        ; implicit-def: $vgpr17
	s_delay_alu instid0(VALU_DEP_1)
	v_cmpx_gt_u32_e64 s21, v18
	s_cbranch_execz .LBB1235_55
; %bb.54:
	v_lshlrev_b32_e32 v17, 2, v18
	s_delay_alu instid0(VALU_DEP_1) | instskip(NEXT) | instid1(VALU_DEP_1)
	v_add_co_u32 v17, s0, s0, v17
	v_add_co_ci_u32_e64 v18, null, s4, 0, s0
	flat_load_b32 v17, v[17:18]
.LBB1235_55:
	s_or_b32 exec_lo, exec_lo, s5
	v_mad_i32_i24 v2, 0xffffffee, v0, v2
	s_waitcnt vmcnt(0) lgkmcnt(0)
	ds_store_2addr_stride64_b32 v2, v3, v4 offset1:2
	ds_store_2addr_stride64_b32 v2, v5, v6 offset0:4 offset1:6
	ds_store_2addr_stride64_b32 v2, v7, v8 offset0:8 offset1:10
	ds_store_2addr_stride64_b32 v2, v9, v10 offset0:12 offset1:14
	ds_store_2addr_stride64_b32 v2, v11, v12 offset0:16 offset1:18
	ds_store_b32 v2, v17 offset:5120
	s_waitcnt lgkmcnt(0)
	s_barrier
.LBB1235_56:
	v_lshlrev_b32_e32 v46, 2, v1
	buffer_gl0_inv
	s_cmp_lg_u32 s20, 0
	v_lshrrev_b32_e32 v44, 16, v13
	s_cselect_b32 s23, -1, 0
	ds_load_2addr_b32 v[30:31], v46 offset1:1
	ds_load_2addr_b32 v[28:29], v46 offset0:2 offset1:3
	ds_load_2addr_b32 v[26:27], v46 offset0:4 offset1:5
	;; [unrolled: 1-line block ×4, first 2 shown]
	ds_load_b32 v38, v46 offset:40
	s_cmp_lg_u64 s[6:7], 0
	v_lshrrev_b32_e32 v43, 16, v14
	s_cselect_b32 s0, -1, 0
	v_lshrrev_b32_e32 v42, 16, v15
	v_lshrrev_b32_e32 v41, 16, v16
	v_add_nc_u32_e32 v5, 1, v1
	v_add_nc_u32_e32 v6, 2, v1
	;; [unrolled: 1-line block ×10, first 2 shown]
	s_or_b32 s0, s0, s23
	s_mov_b32 s24, 0
	s_and_b32 vcc_lo, exec_lo, s0
	s_waitcnt lgkmcnt(0)
	s_barrier
	buffer_gl0_inv
	s_cbranch_vccz .LBB1235_61
; %bb.57:
	v_add_co_u32 v17, s0, -2, s10
	s_delay_alu instid0(VALU_DEP_1)
	v_add_co_ci_u32_e64 v18, null, -1, s1, s0
	s_mov_b32 s1, -1
	s_and_b32 vcc_lo, exec_lo, s15
	flat_load_u16 v17, v[17:18]
	v_lshlrev_b32_e32 v18, 1, v0
	ds_store_b16 v18, v35
	s_cbranch_vccz .LBB1235_63
; %bb.58:
	s_waitcnt vmcnt(0) lgkmcnt(1)
	v_mov_b32_e32 v19, v17
	s_waitcnt lgkmcnt(0)
	s_barrier
	buffer_gl0_inv
	s_and_saveexec_b32 s0, s3
	s_cbranch_execz .LBB1235_60
; %bb.59:
	v_add_nc_u32_e32 v12, -2, v18
	ds_load_u16 v19, v12
.LBB1235_60:
	s_or_b32 exec_lo, exec_lo, s0
	v_cmp_ne_u16_e32 vcc_lo, v16, v41
	s_waitcnt lgkmcnt(0)
	v_cmp_ne_u16_e64 s0, v19, v13
	v_cndmask_b32_e64 v12, 0, 1, vcc_lo
	v_cmp_ne_u16_e32 vcc_lo, v42, v16
	s_delay_alu instid0(VALU_DEP_2) | instskip(SKIP_2) | instid1(VALU_DEP_2)
	v_lshlrev_b16 v12, 8, v12
	v_cndmask_b32_e64 v32, 0, 1, vcc_lo
	v_cmp_ne_u16_e32 vcc_lo, v15, v42
	v_or_b32_e32 v32, v32, v12
	v_cndmask_b32_e64 v33, 0, 1, vcc_lo
	v_cmp_ne_u16_e32 vcc_lo, v43, v15
	s_delay_alu instid0(VALU_DEP_2) | instskip(SKIP_2) | instid1(VALU_DEP_2)
	v_lshlrev_b16 v33, 8, v33
	v_cndmask_b32_e64 v34, 0, 1, vcc_lo
	v_cmp_ne_u16_e32 vcc_lo, v14, v43
	v_or_b32_e32 v33, v34, v33
	v_cndmask_b32_e64 v36, 0, 1, vcc_lo
	v_cmp_ne_u16_e32 vcc_lo, v44, v14
	s_delay_alu instid0(VALU_DEP_3) | instskip(NEXT) | instid1(VALU_DEP_3)
	v_and_b32_e32 v33, 0xffff, v33
	v_lshlrev_b16 v47, 8, v36
	v_cndmask_b32_e64 v37, 0, 1, vcc_lo
	v_cmp_ne_u16_e32 vcc_lo, v13, v44
	s_delay_alu instid0(VALU_DEP_2) | instskip(SKIP_3) | instid1(VALU_DEP_4)
	v_or_b32_e32 v37, v37, v47
	v_cndmask_b32_e64 v45, 0, 1, vcc_lo
	v_cmp_ne_u16_e32 vcc_lo, v39, v35
	v_lshlrev_b32_e32 v47, 16, v32
	v_lshlrev_b32_e32 v37, 16, v37
	s_delay_alu instid0(VALU_DEP_4) | instskip(SKIP_3) | instid1(VALU_DEP_4)
	v_lshlrev_b16 v45, 8, v45
	v_cndmask_b32_e64 v36, 0, 1, vcc_lo
	v_cmp_ne_u16_e32 vcc_lo, v40, v39
	v_or_b32_e32 v33, v33, v47
	v_and_b32_e32 v45, 0xffff, v45
	v_cndmask_b32_e64 v12, 0, 1, vcc_lo
	v_cmp_ne_u16_e32 vcc_lo, v41, v40
	s_delay_alu instid0(VALU_DEP_3)
	v_or_b32_e32 v32, v45, v37
	v_cndmask_b32_e64 v34, 0, 1, vcc_lo
	s_branch .LBB1235_67
.LBB1235_61:
                                        ; implicit-def: $sgpr0
                                        ; implicit-def: $vgpr36
                                        ; implicit-def: $vgpr12
                                        ; implicit-def: $vgpr34
                                        ; implicit-def: $vgpr33
	s_branch .LBB1235_68
.LBB1235_62:
                                        ; implicit-def: $vgpr17_vgpr18_vgpr19
	s_and_saveexec_b32 s1, s24
	s_cbranch_execnz .LBB1235_76
	s_branch .LBB1235_77
.LBB1235_63:
                                        ; implicit-def: $sgpr0
                                        ; implicit-def: $vgpr36
                                        ; implicit-def: $vgpr12
                                        ; implicit-def: $vgpr34
                                        ; implicit-def: $vgpr33
	s_and_b32 vcc_lo, exec_lo, s1
	s_cbranch_vccz .LBB1235_67
; %bb.64:
	s_waitcnt vmcnt(0) lgkmcnt(0)
	s_barrier
	buffer_gl0_inv
	s_and_saveexec_b32 s0, s3
	s_cbranch_execz .LBB1235_66
; %bb.65:
	v_add_nc_u32_e32 v12, -2, v18
	ds_load_u16 v17, v12
.LBB1235_66:
	s_or_b32 exec_lo, exec_lo, s0
	v_cmp_gt_u32_e32 vcc_lo, s21, v9
	v_cmp_ne_u16_e64 s0, v39, v35
	v_cmp_gt_u32_e64 s1, s21, v10
	v_cmp_ne_u16_e64 s4, v40, v39
	v_cmp_gt_u32_e64 s5, s21, v5
	v_cmp_ne_u16_e64 s6, v13, v44
	s_and_b32 s0, vcc_lo, s0
	v_cmp_gt_u32_e32 vcc_lo, s21, v2
	v_cndmask_b32_e64 v36, 0, 1, s0
	v_cmp_ne_u16_e64 s0, v16, v41
	s_and_b32 s1, s1, s4
	v_cmp_ne_u16_e64 s4, v42, v16
	v_cndmask_b32_e64 v12, 0, 1, s1
	v_cmp_gt_u32_e64 s1, s21, v4
	s_and_b32 s0, vcc_lo, s0
	v_cmp_gt_u32_e32 vcc_lo, s21, v7
	v_cndmask_b32_e64 v18, 0, 1, s0
	v_cmp_ne_u16_e64 s0, v15, v42
	s_and_b32 s1, s1, s4
	v_cmp_ne_u16_e64 s4, v14, v43
	v_cndmask_b32_e64 v19, 0, 1, s1
	v_cmp_gt_u32_e64 s1, s21, v3
	;; [unrolled: 8-line block ×3, first 2 shown]
	s_and_b32 s0, vcc_lo, s0
	v_lshlrev_b16 v32, 8, v32
	v_cndmask_b32_e64 v34, 0, 1, s0
	v_lshlrev_b16 v33, 8, v33
	s_and_b32 s0, s1, s4
	v_lshlrev_b16 v18, 8, v18
	v_cndmask_b32_e64 v37, 0, 1, s0
	s_and_b32 s0, s5, s6
	v_or_b32_e32 v32, v34, v32
	v_cndmask_b32_e64 v45, 0, 1, s0
	v_or_b32_e32 v18, v19, v18
	v_or_b32_e32 v33, v37, v33
	v_cmp_gt_u32_e32 vcc_lo, s21, v11
	v_cmp_ne_u16_e64 s0, v41, v40
	v_lshlrev_b16 v37, 8, v45
	v_lshlrev_b32_e32 v18, 16, v18
	v_lshlrev_b32_e32 v19, 16, v33
	s_delay_alu instid0(VALU_DEP_4) | instskip(NEXT) | instid1(VALU_DEP_3)
	s_and_b32 s0, vcc_lo, s0
	v_and_b32_e32 v33, 0xffff, v37
	v_and_b32_e32 v37, 0xffff, v32
	v_cndmask_b32_e64 v34, 0, 1, s0
	v_cmp_gt_u32_e32 vcc_lo, s21, v1
	s_waitcnt lgkmcnt(0)
	v_cmp_ne_u16_e64 s0, v17, v13
	v_or_b32_e32 v32, v33, v19
	v_or_b32_e32 v33, v37, v18
	s_delay_alu instid0(VALU_DEP_3)
	s_and_b32 s0, vcc_lo, s0
.LBB1235_67:
	s_mov_b32 s24, -1
	s_cbranch_execnz .LBB1235_62
.LBB1235_68:
	v_mad_i32_i24 v37, 0xffffffd6, v0, v46
	v_cmp_ne_u16_e64 s0, v39, v35
	v_cmp_ne_u16_e64 s9, v40, v39
	;; [unrolled: 1-line block ×10, first 2 shown]
	s_and_b32 vcc_lo, exec_lo, s15
	ds_store_b16 v37, v35
	s_cbranch_vccz .LBB1235_72
; %bb.69:
	s_waitcnt vmcnt(0) lgkmcnt(2)
	v_cndmask_b32_e64 v17, 0, 1, s11
	v_cndmask_b32_e64 v12, 0, 1, s9
	;; [unrolled: 1-line block ×5, first 2 shown]
	v_lshlrev_b16 v17, 8, v17
	v_cndmask_b32_e64 v45, 0, 1, s4
	v_cndmask_b32_e64 v34, 0, 1, s10
	;; [unrolled: 1-line block ×4, first 2 shown]
	v_lshlrev_b16 v18, 8, v18
	v_lshlrev_b16 v47, 8, v12
	v_or_b32_e32 v17, v32, v17
	v_lshlrev_b16 v32, 8, v33
	v_lshlrev_b16 v33, 8, v45
	v_or_b32_e32 v18, v19, v18
	v_or_b32_e32 v19, v34, v47
	v_and_b32_e32 v17, 0xffff, v17
	v_or_b32_e32 v32, v36, v32
	v_or_b32_e32 v33, 1, v33
	v_lshlrev_b32_e32 v18, 16, v18
	v_and_b32_e32 v19, 0xffff, v19
	v_cndmask_b32_e64 v36, 0, 1, s0
	v_lshlrev_b32_e32 v32, 16, v32
	v_and_b32_e32 v45, 0xffff, v33
	v_or_b32_e32 v33, v17, v18
	s_waitcnt lgkmcnt(0)
	v_lshl_or_b32 v19, v36, 16, v19
	s_barrier
	v_or_b32_e32 v32, v45, v32
	buffer_gl0_inv
                                        ; implicit-def: $sgpr0
	s_and_saveexec_b32 s1, s3
	s_delay_alu instid0(SALU_CYCLE_1)
	s_xor_b32 s1, exec_lo, s1
	s_cbranch_execz .LBB1235_71
; %bb.70:
	v_add_nc_u32_e32 v17, -2, v37
	s_or_b32 s24, s24, exec_lo
	ds_load_u16 v17, v17
	s_waitcnt lgkmcnt(0)
	v_cmp_ne_u16_e32 vcc_lo, v17, v13
                                        ; implicit-def: $vgpr17_vgpr18_vgpr19
	s_and_b32 s0, vcc_lo, exec_lo
.LBB1235_71:
	s_or_b32 exec_lo, exec_lo, s1
	s_branch .LBB1235_75
.LBB1235_72:
                                        ; implicit-def: $sgpr0
                                        ; implicit-def: $vgpr36
                                        ; implicit-def: $vgpr12
                                        ; implicit-def: $vgpr34
                                        ; implicit-def: $vgpr33
                                        ; implicit-def: $vgpr17_vgpr18_vgpr19
	s_cbranch_execz .LBB1235_75
; %bb.73:
	v_cmp_gt_u32_e32 vcc_lo, s21, v10
	v_cmp_ne_u16_e64 s0, v40, v39
	v_cmp_gt_u32_e64 s5, s21, v11
	v_cmp_ne_u16_e64 s6, v41, v40
	v_cmp_gt_u32_e64 s1, s21, v9
	v_cmp_ne_u16_e64 s4, v39, v35
	s_and_b32 s0, vcc_lo, s0
	v_cmp_gt_u32_e32 vcc_lo, s21, v2
	v_cndmask_b32_e64 v12, 0, 1, s0
	v_cmp_ne_u16_e64 s0, v16, v41
	s_and_b32 s5, s5, s6
	v_cmp_ne_u16_e64 s6, v42, v16
	v_cndmask_b32_e64 v34, 0, 1, s5
	v_cmp_gt_u32_e64 s5, s21, v4
	s_and_b32 s0, vcc_lo, s0
	v_cmp_gt_u32_e32 vcc_lo, s21, v7
	s_waitcnt vmcnt(0) lgkmcnt(2)
	v_cndmask_b32_e64 v17, 0, 1, s0
	v_cmp_ne_u16_e64 s0, v15, v42
	s_and_b32 s5, s5, s6
	v_cmp_ne_u16_e64 s6, v43, v15
	v_cndmask_b32_e64 v18, 0, 1, s5
	v_cmp_gt_u32_e64 s5, s21, v8
	s_and_b32 s0, vcc_lo, s0
	v_cmp_gt_u32_e32 vcc_lo, s21, v3
	v_cndmask_b32_e64 v19, 0, 1, s0
	v_cmp_ne_u16_e64 s0, v14, v43
	s_and_b32 s5, s5, s6
	v_cmp_ne_u16_e64 s6, v44, v14
	v_cndmask_b32_e64 v32, 0, 1, s5
	v_cmp_gt_u32_e64 s5, s21, v6
	s_and_b32 s0, vcc_lo, s0
	v_cmp_gt_u32_e32 vcc_lo, s21, v5
	v_cndmask_b32_e64 v33, 0, 1, s0
	v_cmp_ne_u16_e64 s0, v13, v44
	v_lshlrev_b16 v19, 8, v19
	v_lshlrev_b16 v17, 8, v17
	s_and_b32 s5, s5, s6
	v_lshlrev_b16 v47, 8, v12
	s_and_b32 s0, vcc_lo, s0
	v_cndmask_b32_e64 v36, 0, 1, s5
	v_cndmask_b32_e64 v45, 0, 1, s0
	v_or_b32_e32 v19, v32, v19
	v_or_b32_e32 v17, v18, v17
	v_lshlrev_b16 v18, 8, v33
	v_or_b32_e32 v33, v34, v47
	v_lshlrev_b16 v32, 8, v45
	s_and_b32 s0, s1, s4
	v_and_b32_e32 v19, 0xffff, v19
	v_or_b32_e32 v18, v36, v18
	v_lshlrev_b32_e32 v17, 16, v17
	v_or_b32_e32 v32, 1, v32
	v_and_b32_e32 v45, 0xffff, v33
	v_cndmask_b32_e64 v36, 0, 1, s0
	v_lshlrev_b32_e32 v18, 16, v18
	v_or_b32_e32 v33, v19, v17
	v_and_b32_e32 v32, 0xffff, v32
	s_waitcnt lgkmcnt(0)
	v_lshl_or_b32 v19, v36, 16, v45
	s_barrier
	buffer_gl0_inv
	v_or_b32_e32 v32, v32, v18
                                        ; implicit-def: $sgpr0
	s_and_saveexec_b32 s1, s3
	s_cbranch_execz .LBB1235_216
; %bb.74:
	v_add_nc_u32_e32 v17, -2, v37
	v_cmp_gt_u32_e32 vcc_lo, s21, v1
	s_or_b32 s24, s24, exec_lo
	ds_load_u16 v17, v17
	s_waitcnt lgkmcnt(0)
	v_cmp_ne_u16_e64 s0, v17, v13
                                        ; implicit-def: $vgpr17_vgpr18_vgpr19
	s_delay_alu instid0(VALU_DEP_1) | instskip(NEXT) | instid1(SALU_CYCLE_1)
	s_and_b32 s0, vcc_lo, s0
	s_and_b32 s0, s0, exec_lo
	s_or_b32 exec_lo, exec_lo, s1
.LBB1235_75:
	s_and_saveexec_b32 s1, s24
	s_cbranch_execz .LBB1235_77
.LBB1235_76:
	v_lshrrev_b32_e32 v18, 24, v32
	v_lshrrev_b32_e32 v19, 16, v32
	;; [unrolled: 1-line block ×3, first 2 shown]
	s_waitcnt vmcnt(0) lgkmcnt(1)
	v_cndmask_b32_e64 v17, 0, 1, s0
	v_lshlrev_b16 v12, 8, v12
	v_and_b32_e32 v34, 0xff, v34
	v_lshlrev_b16 v18, 8, v18
	v_and_b32_e32 v19, 0xff, v19
	;; [unrolled: 2-line block ×3, first 2 shown]
	v_or_b32_e32 v12, v34, v12
	s_delay_alu instid0(VALU_DEP_4) | instskip(NEXT) | instid1(VALU_DEP_4)
	v_or_b32_e32 v18, v19, v18
	v_or_b32_e32 v17, v17, v32
	s_delay_alu instid0(VALU_DEP_4) | instskip(NEXT) | instid1(VALU_DEP_4)
	v_lshlrev_b32_e32 v19, 16, v36
	v_and_b32_e32 v12, 0xffff, v12
	s_delay_alu instid0(VALU_DEP_4) | instskip(NEXT) | instid1(VALU_DEP_4)
	v_lshlrev_b32_e32 v18, 16, v18
	v_and_b32_e32 v17, 0xffff, v17
	s_delay_alu instid0(VALU_DEP_3) | instskip(NEXT) | instid1(VALU_DEP_2)
	v_or_b32_e32 v19, v12, v19
	v_or_b32_e32 v32, v17, v18
.LBB1235_77:
	s_or_b32 exec_lo, exec_lo, s1
	s_delay_alu instid0(SALU_CYCLE_1)
	s_and_not1_b32 vcc_lo, exec_lo, s22
	s_cbranch_vccnz .LBB1235_79
; %bb.78:
	v_cmp_gt_u32_e32 vcc_lo, s21, v1
	v_cmp_gt_u32_e64 s0, s21, v5
	v_cmp_gt_u32_e64 s3, s21, v6
	v_and_b32_e32 v5, 0xffffff00, v33
	v_cmp_gt_u32_e64 s1, s21, v10
	v_dual_cndmask_b32 v1, 0, v32 :: v_dual_and_b32 v12, 0xff000000, v19
	v_cmp_gt_u32_e32 vcc_lo, s21, v11
	v_cmp_gt_u32_e64 s5, s21, v3
	v_cmp_gt_u32_e64 s4, s21, v9
	s_delay_alu instid0(VALU_DEP_4) | instskip(SKIP_1) | instid1(VALU_DEP_2)
	v_and_b32_e32 v1, 0xff, v1
	v_cndmask_b32_e32 v11, v12, v19, vcc_lo
	v_cndmask_b32_e64 v1, v1, v32, s0
	v_cmp_gt_u32_e64 s0, s21, v8
	s_delay_alu instid0(VALU_DEP_3) | instskip(NEXT) | instid1(VALU_DEP_3)
	v_and_b32_e32 v11, 0xff0000ff, v11
	v_and_b32_e32 v1, 0xffff, v1
	s_delay_alu instid0(VALU_DEP_3) | instskip(NEXT) | instid1(VALU_DEP_3)
	v_cndmask_b32_e64 v5, v5, v33, s0
	v_cndmask_b32_e64 v8, v11, v19, s1
	s_or_b32 s1, s4, s1
	s_delay_alu instid0(VALU_DEP_3) | instskip(NEXT) | instid1(VALU_DEP_3)
	v_cndmask_b32_e64 v1, v1, v32, s3
	v_and_b32_e32 v5, 0xffff00ff, v5
	s_delay_alu instid0(VALU_DEP_3) | instskip(SKIP_1) | instid1(VALU_DEP_4)
	v_and_b32_e32 v6, 0xff00ffff, v8
	v_cmp_gt_u32_e64 s3, s21, v7
	v_and_b32_e32 v1, 0xffffff, v1
	s_delay_alu instid0(VALU_DEP_3) | instskip(NEXT) | instid1(VALU_DEP_3)
	v_cndmask_b32_e64 v6, v6, v19, s4
	v_cndmask_b32_e64 v5, v5, v33, s3
	s_delay_alu instid0(VALU_DEP_3) | instskip(NEXT) | instid1(VALU_DEP_2)
	v_cndmask_b32_e64 v1, v1, v32, s5
	v_and_b32_e32 v3, 0xff00ffff, v5
	s_delay_alu instid0(VALU_DEP_4) | instskip(NEXT) | instid1(VALU_DEP_3)
	v_lshrrev_b32_e32 v5, 8, v6
	v_cndmask_b32_e64 v1, v1, v32, s0
	v_cmp_gt_u32_e64 s0, s21, v4
	s_delay_alu instid0(VALU_DEP_3) | instskip(NEXT) | instid1(VALU_DEP_3)
	v_lshlrev_b16 v5, 8, v5
	v_cndmask_b32_e64 v1, v1, v32, s3
	v_cmp_gt_u32_e64 s3, s21, v2
	s_delay_alu instid0(VALU_DEP_4) | instskip(NEXT) | instid1(VALU_DEP_3)
	v_cndmask_b32_e64 v3, v3, v33, s0
	v_cndmask_b32_e64 v1, v1, v32, s0
	s_or_b32 s0, s1, vcc_lo
	s_delay_alu instid0(VALU_DEP_3) | instid1(SALU_CYCLE_1)
	s_or_b32 vcc_lo, s0, s3
	s_delay_alu instid0(VALU_DEP_1) | instskip(NEXT) | instid1(VALU_DEP_1)
	v_dual_cndmask_b32 v1, v1, v32 :: v_dual_and_b32 v2, 0xffffff, v3
	v_dual_cndmask_b32 v33, v2, v33 :: v_dual_and_b32 v4, 0xff, v6
	s_delay_alu instid0(VALU_DEP_2) | instskip(NEXT) | instid1(VALU_DEP_2)
	v_perm_b32 v32, v1, v1, 0x3020104
	v_or_b32_e32 v3, v4, v5
	s_delay_alu instid0(VALU_DEP_1) | instskip(NEXT) | instid1(VALU_DEP_1)
	v_and_b32_e32 v2, 0xffff, v3
	v_and_or_b32 v19, 0xff0000, v6, v2
.LBB1235_79:
	s_delay_alu instid0(VALU_DEP_1)
	v_and_b32_e32 v47, 0xff, v32
	v_bfe_u32 v48, v32, 8, 8
	v_alignbit_b32 v1, v33, v32, 24
	v_bfe_u32 v49, v32, 16, 8
	v_and_b32_e32 v50, 0xff, v33
	v_bfe_u32 v52, v33, 8, 8
	v_bfe_u32 v53, v33, 16, 8
	v_and_b32_e32 v51, 0xff, v1
	v_add3_u32 v1, v48, v47, v49
	v_lshrrev_b32_e32 v45, 24, v33
	v_mbcnt_lo_u32_b32 v56, -1, 0
	v_and_b32_e32 v54, 0xff, v19
	v_bfe_u32 v55, v19, 8, 8
	v_add3_u32 v1, v1, v51, v50
	v_bfe_u32 v3, v19, 16, 8
	v_and_b32_e32 v2, 15, v56
	v_or_b32_e32 v4, 31, v0
	v_and_b32_e32 v5, 16, v56
	v_add3_u32 v1, v1, v52, v53
	v_lshrrev_b32_e32 v57, 5, v0
	v_cmp_eq_u32_e64 s6, 0, v2
	v_cmp_lt_u32_e64 s5, 1, v2
	v_cmp_lt_u32_e64 s4, 3, v2
	v_add3_u32 v1, v1, v45, v54
	v_cmp_lt_u32_e64 s3, 7, v2
	v_cmp_eq_u32_e64 s1, 0, v5
	v_cmp_eq_u32_e64 s0, v4, v0
	s_and_b32 vcc_lo, exec_lo, s23
	v_add3_u32 v58, v1, v55, v3
	s_mov_b32 s7, -1
	s_waitcnt vmcnt(0) lgkmcnt(0)
	s_barrier
	buffer_gl0_inv
	s_cbranch_vccz .LBB1235_105
; %bb.80:
	v_mov_b32_dpp v1, v58 row_shr:1 row_mask:0xf bank_mask:0xf
	s_delay_alu instid0(VALU_DEP_1) | instskip(NEXT) | instid1(VALU_DEP_1)
	v_cndmask_b32_e64 v1, v1, 0, s6
	v_add_nc_u32_e32 v1, v1, v58
	s_delay_alu instid0(VALU_DEP_1) | instskip(NEXT) | instid1(VALU_DEP_1)
	v_mov_b32_dpp v2, v1 row_shr:2 row_mask:0xf bank_mask:0xf
	v_cndmask_b32_e64 v2, 0, v2, s5
	s_delay_alu instid0(VALU_DEP_1) | instskip(NEXT) | instid1(VALU_DEP_1)
	v_add_nc_u32_e32 v1, v1, v2
	v_mov_b32_dpp v2, v1 row_shr:4 row_mask:0xf bank_mask:0xf
	s_delay_alu instid0(VALU_DEP_1) | instskip(NEXT) | instid1(VALU_DEP_1)
	v_cndmask_b32_e64 v2, 0, v2, s4
	v_add_nc_u32_e32 v1, v1, v2
	s_delay_alu instid0(VALU_DEP_1) | instskip(NEXT) | instid1(VALU_DEP_1)
	v_mov_b32_dpp v2, v1 row_shr:8 row_mask:0xf bank_mask:0xf
	v_cndmask_b32_e64 v2, 0, v2, s3
	s_delay_alu instid0(VALU_DEP_1) | instskip(SKIP_3) | instid1(VALU_DEP_1)
	v_add_nc_u32_e32 v1, v1, v2
	ds_swizzle_b32 v2, v1 offset:swizzle(BROADCAST,32,15)
	s_waitcnt lgkmcnt(0)
	v_cndmask_b32_e64 v2, v2, 0, s1
	v_add_nc_u32_e32 v1, v1, v2
	s_and_saveexec_b32 s7, s0
	s_cbranch_execz .LBB1235_82
; %bb.81:
	v_lshlrev_b32_e32 v2, 2, v57
	ds_store_b32 v2, v1
.LBB1235_82:
	s_or_b32 exec_lo, exec_lo, s7
	s_delay_alu instid0(SALU_CYCLE_1)
	s_mov_b32 s7, exec_lo
	s_waitcnt lgkmcnt(0)
	s_barrier
	buffer_gl0_inv
	v_cmpx_gt_u32_e32 4, v0
	s_cbranch_execz .LBB1235_84
; %bb.83:
	v_and_b32_e32 v4, 3, v56
	s_delay_alu instid0(VALU_DEP_1) | instskip(SKIP_4) | instid1(VALU_DEP_1)
	v_cmp_ne_u32_e32 vcc_lo, 0, v4
	v_lshlrev_b32_e32 v2, 2, v0
	ds_load_b32 v3, v2
	s_waitcnt lgkmcnt(0)
	v_mov_b32_dpp v5, v3 row_shr:1 row_mask:0xf bank_mask:0xf
	v_cndmask_b32_e32 v5, 0, v5, vcc_lo
	v_cmp_lt_u32_e32 vcc_lo, 1, v4
	s_delay_alu instid0(VALU_DEP_2) | instskip(NEXT) | instid1(VALU_DEP_1)
	v_add_nc_u32_e32 v3, v5, v3
	v_mov_b32_dpp v5, v3 row_shr:2 row_mask:0xf bank_mask:0xf
	s_delay_alu instid0(VALU_DEP_1) | instskip(NEXT) | instid1(VALU_DEP_1)
	v_cndmask_b32_e32 v4, 0, v5, vcc_lo
	v_add_nc_u32_e32 v3, v3, v4
	ds_store_b32 v2, v3
.LBB1235_84:
	s_or_b32 exec_lo, exec_lo, s7
	v_cmp_gt_u32_e32 vcc_lo, 32, v0
	s_mov_b32 s8, exec_lo
	s_waitcnt lgkmcnt(0)
	s_barrier
	buffer_gl0_inv
                                        ; implicit-def: $vgpr9
	v_cmpx_lt_u32_e32 31, v0
	s_cbranch_execz .LBB1235_86
; %bb.85:
	v_lshl_add_u32 v2, v57, 2, -4
	ds_load_b32 v9, v2
	s_waitcnt lgkmcnt(0)
	v_add_nc_u32_e32 v1, v9, v1
.LBB1235_86:
	s_or_b32 exec_lo, exec_lo, s8
	v_add_nc_u32_e32 v2, -1, v56
	s_delay_alu instid0(VALU_DEP_1) | instskip(NEXT) | instid1(VALU_DEP_1)
	v_cmp_gt_i32_e64 s7, 0, v2
	v_cndmask_b32_e64 v2, v2, v56, s7
	v_cmp_eq_u32_e64 s7, 0, v56
	s_delay_alu instid0(VALU_DEP_2)
	v_lshlrev_b32_e32 v2, 2, v2
	ds_bpermute_b32 v10, v2, v1
	s_and_saveexec_b32 s8, vcc_lo
	s_cbranch_execz .LBB1235_104
; %bb.87:
	v_mov_b32_e32 v5, 0
	ds_load_b32 v1, v5 offset:12
	s_and_saveexec_b32 s9, s7
	s_cbranch_execz .LBB1235_89
; %bb.88:
	s_add_i32 s10, s20, 32
	s_mov_b32 s11, 0
	v_mov_b32_e32 v2, 1
	s_lshl_b64 s[10:11], s[10:11], 3
	s_delay_alu instid0(SALU_CYCLE_1)
	s_add_u32 s10, s18, s10
	s_addc_u32 s11, s19, s11
	s_waitcnt lgkmcnt(0)
	global_store_b64 v5, v[1:2], s[10:11]
.LBB1235_89:
	s_or_b32 exec_lo, exec_lo, s9
	v_xad_u32 v3, v56, -1, s20
	s_mov_b32 s10, 0
	s_mov_b32 s9, exec_lo
	s_delay_alu instid0(VALU_DEP_1) | instskip(NEXT) | instid1(VALU_DEP_1)
	v_add_nc_u32_e32 v4, 32, v3
	v_lshlrev_b64 v[4:5], 3, v[4:5]
	s_delay_alu instid0(VALU_DEP_1) | instskip(NEXT) | instid1(VALU_DEP_2)
	v_add_co_u32 v7, vcc_lo, s18, v4
	v_add_co_ci_u32_e32 v8, vcc_lo, s19, v5, vcc_lo
	global_load_b64 v[5:6], v[7:8], off glc
	s_waitcnt vmcnt(0)
	v_and_b32_e32 v2, 0xff, v6
	s_delay_alu instid0(VALU_DEP_1)
	v_cmpx_eq_u16_e32 0, v2
	s_cbranch_execz .LBB1235_92
.LBB1235_90:                            ; =>This Inner Loop Header: Depth=1
	global_load_b64 v[5:6], v[7:8], off glc
	s_waitcnt vmcnt(0)
	v_and_b32_e32 v2, 0xff, v6
	s_delay_alu instid0(VALU_DEP_1) | instskip(SKIP_1) | instid1(SALU_CYCLE_1)
	v_cmp_ne_u16_e32 vcc_lo, 0, v2
	s_or_b32 s10, vcc_lo, s10
	s_and_not1_b32 exec_lo, exec_lo, s10
	s_cbranch_execnz .LBB1235_90
; %bb.91:
	s_or_b32 exec_lo, exec_lo, s10
.LBB1235_92:
	s_delay_alu instid0(SALU_CYCLE_1)
	s_or_b32 exec_lo, exec_lo, s9
	v_cmp_ne_u32_e32 vcc_lo, 31, v56
	v_lshlrev_b32_e64 v12, v56, -1
	v_add_nc_u32_e32 v18, 2, v56
	v_add_nc_u32_e32 v36, 4, v56
	;; [unrolled: 1-line block ×3, first 2 shown]
	v_add_co_ci_u32_e32 v2, vcc_lo, 0, v56, vcc_lo
	v_add_nc_u32_e32 v61, 16, v56
	s_delay_alu instid0(VALU_DEP_2)
	v_lshlrev_b32_e32 v11, 2, v2
	v_and_b32_e32 v2, 0xff, v6
	ds_bpermute_b32 v4, v11, v5
	v_cmp_eq_u16_e32 vcc_lo, 2, v2
	v_and_or_b32 v2, vcc_lo, v12, 0x80000000
	v_cmp_gt_u32_e32 vcc_lo, 30, v56
	s_delay_alu instid0(VALU_DEP_2) | instskip(SKIP_1) | instid1(VALU_DEP_2)
	v_ctz_i32_b32_e32 v2, v2
	v_cndmask_b32_e64 v7, 0, 1, vcc_lo
	v_cmp_lt_u32_e32 vcc_lo, v56, v2
	s_waitcnt lgkmcnt(0)
	s_delay_alu instid0(VALU_DEP_2) | instskip(NEXT) | instid1(VALU_DEP_1)
	v_dual_cndmask_b32 v4, 0, v4 :: v_dual_lshlrev_b32 v7, 1, v7
	v_add_lshl_u32 v17, v7, v56, 2
	v_cmp_gt_u32_e32 vcc_lo, 28, v56
	s_delay_alu instid0(VALU_DEP_3) | instskip(SKIP_4) | instid1(VALU_DEP_1)
	v_add_nc_u32_e32 v4, v4, v5
	v_cndmask_b32_e64 v7, 0, 1, vcc_lo
	v_cmp_le_u32_e32 vcc_lo, v18, v2
	ds_bpermute_b32 v5, v17, v4
	v_lshlrev_b32_e32 v7, 2, v7
	v_add_lshl_u32 v34, v7, v56, 2
	s_waitcnt lgkmcnt(0)
	v_cndmask_b32_e32 v5, 0, v5, vcc_lo
	v_cmp_gt_u32_e32 vcc_lo, 24, v56
	s_delay_alu instid0(VALU_DEP_2) | instskip(SKIP_4) | instid1(VALU_DEP_1)
	v_add_nc_u32_e32 v4, v4, v5
	v_cndmask_b32_e64 v7, 0, 1, vcc_lo
	v_cmp_le_u32_e32 vcc_lo, v36, v2
	ds_bpermute_b32 v5, v34, v4
	v_lshlrev_b32_e32 v7, 3, v7
	v_add_lshl_u32 v37, v7, v56, 2
	s_waitcnt lgkmcnt(0)
	v_cndmask_b32_e32 v5, 0, v5, vcc_lo
	v_cmp_gt_u32_e32 vcc_lo, 16, v56
	s_delay_alu instid0(VALU_DEP_2) | instskip(SKIP_4) | instid1(VALU_DEP_1)
	v_add_nc_u32_e32 v4, v4, v5
	v_cndmask_b32_e64 v7, 0, 1, vcc_lo
	v_cmp_le_u32_e32 vcc_lo, v59, v2
	ds_bpermute_b32 v5, v37, v4
	v_lshlrev_b32_e32 v7, 4, v7
	v_add_lshl_u32 v60, v7, v56, 2
	s_waitcnt lgkmcnt(0)
	v_cndmask_b32_e32 v5, 0, v5, vcc_lo
	v_cmp_le_u32_e32 vcc_lo, v61, v2
	s_delay_alu instid0(VALU_DEP_2) | instskip(SKIP_3) | instid1(VALU_DEP_1)
	v_add_nc_u32_e32 v4, v4, v5
	ds_bpermute_b32 v5, v60, v4
	s_waitcnt lgkmcnt(0)
	v_cndmask_b32_e32 v2, 0, v5, vcc_lo
	v_dual_mov_b32 v4, 0 :: v_dual_add_nc_u32 v5, v4, v2
	s_branch .LBB1235_94
.LBB1235_93:                            ;   in Loop: Header=BB1235_94 Depth=1
	s_or_b32 exec_lo, exec_lo, s9
	ds_bpermute_b32 v8, v11, v5
	v_and_b32_e32 v7, 0xff, v6
	v_subrev_nc_u32_e32 v3, 32, v3
	s_delay_alu instid0(VALU_DEP_2) | instskip(SKIP_1) | instid1(VALU_DEP_1)
	v_cmp_eq_u16_e32 vcc_lo, 2, v7
	v_and_or_b32 v7, vcc_lo, v12, 0x80000000
	v_ctz_i32_b32_e32 v7, v7
	s_delay_alu instid0(VALU_DEP_1) | instskip(SKIP_3) | instid1(VALU_DEP_2)
	v_cmp_lt_u32_e32 vcc_lo, v56, v7
	s_waitcnt lgkmcnt(0)
	v_cndmask_b32_e32 v8, 0, v8, vcc_lo
	v_cmp_le_u32_e32 vcc_lo, v18, v7
	v_add_nc_u32_e32 v5, v8, v5
	ds_bpermute_b32 v8, v17, v5
	s_waitcnt lgkmcnt(0)
	v_cndmask_b32_e32 v8, 0, v8, vcc_lo
	v_cmp_le_u32_e32 vcc_lo, v36, v7
	s_delay_alu instid0(VALU_DEP_2) | instskip(SKIP_4) | instid1(VALU_DEP_2)
	v_add_nc_u32_e32 v5, v5, v8
	ds_bpermute_b32 v8, v34, v5
	s_waitcnt lgkmcnt(0)
	v_cndmask_b32_e32 v8, 0, v8, vcc_lo
	v_cmp_le_u32_e32 vcc_lo, v59, v7
	v_add_nc_u32_e32 v5, v5, v8
	ds_bpermute_b32 v8, v37, v5
	s_waitcnt lgkmcnt(0)
	v_cndmask_b32_e32 v8, 0, v8, vcc_lo
	v_cmp_le_u32_e32 vcc_lo, v61, v7
	s_delay_alu instid0(VALU_DEP_2) | instskip(SKIP_3) | instid1(VALU_DEP_1)
	v_add_nc_u32_e32 v5, v5, v8
	ds_bpermute_b32 v8, v60, v5
	s_waitcnt lgkmcnt(0)
	v_cndmask_b32_e32 v7, 0, v8, vcc_lo
	v_add3_u32 v5, v7, v2, v5
.LBB1235_94:                            ; =>This Loop Header: Depth=1
                                        ;     Child Loop BB1235_97 Depth 2
	v_and_b32_e32 v2, 0xff, v6
	s_delay_alu instid0(VALU_DEP_1) | instskip(SKIP_2) | instid1(VALU_DEP_1)
	v_cmp_ne_u16_e32 vcc_lo, 2, v2
	v_cndmask_b32_e64 v2, 0, 1, vcc_lo
	;;#ASMSTART
	;;#ASMEND
	v_cmp_ne_u32_e32 vcc_lo, 0, v2
	v_mov_b32_e32 v2, v5
	s_cmp_lg_u32 vcc_lo, exec_lo
	s_cbranch_scc1 .LBB1235_99
; %bb.95:                               ;   in Loop: Header=BB1235_94 Depth=1
	v_lshlrev_b64 v[5:6], 3, v[3:4]
	s_mov_b32 s9, exec_lo
	s_delay_alu instid0(VALU_DEP_1) | instskip(NEXT) | instid1(VALU_DEP_2)
	v_add_co_u32 v7, vcc_lo, s18, v5
	v_add_co_ci_u32_e32 v8, vcc_lo, s19, v6, vcc_lo
	global_load_b64 v[5:6], v[7:8], off glc
	s_waitcnt vmcnt(0)
	v_and_b32_e32 v62, 0xff, v6
	s_delay_alu instid0(VALU_DEP_1)
	v_cmpx_eq_u16_e32 0, v62
	s_cbranch_execz .LBB1235_93
; %bb.96:                               ;   in Loop: Header=BB1235_94 Depth=1
	s_mov_b32 s10, 0
.LBB1235_97:                            ;   Parent Loop BB1235_94 Depth=1
                                        ; =>  This Inner Loop Header: Depth=2
	global_load_b64 v[5:6], v[7:8], off glc
	s_waitcnt vmcnt(0)
	v_and_b32_e32 v62, 0xff, v6
	s_delay_alu instid0(VALU_DEP_1) | instskip(SKIP_1) | instid1(SALU_CYCLE_1)
	v_cmp_ne_u16_e32 vcc_lo, 0, v62
	s_or_b32 s10, vcc_lo, s10
	s_and_not1_b32 exec_lo, exec_lo, s10
	s_cbranch_execnz .LBB1235_97
; %bb.98:                               ;   in Loop: Header=BB1235_94 Depth=1
	s_or_b32 exec_lo, exec_lo, s10
	s_branch .LBB1235_93
.LBB1235_99:                            ;   in Loop: Header=BB1235_94 Depth=1
                                        ; implicit-def: $vgpr5
                                        ; implicit-def: $vgpr6
	s_cbranch_execz .LBB1235_94
; %bb.100:
	s_and_saveexec_b32 s9, s7
	s_cbranch_execz .LBB1235_102
; %bb.101:
	s_add_i32 s10, s20, 32
	s_mov_b32 s11, 0
	v_dual_mov_b32 v4, 2 :: v_dual_add_nc_u32 v3, v2, v1
	s_lshl_b64 s[10:11], s[10:11], 3
	v_mov_b32_e32 v5, 0
	s_add_u32 s10, s18, s10
	s_addc_u32 s11, s19, s11
	global_store_b64 v5, v[3:4], s[10:11]
	ds_store_b64 v5, v[1:2] offset:5632
.LBB1235_102:
	s_or_b32 exec_lo, exec_lo, s9
	s_delay_alu instid0(SALU_CYCLE_1)
	s_and_b32 exec_lo, exec_lo, s2
	s_cbranch_execz .LBB1235_104
; %bb.103:
	v_mov_b32_e32 v1, 0
	ds_store_b32 v1, v2 offset:12
.LBB1235_104:
	s_or_b32 exec_lo, exec_lo, s8
	s_waitcnt lgkmcnt(0)
	v_cndmask_b32_e64 v3, v10, v9, s7
	s_waitcnt_vscnt null, 0x0
	s_barrier
	buffer_gl0_inv
	v_cndmask_b32_e64 v3, v3, 0, s2
	v_mov_b32_e32 v1, 0
	ds_load_b32 v2, v1 offset:12
	s_waitcnt lgkmcnt(0)
	s_barrier
	buffer_gl0_inv
	v_add_nc_u32_e32 v2, v2, v3
	ds_load_b64 v[17:18], v1 offset:5632
	v_add_nc_u32_e32 v3, v2, v47
	s_delay_alu instid0(VALU_DEP_1) | instskip(SKIP_1) | instid1(VALU_DEP_1)
	v_add_nc_u32_e32 v4, v3, v48
	s_waitcnt lgkmcnt(0)
	v_dual_mov_b32 v34, v18 :: v_dual_add_nc_u32 v5, v4, v49
	s_delay_alu instid0(VALU_DEP_1) | instskip(NEXT) | instid1(VALU_DEP_1)
	v_add_nc_u32_e32 v6, v5, v51
	v_add_nc_u32_e32 v7, v6, v50
	s_delay_alu instid0(VALU_DEP_1) | instskip(NEXT) | instid1(VALU_DEP_1)
	v_add_nc_u32_e32 v8, v7, v52
	v_add_nc_u32_e32 v9, v8, v53
	;; [unrolled: 3-line block ×3, first 2 shown]
	s_delay_alu instid0(VALU_DEP_1)
	v_add_nc_u32_e32 v12, v11, v55
	v_lshrrev_b64 v[36:37], 24, v[32:33]
	s_branch .LBB1235_115
.LBB1235_105:
                                        ; implicit-def: $vgpr34
                                        ; implicit-def: $vgpr2_vgpr3_vgpr4_vgpr5_vgpr6_vgpr7_vgpr8_vgpr9_vgpr10_vgpr11_vgpr12
                                        ; implicit-def: $vgpr17
	v_lshrrev_b64 v[36:37], 24, v[32:33]
	s_and_b32 vcc_lo, exec_lo, s7
	s_cbranch_vccz .LBB1235_115
; %bb.106:
	v_mov_b32_dpp v1, v58 row_shr:1 row_mask:0xf bank_mask:0xf
	s_delay_alu instid0(VALU_DEP_1) | instskip(NEXT) | instid1(VALU_DEP_1)
	v_cndmask_b32_e64 v1, v1, 0, s6
	v_add_nc_u32_e32 v1, v1, v58
	s_delay_alu instid0(VALU_DEP_1) | instskip(NEXT) | instid1(VALU_DEP_1)
	v_mov_b32_dpp v2, v1 row_shr:2 row_mask:0xf bank_mask:0xf
	v_cndmask_b32_e64 v2, 0, v2, s5
	s_delay_alu instid0(VALU_DEP_1) | instskip(NEXT) | instid1(VALU_DEP_1)
	v_add_nc_u32_e32 v1, v1, v2
	v_mov_b32_dpp v2, v1 row_shr:4 row_mask:0xf bank_mask:0xf
	s_delay_alu instid0(VALU_DEP_1) | instskip(NEXT) | instid1(VALU_DEP_1)
	v_cndmask_b32_e64 v2, 0, v2, s4
	v_add_nc_u32_e32 v1, v1, v2
	s_delay_alu instid0(VALU_DEP_1) | instskip(NEXT) | instid1(VALU_DEP_1)
	v_mov_b32_dpp v2, v1 row_shr:8 row_mask:0xf bank_mask:0xf
	v_cndmask_b32_e64 v2, 0, v2, s3
	s_delay_alu instid0(VALU_DEP_1) | instskip(SKIP_3) | instid1(VALU_DEP_1)
	v_add_nc_u32_e32 v1, v1, v2
	ds_swizzle_b32 v2, v1 offset:swizzle(BROADCAST,32,15)
	s_waitcnt lgkmcnt(0)
	v_cndmask_b32_e64 v2, v2, 0, s1
	v_add_nc_u32_e32 v1, v1, v2
	s_and_saveexec_b32 s1, s0
	s_cbranch_execz .LBB1235_108
; %bb.107:
	v_lshlrev_b32_e32 v2, 2, v57
	ds_store_b32 v2, v1
.LBB1235_108:
	s_or_b32 exec_lo, exec_lo, s1
	s_delay_alu instid0(SALU_CYCLE_1)
	s_mov_b32 s0, exec_lo
	s_waitcnt lgkmcnt(0)
	s_barrier
	buffer_gl0_inv
	v_cmpx_gt_u32_e32 4, v0
	s_cbranch_execz .LBB1235_110
; %bb.109:
	v_mad_i32_i24 v2, 0xffffffd8, v0, v46
	ds_load_b32 v3, v2
	s_waitcnt lgkmcnt(0)
	v_mov_b32_dpp v5, v3 row_shr:1 row_mask:0xf bank_mask:0xf
	v_and_b32_e32 v4, 3, v56
	s_delay_alu instid0(VALU_DEP_1) | instskip(NEXT) | instid1(VALU_DEP_3)
	v_cmp_ne_u32_e32 vcc_lo, 0, v4
	v_cndmask_b32_e32 v5, 0, v5, vcc_lo
	v_cmp_lt_u32_e32 vcc_lo, 1, v4
	s_delay_alu instid0(VALU_DEP_2) | instskip(NEXT) | instid1(VALU_DEP_1)
	v_add_nc_u32_e32 v3, v5, v3
	v_mov_b32_dpp v5, v3 row_shr:2 row_mask:0xf bank_mask:0xf
	s_delay_alu instid0(VALU_DEP_1) | instskip(NEXT) | instid1(VALU_DEP_1)
	v_cndmask_b32_e32 v4, 0, v5, vcc_lo
	v_add_nc_u32_e32 v3, v3, v4
	ds_store_b32 v2, v3
.LBB1235_110:
	s_or_b32 exec_lo, exec_lo, s0
	v_dual_mov_b32 v3, 0 :: v_dual_mov_b32 v2, 0
	s_mov_b32 s0, exec_lo
	s_waitcnt lgkmcnt(0)
	s_barrier
	buffer_gl0_inv
	v_cmpx_lt_u32_e32 31, v0
	s_cbranch_execz .LBB1235_112
; %bb.111:
	v_lshl_add_u32 v2, v57, 2, -4
	ds_load_b32 v2, v2
.LBB1235_112:
	s_or_b32 exec_lo, exec_lo, s0
	v_add_nc_u32_e32 v4, -1, v56
	ds_load_b32 v17, v3 offset:12
	s_waitcnt lgkmcnt(1)
	v_add_nc_u32_e32 v1, v2, v1
	v_cmp_gt_i32_e32 vcc_lo, 0, v4
	v_cndmask_b32_e32 v4, v4, v56, vcc_lo
	s_delay_alu instid0(VALU_DEP_1)
	v_lshlrev_b32_e32 v4, 2, v4
	ds_bpermute_b32 v1, v4, v1
	s_and_saveexec_b32 s0, s2
	s_cbranch_execz .LBB1235_114
; %bb.113:
	v_dual_mov_b32 v3, 0 :: v_dual_mov_b32 v18, 2
	s_waitcnt lgkmcnt(1)
	global_store_b64 v3, v[17:18], s[18:19] offset:256
.LBB1235_114:
	s_or_b32 exec_lo, exec_lo, s0
	v_cmp_eq_u32_e32 vcc_lo, 0, v56
	s_waitcnt lgkmcnt(0)
	s_waitcnt_vscnt null, 0x0
	s_barrier
	buffer_gl0_inv
	v_dual_mov_b32 v34, 0 :: v_dual_cndmask_b32 v1, v1, v2
	s_delay_alu instid0(VALU_DEP_1) | instskip(NEXT) | instid1(VALU_DEP_1)
	v_cndmask_b32_e64 v2, v1, 0, s2
	v_add_nc_u32_e32 v3, v2, v47
	s_delay_alu instid0(VALU_DEP_1) | instskip(NEXT) | instid1(VALU_DEP_1)
	v_add_nc_u32_e32 v4, v3, v48
	v_add_nc_u32_e32 v5, v4, v49
	s_delay_alu instid0(VALU_DEP_1) | instskip(NEXT) | instid1(VALU_DEP_1)
	v_add_nc_u32_e32 v6, v5, v51
	;; [unrolled: 3-line block ×4, first 2 shown]
	v_add_nc_u32_e32 v11, v10, v54
	s_delay_alu instid0(VALU_DEP_1)
	v_add_nc_u32_e32 v12, v11, v55
.LBB1235_115:
	v_cmp_gt_u32_e32 vcc_lo, 0x81, v17
	v_lshrrev_b32_e32 v18, 16, v19
	v_lshrrev_b32_e32 v48, 16, v32
	;; [unrolled: 1-line block ×6, first 2 shown]
	v_cmp_lt_u32_e64 s0, 0x80, v17
	s_mov_b32 s1, -1
	s_cbranch_vccz .LBB1235_150
; %bb.116:
	v_lshlrev_b64 v[52:53], 1, v[20:21]
	v_add_nc_u32_e32 v51, v34, v17
	s_delay_alu instid0(VALU_DEP_1) | instskip(NEXT) | instid1(VALU_DEP_3)
	v_cmp_lt_u32_e32 vcc_lo, v2, v51
	v_add_co_u32 v1, s1, s16, v52
	s_delay_alu instid0(VALU_DEP_1) | instskip(SKIP_1) | instid1(SALU_CYCLE_1)
	v_add_co_ci_u32_e64 v50, s1, s17, v53, s1
	s_or_b32 s3, s15, vcc_lo
	s_and_saveexec_b32 s1, s3
	s_cbranch_execz .LBB1235_119
; %bb.117:
	v_and_b32_e32 v52, 1, v32
	s_delay_alu instid0(VALU_DEP_1)
	v_cmp_eq_u32_e32 vcc_lo, 1, v52
	s_and_b32 exec_lo, exec_lo, vcc_lo
	s_cbranch_execz .LBB1235_119
; %bb.118:
	v_dual_mov_b32 v53, 0 :: v_dual_mov_b32 v52, v2
	s_delay_alu instid0(VALU_DEP_1) | instskip(NEXT) | instid1(VALU_DEP_1)
	v_lshlrev_b64 v[52:53], 1, v[52:53]
	v_add_co_u32 v52, vcc_lo, v1, v52
	s_delay_alu instid0(VALU_DEP_2)
	v_add_co_ci_u32_e32 v53, vcc_lo, v50, v53, vcc_lo
	global_store_b16 v[52:53], v13, off
.LBB1235_119:
	s_or_b32 exec_lo, exec_lo, s1
	v_cmp_lt_u32_e32 vcc_lo, v3, v51
	s_or_b32 s3, s15, vcc_lo
	s_delay_alu instid0(SALU_CYCLE_1)
	s_and_saveexec_b32 s1, s3
	s_cbranch_execz .LBB1235_122
; %bb.120:
	v_and_b32_e32 v52, 1, v49
	s_delay_alu instid0(VALU_DEP_1)
	v_cmp_eq_u32_e32 vcc_lo, 1, v52
	s_and_b32 exec_lo, exec_lo, vcc_lo
	s_cbranch_execz .LBB1235_122
; %bb.121:
	v_dual_mov_b32 v53, 0 :: v_dual_mov_b32 v52, v3
	s_delay_alu instid0(VALU_DEP_1) | instskip(NEXT) | instid1(VALU_DEP_1)
	v_lshlrev_b64 v[52:53], 1, v[52:53]
	v_add_co_u32 v52, vcc_lo, v1, v52
	s_delay_alu instid0(VALU_DEP_2)
	v_add_co_ci_u32_e32 v53, vcc_lo, v50, v53, vcc_lo
	global_store_b16 v[52:53], v44, off
.LBB1235_122:
	s_or_b32 exec_lo, exec_lo, s1
	v_cmp_lt_u32_e32 vcc_lo, v4, v51
	s_or_b32 s3, s15, vcc_lo
	s_delay_alu instid0(SALU_CYCLE_1)
	;; [unrolled: 21-line block ×10, first 2 shown]
	s_and_saveexec_b32 s1, s3
	s_cbranch_execz .LBB1235_149
; %bb.147:
	v_and_b32_e32 v51, 1, v18
	s_delay_alu instid0(VALU_DEP_1)
	v_cmp_eq_u32_e32 vcc_lo, 1, v51
	s_and_b32 exec_lo, exec_lo, vcc_lo
	s_cbranch_execz .LBB1235_149
; %bb.148:
	v_dual_mov_b32 v52, 0 :: v_dual_mov_b32 v51, v12
	s_delay_alu instid0(VALU_DEP_1) | instskip(NEXT) | instid1(VALU_DEP_1)
	v_lshlrev_b64 v[51:52], 1, v[51:52]
	v_add_co_u32 v51, vcc_lo, v1, v51
	s_delay_alu instid0(VALU_DEP_2)
	v_add_co_ci_u32_e32 v52, vcc_lo, v50, v52, vcc_lo
	global_store_b16 v[51:52], v35, off
.LBB1235_149:
	s_or_b32 exec_lo, exec_lo, s1
	s_mov_b32 s1, 0
.LBB1235_150:
	v_and_b32_e32 v32, 1, v32
	s_and_b32 vcc_lo, exec_lo, s1
	s_delay_alu instid0(VALU_DEP_1)
	v_cmp_eq_u32_e64 s1, 1, v32
	s_cbranch_vccz .LBB1235_189
; %bb.151:
	s_delay_alu instid0(VALU_DEP_1)
	s_and_saveexec_b32 s3, s1
	s_cbranch_execz .LBB1235_153
; %bb.152:
	v_sub_nc_u32_e32 v1, v2, v34
	s_delay_alu instid0(VALU_DEP_1)
	v_lshlrev_b32_e32 v1, 1, v1
	ds_store_b16 v1, v13
.LBB1235_153:
	s_or_b32 exec_lo, exec_lo, s3
	v_and_b32_e32 v1, 1, v49
	s_mov_b32 s1, exec_lo
	s_delay_alu instid0(VALU_DEP_1)
	v_cmpx_eq_u32_e32 1, v1
	s_cbranch_execz .LBB1235_155
; %bb.154:
	v_sub_nc_u32_e32 v1, v3, v34
	s_delay_alu instid0(VALU_DEP_1)
	v_lshlrev_b32_e32 v1, 1, v1
	ds_store_b16 v1, v44
.LBB1235_155:
	s_or_b32 exec_lo, exec_lo, s1
	v_and_b32_e32 v1, 1, v48
	s_mov_b32 s1, exec_lo
	s_delay_alu instid0(VALU_DEP_1)
	v_cmpx_eq_u32_e32 1, v1
	;; [unrolled: 12-line block ×10, first 2 shown]
	s_cbranch_execz .LBB1235_173
; %bb.172:
	v_sub_nc_u32_e32 v1, v12, v34
	s_delay_alu instid0(VALU_DEP_1)
	v_lshlrev_b32_e32 v1, 1, v1
	ds_store_b16 v1, v35
.LBB1235_173:
	s_or_b32 exec_lo, exec_lo, s1
	s_delay_alu instid0(SALU_CYCLE_1)
	s_mov_b32 s4, exec_lo
	s_waitcnt lgkmcnt(0)
	s_waitcnt_vscnt null, 0x0
	s_barrier
	buffer_gl0_inv
	v_cmpx_lt_u32_e64 v0, v17
	s_cbranch_execz .LBB1235_188
; %bb.174:
	v_mov_b32_e32 v35, 0
	v_lshlrev_b64 v[13:14], 1, v[20:21]
	v_xad_u32 v1, v0, -1, v17
	s_mov_b32 s3, -1
	s_mov_b32 s5, exec_lo
	v_lshlrev_b64 v[15:16], 1, v[34:35]
	s_delay_alu instid0(VALU_DEP_3) | instskip(SKIP_1) | instid1(VALU_DEP_2)
	v_add_co_u32 v13, vcc_lo, s16, v13
	v_add_co_ci_u32_e32 v14, vcc_lo, s17, v14, vcc_lo
	v_add_co_u32 v35, vcc_lo, v13, v15
	s_delay_alu instid0(VALU_DEP_2)
	v_add_co_ci_u32_e32 v39, vcc_lo, v14, v16, vcc_lo
	v_cmp_gt_u32_e32 vcc_lo, 0xc80, v1
	v_cmpx_lt_u32_e32 0xc7f, v1
	s_cbranch_execz .LBB1235_185
; %bb.175:
	v_sub_nc_u32_e32 v13, v0, v17
	s_mov_b32 s6, exec_lo
	s_delay_alu instid0(VALU_DEP_1) | instskip(NEXT) | instid1(VALU_DEP_1)
	v_or_b32_e32 v13, 0x7f, v13
	v_cmpx_ge_u32_e64 v13, v0
	s_cbranch_execz .LBB1235_184
; %bb.176:
	v_lshrrev_b32_e32 v40, 7, v1
	v_or_b32_e32 v1, 0x80, v0
	v_dual_mov_b32 v50, 0 :: v_dual_lshlrev_b32 v41, 1, v0
	s_delay_alu instid0(VALU_DEP_3) | instskip(NEXT) | instid1(VALU_DEP_1)
	v_add_nc_u32_e32 v13, -1, v40
	v_lshrrev_b32_e32 v14, 1, v13
	v_cmp_lt_u32_e64 s1, 13, v13
	s_delay_alu instid0(VALU_DEP_2) | instskip(SKIP_1) | instid1(VALU_DEP_3)
	v_add_nc_u32_e32 v42, 1, v14
	v_dual_mov_b32 v14, v1 :: v_dual_mov_b32 v13, v0
	s_and_saveexec_b32 s3, s1
	s_cbranch_execz .LBB1235_180
; %bb.177:
	s_delay_alu instid0(VALU_DEP_2)
	v_dual_mov_b32 v14, v1 :: v_dual_and_b32 v43, -8, v42
	v_mov_b32_e32 v16, 0
	v_dual_mov_b32 v44, v41 :: v_dual_mov_b32 v13, v0
	s_mov_b32 s7, 0
	s_mov_b32 s8, 0
.LBB1235_178:                           ; =>This Inner Loop Header: Depth=1
	s_delay_alu instid0(VALU_DEP_1) | instskip(SKIP_2) | instid1(VALU_DEP_3)
	v_dual_mov_b32 v15, v13 :: v_dual_mov_b32 v52, v16
	v_add_nc_u32_e32 v43, -8, v43
	v_dual_mov_b32 v54, v16 :: v_dual_add_nc_u32 v51, 0x100, v14
	v_lshlrev_b64 v[65:66], 1, v[15:16]
	v_dual_mov_b32 v56, v16 :: v_dual_add_nc_u32 v53, 0x200, v14
	s_delay_alu instid0(VALU_DEP_4) | instskip(NEXT) | instid1(VALU_DEP_4)
	v_cmp_eq_u32_e64 s1, 0, v43
	v_lshlrev_b64 v[51:52], 1, v[51:52]
	v_dual_mov_b32 v58, v16 :: v_dual_add_nc_u32 v55, 0x300, v14
	s_add_i32 s8, s8, 16
	v_lshlrev_b64 v[53:54], 1, v[53:54]
	s_or_b32 s7, s1, s7
	v_add_co_u32 v65, s1, v35, v65
	v_dual_mov_b32 v60, v16 :: v_dual_add_nc_u32 v57, 0x400, v14
	v_add_co_ci_u32_e64 v66, s1, v39, v66, s1
	v_lshlrev_b64 v[55:56], 1, v[55:56]
	v_add_co_u32 v51, s1, v35, v51
	v_dual_mov_b32 v62, v16 :: v_dual_add_nc_u32 v59, 0x500, v14
	v_add_co_ci_u32_e64 v52, s1, v39, v52, s1
	v_lshlrev_b64 v[57:58], 1, v[57:58]
	;; [unrolled: 4-line block ×3, first 2 shown]
	v_add_co_u32 v55, s1, v35, v55
	v_dual_mov_b32 v50, s8 :: v_dual_add_nc_u32 v63, 0x700, v14
	ds_load_u16 v1, v44
	ds_load_u16 v71, v44 offset:256
	ds_load_u16 v72, v44 offset:512
	;; [unrolled: 1-line block ×15, first 2 shown]
	v_dual_mov_b32 v15, v14 :: v_dual_add_nc_u32 v44, 0x1000, v44
	v_add_co_ci_u32_e64 v56, s1, v39, v56, s1
	v_lshlrev_b64 v[61:62], 1, v[61:62]
	v_add_co_u32 v57, s1, v35, v57
	s_delay_alu instid0(VALU_DEP_1)
	v_add_co_ci_u32_e64 v58, s1, v39, v58, s1
	v_lshlrev_b64 v[63:64], 1, v[63:64]
	v_add_co_u32 v59, s1, v35, v59
	v_lshlrev_b64 v[67:68], 1, v[15:16]
	v_add_nc_u32_e32 v15, 0x100, v13
	v_add_co_ci_u32_e64 v60, s1, v39, v60, s1
	v_add_co_u32 v61, s1, v35, v61
	s_delay_alu instid0(VALU_DEP_1)
	v_add_co_ci_u32_e64 v62, s1, v39, v62, s1
	v_add_co_u32 v63, s1, v35, v63
	v_lshlrev_b64 v[69:70], 1, v[15:16]
	v_add_nc_u32_e32 v15, 0x200, v13
	v_add_co_ci_u32_e64 v64, s1, v39, v64, s1
	v_add_co_u32 v67, s1, v35, v67
	s_delay_alu instid0(VALU_DEP_1)
	v_add_co_ci_u32_e64 v68, s1, v39, v68, s1
	s_waitcnt lgkmcnt(15)
	global_store_b16 v[65:66], v1, off
	v_lshlrev_b64 v[65:66], 1, v[15:16]
	v_add_nc_u32_e32 v15, 0x300, v13
	v_add_co_u32 v69, s1, v35, v69
	s_delay_alu instid0(VALU_DEP_1)
	v_add_co_ci_u32_e64 v70, s1, v39, v70, s1
	s_waitcnt lgkmcnt(14)
	global_store_b16 v[67:68], v71, off
	v_lshlrev_b64 v[67:68], 1, v[15:16]
	v_add_nc_u32_e32 v15, 0x400, v13
	s_waitcnt lgkmcnt(13)
	global_store_b16 v[69:70], v72, off
	s_waitcnt lgkmcnt(12)
	global_store_b16 v[51:52], v73, off
	v_add_co_u32 v51, s1, v35, v65
	s_delay_alu instid0(VALU_DEP_1) | instskip(SKIP_3) | instid1(VALU_DEP_1)
	v_add_co_ci_u32_e64 v52, s1, v39, v66, s1
	v_lshlrev_b64 v[65:66], 1, v[15:16]
	v_add_nc_u32_e32 v15, 0x500, v13
	v_add_co_u32 v67, s1, v35, v67
	v_add_co_ci_u32_e64 v68, s1, v39, v68, s1
	s_waitcnt lgkmcnt(11)
	global_store_b16 v[51:52], v74, off
	s_waitcnt lgkmcnt(10)
	global_store_b16 v[53:54], v75, off
	v_lshlrev_b64 v[51:52], 1, v[15:16]
	v_add_nc_u32_e32 v15, 0x600, v13
	v_add_co_u32 v53, s1, v35, v65
	s_waitcnt lgkmcnt(9)
	global_store_b16 v[67:68], v76, off
	s_waitcnt lgkmcnt(8)
	global_store_b16 v[55:56], v77, off
	v_add_co_ci_u32_e64 v54, s1, v39, v66, s1
	v_lshlrev_b64 v[55:56], 1, v[15:16]
	v_add_nc_u32_e32 v15, 0x700, v13
	v_add_co_u32 v51, s1, v35, v51
	s_delay_alu instid0(VALU_DEP_1)
	v_add_co_ci_u32_e64 v52, s1, v39, v52, s1
	s_waitcnt lgkmcnt(7)
	global_store_b16 v[53:54], v78, off
	s_waitcnt lgkmcnt(6)
	global_store_b16 v[57:58], v79, off
	v_lshlrev_b64 v[53:54], 1, v[15:16]
	v_add_nc_u32_e32 v14, 0x800, v14
	s_waitcnt lgkmcnt(5)
	global_store_b16 v[51:52], v80, off
	v_add_co_u32 v51, s1, v35, v55
	v_add_nc_u32_e32 v13, 0x800, v13
	v_add_co_ci_u32_e64 v52, s1, v39, v56, s1
	v_add_co_u32 v53, s1, v35, v53
	s_delay_alu instid0(VALU_DEP_1)
	v_add_co_ci_u32_e64 v54, s1, v39, v54, s1
	s_waitcnt lgkmcnt(4)
	global_store_b16 v[59:60], v81, off
	s_waitcnt lgkmcnt(3)
	global_store_b16 v[51:52], v82, off
	;; [unrolled: 2-line block ×5, first 2 shown]
	s_and_not1_b32 exec_lo, exec_lo, s7
	s_cbranch_execnz .LBB1235_178
; %bb.179:
	s_or_b32 exec_lo, exec_lo, s7
.LBB1235_180:
	s_delay_alu instid0(SALU_CYCLE_1) | instskip(SKIP_3) | instid1(VALU_DEP_1)
	s_or_b32 exec_lo, exec_lo, s3
	v_and_b32_e32 v1, 7, v42
	s_mov_b32 s8, 0
	s_mov_b32 s7, exec_lo
	v_cmpx_ne_u32_e32 0, v1
	s_cbranch_execz .LBB1235_183
; %bb.181:
	v_lshl_or_b32 v41, v50, 8, v41
	v_mov_b32_e32 v16, 0
	s_set_inst_prefetch_distance 0x1
	.p2align	6
.LBB1235_182:                           ; =>This Inner Loop Header: Depth=1
	v_mov_b32_e32 v15, v13
	ds_load_u16 v44, v41
	ds_load_u16 v52, v41 offset:256
	v_add_nc_u32_e32 v1, -1, v1
	v_add_nc_u32_e32 v13, 0x100, v13
	v_add_nc_u32_e32 v41, 0x200, v41
	v_lshlrev_b64 v[42:43], 1, v[15:16]
	v_dual_mov_b32 v15, v14 :: v_dual_add_nc_u32 v14, 0x100, v14
	v_cmp_eq_u32_e64 s1, 0, v1
	s_delay_alu instid0(VALU_DEP_2) | instskip(NEXT) | instid1(VALU_DEP_4)
	v_lshlrev_b64 v[50:51], 1, v[15:16]
	v_add_co_u32 v42, s3, v35, v42
	s_delay_alu instid0(VALU_DEP_1) | instskip(NEXT) | instid1(VALU_DEP_4)
	v_add_co_ci_u32_e64 v43, s3, v39, v43, s3
	s_or_b32 s8, s1, s8
	s_delay_alu instid0(VALU_DEP_3) | instskip(NEXT) | instid1(VALU_DEP_1)
	v_add_co_u32 v50, s3, v35, v50
	v_add_co_ci_u32_e64 v51, s3, v39, v51, s3
	s_waitcnt lgkmcnt(1)
	global_store_b16 v[42:43], v44, off
	s_waitcnt lgkmcnt(0)
	global_store_b16 v[50:51], v52, off
	s_and_not1_b32 exec_lo, exec_lo, s8
	s_cbranch_execnz .LBB1235_182
.LBB1235_183:
	s_set_inst_prefetch_distance 0x2
	s_or_b32 exec_lo, exec_lo, s7
	v_add_nc_u32_e32 v1, 1, v40
	s_delay_alu instid0(VALU_DEP_1) | instskip(NEXT) | instid1(VALU_DEP_1)
	v_and_b32_e32 v13, 0x3fffffe, v1
	v_cmp_ne_u32_e64 s1, v1, v13
	v_lshl_or_b32 v0, v13, 7, v0
	s_delay_alu instid0(VALU_DEP_2)
	s_or_not1_b32 s3, s1, exec_lo
.LBB1235_184:
	s_or_b32 exec_lo, exec_lo, s6
	s_delay_alu instid0(SALU_CYCLE_1) | instskip(SKIP_1) | instid1(SALU_CYCLE_1)
	s_and_not1_b32 s1, vcc_lo, exec_lo
	s_and_b32 s3, s3, exec_lo
	s_or_b32 vcc_lo, s1, s3
.LBB1235_185:
	s_or_b32 exec_lo, exec_lo, s5
	s_delay_alu instid0(SALU_CYCLE_1)
	s_and_b32 exec_lo, exec_lo, vcc_lo
	s_cbranch_execz .LBB1235_188
; %bb.186:
	v_lshlrev_b32_e32 v13, 1, v0
	v_mov_b32_e32 v1, 0
	s_mov_b32 s3, 0
	.p2align	6
.LBB1235_187:                           ; =>This Inner Loop Header: Depth=1
	ds_load_u16 v16, v13
	v_lshlrev_b64 v[14:15], 1, v[0:1]
	v_add_nc_u32_e32 v0, 0x80, v0
	v_add_nc_u32_e32 v13, 0x100, v13
	s_delay_alu instid0(VALU_DEP_2) | instskip(NEXT) | instid1(VALU_DEP_4)
	v_cmp_ge_u32_e32 vcc_lo, v0, v17
	v_add_co_u32 v14, s1, v35, v14
	s_delay_alu instid0(VALU_DEP_1)
	v_add_co_ci_u32_e64 v15, s1, v39, v15, s1
	s_or_b32 s3, vcc_lo, s3
	s_waitcnt lgkmcnt(0)
	global_store_b16 v[14:15], v16, off
	s_and_not1_b32 exec_lo, exec_lo, s3
	s_cbranch_execnz .LBB1235_187
.LBB1235_188:
	s_or_b32 exec_lo, exec_lo, s4
.LBB1235_189:
	s_delay_alu instid0(SALU_CYCLE_1)
	s_and_not1_b32 vcc_lo, exec_lo, s0
	s_waitcnt_vscnt null, 0x0
	s_barrier
	buffer_gl0_inv
	s_cbranch_vccz .LBB1235_192
; %bb.190:
	s_and_b32 s0, s2, s14
	s_delay_alu instid0(SALU_CYCLE_1)
	s_and_saveexec_b32 s1, s0
	s_cbranch_execnz .LBB1235_215
.LBB1235_191:
	s_endpgm
.LBB1235_192:
	s_mov_b32 s0, exec_lo
	v_cmpx_eq_u32_e32 1, v32
	s_cbranch_execz .LBB1235_194
; %bb.193:
	v_sub_nc_u32_e32 v0, v2, v34
	s_delay_alu instid0(VALU_DEP_1)
	v_lshlrev_b32_e32 v0, 2, v0
	ds_store_b32 v0, v30
.LBB1235_194:
	s_or_b32 exec_lo, exec_lo, s0
	v_and_b32_e32 v0, 1, v49
	s_mov_b32 s0, exec_lo
	s_delay_alu instid0(VALU_DEP_1)
	v_cmpx_eq_u32_e32 1, v0
	s_cbranch_execz .LBB1235_196
; %bb.195:
	v_sub_nc_u32_e32 v0, v3, v34
	s_delay_alu instid0(VALU_DEP_1)
	v_lshlrev_b32_e32 v0, 2, v0
	ds_store_b32 v0, v31
.LBB1235_196:
	s_or_b32 exec_lo, exec_lo, s0
	v_and_b32_e32 v0, 1, v48
	s_mov_b32 s0, exec_lo
	s_delay_alu instid0(VALU_DEP_1)
	;; [unrolled: 12-line block ×10, first 2 shown]
	v_cmpx_eq_u32_e32 1, v0
	s_cbranch_execz .LBB1235_214
; %bb.213:
	v_sub_nc_u32_e32 v0, v12, v34
	s_delay_alu instid0(VALU_DEP_1)
	v_lshlrev_b32_e32 v0, 2, v0
	ds_store_b32 v0, v38
.LBB1235_214:
	s_or_b32 exec_lo, exec_lo, s0
	s_waitcnt lgkmcnt(0)
	s_barrier
	buffer_gl0_inv
	s_and_b32 s0, s2, s14
	s_delay_alu instid0(SALU_CYCLE_1)
	s_and_saveexec_b32 s1, s0
	s_cbranch_execz .LBB1235_191
.LBB1235_215:
	v_add_co_u32 v0, vcc_lo, v20, v17
	v_add_co_ci_u32_e32 v1, vcc_lo, 0, v21, vcc_lo
	v_mov_b32_e32 v2, 0
	s_delay_alu instid0(VALU_DEP_3) | instskip(NEXT) | instid1(VALU_DEP_3)
	v_add_co_u32 v0, vcc_lo, v0, v34
	v_add_co_ci_u32_e32 v1, vcc_lo, 0, v1, vcc_lo
	global_store_b64 v2, v[0:1], s[12:13]
	s_nop 0
	s_sendmsg sendmsg(MSG_DEALLOC_VGPRS)
	s_endpgm
.LBB1235_216:
	s_or_b32 exec_lo, exec_lo, s1
	s_and_saveexec_b32 s1, s24
	s_cbranch_execnz .LBB1235_76
	s_branch .LBB1235_77
	.section	.rodata,"a",@progbits
	.p2align	6, 0x0
	.amdhsa_kernel _ZN7rocprim17ROCPRIM_400000_NS6detail17trampoline_kernelINS0_14default_configENS1_25partition_config_selectorILNS1_17partition_subalgoE9EsjbEEZZNS1_14partition_implILS5_9ELb0ES3_jN6thrust23THRUST_200600_302600_NS6detail15normal_iteratorINS9_10device_ptrIsEEEENSB_INSC_IjEEEEPNS0_10empty_typeENS0_5tupleIJSE_SH_EEENSJ_IJNS9_16discard_iteratorINS9_11use_defaultEEESI_EEENS0_18inequality_wrapperINS9_8equal_toIsEEEEPmJSH_EEE10hipError_tPvRmT3_T4_T5_T6_T7_T9_mT8_P12ihipStream_tbDpT10_ENKUlT_T0_E_clISt17integral_constantIbLb0EES1C_IbLb1EEEEDaS18_S19_EUlS18_E_NS1_11comp_targetILNS1_3genE9ELNS1_11target_archE1100ELNS1_3gpuE3ELNS1_3repE0EEENS1_30default_config_static_selectorELNS0_4arch9wavefront6targetE0EEEvT1_
		.amdhsa_group_segment_fixed_size 5640
		.amdhsa_private_segment_fixed_size 0
		.amdhsa_kernarg_size 136
		.amdhsa_user_sgpr_count 15
		.amdhsa_user_sgpr_dispatch_ptr 0
		.amdhsa_user_sgpr_queue_ptr 0
		.amdhsa_user_sgpr_kernarg_segment_ptr 1
		.amdhsa_user_sgpr_dispatch_id 0
		.amdhsa_user_sgpr_private_segment_size 0
		.amdhsa_wavefront_size32 1
		.amdhsa_uses_dynamic_stack 0
		.amdhsa_enable_private_segment 0
		.amdhsa_system_sgpr_workgroup_id_x 1
		.amdhsa_system_sgpr_workgroup_id_y 0
		.amdhsa_system_sgpr_workgroup_id_z 0
		.amdhsa_system_sgpr_workgroup_info 0
		.amdhsa_system_vgpr_workitem_id 0
		.amdhsa_next_free_vgpr 86
		.amdhsa_next_free_sgpr 26
		.amdhsa_reserve_vcc 1
		.amdhsa_float_round_mode_32 0
		.amdhsa_float_round_mode_16_64 0
		.amdhsa_float_denorm_mode_32 3
		.amdhsa_float_denorm_mode_16_64 3
		.amdhsa_dx10_clamp 1
		.amdhsa_ieee_mode 1
		.amdhsa_fp16_overflow 0
		.amdhsa_workgroup_processor_mode 1
		.amdhsa_memory_ordered 1
		.amdhsa_forward_progress 0
		.amdhsa_shared_vgpr_count 0
		.amdhsa_exception_fp_ieee_invalid_op 0
		.amdhsa_exception_fp_denorm_src 0
		.amdhsa_exception_fp_ieee_div_zero 0
		.amdhsa_exception_fp_ieee_overflow 0
		.amdhsa_exception_fp_ieee_underflow 0
		.amdhsa_exception_fp_ieee_inexact 0
		.amdhsa_exception_int_div_zero 0
	.end_amdhsa_kernel
	.section	.text._ZN7rocprim17ROCPRIM_400000_NS6detail17trampoline_kernelINS0_14default_configENS1_25partition_config_selectorILNS1_17partition_subalgoE9EsjbEEZZNS1_14partition_implILS5_9ELb0ES3_jN6thrust23THRUST_200600_302600_NS6detail15normal_iteratorINS9_10device_ptrIsEEEENSB_INSC_IjEEEEPNS0_10empty_typeENS0_5tupleIJSE_SH_EEENSJ_IJNS9_16discard_iteratorINS9_11use_defaultEEESI_EEENS0_18inequality_wrapperINS9_8equal_toIsEEEEPmJSH_EEE10hipError_tPvRmT3_T4_T5_T6_T7_T9_mT8_P12ihipStream_tbDpT10_ENKUlT_T0_E_clISt17integral_constantIbLb0EES1C_IbLb1EEEEDaS18_S19_EUlS18_E_NS1_11comp_targetILNS1_3genE9ELNS1_11target_archE1100ELNS1_3gpuE3ELNS1_3repE0EEENS1_30default_config_static_selectorELNS0_4arch9wavefront6targetE0EEEvT1_,"axG",@progbits,_ZN7rocprim17ROCPRIM_400000_NS6detail17trampoline_kernelINS0_14default_configENS1_25partition_config_selectorILNS1_17partition_subalgoE9EsjbEEZZNS1_14partition_implILS5_9ELb0ES3_jN6thrust23THRUST_200600_302600_NS6detail15normal_iteratorINS9_10device_ptrIsEEEENSB_INSC_IjEEEEPNS0_10empty_typeENS0_5tupleIJSE_SH_EEENSJ_IJNS9_16discard_iteratorINS9_11use_defaultEEESI_EEENS0_18inequality_wrapperINS9_8equal_toIsEEEEPmJSH_EEE10hipError_tPvRmT3_T4_T5_T6_T7_T9_mT8_P12ihipStream_tbDpT10_ENKUlT_T0_E_clISt17integral_constantIbLb0EES1C_IbLb1EEEEDaS18_S19_EUlS18_E_NS1_11comp_targetILNS1_3genE9ELNS1_11target_archE1100ELNS1_3gpuE3ELNS1_3repE0EEENS1_30default_config_static_selectorELNS0_4arch9wavefront6targetE0EEEvT1_,comdat
.Lfunc_end1235:
	.size	_ZN7rocprim17ROCPRIM_400000_NS6detail17trampoline_kernelINS0_14default_configENS1_25partition_config_selectorILNS1_17partition_subalgoE9EsjbEEZZNS1_14partition_implILS5_9ELb0ES3_jN6thrust23THRUST_200600_302600_NS6detail15normal_iteratorINS9_10device_ptrIsEEEENSB_INSC_IjEEEEPNS0_10empty_typeENS0_5tupleIJSE_SH_EEENSJ_IJNS9_16discard_iteratorINS9_11use_defaultEEESI_EEENS0_18inequality_wrapperINS9_8equal_toIsEEEEPmJSH_EEE10hipError_tPvRmT3_T4_T5_T6_T7_T9_mT8_P12ihipStream_tbDpT10_ENKUlT_T0_E_clISt17integral_constantIbLb0EES1C_IbLb1EEEEDaS18_S19_EUlS18_E_NS1_11comp_targetILNS1_3genE9ELNS1_11target_archE1100ELNS1_3gpuE3ELNS1_3repE0EEENS1_30default_config_static_selectorELNS0_4arch9wavefront6targetE0EEEvT1_, .Lfunc_end1235-_ZN7rocprim17ROCPRIM_400000_NS6detail17trampoline_kernelINS0_14default_configENS1_25partition_config_selectorILNS1_17partition_subalgoE9EsjbEEZZNS1_14partition_implILS5_9ELb0ES3_jN6thrust23THRUST_200600_302600_NS6detail15normal_iteratorINS9_10device_ptrIsEEEENSB_INSC_IjEEEEPNS0_10empty_typeENS0_5tupleIJSE_SH_EEENSJ_IJNS9_16discard_iteratorINS9_11use_defaultEEESI_EEENS0_18inequality_wrapperINS9_8equal_toIsEEEEPmJSH_EEE10hipError_tPvRmT3_T4_T5_T6_T7_T9_mT8_P12ihipStream_tbDpT10_ENKUlT_T0_E_clISt17integral_constantIbLb0EES1C_IbLb1EEEEDaS18_S19_EUlS18_E_NS1_11comp_targetILNS1_3genE9ELNS1_11target_archE1100ELNS1_3gpuE3ELNS1_3repE0EEENS1_30default_config_static_selectorELNS0_4arch9wavefront6targetE0EEEvT1_
                                        ; -- End function
	.section	.AMDGPU.csdata,"",@progbits
; Kernel info:
; codeLenInByte = 10820
; NumSgprs: 28
; NumVgprs: 86
; ScratchSize: 0
; MemoryBound: 0
; FloatMode: 240
; IeeeMode: 1
; LDSByteSize: 5640 bytes/workgroup (compile time only)
; SGPRBlocks: 3
; VGPRBlocks: 10
; NumSGPRsForWavesPerEU: 28
; NumVGPRsForWavesPerEU: 86
; Occupancy: 16
; WaveLimiterHint : 1
; COMPUTE_PGM_RSRC2:SCRATCH_EN: 0
; COMPUTE_PGM_RSRC2:USER_SGPR: 15
; COMPUTE_PGM_RSRC2:TRAP_HANDLER: 0
; COMPUTE_PGM_RSRC2:TGID_X_EN: 1
; COMPUTE_PGM_RSRC2:TGID_Y_EN: 0
; COMPUTE_PGM_RSRC2:TGID_Z_EN: 0
; COMPUTE_PGM_RSRC2:TIDIG_COMP_CNT: 0
	.section	.text._ZN7rocprim17ROCPRIM_400000_NS6detail17trampoline_kernelINS0_14default_configENS1_25partition_config_selectorILNS1_17partition_subalgoE9EsjbEEZZNS1_14partition_implILS5_9ELb0ES3_jN6thrust23THRUST_200600_302600_NS6detail15normal_iteratorINS9_10device_ptrIsEEEENSB_INSC_IjEEEEPNS0_10empty_typeENS0_5tupleIJSE_SH_EEENSJ_IJNS9_16discard_iteratorINS9_11use_defaultEEESI_EEENS0_18inequality_wrapperINS9_8equal_toIsEEEEPmJSH_EEE10hipError_tPvRmT3_T4_T5_T6_T7_T9_mT8_P12ihipStream_tbDpT10_ENKUlT_T0_E_clISt17integral_constantIbLb0EES1C_IbLb1EEEEDaS18_S19_EUlS18_E_NS1_11comp_targetILNS1_3genE8ELNS1_11target_archE1030ELNS1_3gpuE2ELNS1_3repE0EEENS1_30default_config_static_selectorELNS0_4arch9wavefront6targetE0EEEvT1_,"axG",@progbits,_ZN7rocprim17ROCPRIM_400000_NS6detail17trampoline_kernelINS0_14default_configENS1_25partition_config_selectorILNS1_17partition_subalgoE9EsjbEEZZNS1_14partition_implILS5_9ELb0ES3_jN6thrust23THRUST_200600_302600_NS6detail15normal_iteratorINS9_10device_ptrIsEEEENSB_INSC_IjEEEEPNS0_10empty_typeENS0_5tupleIJSE_SH_EEENSJ_IJNS9_16discard_iteratorINS9_11use_defaultEEESI_EEENS0_18inequality_wrapperINS9_8equal_toIsEEEEPmJSH_EEE10hipError_tPvRmT3_T4_T5_T6_T7_T9_mT8_P12ihipStream_tbDpT10_ENKUlT_T0_E_clISt17integral_constantIbLb0EES1C_IbLb1EEEEDaS18_S19_EUlS18_E_NS1_11comp_targetILNS1_3genE8ELNS1_11target_archE1030ELNS1_3gpuE2ELNS1_3repE0EEENS1_30default_config_static_selectorELNS0_4arch9wavefront6targetE0EEEvT1_,comdat
	.protected	_ZN7rocprim17ROCPRIM_400000_NS6detail17trampoline_kernelINS0_14default_configENS1_25partition_config_selectorILNS1_17partition_subalgoE9EsjbEEZZNS1_14partition_implILS5_9ELb0ES3_jN6thrust23THRUST_200600_302600_NS6detail15normal_iteratorINS9_10device_ptrIsEEEENSB_INSC_IjEEEEPNS0_10empty_typeENS0_5tupleIJSE_SH_EEENSJ_IJNS9_16discard_iteratorINS9_11use_defaultEEESI_EEENS0_18inequality_wrapperINS9_8equal_toIsEEEEPmJSH_EEE10hipError_tPvRmT3_T4_T5_T6_T7_T9_mT8_P12ihipStream_tbDpT10_ENKUlT_T0_E_clISt17integral_constantIbLb0EES1C_IbLb1EEEEDaS18_S19_EUlS18_E_NS1_11comp_targetILNS1_3genE8ELNS1_11target_archE1030ELNS1_3gpuE2ELNS1_3repE0EEENS1_30default_config_static_selectorELNS0_4arch9wavefront6targetE0EEEvT1_ ; -- Begin function _ZN7rocprim17ROCPRIM_400000_NS6detail17trampoline_kernelINS0_14default_configENS1_25partition_config_selectorILNS1_17partition_subalgoE9EsjbEEZZNS1_14partition_implILS5_9ELb0ES3_jN6thrust23THRUST_200600_302600_NS6detail15normal_iteratorINS9_10device_ptrIsEEEENSB_INSC_IjEEEEPNS0_10empty_typeENS0_5tupleIJSE_SH_EEENSJ_IJNS9_16discard_iteratorINS9_11use_defaultEEESI_EEENS0_18inequality_wrapperINS9_8equal_toIsEEEEPmJSH_EEE10hipError_tPvRmT3_T4_T5_T6_T7_T9_mT8_P12ihipStream_tbDpT10_ENKUlT_T0_E_clISt17integral_constantIbLb0EES1C_IbLb1EEEEDaS18_S19_EUlS18_E_NS1_11comp_targetILNS1_3genE8ELNS1_11target_archE1030ELNS1_3gpuE2ELNS1_3repE0EEENS1_30default_config_static_selectorELNS0_4arch9wavefront6targetE0EEEvT1_
	.globl	_ZN7rocprim17ROCPRIM_400000_NS6detail17trampoline_kernelINS0_14default_configENS1_25partition_config_selectorILNS1_17partition_subalgoE9EsjbEEZZNS1_14partition_implILS5_9ELb0ES3_jN6thrust23THRUST_200600_302600_NS6detail15normal_iteratorINS9_10device_ptrIsEEEENSB_INSC_IjEEEEPNS0_10empty_typeENS0_5tupleIJSE_SH_EEENSJ_IJNS9_16discard_iteratorINS9_11use_defaultEEESI_EEENS0_18inequality_wrapperINS9_8equal_toIsEEEEPmJSH_EEE10hipError_tPvRmT3_T4_T5_T6_T7_T9_mT8_P12ihipStream_tbDpT10_ENKUlT_T0_E_clISt17integral_constantIbLb0EES1C_IbLb1EEEEDaS18_S19_EUlS18_E_NS1_11comp_targetILNS1_3genE8ELNS1_11target_archE1030ELNS1_3gpuE2ELNS1_3repE0EEENS1_30default_config_static_selectorELNS0_4arch9wavefront6targetE0EEEvT1_
	.p2align	8
	.type	_ZN7rocprim17ROCPRIM_400000_NS6detail17trampoline_kernelINS0_14default_configENS1_25partition_config_selectorILNS1_17partition_subalgoE9EsjbEEZZNS1_14partition_implILS5_9ELb0ES3_jN6thrust23THRUST_200600_302600_NS6detail15normal_iteratorINS9_10device_ptrIsEEEENSB_INSC_IjEEEEPNS0_10empty_typeENS0_5tupleIJSE_SH_EEENSJ_IJNS9_16discard_iteratorINS9_11use_defaultEEESI_EEENS0_18inequality_wrapperINS9_8equal_toIsEEEEPmJSH_EEE10hipError_tPvRmT3_T4_T5_T6_T7_T9_mT8_P12ihipStream_tbDpT10_ENKUlT_T0_E_clISt17integral_constantIbLb0EES1C_IbLb1EEEEDaS18_S19_EUlS18_E_NS1_11comp_targetILNS1_3genE8ELNS1_11target_archE1030ELNS1_3gpuE2ELNS1_3repE0EEENS1_30default_config_static_selectorELNS0_4arch9wavefront6targetE0EEEvT1_,@function
_ZN7rocprim17ROCPRIM_400000_NS6detail17trampoline_kernelINS0_14default_configENS1_25partition_config_selectorILNS1_17partition_subalgoE9EsjbEEZZNS1_14partition_implILS5_9ELb0ES3_jN6thrust23THRUST_200600_302600_NS6detail15normal_iteratorINS9_10device_ptrIsEEEENSB_INSC_IjEEEEPNS0_10empty_typeENS0_5tupleIJSE_SH_EEENSJ_IJNS9_16discard_iteratorINS9_11use_defaultEEESI_EEENS0_18inequality_wrapperINS9_8equal_toIsEEEEPmJSH_EEE10hipError_tPvRmT3_T4_T5_T6_T7_T9_mT8_P12ihipStream_tbDpT10_ENKUlT_T0_E_clISt17integral_constantIbLb0EES1C_IbLb1EEEEDaS18_S19_EUlS18_E_NS1_11comp_targetILNS1_3genE8ELNS1_11target_archE1030ELNS1_3gpuE2ELNS1_3repE0EEENS1_30default_config_static_selectorELNS0_4arch9wavefront6targetE0EEEvT1_: ; @_ZN7rocprim17ROCPRIM_400000_NS6detail17trampoline_kernelINS0_14default_configENS1_25partition_config_selectorILNS1_17partition_subalgoE9EsjbEEZZNS1_14partition_implILS5_9ELb0ES3_jN6thrust23THRUST_200600_302600_NS6detail15normal_iteratorINS9_10device_ptrIsEEEENSB_INSC_IjEEEEPNS0_10empty_typeENS0_5tupleIJSE_SH_EEENSJ_IJNS9_16discard_iteratorINS9_11use_defaultEEESI_EEENS0_18inequality_wrapperINS9_8equal_toIsEEEEPmJSH_EEE10hipError_tPvRmT3_T4_T5_T6_T7_T9_mT8_P12ihipStream_tbDpT10_ENKUlT_T0_E_clISt17integral_constantIbLb0EES1C_IbLb1EEEEDaS18_S19_EUlS18_E_NS1_11comp_targetILNS1_3genE8ELNS1_11target_archE1030ELNS1_3gpuE2ELNS1_3repE0EEENS1_30default_config_static_selectorELNS0_4arch9wavefront6targetE0EEEvT1_
; %bb.0:
	.section	.rodata,"a",@progbits
	.p2align	6, 0x0
	.amdhsa_kernel _ZN7rocprim17ROCPRIM_400000_NS6detail17trampoline_kernelINS0_14default_configENS1_25partition_config_selectorILNS1_17partition_subalgoE9EsjbEEZZNS1_14partition_implILS5_9ELb0ES3_jN6thrust23THRUST_200600_302600_NS6detail15normal_iteratorINS9_10device_ptrIsEEEENSB_INSC_IjEEEEPNS0_10empty_typeENS0_5tupleIJSE_SH_EEENSJ_IJNS9_16discard_iteratorINS9_11use_defaultEEESI_EEENS0_18inequality_wrapperINS9_8equal_toIsEEEEPmJSH_EEE10hipError_tPvRmT3_T4_T5_T6_T7_T9_mT8_P12ihipStream_tbDpT10_ENKUlT_T0_E_clISt17integral_constantIbLb0EES1C_IbLb1EEEEDaS18_S19_EUlS18_E_NS1_11comp_targetILNS1_3genE8ELNS1_11target_archE1030ELNS1_3gpuE2ELNS1_3repE0EEENS1_30default_config_static_selectorELNS0_4arch9wavefront6targetE0EEEvT1_
		.amdhsa_group_segment_fixed_size 0
		.amdhsa_private_segment_fixed_size 0
		.amdhsa_kernarg_size 136
		.amdhsa_user_sgpr_count 15
		.amdhsa_user_sgpr_dispatch_ptr 0
		.amdhsa_user_sgpr_queue_ptr 0
		.amdhsa_user_sgpr_kernarg_segment_ptr 1
		.amdhsa_user_sgpr_dispatch_id 0
		.amdhsa_user_sgpr_private_segment_size 0
		.amdhsa_wavefront_size32 1
		.amdhsa_uses_dynamic_stack 0
		.amdhsa_enable_private_segment 0
		.amdhsa_system_sgpr_workgroup_id_x 1
		.amdhsa_system_sgpr_workgroup_id_y 0
		.amdhsa_system_sgpr_workgroup_id_z 0
		.amdhsa_system_sgpr_workgroup_info 0
		.amdhsa_system_vgpr_workitem_id 0
		.amdhsa_next_free_vgpr 1
		.amdhsa_next_free_sgpr 1
		.amdhsa_reserve_vcc 0
		.amdhsa_float_round_mode_32 0
		.amdhsa_float_round_mode_16_64 0
		.amdhsa_float_denorm_mode_32 3
		.amdhsa_float_denorm_mode_16_64 3
		.amdhsa_dx10_clamp 1
		.amdhsa_ieee_mode 1
		.amdhsa_fp16_overflow 0
		.amdhsa_workgroup_processor_mode 1
		.amdhsa_memory_ordered 1
		.amdhsa_forward_progress 0
		.amdhsa_shared_vgpr_count 0
		.amdhsa_exception_fp_ieee_invalid_op 0
		.amdhsa_exception_fp_denorm_src 0
		.amdhsa_exception_fp_ieee_div_zero 0
		.amdhsa_exception_fp_ieee_overflow 0
		.amdhsa_exception_fp_ieee_underflow 0
		.amdhsa_exception_fp_ieee_inexact 0
		.amdhsa_exception_int_div_zero 0
	.end_amdhsa_kernel
	.section	.text._ZN7rocprim17ROCPRIM_400000_NS6detail17trampoline_kernelINS0_14default_configENS1_25partition_config_selectorILNS1_17partition_subalgoE9EsjbEEZZNS1_14partition_implILS5_9ELb0ES3_jN6thrust23THRUST_200600_302600_NS6detail15normal_iteratorINS9_10device_ptrIsEEEENSB_INSC_IjEEEEPNS0_10empty_typeENS0_5tupleIJSE_SH_EEENSJ_IJNS9_16discard_iteratorINS9_11use_defaultEEESI_EEENS0_18inequality_wrapperINS9_8equal_toIsEEEEPmJSH_EEE10hipError_tPvRmT3_T4_T5_T6_T7_T9_mT8_P12ihipStream_tbDpT10_ENKUlT_T0_E_clISt17integral_constantIbLb0EES1C_IbLb1EEEEDaS18_S19_EUlS18_E_NS1_11comp_targetILNS1_3genE8ELNS1_11target_archE1030ELNS1_3gpuE2ELNS1_3repE0EEENS1_30default_config_static_selectorELNS0_4arch9wavefront6targetE0EEEvT1_,"axG",@progbits,_ZN7rocprim17ROCPRIM_400000_NS6detail17trampoline_kernelINS0_14default_configENS1_25partition_config_selectorILNS1_17partition_subalgoE9EsjbEEZZNS1_14partition_implILS5_9ELb0ES3_jN6thrust23THRUST_200600_302600_NS6detail15normal_iteratorINS9_10device_ptrIsEEEENSB_INSC_IjEEEEPNS0_10empty_typeENS0_5tupleIJSE_SH_EEENSJ_IJNS9_16discard_iteratorINS9_11use_defaultEEESI_EEENS0_18inequality_wrapperINS9_8equal_toIsEEEEPmJSH_EEE10hipError_tPvRmT3_T4_T5_T6_T7_T9_mT8_P12ihipStream_tbDpT10_ENKUlT_T0_E_clISt17integral_constantIbLb0EES1C_IbLb1EEEEDaS18_S19_EUlS18_E_NS1_11comp_targetILNS1_3genE8ELNS1_11target_archE1030ELNS1_3gpuE2ELNS1_3repE0EEENS1_30default_config_static_selectorELNS0_4arch9wavefront6targetE0EEEvT1_,comdat
.Lfunc_end1236:
	.size	_ZN7rocprim17ROCPRIM_400000_NS6detail17trampoline_kernelINS0_14default_configENS1_25partition_config_selectorILNS1_17partition_subalgoE9EsjbEEZZNS1_14partition_implILS5_9ELb0ES3_jN6thrust23THRUST_200600_302600_NS6detail15normal_iteratorINS9_10device_ptrIsEEEENSB_INSC_IjEEEEPNS0_10empty_typeENS0_5tupleIJSE_SH_EEENSJ_IJNS9_16discard_iteratorINS9_11use_defaultEEESI_EEENS0_18inequality_wrapperINS9_8equal_toIsEEEEPmJSH_EEE10hipError_tPvRmT3_T4_T5_T6_T7_T9_mT8_P12ihipStream_tbDpT10_ENKUlT_T0_E_clISt17integral_constantIbLb0EES1C_IbLb1EEEEDaS18_S19_EUlS18_E_NS1_11comp_targetILNS1_3genE8ELNS1_11target_archE1030ELNS1_3gpuE2ELNS1_3repE0EEENS1_30default_config_static_selectorELNS0_4arch9wavefront6targetE0EEEvT1_, .Lfunc_end1236-_ZN7rocprim17ROCPRIM_400000_NS6detail17trampoline_kernelINS0_14default_configENS1_25partition_config_selectorILNS1_17partition_subalgoE9EsjbEEZZNS1_14partition_implILS5_9ELb0ES3_jN6thrust23THRUST_200600_302600_NS6detail15normal_iteratorINS9_10device_ptrIsEEEENSB_INSC_IjEEEEPNS0_10empty_typeENS0_5tupleIJSE_SH_EEENSJ_IJNS9_16discard_iteratorINS9_11use_defaultEEESI_EEENS0_18inequality_wrapperINS9_8equal_toIsEEEEPmJSH_EEE10hipError_tPvRmT3_T4_T5_T6_T7_T9_mT8_P12ihipStream_tbDpT10_ENKUlT_T0_E_clISt17integral_constantIbLb0EES1C_IbLb1EEEEDaS18_S19_EUlS18_E_NS1_11comp_targetILNS1_3genE8ELNS1_11target_archE1030ELNS1_3gpuE2ELNS1_3repE0EEENS1_30default_config_static_selectorELNS0_4arch9wavefront6targetE0EEEvT1_
                                        ; -- End function
	.section	.AMDGPU.csdata,"",@progbits
; Kernel info:
; codeLenInByte = 0
; NumSgprs: 0
; NumVgprs: 0
; ScratchSize: 0
; MemoryBound: 0
; FloatMode: 240
; IeeeMode: 1
; LDSByteSize: 0 bytes/workgroup (compile time only)
; SGPRBlocks: 0
; VGPRBlocks: 0
; NumSGPRsForWavesPerEU: 1
; NumVGPRsForWavesPerEU: 1
; Occupancy: 16
; WaveLimiterHint : 0
; COMPUTE_PGM_RSRC2:SCRATCH_EN: 0
; COMPUTE_PGM_RSRC2:USER_SGPR: 15
; COMPUTE_PGM_RSRC2:TRAP_HANDLER: 0
; COMPUTE_PGM_RSRC2:TGID_X_EN: 1
; COMPUTE_PGM_RSRC2:TGID_Y_EN: 0
; COMPUTE_PGM_RSRC2:TGID_Z_EN: 0
; COMPUTE_PGM_RSRC2:TIDIG_COMP_CNT: 0
	.section	.text._ZN7rocprim17ROCPRIM_400000_NS6detail17trampoline_kernelINS0_14default_configENS1_25partition_config_selectorILNS1_17partition_subalgoE9EsjbEEZZNS1_14partition_implILS5_9ELb0ES3_jN6thrust23THRUST_200600_302600_NS6detail15normal_iteratorINS9_10device_ptrIsEEEENSB_INSC_IjEEEEPNS0_10empty_typeENS0_5tupleIJNS9_16discard_iteratorINS9_11use_defaultEEESH_EEENSJ_IJSG_SI_EEENS0_18inequality_wrapperINS9_8equal_toIsEEEEPmJSH_EEE10hipError_tPvRmT3_T4_T5_T6_T7_T9_mT8_P12ihipStream_tbDpT10_ENKUlT_T0_E_clISt17integral_constantIbLb0EES1D_EEDaS18_S19_EUlS18_E_NS1_11comp_targetILNS1_3genE0ELNS1_11target_archE4294967295ELNS1_3gpuE0ELNS1_3repE0EEENS1_30default_config_static_selectorELNS0_4arch9wavefront6targetE0EEEvT1_,"axG",@progbits,_ZN7rocprim17ROCPRIM_400000_NS6detail17trampoline_kernelINS0_14default_configENS1_25partition_config_selectorILNS1_17partition_subalgoE9EsjbEEZZNS1_14partition_implILS5_9ELb0ES3_jN6thrust23THRUST_200600_302600_NS6detail15normal_iteratorINS9_10device_ptrIsEEEENSB_INSC_IjEEEEPNS0_10empty_typeENS0_5tupleIJNS9_16discard_iteratorINS9_11use_defaultEEESH_EEENSJ_IJSG_SI_EEENS0_18inequality_wrapperINS9_8equal_toIsEEEEPmJSH_EEE10hipError_tPvRmT3_T4_T5_T6_T7_T9_mT8_P12ihipStream_tbDpT10_ENKUlT_T0_E_clISt17integral_constantIbLb0EES1D_EEDaS18_S19_EUlS18_E_NS1_11comp_targetILNS1_3genE0ELNS1_11target_archE4294967295ELNS1_3gpuE0ELNS1_3repE0EEENS1_30default_config_static_selectorELNS0_4arch9wavefront6targetE0EEEvT1_,comdat
	.protected	_ZN7rocprim17ROCPRIM_400000_NS6detail17trampoline_kernelINS0_14default_configENS1_25partition_config_selectorILNS1_17partition_subalgoE9EsjbEEZZNS1_14partition_implILS5_9ELb0ES3_jN6thrust23THRUST_200600_302600_NS6detail15normal_iteratorINS9_10device_ptrIsEEEENSB_INSC_IjEEEEPNS0_10empty_typeENS0_5tupleIJNS9_16discard_iteratorINS9_11use_defaultEEESH_EEENSJ_IJSG_SI_EEENS0_18inequality_wrapperINS9_8equal_toIsEEEEPmJSH_EEE10hipError_tPvRmT3_T4_T5_T6_T7_T9_mT8_P12ihipStream_tbDpT10_ENKUlT_T0_E_clISt17integral_constantIbLb0EES1D_EEDaS18_S19_EUlS18_E_NS1_11comp_targetILNS1_3genE0ELNS1_11target_archE4294967295ELNS1_3gpuE0ELNS1_3repE0EEENS1_30default_config_static_selectorELNS0_4arch9wavefront6targetE0EEEvT1_ ; -- Begin function _ZN7rocprim17ROCPRIM_400000_NS6detail17trampoline_kernelINS0_14default_configENS1_25partition_config_selectorILNS1_17partition_subalgoE9EsjbEEZZNS1_14partition_implILS5_9ELb0ES3_jN6thrust23THRUST_200600_302600_NS6detail15normal_iteratorINS9_10device_ptrIsEEEENSB_INSC_IjEEEEPNS0_10empty_typeENS0_5tupleIJNS9_16discard_iteratorINS9_11use_defaultEEESH_EEENSJ_IJSG_SI_EEENS0_18inequality_wrapperINS9_8equal_toIsEEEEPmJSH_EEE10hipError_tPvRmT3_T4_T5_T6_T7_T9_mT8_P12ihipStream_tbDpT10_ENKUlT_T0_E_clISt17integral_constantIbLb0EES1D_EEDaS18_S19_EUlS18_E_NS1_11comp_targetILNS1_3genE0ELNS1_11target_archE4294967295ELNS1_3gpuE0ELNS1_3repE0EEENS1_30default_config_static_selectorELNS0_4arch9wavefront6targetE0EEEvT1_
	.globl	_ZN7rocprim17ROCPRIM_400000_NS6detail17trampoline_kernelINS0_14default_configENS1_25partition_config_selectorILNS1_17partition_subalgoE9EsjbEEZZNS1_14partition_implILS5_9ELb0ES3_jN6thrust23THRUST_200600_302600_NS6detail15normal_iteratorINS9_10device_ptrIsEEEENSB_INSC_IjEEEEPNS0_10empty_typeENS0_5tupleIJNS9_16discard_iteratorINS9_11use_defaultEEESH_EEENSJ_IJSG_SI_EEENS0_18inequality_wrapperINS9_8equal_toIsEEEEPmJSH_EEE10hipError_tPvRmT3_T4_T5_T6_T7_T9_mT8_P12ihipStream_tbDpT10_ENKUlT_T0_E_clISt17integral_constantIbLb0EES1D_EEDaS18_S19_EUlS18_E_NS1_11comp_targetILNS1_3genE0ELNS1_11target_archE4294967295ELNS1_3gpuE0ELNS1_3repE0EEENS1_30default_config_static_selectorELNS0_4arch9wavefront6targetE0EEEvT1_
	.p2align	8
	.type	_ZN7rocprim17ROCPRIM_400000_NS6detail17trampoline_kernelINS0_14default_configENS1_25partition_config_selectorILNS1_17partition_subalgoE9EsjbEEZZNS1_14partition_implILS5_9ELb0ES3_jN6thrust23THRUST_200600_302600_NS6detail15normal_iteratorINS9_10device_ptrIsEEEENSB_INSC_IjEEEEPNS0_10empty_typeENS0_5tupleIJNS9_16discard_iteratorINS9_11use_defaultEEESH_EEENSJ_IJSG_SI_EEENS0_18inequality_wrapperINS9_8equal_toIsEEEEPmJSH_EEE10hipError_tPvRmT3_T4_T5_T6_T7_T9_mT8_P12ihipStream_tbDpT10_ENKUlT_T0_E_clISt17integral_constantIbLb0EES1D_EEDaS18_S19_EUlS18_E_NS1_11comp_targetILNS1_3genE0ELNS1_11target_archE4294967295ELNS1_3gpuE0ELNS1_3repE0EEENS1_30default_config_static_selectorELNS0_4arch9wavefront6targetE0EEEvT1_,@function
_ZN7rocprim17ROCPRIM_400000_NS6detail17trampoline_kernelINS0_14default_configENS1_25partition_config_selectorILNS1_17partition_subalgoE9EsjbEEZZNS1_14partition_implILS5_9ELb0ES3_jN6thrust23THRUST_200600_302600_NS6detail15normal_iteratorINS9_10device_ptrIsEEEENSB_INSC_IjEEEEPNS0_10empty_typeENS0_5tupleIJNS9_16discard_iteratorINS9_11use_defaultEEESH_EEENSJ_IJSG_SI_EEENS0_18inequality_wrapperINS9_8equal_toIsEEEEPmJSH_EEE10hipError_tPvRmT3_T4_T5_T6_T7_T9_mT8_P12ihipStream_tbDpT10_ENKUlT_T0_E_clISt17integral_constantIbLb0EES1D_EEDaS18_S19_EUlS18_E_NS1_11comp_targetILNS1_3genE0ELNS1_11target_archE4294967295ELNS1_3gpuE0ELNS1_3repE0EEENS1_30default_config_static_selectorELNS0_4arch9wavefront6targetE0EEEvT1_: ; @_ZN7rocprim17ROCPRIM_400000_NS6detail17trampoline_kernelINS0_14default_configENS1_25partition_config_selectorILNS1_17partition_subalgoE9EsjbEEZZNS1_14partition_implILS5_9ELb0ES3_jN6thrust23THRUST_200600_302600_NS6detail15normal_iteratorINS9_10device_ptrIsEEEENSB_INSC_IjEEEEPNS0_10empty_typeENS0_5tupleIJNS9_16discard_iteratorINS9_11use_defaultEEESH_EEENSJ_IJSG_SI_EEENS0_18inequality_wrapperINS9_8equal_toIsEEEEPmJSH_EEE10hipError_tPvRmT3_T4_T5_T6_T7_T9_mT8_P12ihipStream_tbDpT10_ENKUlT_T0_E_clISt17integral_constantIbLb0EES1D_EEDaS18_S19_EUlS18_E_NS1_11comp_targetILNS1_3genE0ELNS1_11target_archE4294967295ELNS1_3gpuE0ELNS1_3repE0EEENS1_30default_config_static_selectorELNS0_4arch9wavefront6targetE0EEEvT1_
; %bb.0:
	.section	.rodata,"a",@progbits
	.p2align	6, 0x0
	.amdhsa_kernel _ZN7rocprim17ROCPRIM_400000_NS6detail17trampoline_kernelINS0_14default_configENS1_25partition_config_selectorILNS1_17partition_subalgoE9EsjbEEZZNS1_14partition_implILS5_9ELb0ES3_jN6thrust23THRUST_200600_302600_NS6detail15normal_iteratorINS9_10device_ptrIsEEEENSB_INSC_IjEEEEPNS0_10empty_typeENS0_5tupleIJNS9_16discard_iteratorINS9_11use_defaultEEESH_EEENSJ_IJSG_SI_EEENS0_18inequality_wrapperINS9_8equal_toIsEEEEPmJSH_EEE10hipError_tPvRmT3_T4_T5_T6_T7_T9_mT8_P12ihipStream_tbDpT10_ENKUlT_T0_E_clISt17integral_constantIbLb0EES1D_EEDaS18_S19_EUlS18_E_NS1_11comp_targetILNS1_3genE0ELNS1_11target_archE4294967295ELNS1_3gpuE0ELNS1_3repE0EEENS1_30default_config_static_selectorELNS0_4arch9wavefront6targetE0EEEvT1_
		.amdhsa_group_segment_fixed_size 0
		.amdhsa_private_segment_fixed_size 0
		.amdhsa_kernarg_size 120
		.amdhsa_user_sgpr_count 15
		.amdhsa_user_sgpr_dispatch_ptr 0
		.amdhsa_user_sgpr_queue_ptr 0
		.amdhsa_user_sgpr_kernarg_segment_ptr 1
		.amdhsa_user_sgpr_dispatch_id 0
		.amdhsa_user_sgpr_private_segment_size 0
		.amdhsa_wavefront_size32 1
		.amdhsa_uses_dynamic_stack 0
		.amdhsa_enable_private_segment 0
		.amdhsa_system_sgpr_workgroup_id_x 1
		.amdhsa_system_sgpr_workgroup_id_y 0
		.amdhsa_system_sgpr_workgroup_id_z 0
		.amdhsa_system_sgpr_workgroup_info 0
		.amdhsa_system_vgpr_workitem_id 0
		.amdhsa_next_free_vgpr 1
		.amdhsa_next_free_sgpr 1
		.amdhsa_reserve_vcc 0
		.amdhsa_float_round_mode_32 0
		.amdhsa_float_round_mode_16_64 0
		.amdhsa_float_denorm_mode_32 3
		.amdhsa_float_denorm_mode_16_64 3
		.amdhsa_dx10_clamp 1
		.amdhsa_ieee_mode 1
		.amdhsa_fp16_overflow 0
		.amdhsa_workgroup_processor_mode 1
		.amdhsa_memory_ordered 1
		.amdhsa_forward_progress 0
		.amdhsa_shared_vgpr_count 0
		.amdhsa_exception_fp_ieee_invalid_op 0
		.amdhsa_exception_fp_denorm_src 0
		.amdhsa_exception_fp_ieee_div_zero 0
		.amdhsa_exception_fp_ieee_overflow 0
		.amdhsa_exception_fp_ieee_underflow 0
		.amdhsa_exception_fp_ieee_inexact 0
		.amdhsa_exception_int_div_zero 0
	.end_amdhsa_kernel
	.section	.text._ZN7rocprim17ROCPRIM_400000_NS6detail17trampoline_kernelINS0_14default_configENS1_25partition_config_selectorILNS1_17partition_subalgoE9EsjbEEZZNS1_14partition_implILS5_9ELb0ES3_jN6thrust23THRUST_200600_302600_NS6detail15normal_iteratorINS9_10device_ptrIsEEEENSB_INSC_IjEEEEPNS0_10empty_typeENS0_5tupleIJNS9_16discard_iteratorINS9_11use_defaultEEESH_EEENSJ_IJSG_SI_EEENS0_18inequality_wrapperINS9_8equal_toIsEEEEPmJSH_EEE10hipError_tPvRmT3_T4_T5_T6_T7_T9_mT8_P12ihipStream_tbDpT10_ENKUlT_T0_E_clISt17integral_constantIbLb0EES1D_EEDaS18_S19_EUlS18_E_NS1_11comp_targetILNS1_3genE0ELNS1_11target_archE4294967295ELNS1_3gpuE0ELNS1_3repE0EEENS1_30default_config_static_selectorELNS0_4arch9wavefront6targetE0EEEvT1_,"axG",@progbits,_ZN7rocprim17ROCPRIM_400000_NS6detail17trampoline_kernelINS0_14default_configENS1_25partition_config_selectorILNS1_17partition_subalgoE9EsjbEEZZNS1_14partition_implILS5_9ELb0ES3_jN6thrust23THRUST_200600_302600_NS6detail15normal_iteratorINS9_10device_ptrIsEEEENSB_INSC_IjEEEEPNS0_10empty_typeENS0_5tupleIJNS9_16discard_iteratorINS9_11use_defaultEEESH_EEENSJ_IJSG_SI_EEENS0_18inequality_wrapperINS9_8equal_toIsEEEEPmJSH_EEE10hipError_tPvRmT3_T4_T5_T6_T7_T9_mT8_P12ihipStream_tbDpT10_ENKUlT_T0_E_clISt17integral_constantIbLb0EES1D_EEDaS18_S19_EUlS18_E_NS1_11comp_targetILNS1_3genE0ELNS1_11target_archE4294967295ELNS1_3gpuE0ELNS1_3repE0EEENS1_30default_config_static_selectorELNS0_4arch9wavefront6targetE0EEEvT1_,comdat
.Lfunc_end1237:
	.size	_ZN7rocprim17ROCPRIM_400000_NS6detail17trampoline_kernelINS0_14default_configENS1_25partition_config_selectorILNS1_17partition_subalgoE9EsjbEEZZNS1_14partition_implILS5_9ELb0ES3_jN6thrust23THRUST_200600_302600_NS6detail15normal_iteratorINS9_10device_ptrIsEEEENSB_INSC_IjEEEEPNS0_10empty_typeENS0_5tupleIJNS9_16discard_iteratorINS9_11use_defaultEEESH_EEENSJ_IJSG_SI_EEENS0_18inequality_wrapperINS9_8equal_toIsEEEEPmJSH_EEE10hipError_tPvRmT3_T4_T5_T6_T7_T9_mT8_P12ihipStream_tbDpT10_ENKUlT_T0_E_clISt17integral_constantIbLb0EES1D_EEDaS18_S19_EUlS18_E_NS1_11comp_targetILNS1_3genE0ELNS1_11target_archE4294967295ELNS1_3gpuE0ELNS1_3repE0EEENS1_30default_config_static_selectorELNS0_4arch9wavefront6targetE0EEEvT1_, .Lfunc_end1237-_ZN7rocprim17ROCPRIM_400000_NS6detail17trampoline_kernelINS0_14default_configENS1_25partition_config_selectorILNS1_17partition_subalgoE9EsjbEEZZNS1_14partition_implILS5_9ELb0ES3_jN6thrust23THRUST_200600_302600_NS6detail15normal_iteratorINS9_10device_ptrIsEEEENSB_INSC_IjEEEEPNS0_10empty_typeENS0_5tupleIJNS9_16discard_iteratorINS9_11use_defaultEEESH_EEENSJ_IJSG_SI_EEENS0_18inequality_wrapperINS9_8equal_toIsEEEEPmJSH_EEE10hipError_tPvRmT3_T4_T5_T6_T7_T9_mT8_P12ihipStream_tbDpT10_ENKUlT_T0_E_clISt17integral_constantIbLb0EES1D_EEDaS18_S19_EUlS18_E_NS1_11comp_targetILNS1_3genE0ELNS1_11target_archE4294967295ELNS1_3gpuE0ELNS1_3repE0EEENS1_30default_config_static_selectorELNS0_4arch9wavefront6targetE0EEEvT1_
                                        ; -- End function
	.section	.AMDGPU.csdata,"",@progbits
; Kernel info:
; codeLenInByte = 0
; NumSgprs: 0
; NumVgprs: 0
; ScratchSize: 0
; MemoryBound: 0
; FloatMode: 240
; IeeeMode: 1
; LDSByteSize: 0 bytes/workgroup (compile time only)
; SGPRBlocks: 0
; VGPRBlocks: 0
; NumSGPRsForWavesPerEU: 1
; NumVGPRsForWavesPerEU: 1
; Occupancy: 16
; WaveLimiterHint : 0
; COMPUTE_PGM_RSRC2:SCRATCH_EN: 0
; COMPUTE_PGM_RSRC2:USER_SGPR: 15
; COMPUTE_PGM_RSRC2:TRAP_HANDLER: 0
; COMPUTE_PGM_RSRC2:TGID_X_EN: 1
; COMPUTE_PGM_RSRC2:TGID_Y_EN: 0
; COMPUTE_PGM_RSRC2:TGID_Z_EN: 0
; COMPUTE_PGM_RSRC2:TIDIG_COMP_CNT: 0
	.section	.text._ZN7rocprim17ROCPRIM_400000_NS6detail17trampoline_kernelINS0_14default_configENS1_25partition_config_selectorILNS1_17partition_subalgoE9EsjbEEZZNS1_14partition_implILS5_9ELb0ES3_jN6thrust23THRUST_200600_302600_NS6detail15normal_iteratorINS9_10device_ptrIsEEEENSB_INSC_IjEEEEPNS0_10empty_typeENS0_5tupleIJNS9_16discard_iteratorINS9_11use_defaultEEESH_EEENSJ_IJSG_SI_EEENS0_18inequality_wrapperINS9_8equal_toIsEEEEPmJSH_EEE10hipError_tPvRmT3_T4_T5_T6_T7_T9_mT8_P12ihipStream_tbDpT10_ENKUlT_T0_E_clISt17integral_constantIbLb0EES1D_EEDaS18_S19_EUlS18_E_NS1_11comp_targetILNS1_3genE5ELNS1_11target_archE942ELNS1_3gpuE9ELNS1_3repE0EEENS1_30default_config_static_selectorELNS0_4arch9wavefront6targetE0EEEvT1_,"axG",@progbits,_ZN7rocprim17ROCPRIM_400000_NS6detail17trampoline_kernelINS0_14default_configENS1_25partition_config_selectorILNS1_17partition_subalgoE9EsjbEEZZNS1_14partition_implILS5_9ELb0ES3_jN6thrust23THRUST_200600_302600_NS6detail15normal_iteratorINS9_10device_ptrIsEEEENSB_INSC_IjEEEEPNS0_10empty_typeENS0_5tupleIJNS9_16discard_iteratorINS9_11use_defaultEEESH_EEENSJ_IJSG_SI_EEENS0_18inequality_wrapperINS9_8equal_toIsEEEEPmJSH_EEE10hipError_tPvRmT3_T4_T5_T6_T7_T9_mT8_P12ihipStream_tbDpT10_ENKUlT_T0_E_clISt17integral_constantIbLb0EES1D_EEDaS18_S19_EUlS18_E_NS1_11comp_targetILNS1_3genE5ELNS1_11target_archE942ELNS1_3gpuE9ELNS1_3repE0EEENS1_30default_config_static_selectorELNS0_4arch9wavefront6targetE0EEEvT1_,comdat
	.protected	_ZN7rocprim17ROCPRIM_400000_NS6detail17trampoline_kernelINS0_14default_configENS1_25partition_config_selectorILNS1_17partition_subalgoE9EsjbEEZZNS1_14partition_implILS5_9ELb0ES3_jN6thrust23THRUST_200600_302600_NS6detail15normal_iteratorINS9_10device_ptrIsEEEENSB_INSC_IjEEEEPNS0_10empty_typeENS0_5tupleIJNS9_16discard_iteratorINS9_11use_defaultEEESH_EEENSJ_IJSG_SI_EEENS0_18inequality_wrapperINS9_8equal_toIsEEEEPmJSH_EEE10hipError_tPvRmT3_T4_T5_T6_T7_T9_mT8_P12ihipStream_tbDpT10_ENKUlT_T0_E_clISt17integral_constantIbLb0EES1D_EEDaS18_S19_EUlS18_E_NS1_11comp_targetILNS1_3genE5ELNS1_11target_archE942ELNS1_3gpuE9ELNS1_3repE0EEENS1_30default_config_static_selectorELNS0_4arch9wavefront6targetE0EEEvT1_ ; -- Begin function _ZN7rocprim17ROCPRIM_400000_NS6detail17trampoline_kernelINS0_14default_configENS1_25partition_config_selectorILNS1_17partition_subalgoE9EsjbEEZZNS1_14partition_implILS5_9ELb0ES3_jN6thrust23THRUST_200600_302600_NS6detail15normal_iteratorINS9_10device_ptrIsEEEENSB_INSC_IjEEEEPNS0_10empty_typeENS0_5tupleIJNS9_16discard_iteratorINS9_11use_defaultEEESH_EEENSJ_IJSG_SI_EEENS0_18inequality_wrapperINS9_8equal_toIsEEEEPmJSH_EEE10hipError_tPvRmT3_T4_T5_T6_T7_T9_mT8_P12ihipStream_tbDpT10_ENKUlT_T0_E_clISt17integral_constantIbLb0EES1D_EEDaS18_S19_EUlS18_E_NS1_11comp_targetILNS1_3genE5ELNS1_11target_archE942ELNS1_3gpuE9ELNS1_3repE0EEENS1_30default_config_static_selectorELNS0_4arch9wavefront6targetE0EEEvT1_
	.globl	_ZN7rocprim17ROCPRIM_400000_NS6detail17trampoline_kernelINS0_14default_configENS1_25partition_config_selectorILNS1_17partition_subalgoE9EsjbEEZZNS1_14partition_implILS5_9ELb0ES3_jN6thrust23THRUST_200600_302600_NS6detail15normal_iteratorINS9_10device_ptrIsEEEENSB_INSC_IjEEEEPNS0_10empty_typeENS0_5tupleIJNS9_16discard_iteratorINS9_11use_defaultEEESH_EEENSJ_IJSG_SI_EEENS0_18inequality_wrapperINS9_8equal_toIsEEEEPmJSH_EEE10hipError_tPvRmT3_T4_T5_T6_T7_T9_mT8_P12ihipStream_tbDpT10_ENKUlT_T0_E_clISt17integral_constantIbLb0EES1D_EEDaS18_S19_EUlS18_E_NS1_11comp_targetILNS1_3genE5ELNS1_11target_archE942ELNS1_3gpuE9ELNS1_3repE0EEENS1_30default_config_static_selectorELNS0_4arch9wavefront6targetE0EEEvT1_
	.p2align	8
	.type	_ZN7rocprim17ROCPRIM_400000_NS6detail17trampoline_kernelINS0_14default_configENS1_25partition_config_selectorILNS1_17partition_subalgoE9EsjbEEZZNS1_14partition_implILS5_9ELb0ES3_jN6thrust23THRUST_200600_302600_NS6detail15normal_iteratorINS9_10device_ptrIsEEEENSB_INSC_IjEEEEPNS0_10empty_typeENS0_5tupleIJNS9_16discard_iteratorINS9_11use_defaultEEESH_EEENSJ_IJSG_SI_EEENS0_18inequality_wrapperINS9_8equal_toIsEEEEPmJSH_EEE10hipError_tPvRmT3_T4_T5_T6_T7_T9_mT8_P12ihipStream_tbDpT10_ENKUlT_T0_E_clISt17integral_constantIbLb0EES1D_EEDaS18_S19_EUlS18_E_NS1_11comp_targetILNS1_3genE5ELNS1_11target_archE942ELNS1_3gpuE9ELNS1_3repE0EEENS1_30default_config_static_selectorELNS0_4arch9wavefront6targetE0EEEvT1_,@function
_ZN7rocprim17ROCPRIM_400000_NS6detail17trampoline_kernelINS0_14default_configENS1_25partition_config_selectorILNS1_17partition_subalgoE9EsjbEEZZNS1_14partition_implILS5_9ELb0ES3_jN6thrust23THRUST_200600_302600_NS6detail15normal_iteratorINS9_10device_ptrIsEEEENSB_INSC_IjEEEEPNS0_10empty_typeENS0_5tupleIJNS9_16discard_iteratorINS9_11use_defaultEEESH_EEENSJ_IJSG_SI_EEENS0_18inequality_wrapperINS9_8equal_toIsEEEEPmJSH_EEE10hipError_tPvRmT3_T4_T5_T6_T7_T9_mT8_P12ihipStream_tbDpT10_ENKUlT_T0_E_clISt17integral_constantIbLb0EES1D_EEDaS18_S19_EUlS18_E_NS1_11comp_targetILNS1_3genE5ELNS1_11target_archE942ELNS1_3gpuE9ELNS1_3repE0EEENS1_30default_config_static_selectorELNS0_4arch9wavefront6targetE0EEEvT1_: ; @_ZN7rocprim17ROCPRIM_400000_NS6detail17trampoline_kernelINS0_14default_configENS1_25partition_config_selectorILNS1_17partition_subalgoE9EsjbEEZZNS1_14partition_implILS5_9ELb0ES3_jN6thrust23THRUST_200600_302600_NS6detail15normal_iteratorINS9_10device_ptrIsEEEENSB_INSC_IjEEEEPNS0_10empty_typeENS0_5tupleIJNS9_16discard_iteratorINS9_11use_defaultEEESH_EEENSJ_IJSG_SI_EEENS0_18inequality_wrapperINS9_8equal_toIsEEEEPmJSH_EEE10hipError_tPvRmT3_T4_T5_T6_T7_T9_mT8_P12ihipStream_tbDpT10_ENKUlT_T0_E_clISt17integral_constantIbLb0EES1D_EEDaS18_S19_EUlS18_E_NS1_11comp_targetILNS1_3genE5ELNS1_11target_archE942ELNS1_3gpuE9ELNS1_3repE0EEENS1_30default_config_static_selectorELNS0_4arch9wavefront6targetE0EEEvT1_
; %bb.0:
	.section	.rodata,"a",@progbits
	.p2align	6, 0x0
	.amdhsa_kernel _ZN7rocprim17ROCPRIM_400000_NS6detail17trampoline_kernelINS0_14default_configENS1_25partition_config_selectorILNS1_17partition_subalgoE9EsjbEEZZNS1_14partition_implILS5_9ELb0ES3_jN6thrust23THRUST_200600_302600_NS6detail15normal_iteratorINS9_10device_ptrIsEEEENSB_INSC_IjEEEEPNS0_10empty_typeENS0_5tupleIJNS9_16discard_iteratorINS9_11use_defaultEEESH_EEENSJ_IJSG_SI_EEENS0_18inequality_wrapperINS9_8equal_toIsEEEEPmJSH_EEE10hipError_tPvRmT3_T4_T5_T6_T7_T9_mT8_P12ihipStream_tbDpT10_ENKUlT_T0_E_clISt17integral_constantIbLb0EES1D_EEDaS18_S19_EUlS18_E_NS1_11comp_targetILNS1_3genE5ELNS1_11target_archE942ELNS1_3gpuE9ELNS1_3repE0EEENS1_30default_config_static_selectorELNS0_4arch9wavefront6targetE0EEEvT1_
		.amdhsa_group_segment_fixed_size 0
		.amdhsa_private_segment_fixed_size 0
		.amdhsa_kernarg_size 120
		.amdhsa_user_sgpr_count 15
		.amdhsa_user_sgpr_dispatch_ptr 0
		.amdhsa_user_sgpr_queue_ptr 0
		.amdhsa_user_sgpr_kernarg_segment_ptr 1
		.amdhsa_user_sgpr_dispatch_id 0
		.amdhsa_user_sgpr_private_segment_size 0
		.amdhsa_wavefront_size32 1
		.amdhsa_uses_dynamic_stack 0
		.amdhsa_enable_private_segment 0
		.amdhsa_system_sgpr_workgroup_id_x 1
		.amdhsa_system_sgpr_workgroup_id_y 0
		.amdhsa_system_sgpr_workgroup_id_z 0
		.amdhsa_system_sgpr_workgroup_info 0
		.amdhsa_system_vgpr_workitem_id 0
		.amdhsa_next_free_vgpr 1
		.amdhsa_next_free_sgpr 1
		.amdhsa_reserve_vcc 0
		.amdhsa_float_round_mode_32 0
		.amdhsa_float_round_mode_16_64 0
		.amdhsa_float_denorm_mode_32 3
		.amdhsa_float_denorm_mode_16_64 3
		.amdhsa_dx10_clamp 1
		.amdhsa_ieee_mode 1
		.amdhsa_fp16_overflow 0
		.amdhsa_workgroup_processor_mode 1
		.amdhsa_memory_ordered 1
		.amdhsa_forward_progress 0
		.amdhsa_shared_vgpr_count 0
		.amdhsa_exception_fp_ieee_invalid_op 0
		.amdhsa_exception_fp_denorm_src 0
		.amdhsa_exception_fp_ieee_div_zero 0
		.amdhsa_exception_fp_ieee_overflow 0
		.amdhsa_exception_fp_ieee_underflow 0
		.amdhsa_exception_fp_ieee_inexact 0
		.amdhsa_exception_int_div_zero 0
	.end_amdhsa_kernel
	.section	.text._ZN7rocprim17ROCPRIM_400000_NS6detail17trampoline_kernelINS0_14default_configENS1_25partition_config_selectorILNS1_17partition_subalgoE9EsjbEEZZNS1_14partition_implILS5_9ELb0ES3_jN6thrust23THRUST_200600_302600_NS6detail15normal_iteratorINS9_10device_ptrIsEEEENSB_INSC_IjEEEEPNS0_10empty_typeENS0_5tupleIJNS9_16discard_iteratorINS9_11use_defaultEEESH_EEENSJ_IJSG_SI_EEENS0_18inequality_wrapperINS9_8equal_toIsEEEEPmJSH_EEE10hipError_tPvRmT3_T4_T5_T6_T7_T9_mT8_P12ihipStream_tbDpT10_ENKUlT_T0_E_clISt17integral_constantIbLb0EES1D_EEDaS18_S19_EUlS18_E_NS1_11comp_targetILNS1_3genE5ELNS1_11target_archE942ELNS1_3gpuE9ELNS1_3repE0EEENS1_30default_config_static_selectorELNS0_4arch9wavefront6targetE0EEEvT1_,"axG",@progbits,_ZN7rocprim17ROCPRIM_400000_NS6detail17trampoline_kernelINS0_14default_configENS1_25partition_config_selectorILNS1_17partition_subalgoE9EsjbEEZZNS1_14partition_implILS5_9ELb0ES3_jN6thrust23THRUST_200600_302600_NS6detail15normal_iteratorINS9_10device_ptrIsEEEENSB_INSC_IjEEEEPNS0_10empty_typeENS0_5tupleIJNS9_16discard_iteratorINS9_11use_defaultEEESH_EEENSJ_IJSG_SI_EEENS0_18inequality_wrapperINS9_8equal_toIsEEEEPmJSH_EEE10hipError_tPvRmT3_T4_T5_T6_T7_T9_mT8_P12ihipStream_tbDpT10_ENKUlT_T0_E_clISt17integral_constantIbLb0EES1D_EEDaS18_S19_EUlS18_E_NS1_11comp_targetILNS1_3genE5ELNS1_11target_archE942ELNS1_3gpuE9ELNS1_3repE0EEENS1_30default_config_static_selectorELNS0_4arch9wavefront6targetE0EEEvT1_,comdat
.Lfunc_end1238:
	.size	_ZN7rocprim17ROCPRIM_400000_NS6detail17trampoline_kernelINS0_14default_configENS1_25partition_config_selectorILNS1_17partition_subalgoE9EsjbEEZZNS1_14partition_implILS5_9ELb0ES3_jN6thrust23THRUST_200600_302600_NS6detail15normal_iteratorINS9_10device_ptrIsEEEENSB_INSC_IjEEEEPNS0_10empty_typeENS0_5tupleIJNS9_16discard_iteratorINS9_11use_defaultEEESH_EEENSJ_IJSG_SI_EEENS0_18inequality_wrapperINS9_8equal_toIsEEEEPmJSH_EEE10hipError_tPvRmT3_T4_T5_T6_T7_T9_mT8_P12ihipStream_tbDpT10_ENKUlT_T0_E_clISt17integral_constantIbLb0EES1D_EEDaS18_S19_EUlS18_E_NS1_11comp_targetILNS1_3genE5ELNS1_11target_archE942ELNS1_3gpuE9ELNS1_3repE0EEENS1_30default_config_static_selectorELNS0_4arch9wavefront6targetE0EEEvT1_, .Lfunc_end1238-_ZN7rocprim17ROCPRIM_400000_NS6detail17trampoline_kernelINS0_14default_configENS1_25partition_config_selectorILNS1_17partition_subalgoE9EsjbEEZZNS1_14partition_implILS5_9ELb0ES3_jN6thrust23THRUST_200600_302600_NS6detail15normal_iteratorINS9_10device_ptrIsEEEENSB_INSC_IjEEEEPNS0_10empty_typeENS0_5tupleIJNS9_16discard_iteratorINS9_11use_defaultEEESH_EEENSJ_IJSG_SI_EEENS0_18inequality_wrapperINS9_8equal_toIsEEEEPmJSH_EEE10hipError_tPvRmT3_T4_T5_T6_T7_T9_mT8_P12ihipStream_tbDpT10_ENKUlT_T0_E_clISt17integral_constantIbLb0EES1D_EEDaS18_S19_EUlS18_E_NS1_11comp_targetILNS1_3genE5ELNS1_11target_archE942ELNS1_3gpuE9ELNS1_3repE0EEENS1_30default_config_static_selectorELNS0_4arch9wavefront6targetE0EEEvT1_
                                        ; -- End function
	.section	.AMDGPU.csdata,"",@progbits
; Kernel info:
; codeLenInByte = 0
; NumSgprs: 0
; NumVgprs: 0
; ScratchSize: 0
; MemoryBound: 0
; FloatMode: 240
; IeeeMode: 1
; LDSByteSize: 0 bytes/workgroup (compile time only)
; SGPRBlocks: 0
; VGPRBlocks: 0
; NumSGPRsForWavesPerEU: 1
; NumVGPRsForWavesPerEU: 1
; Occupancy: 16
; WaveLimiterHint : 0
; COMPUTE_PGM_RSRC2:SCRATCH_EN: 0
; COMPUTE_PGM_RSRC2:USER_SGPR: 15
; COMPUTE_PGM_RSRC2:TRAP_HANDLER: 0
; COMPUTE_PGM_RSRC2:TGID_X_EN: 1
; COMPUTE_PGM_RSRC2:TGID_Y_EN: 0
; COMPUTE_PGM_RSRC2:TGID_Z_EN: 0
; COMPUTE_PGM_RSRC2:TIDIG_COMP_CNT: 0
	.section	.text._ZN7rocprim17ROCPRIM_400000_NS6detail17trampoline_kernelINS0_14default_configENS1_25partition_config_selectorILNS1_17partition_subalgoE9EsjbEEZZNS1_14partition_implILS5_9ELb0ES3_jN6thrust23THRUST_200600_302600_NS6detail15normal_iteratorINS9_10device_ptrIsEEEENSB_INSC_IjEEEEPNS0_10empty_typeENS0_5tupleIJNS9_16discard_iteratorINS9_11use_defaultEEESH_EEENSJ_IJSG_SI_EEENS0_18inequality_wrapperINS9_8equal_toIsEEEEPmJSH_EEE10hipError_tPvRmT3_T4_T5_T6_T7_T9_mT8_P12ihipStream_tbDpT10_ENKUlT_T0_E_clISt17integral_constantIbLb0EES1D_EEDaS18_S19_EUlS18_E_NS1_11comp_targetILNS1_3genE4ELNS1_11target_archE910ELNS1_3gpuE8ELNS1_3repE0EEENS1_30default_config_static_selectorELNS0_4arch9wavefront6targetE0EEEvT1_,"axG",@progbits,_ZN7rocprim17ROCPRIM_400000_NS6detail17trampoline_kernelINS0_14default_configENS1_25partition_config_selectorILNS1_17partition_subalgoE9EsjbEEZZNS1_14partition_implILS5_9ELb0ES3_jN6thrust23THRUST_200600_302600_NS6detail15normal_iteratorINS9_10device_ptrIsEEEENSB_INSC_IjEEEEPNS0_10empty_typeENS0_5tupleIJNS9_16discard_iteratorINS9_11use_defaultEEESH_EEENSJ_IJSG_SI_EEENS0_18inequality_wrapperINS9_8equal_toIsEEEEPmJSH_EEE10hipError_tPvRmT3_T4_T5_T6_T7_T9_mT8_P12ihipStream_tbDpT10_ENKUlT_T0_E_clISt17integral_constantIbLb0EES1D_EEDaS18_S19_EUlS18_E_NS1_11comp_targetILNS1_3genE4ELNS1_11target_archE910ELNS1_3gpuE8ELNS1_3repE0EEENS1_30default_config_static_selectorELNS0_4arch9wavefront6targetE0EEEvT1_,comdat
	.protected	_ZN7rocprim17ROCPRIM_400000_NS6detail17trampoline_kernelINS0_14default_configENS1_25partition_config_selectorILNS1_17partition_subalgoE9EsjbEEZZNS1_14partition_implILS5_9ELb0ES3_jN6thrust23THRUST_200600_302600_NS6detail15normal_iteratorINS9_10device_ptrIsEEEENSB_INSC_IjEEEEPNS0_10empty_typeENS0_5tupleIJNS9_16discard_iteratorINS9_11use_defaultEEESH_EEENSJ_IJSG_SI_EEENS0_18inequality_wrapperINS9_8equal_toIsEEEEPmJSH_EEE10hipError_tPvRmT3_T4_T5_T6_T7_T9_mT8_P12ihipStream_tbDpT10_ENKUlT_T0_E_clISt17integral_constantIbLb0EES1D_EEDaS18_S19_EUlS18_E_NS1_11comp_targetILNS1_3genE4ELNS1_11target_archE910ELNS1_3gpuE8ELNS1_3repE0EEENS1_30default_config_static_selectorELNS0_4arch9wavefront6targetE0EEEvT1_ ; -- Begin function _ZN7rocprim17ROCPRIM_400000_NS6detail17trampoline_kernelINS0_14default_configENS1_25partition_config_selectorILNS1_17partition_subalgoE9EsjbEEZZNS1_14partition_implILS5_9ELb0ES3_jN6thrust23THRUST_200600_302600_NS6detail15normal_iteratorINS9_10device_ptrIsEEEENSB_INSC_IjEEEEPNS0_10empty_typeENS0_5tupleIJNS9_16discard_iteratorINS9_11use_defaultEEESH_EEENSJ_IJSG_SI_EEENS0_18inequality_wrapperINS9_8equal_toIsEEEEPmJSH_EEE10hipError_tPvRmT3_T4_T5_T6_T7_T9_mT8_P12ihipStream_tbDpT10_ENKUlT_T0_E_clISt17integral_constantIbLb0EES1D_EEDaS18_S19_EUlS18_E_NS1_11comp_targetILNS1_3genE4ELNS1_11target_archE910ELNS1_3gpuE8ELNS1_3repE0EEENS1_30default_config_static_selectorELNS0_4arch9wavefront6targetE0EEEvT1_
	.globl	_ZN7rocprim17ROCPRIM_400000_NS6detail17trampoline_kernelINS0_14default_configENS1_25partition_config_selectorILNS1_17partition_subalgoE9EsjbEEZZNS1_14partition_implILS5_9ELb0ES3_jN6thrust23THRUST_200600_302600_NS6detail15normal_iteratorINS9_10device_ptrIsEEEENSB_INSC_IjEEEEPNS0_10empty_typeENS0_5tupleIJNS9_16discard_iteratorINS9_11use_defaultEEESH_EEENSJ_IJSG_SI_EEENS0_18inequality_wrapperINS9_8equal_toIsEEEEPmJSH_EEE10hipError_tPvRmT3_T4_T5_T6_T7_T9_mT8_P12ihipStream_tbDpT10_ENKUlT_T0_E_clISt17integral_constantIbLb0EES1D_EEDaS18_S19_EUlS18_E_NS1_11comp_targetILNS1_3genE4ELNS1_11target_archE910ELNS1_3gpuE8ELNS1_3repE0EEENS1_30default_config_static_selectorELNS0_4arch9wavefront6targetE0EEEvT1_
	.p2align	8
	.type	_ZN7rocprim17ROCPRIM_400000_NS6detail17trampoline_kernelINS0_14default_configENS1_25partition_config_selectorILNS1_17partition_subalgoE9EsjbEEZZNS1_14partition_implILS5_9ELb0ES3_jN6thrust23THRUST_200600_302600_NS6detail15normal_iteratorINS9_10device_ptrIsEEEENSB_INSC_IjEEEEPNS0_10empty_typeENS0_5tupleIJNS9_16discard_iteratorINS9_11use_defaultEEESH_EEENSJ_IJSG_SI_EEENS0_18inequality_wrapperINS9_8equal_toIsEEEEPmJSH_EEE10hipError_tPvRmT3_T4_T5_T6_T7_T9_mT8_P12ihipStream_tbDpT10_ENKUlT_T0_E_clISt17integral_constantIbLb0EES1D_EEDaS18_S19_EUlS18_E_NS1_11comp_targetILNS1_3genE4ELNS1_11target_archE910ELNS1_3gpuE8ELNS1_3repE0EEENS1_30default_config_static_selectorELNS0_4arch9wavefront6targetE0EEEvT1_,@function
_ZN7rocprim17ROCPRIM_400000_NS6detail17trampoline_kernelINS0_14default_configENS1_25partition_config_selectorILNS1_17partition_subalgoE9EsjbEEZZNS1_14partition_implILS5_9ELb0ES3_jN6thrust23THRUST_200600_302600_NS6detail15normal_iteratorINS9_10device_ptrIsEEEENSB_INSC_IjEEEEPNS0_10empty_typeENS0_5tupleIJNS9_16discard_iteratorINS9_11use_defaultEEESH_EEENSJ_IJSG_SI_EEENS0_18inequality_wrapperINS9_8equal_toIsEEEEPmJSH_EEE10hipError_tPvRmT3_T4_T5_T6_T7_T9_mT8_P12ihipStream_tbDpT10_ENKUlT_T0_E_clISt17integral_constantIbLb0EES1D_EEDaS18_S19_EUlS18_E_NS1_11comp_targetILNS1_3genE4ELNS1_11target_archE910ELNS1_3gpuE8ELNS1_3repE0EEENS1_30default_config_static_selectorELNS0_4arch9wavefront6targetE0EEEvT1_: ; @_ZN7rocprim17ROCPRIM_400000_NS6detail17trampoline_kernelINS0_14default_configENS1_25partition_config_selectorILNS1_17partition_subalgoE9EsjbEEZZNS1_14partition_implILS5_9ELb0ES3_jN6thrust23THRUST_200600_302600_NS6detail15normal_iteratorINS9_10device_ptrIsEEEENSB_INSC_IjEEEEPNS0_10empty_typeENS0_5tupleIJNS9_16discard_iteratorINS9_11use_defaultEEESH_EEENSJ_IJSG_SI_EEENS0_18inequality_wrapperINS9_8equal_toIsEEEEPmJSH_EEE10hipError_tPvRmT3_T4_T5_T6_T7_T9_mT8_P12ihipStream_tbDpT10_ENKUlT_T0_E_clISt17integral_constantIbLb0EES1D_EEDaS18_S19_EUlS18_E_NS1_11comp_targetILNS1_3genE4ELNS1_11target_archE910ELNS1_3gpuE8ELNS1_3repE0EEENS1_30default_config_static_selectorELNS0_4arch9wavefront6targetE0EEEvT1_
; %bb.0:
	.section	.rodata,"a",@progbits
	.p2align	6, 0x0
	.amdhsa_kernel _ZN7rocprim17ROCPRIM_400000_NS6detail17trampoline_kernelINS0_14default_configENS1_25partition_config_selectorILNS1_17partition_subalgoE9EsjbEEZZNS1_14partition_implILS5_9ELb0ES3_jN6thrust23THRUST_200600_302600_NS6detail15normal_iteratorINS9_10device_ptrIsEEEENSB_INSC_IjEEEEPNS0_10empty_typeENS0_5tupleIJNS9_16discard_iteratorINS9_11use_defaultEEESH_EEENSJ_IJSG_SI_EEENS0_18inequality_wrapperINS9_8equal_toIsEEEEPmJSH_EEE10hipError_tPvRmT3_T4_T5_T6_T7_T9_mT8_P12ihipStream_tbDpT10_ENKUlT_T0_E_clISt17integral_constantIbLb0EES1D_EEDaS18_S19_EUlS18_E_NS1_11comp_targetILNS1_3genE4ELNS1_11target_archE910ELNS1_3gpuE8ELNS1_3repE0EEENS1_30default_config_static_selectorELNS0_4arch9wavefront6targetE0EEEvT1_
		.amdhsa_group_segment_fixed_size 0
		.amdhsa_private_segment_fixed_size 0
		.amdhsa_kernarg_size 120
		.amdhsa_user_sgpr_count 15
		.amdhsa_user_sgpr_dispatch_ptr 0
		.amdhsa_user_sgpr_queue_ptr 0
		.amdhsa_user_sgpr_kernarg_segment_ptr 1
		.amdhsa_user_sgpr_dispatch_id 0
		.amdhsa_user_sgpr_private_segment_size 0
		.amdhsa_wavefront_size32 1
		.amdhsa_uses_dynamic_stack 0
		.amdhsa_enable_private_segment 0
		.amdhsa_system_sgpr_workgroup_id_x 1
		.amdhsa_system_sgpr_workgroup_id_y 0
		.amdhsa_system_sgpr_workgroup_id_z 0
		.amdhsa_system_sgpr_workgroup_info 0
		.amdhsa_system_vgpr_workitem_id 0
		.amdhsa_next_free_vgpr 1
		.amdhsa_next_free_sgpr 1
		.amdhsa_reserve_vcc 0
		.amdhsa_float_round_mode_32 0
		.amdhsa_float_round_mode_16_64 0
		.amdhsa_float_denorm_mode_32 3
		.amdhsa_float_denorm_mode_16_64 3
		.amdhsa_dx10_clamp 1
		.amdhsa_ieee_mode 1
		.amdhsa_fp16_overflow 0
		.amdhsa_workgroup_processor_mode 1
		.amdhsa_memory_ordered 1
		.amdhsa_forward_progress 0
		.amdhsa_shared_vgpr_count 0
		.amdhsa_exception_fp_ieee_invalid_op 0
		.amdhsa_exception_fp_denorm_src 0
		.amdhsa_exception_fp_ieee_div_zero 0
		.amdhsa_exception_fp_ieee_overflow 0
		.amdhsa_exception_fp_ieee_underflow 0
		.amdhsa_exception_fp_ieee_inexact 0
		.amdhsa_exception_int_div_zero 0
	.end_amdhsa_kernel
	.section	.text._ZN7rocprim17ROCPRIM_400000_NS6detail17trampoline_kernelINS0_14default_configENS1_25partition_config_selectorILNS1_17partition_subalgoE9EsjbEEZZNS1_14partition_implILS5_9ELb0ES3_jN6thrust23THRUST_200600_302600_NS6detail15normal_iteratorINS9_10device_ptrIsEEEENSB_INSC_IjEEEEPNS0_10empty_typeENS0_5tupleIJNS9_16discard_iteratorINS9_11use_defaultEEESH_EEENSJ_IJSG_SI_EEENS0_18inequality_wrapperINS9_8equal_toIsEEEEPmJSH_EEE10hipError_tPvRmT3_T4_T5_T6_T7_T9_mT8_P12ihipStream_tbDpT10_ENKUlT_T0_E_clISt17integral_constantIbLb0EES1D_EEDaS18_S19_EUlS18_E_NS1_11comp_targetILNS1_3genE4ELNS1_11target_archE910ELNS1_3gpuE8ELNS1_3repE0EEENS1_30default_config_static_selectorELNS0_4arch9wavefront6targetE0EEEvT1_,"axG",@progbits,_ZN7rocprim17ROCPRIM_400000_NS6detail17trampoline_kernelINS0_14default_configENS1_25partition_config_selectorILNS1_17partition_subalgoE9EsjbEEZZNS1_14partition_implILS5_9ELb0ES3_jN6thrust23THRUST_200600_302600_NS6detail15normal_iteratorINS9_10device_ptrIsEEEENSB_INSC_IjEEEEPNS0_10empty_typeENS0_5tupleIJNS9_16discard_iteratorINS9_11use_defaultEEESH_EEENSJ_IJSG_SI_EEENS0_18inequality_wrapperINS9_8equal_toIsEEEEPmJSH_EEE10hipError_tPvRmT3_T4_T5_T6_T7_T9_mT8_P12ihipStream_tbDpT10_ENKUlT_T0_E_clISt17integral_constantIbLb0EES1D_EEDaS18_S19_EUlS18_E_NS1_11comp_targetILNS1_3genE4ELNS1_11target_archE910ELNS1_3gpuE8ELNS1_3repE0EEENS1_30default_config_static_selectorELNS0_4arch9wavefront6targetE0EEEvT1_,comdat
.Lfunc_end1239:
	.size	_ZN7rocprim17ROCPRIM_400000_NS6detail17trampoline_kernelINS0_14default_configENS1_25partition_config_selectorILNS1_17partition_subalgoE9EsjbEEZZNS1_14partition_implILS5_9ELb0ES3_jN6thrust23THRUST_200600_302600_NS6detail15normal_iteratorINS9_10device_ptrIsEEEENSB_INSC_IjEEEEPNS0_10empty_typeENS0_5tupleIJNS9_16discard_iteratorINS9_11use_defaultEEESH_EEENSJ_IJSG_SI_EEENS0_18inequality_wrapperINS9_8equal_toIsEEEEPmJSH_EEE10hipError_tPvRmT3_T4_T5_T6_T7_T9_mT8_P12ihipStream_tbDpT10_ENKUlT_T0_E_clISt17integral_constantIbLb0EES1D_EEDaS18_S19_EUlS18_E_NS1_11comp_targetILNS1_3genE4ELNS1_11target_archE910ELNS1_3gpuE8ELNS1_3repE0EEENS1_30default_config_static_selectorELNS0_4arch9wavefront6targetE0EEEvT1_, .Lfunc_end1239-_ZN7rocprim17ROCPRIM_400000_NS6detail17trampoline_kernelINS0_14default_configENS1_25partition_config_selectorILNS1_17partition_subalgoE9EsjbEEZZNS1_14partition_implILS5_9ELb0ES3_jN6thrust23THRUST_200600_302600_NS6detail15normal_iteratorINS9_10device_ptrIsEEEENSB_INSC_IjEEEEPNS0_10empty_typeENS0_5tupleIJNS9_16discard_iteratorINS9_11use_defaultEEESH_EEENSJ_IJSG_SI_EEENS0_18inequality_wrapperINS9_8equal_toIsEEEEPmJSH_EEE10hipError_tPvRmT3_T4_T5_T6_T7_T9_mT8_P12ihipStream_tbDpT10_ENKUlT_T0_E_clISt17integral_constantIbLb0EES1D_EEDaS18_S19_EUlS18_E_NS1_11comp_targetILNS1_3genE4ELNS1_11target_archE910ELNS1_3gpuE8ELNS1_3repE0EEENS1_30default_config_static_selectorELNS0_4arch9wavefront6targetE0EEEvT1_
                                        ; -- End function
	.section	.AMDGPU.csdata,"",@progbits
; Kernel info:
; codeLenInByte = 0
; NumSgprs: 0
; NumVgprs: 0
; ScratchSize: 0
; MemoryBound: 0
; FloatMode: 240
; IeeeMode: 1
; LDSByteSize: 0 bytes/workgroup (compile time only)
; SGPRBlocks: 0
; VGPRBlocks: 0
; NumSGPRsForWavesPerEU: 1
; NumVGPRsForWavesPerEU: 1
; Occupancy: 15
; WaveLimiterHint : 0
; COMPUTE_PGM_RSRC2:SCRATCH_EN: 0
; COMPUTE_PGM_RSRC2:USER_SGPR: 15
; COMPUTE_PGM_RSRC2:TRAP_HANDLER: 0
; COMPUTE_PGM_RSRC2:TGID_X_EN: 1
; COMPUTE_PGM_RSRC2:TGID_Y_EN: 0
; COMPUTE_PGM_RSRC2:TGID_Z_EN: 0
; COMPUTE_PGM_RSRC2:TIDIG_COMP_CNT: 0
	.section	.text._ZN7rocprim17ROCPRIM_400000_NS6detail17trampoline_kernelINS0_14default_configENS1_25partition_config_selectorILNS1_17partition_subalgoE9EsjbEEZZNS1_14partition_implILS5_9ELb0ES3_jN6thrust23THRUST_200600_302600_NS6detail15normal_iteratorINS9_10device_ptrIsEEEENSB_INSC_IjEEEEPNS0_10empty_typeENS0_5tupleIJNS9_16discard_iteratorINS9_11use_defaultEEESH_EEENSJ_IJSG_SI_EEENS0_18inequality_wrapperINS9_8equal_toIsEEEEPmJSH_EEE10hipError_tPvRmT3_T4_T5_T6_T7_T9_mT8_P12ihipStream_tbDpT10_ENKUlT_T0_E_clISt17integral_constantIbLb0EES1D_EEDaS18_S19_EUlS18_E_NS1_11comp_targetILNS1_3genE3ELNS1_11target_archE908ELNS1_3gpuE7ELNS1_3repE0EEENS1_30default_config_static_selectorELNS0_4arch9wavefront6targetE0EEEvT1_,"axG",@progbits,_ZN7rocprim17ROCPRIM_400000_NS6detail17trampoline_kernelINS0_14default_configENS1_25partition_config_selectorILNS1_17partition_subalgoE9EsjbEEZZNS1_14partition_implILS5_9ELb0ES3_jN6thrust23THRUST_200600_302600_NS6detail15normal_iteratorINS9_10device_ptrIsEEEENSB_INSC_IjEEEEPNS0_10empty_typeENS0_5tupleIJNS9_16discard_iteratorINS9_11use_defaultEEESH_EEENSJ_IJSG_SI_EEENS0_18inequality_wrapperINS9_8equal_toIsEEEEPmJSH_EEE10hipError_tPvRmT3_T4_T5_T6_T7_T9_mT8_P12ihipStream_tbDpT10_ENKUlT_T0_E_clISt17integral_constantIbLb0EES1D_EEDaS18_S19_EUlS18_E_NS1_11comp_targetILNS1_3genE3ELNS1_11target_archE908ELNS1_3gpuE7ELNS1_3repE0EEENS1_30default_config_static_selectorELNS0_4arch9wavefront6targetE0EEEvT1_,comdat
	.protected	_ZN7rocprim17ROCPRIM_400000_NS6detail17trampoline_kernelINS0_14default_configENS1_25partition_config_selectorILNS1_17partition_subalgoE9EsjbEEZZNS1_14partition_implILS5_9ELb0ES3_jN6thrust23THRUST_200600_302600_NS6detail15normal_iteratorINS9_10device_ptrIsEEEENSB_INSC_IjEEEEPNS0_10empty_typeENS0_5tupleIJNS9_16discard_iteratorINS9_11use_defaultEEESH_EEENSJ_IJSG_SI_EEENS0_18inequality_wrapperINS9_8equal_toIsEEEEPmJSH_EEE10hipError_tPvRmT3_T4_T5_T6_T7_T9_mT8_P12ihipStream_tbDpT10_ENKUlT_T0_E_clISt17integral_constantIbLb0EES1D_EEDaS18_S19_EUlS18_E_NS1_11comp_targetILNS1_3genE3ELNS1_11target_archE908ELNS1_3gpuE7ELNS1_3repE0EEENS1_30default_config_static_selectorELNS0_4arch9wavefront6targetE0EEEvT1_ ; -- Begin function _ZN7rocprim17ROCPRIM_400000_NS6detail17trampoline_kernelINS0_14default_configENS1_25partition_config_selectorILNS1_17partition_subalgoE9EsjbEEZZNS1_14partition_implILS5_9ELb0ES3_jN6thrust23THRUST_200600_302600_NS6detail15normal_iteratorINS9_10device_ptrIsEEEENSB_INSC_IjEEEEPNS0_10empty_typeENS0_5tupleIJNS9_16discard_iteratorINS9_11use_defaultEEESH_EEENSJ_IJSG_SI_EEENS0_18inequality_wrapperINS9_8equal_toIsEEEEPmJSH_EEE10hipError_tPvRmT3_T4_T5_T6_T7_T9_mT8_P12ihipStream_tbDpT10_ENKUlT_T0_E_clISt17integral_constantIbLb0EES1D_EEDaS18_S19_EUlS18_E_NS1_11comp_targetILNS1_3genE3ELNS1_11target_archE908ELNS1_3gpuE7ELNS1_3repE0EEENS1_30default_config_static_selectorELNS0_4arch9wavefront6targetE0EEEvT1_
	.globl	_ZN7rocprim17ROCPRIM_400000_NS6detail17trampoline_kernelINS0_14default_configENS1_25partition_config_selectorILNS1_17partition_subalgoE9EsjbEEZZNS1_14partition_implILS5_9ELb0ES3_jN6thrust23THRUST_200600_302600_NS6detail15normal_iteratorINS9_10device_ptrIsEEEENSB_INSC_IjEEEEPNS0_10empty_typeENS0_5tupleIJNS9_16discard_iteratorINS9_11use_defaultEEESH_EEENSJ_IJSG_SI_EEENS0_18inequality_wrapperINS9_8equal_toIsEEEEPmJSH_EEE10hipError_tPvRmT3_T4_T5_T6_T7_T9_mT8_P12ihipStream_tbDpT10_ENKUlT_T0_E_clISt17integral_constantIbLb0EES1D_EEDaS18_S19_EUlS18_E_NS1_11comp_targetILNS1_3genE3ELNS1_11target_archE908ELNS1_3gpuE7ELNS1_3repE0EEENS1_30default_config_static_selectorELNS0_4arch9wavefront6targetE0EEEvT1_
	.p2align	8
	.type	_ZN7rocprim17ROCPRIM_400000_NS6detail17trampoline_kernelINS0_14default_configENS1_25partition_config_selectorILNS1_17partition_subalgoE9EsjbEEZZNS1_14partition_implILS5_9ELb0ES3_jN6thrust23THRUST_200600_302600_NS6detail15normal_iteratorINS9_10device_ptrIsEEEENSB_INSC_IjEEEEPNS0_10empty_typeENS0_5tupleIJNS9_16discard_iteratorINS9_11use_defaultEEESH_EEENSJ_IJSG_SI_EEENS0_18inequality_wrapperINS9_8equal_toIsEEEEPmJSH_EEE10hipError_tPvRmT3_T4_T5_T6_T7_T9_mT8_P12ihipStream_tbDpT10_ENKUlT_T0_E_clISt17integral_constantIbLb0EES1D_EEDaS18_S19_EUlS18_E_NS1_11comp_targetILNS1_3genE3ELNS1_11target_archE908ELNS1_3gpuE7ELNS1_3repE0EEENS1_30default_config_static_selectorELNS0_4arch9wavefront6targetE0EEEvT1_,@function
_ZN7rocprim17ROCPRIM_400000_NS6detail17trampoline_kernelINS0_14default_configENS1_25partition_config_selectorILNS1_17partition_subalgoE9EsjbEEZZNS1_14partition_implILS5_9ELb0ES3_jN6thrust23THRUST_200600_302600_NS6detail15normal_iteratorINS9_10device_ptrIsEEEENSB_INSC_IjEEEEPNS0_10empty_typeENS0_5tupleIJNS9_16discard_iteratorINS9_11use_defaultEEESH_EEENSJ_IJSG_SI_EEENS0_18inequality_wrapperINS9_8equal_toIsEEEEPmJSH_EEE10hipError_tPvRmT3_T4_T5_T6_T7_T9_mT8_P12ihipStream_tbDpT10_ENKUlT_T0_E_clISt17integral_constantIbLb0EES1D_EEDaS18_S19_EUlS18_E_NS1_11comp_targetILNS1_3genE3ELNS1_11target_archE908ELNS1_3gpuE7ELNS1_3repE0EEENS1_30default_config_static_selectorELNS0_4arch9wavefront6targetE0EEEvT1_: ; @_ZN7rocprim17ROCPRIM_400000_NS6detail17trampoline_kernelINS0_14default_configENS1_25partition_config_selectorILNS1_17partition_subalgoE9EsjbEEZZNS1_14partition_implILS5_9ELb0ES3_jN6thrust23THRUST_200600_302600_NS6detail15normal_iteratorINS9_10device_ptrIsEEEENSB_INSC_IjEEEEPNS0_10empty_typeENS0_5tupleIJNS9_16discard_iteratorINS9_11use_defaultEEESH_EEENSJ_IJSG_SI_EEENS0_18inequality_wrapperINS9_8equal_toIsEEEEPmJSH_EEE10hipError_tPvRmT3_T4_T5_T6_T7_T9_mT8_P12ihipStream_tbDpT10_ENKUlT_T0_E_clISt17integral_constantIbLb0EES1D_EEDaS18_S19_EUlS18_E_NS1_11comp_targetILNS1_3genE3ELNS1_11target_archE908ELNS1_3gpuE7ELNS1_3repE0EEENS1_30default_config_static_selectorELNS0_4arch9wavefront6targetE0EEEvT1_
; %bb.0:
	.section	.rodata,"a",@progbits
	.p2align	6, 0x0
	.amdhsa_kernel _ZN7rocprim17ROCPRIM_400000_NS6detail17trampoline_kernelINS0_14default_configENS1_25partition_config_selectorILNS1_17partition_subalgoE9EsjbEEZZNS1_14partition_implILS5_9ELb0ES3_jN6thrust23THRUST_200600_302600_NS6detail15normal_iteratorINS9_10device_ptrIsEEEENSB_INSC_IjEEEEPNS0_10empty_typeENS0_5tupleIJNS9_16discard_iteratorINS9_11use_defaultEEESH_EEENSJ_IJSG_SI_EEENS0_18inequality_wrapperINS9_8equal_toIsEEEEPmJSH_EEE10hipError_tPvRmT3_T4_T5_T6_T7_T9_mT8_P12ihipStream_tbDpT10_ENKUlT_T0_E_clISt17integral_constantIbLb0EES1D_EEDaS18_S19_EUlS18_E_NS1_11comp_targetILNS1_3genE3ELNS1_11target_archE908ELNS1_3gpuE7ELNS1_3repE0EEENS1_30default_config_static_selectorELNS0_4arch9wavefront6targetE0EEEvT1_
		.amdhsa_group_segment_fixed_size 0
		.amdhsa_private_segment_fixed_size 0
		.amdhsa_kernarg_size 120
		.amdhsa_user_sgpr_count 15
		.amdhsa_user_sgpr_dispatch_ptr 0
		.amdhsa_user_sgpr_queue_ptr 0
		.amdhsa_user_sgpr_kernarg_segment_ptr 1
		.amdhsa_user_sgpr_dispatch_id 0
		.amdhsa_user_sgpr_private_segment_size 0
		.amdhsa_wavefront_size32 1
		.amdhsa_uses_dynamic_stack 0
		.amdhsa_enable_private_segment 0
		.amdhsa_system_sgpr_workgroup_id_x 1
		.amdhsa_system_sgpr_workgroup_id_y 0
		.amdhsa_system_sgpr_workgroup_id_z 0
		.amdhsa_system_sgpr_workgroup_info 0
		.amdhsa_system_vgpr_workitem_id 0
		.amdhsa_next_free_vgpr 1
		.amdhsa_next_free_sgpr 1
		.amdhsa_reserve_vcc 0
		.amdhsa_float_round_mode_32 0
		.amdhsa_float_round_mode_16_64 0
		.amdhsa_float_denorm_mode_32 3
		.amdhsa_float_denorm_mode_16_64 3
		.amdhsa_dx10_clamp 1
		.amdhsa_ieee_mode 1
		.amdhsa_fp16_overflow 0
		.amdhsa_workgroup_processor_mode 1
		.amdhsa_memory_ordered 1
		.amdhsa_forward_progress 0
		.amdhsa_shared_vgpr_count 0
		.amdhsa_exception_fp_ieee_invalid_op 0
		.amdhsa_exception_fp_denorm_src 0
		.amdhsa_exception_fp_ieee_div_zero 0
		.amdhsa_exception_fp_ieee_overflow 0
		.amdhsa_exception_fp_ieee_underflow 0
		.amdhsa_exception_fp_ieee_inexact 0
		.amdhsa_exception_int_div_zero 0
	.end_amdhsa_kernel
	.section	.text._ZN7rocprim17ROCPRIM_400000_NS6detail17trampoline_kernelINS0_14default_configENS1_25partition_config_selectorILNS1_17partition_subalgoE9EsjbEEZZNS1_14partition_implILS5_9ELb0ES3_jN6thrust23THRUST_200600_302600_NS6detail15normal_iteratorINS9_10device_ptrIsEEEENSB_INSC_IjEEEEPNS0_10empty_typeENS0_5tupleIJNS9_16discard_iteratorINS9_11use_defaultEEESH_EEENSJ_IJSG_SI_EEENS0_18inequality_wrapperINS9_8equal_toIsEEEEPmJSH_EEE10hipError_tPvRmT3_T4_T5_T6_T7_T9_mT8_P12ihipStream_tbDpT10_ENKUlT_T0_E_clISt17integral_constantIbLb0EES1D_EEDaS18_S19_EUlS18_E_NS1_11comp_targetILNS1_3genE3ELNS1_11target_archE908ELNS1_3gpuE7ELNS1_3repE0EEENS1_30default_config_static_selectorELNS0_4arch9wavefront6targetE0EEEvT1_,"axG",@progbits,_ZN7rocprim17ROCPRIM_400000_NS6detail17trampoline_kernelINS0_14default_configENS1_25partition_config_selectorILNS1_17partition_subalgoE9EsjbEEZZNS1_14partition_implILS5_9ELb0ES3_jN6thrust23THRUST_200600_302600_NS6detail15normal_iteratorINS9_10device_ptrIsEEEENSB_INSC_IjEEEEPNS0_10empty_typeENS0_5tupleIJNS9_16discard_iteratorINS9_11use_defaultEEESH_EEENSJ_IJSG_SI_EEENS0_18inequality_wrapperINS9_8equal_toIsEEEEPmJSH_EEE10hipError_tPvRmT3_T4_T5_T6_T7_T9_mT8_P12ihipStream_tbDpT10_ENKUlT_T0_E_clISt17integral_constantIbLb0EES1D_EEDaS18_S19_EUlS18_E_NS1_11comp_targetILNS1_3genE3ELNS1_11target_archE908ELNS1_3gpuE7ELNS1_3repE0EEENS1_30default_config_static_selectorELNS0_4arch9wavefront6targetE0EEEvT1_,comdat
.Lfunc_end1240:
	.size	_ZN7rocprim17ROCPRIM_400000_NS6detail17trampoline_kernelINS0_14default_configENS1_25partition_config_selectorILNS1_17partition_subalgoE9EsjbEEZZNS1_14partition_implILS5_9ELb0ES3_jN6thrust23THRUST_200600_302600_NS6detail15normal_iteratorINS9_10device_ptrIsEEEENSB_INSC_IjEEEEPNS0_10empty_typeENS0_5tupleIJNS9_16discard_iteratorINS9_11use_defaultEEESH_EEENSJ_IJSG_SI_EEENS0_18inequality_wrapperINS9_8equal_toIsEEEEPmJSH_EEE10hipError_tPvRmT3_T4_T5_T6_T7_T9_mT8_P12ihipStream_tbDpT10_ENKUlT_T0_E_clISt17integral_constantIbLb0EES1D_EEDaS18_S19_EUlS18_E_NS1_11comp_targetILNS1_3genE3ELNS1_11target_archE908ELNS1_3gpuE7ELNS1_3repE0EEENS1_30default_config_static_selectorELNS0_4arch9wavefront6targetE0EEEvT1_, .Lfunc_end1240-_ZN7rocprim17ROCPRIM_400000_NS6detail17trampoline_kernelINS0_14default_configENS1_25partition_config_selectorILNS1_17partition_subalgoE9EsjbEEZZNS1_14partition_implILS5_9ELb0ES3_jN6thrust23THRUST_200600_302600_NS6detail15normal_iteratorINS9_10device_ptrIsEEEENSB_INSC_IjEEEEPNS0_10empty_typeENS0_5tupleIJNS9_16discard_iteratorINS9_11use_defaultEEESH_EEENSJ_IJSG_SI_EEENS0_18inequality_wrapperINS9_8equal_toIsEEEEPmJSH_EEE10hipError_tPvRmT3_T4_T5_T6_T7_T9_mT8_P12ihipStream_tbDpT10_ENKUlT_T0_E_clISt17integral_constantIbLb0EES1D_EEDaS18_S19_EUlS18_E_NS1_11comp_targetILNS1_3genE3ELNS1_11target_archE908ELNS1_3gpuE7ELNS1_3repE0EEENS1_30default_config_static_selectorELNS0_4arch9wavefront6targetE0EEEvT1_
                                        ; -- End function
	.section	.AMDGPU.csdata,"",@progbits
; Kernel info:
; codeLenInByte = 0
; NumSgprs: 0
; NumVgprs: 0
; ScratchSize: 0
; MemoryBound: 0
; FloatMode: 240
; IeeeMode: 1
; LDSByteSize: 0 bytes/workgroup (compile time only)
; SGPRBlocks: 0
; VGPRBlocks: 0
; NumSGPRsForWavesPerEU: 1
; NumVGPRsForWavesPerEU: 1
; Occupancy: 16
; WaveLimiterHint : 0
; COMPUTE_PGM_RSRC2:SCRATCH_EN: 0
; COMPUTE_PGM_RSRC2:USER_SGPR: 15
; COMPUTE_PGM_RSRC2:TRAP_HANDLER: 0
; COMPUTE_PGM_RSRC2:TGID_X_EN: 1
; COMPUTE_PGM_RSRC2:TGID_Y_EN: 0
; COMPUTE_PGM_RSRC2:TGID_Z_EN: 0
; COMPUTE_PGM_RSRC2:TIDIG_COMP_CNT: 0
	.section	.text._ZN7rocprim17ROCPRIM_400000_NS6detail17trampoline_kernelINS0_14default_configENS1_25partition_config_selectorILNS1_17partition_subalgoE9EsjbEEZZNS1_14partition_implILS5_9ELb0ES3_jN6thrust23THRUST_200600_302600_NS6detail15normal_iteratorINS9_10device_ptrIsEEEENSB_INSC_IjEEEEPNS0_10empty_typeENS0_5tupleIJNS9_16discard_iteratorINS9_11use_defaultEEESH_EEENSJ_IJSG_SI_EEENS0_18inequality_wrapperINS9_8equal_toIsEEEEPmJSH_EEE10hipError_tPvRmT3_T4_T5_T6_T7_T9_mT8_P12ihipStream_tbDpT10_ENKUlT_T0_E_clISt17integral_constantIbLb0EES1D_EEDaS18_S19_EUlS18_E_NS1_11comp_targetILNS1_3genE2ELNS1_11target_archE906ELNS1_3gpuE6ELNS1_3repE0EEENS1_30default_config_static_selectorELNS0_4arch9wavefront6targetE0EEEvT1_,"axG",@progbits,_ZN7rocprim17ROCPRIM_400000_NS6detail17trampoline_kernelINS0_14default_configENS1_25partition_config_selectorILNS1_17partition_subalgoE9EsjbEEZZNS1_14partition_implILS5_9ELb0ES3_jN6thrust23THRUST_200600_302600_NS6detail15normal_iteratorINS9_10device_ptrIsEEEENSB_INSC_IjEEEEPNS0_10empty_typeENS0_5tupleIJNS9_16discard_iteratorINS9_11use_defaultEEESH_EEENSJ_IJSG_SI_EEENS0_18inequality_wrapperINS9_8equal_toIsEEEEPmJSH_EEE10hipError_tPvRmT3_T4_T5_T6_T7_T9_mT8_P12ihipStream_tbDpT10_ENKUlT_T0_E_clISt17integral_constantIbLb0EES1D_EEDaS18_S19_EUlS18_E_NS1_11comp_targetILNS1_3genE2ELNS1_11target_archE906ELNS1_3gpuE6ELNS1_3repE0EEENS1_30default_config_static_selectorELNS0_4arch9wavefront6targetE0EEEvT1_,comdat
	.protected	_ZN7rocprim17ROCPRIM_400000_NS6detail17trampoline_kernelINS0_14default_configENS1_25partition_config_selectorILNS1_17partition_subalgoE9EsjbEEZZNS1_14partition_implILS5_9ELb0ES3_jN6thrust23THRUST_200600_302600_NS6detail15normal_iteratorINS9_10device_ptrIsEEEENSB_INSC_IjEEEEPNS0_10empty_typeENS0_5tupleIJNS9_16discard_iteratorINS9_11use_defaultEEESH_EEENSJ_IJSG_SI_EEENS0_18inequality_wrapperINS9_8equal_toIsEEEEPmJSH_EEE10hipError_tPvRmT3_T4_T5_T6_T7_T9_mT8_P12ihipStream_tbDpT10_ENKUlT_T0_E_clISt17integral_constantIbLb0EES1D_EEDaS18_S19_EUlS18_E_NS1_11comp_targetILNS1_3genE2ELNS1_11target_archE906ELNS1_3gpuE6ELNS1_3repE0EEENS1_30default_config_static_selectorELNS0_4arch9wavefront6targetE0EEEvT1_ ; -- Begin function _ZN7rocprim17ROCPRIM_400000_NS6detail17trampoline_kernelINS0_14default_configENS1_25partition_config_selectorILNS1_17partition_subalgoE9EsjbEEZZNS1_14partition_implILS5_9ELb0ES3_jN6thrust23THRUST_200600_302600_NS6detail15normal_iteratorINS9_10device_ptrIsEEEENSB_INSC_IjEEEEPNS0_10empty_typeENS0_5tupleIJNS9_16discard_iteratorINS9_11use_defaultEEESH_EEENSJ_IJSG_SI_EEENS0_18inequality_wrapperINS9_8equal_toIsEEEEPmJSH_EEE10hipError_tPvRmT3_T4_T5_T6_T7_T9_mT8_P12ihipStream_tbDpT10_ENKUlT_T0_E_clISt17integral_constantIbLb0EES1D_EEDaS18_S19_EUlS18_E_NS1_11comp_targetILNS1_3genE2ELNS1_11target_archE906ELNS1_3gpuE6ELNS1_3repE0EEENS1_30default_config_static_selectorELNS0_4arch9wavefront6targetE0EEEvT1_
	.globl	_ZN7rocprim17ROCPRIM_400000_NS6detail17trampoline_kernelINS0_14default_configENS1_25partition_config_selectorILNS1_17partition_subalgoE9EsjbEEZZNS1_14partition_implILS5_9ELb0ES3_jN6thrust23THRUST_200600_302600_NS6detail15normal_iteratorINS9_10device_ptrIsEEEENSB_INSC_IjEEEEPNS0_10empty_typeENS0_5tupleIJNS9_16discard_iteratorINS9_11use_defaultEEESH_EEENSJ_IJSG_SI_EEENS0_18inequality_wrapperINS9_8equal_toIsEEEEPmJSH_EEE10hipError_tPvRmT3_T4_T5_T6_T7_T9_mT8_P12ihipStream_tbDpT10_ENKUlT_T0_E_clISt17integral_constantIbLb0EES1D_EEDaS18_S19_EUlS18_E_NS1_11comp_targetILNS1_3genE2ELNS1_11target_archE906ELNS1_3gpuE6ELNS1_3repE0EEENS1_30default_config_static_selectorELNS0_4arch9wavefront6targetE0EEEvT1_
	.p2align	8
	.type	_ZN7rocprim17ROCPRIM_400000_NS6detail17trampoline_kernelINS0_14default_configENS1_25partition_config_selectorILNS1_17partition_subalgoE9EsjbEEZZNS1_14partition_implILS5_9ELb0ES3_jN6thrust23THRUST_200600_302600_NS6detail15normal_iteratorINS9_10device_ptrIsEEEENSB_INSC_IjEEEEPNS0_10empty_typeENS0_5tupleIJNS9_16discard_iteratorINS9_11use_defaultEEESH_EEENSJ_IJSG_SI_EEENS0_18inequality_wrapperINS9_8equal_toIsEEEEPmJSH_EEE10hipError_tPvRmT3_T4_T5_T6_T7_T9_mT8_P12ihipStream_tbDpT10_ENKUlT_T0_E_clISt17integral_constantIbLb0EES1D_EEDaS18_S19_EUlS18_E_NS1_11comp_targetILNS1_3genE2ELNS1_11target_archE906ELNS1_3gpuE6ELNS1_3repE0EEENS1_30default_config_static_selectorELNS0_4arch9wavefront6targetE0EEEvT1_,@function
_ZN7rocprim17ROCPRIM_400000_NS6detail17trampoline_kernelINS0_14default_configENS1_25partition_config_selectorILNS1_17partition_subalgoE9EsjbEEZZNS1_14partition_implILS5_9ELb0ES3_jN6thrust23THRUST_200600_302600_NS6detail15normal_iteratorINS9_10device_ptrIsEEEENSB_INSC_IjEEEEPNS0_10empty_typeENS0_5tupleIJNS9_16discard_iteratorINS9_11use_defaultEEESH_EEENSJ_IJSG_SI_EEENS0_18inequality_wrapperINS9_8equal_toIsEEEEPmJSH_EEE10hipError_tPvRmT3_T4_T5_T6_T7_T9_mT8_P12ihipStream_tbDpT10_ENKUlT_T0_E_clISt17integral_constantIbLb0EES1D_EEDaS18_S19_EUlS18_E_NS1_11comp_targetILNS1_3genE2ELNS1_11target_archE906ELNS1_3gpuE6ELNS1_3repE0EEENS1_30default_config_static_selectorELNS0_4arch9wavefront6targetE0EEEvT1_: ; @_ZN7rocprim17ROCPRIM_400000_NS6detail17trampoline_kernelINS0_14default_configENS1_25partition_config_selectorILNS1_17partition_subalgoE9EsjbEEZZNS1_14partition_implILS5_9ELb0ES3_jN6thrust23THRUST_200600_302600_NS6detail15normal_iteratorINS9_10device_ptrIsEEEENSB_INSC_IjEEEEPNS0_10empty_typeENS0_5tupleIJNS9_16discard_iteratorINS9_11use_defaultEEESH_EEENSJ_IJSG_SI_EEENS0_18inequality_wrapperINS9_8equal_toIsEEEEPmJSH_EEE10hipError_tPvRmT3_T4_T5_T6_T7_T9_mT8_P12ihipStream_tbDpT10_ENKUlT_T0_E_clISt17integral_constantIbLb0EES1D_EEDaS18_S19_EUlS18_E_NS1_11comp_targetILNS1_3genE2ELNS1_11target_archE906ELNS1_3gpuE6ELNS1_3repE0EEENS1_30default_config_static_selectorELNS0_4arch9wavefront6targetE0EEEvT1_
; %bb.0:
	.section	.rodata,"a",@progbits
	.p2align	6, 0x0
	.amdhsa_kernel _ZN7rocprim17ROCPRIM_400000_NS6detail17trampoline_kernelINS0_14default_configENS1_25partition_config_selectorILNS1_17partition_subalgoE9EsjbEEZZNS1_14partition_implILS5_9ELb0ES3_jN6thrust23THRUST_200600_302600_NS6detail15normal_iteratorINS9_10device_ptrIsEEEENSB_INSC_IjEEEEPNS0_10empty_typeENS0_5tupleIJNS9_16discard_iteratorINS9_11use_defaultEEESH_EEENSJ_IJSG_SI_EEENS0_18inequality_wrapperINS9_8equal_toIsEEEEPmJSH_EEE10hipError_tPvRmT3_T4_T5_T6_T7_T9_mT8_P12ihipStream_tbDpT10_ENKUlT_T0_E_clISt17integral_constantIbLb0EES1D_EEDaS18_S19_EUlS18_E_NS1_11comp_targetILNS1_3genE2ELNS1_11target_archE906ELNS1_3gpuE6ELNS1_3repE0EEENS1_30default_config_static_selectorELNS0_4arch9wavefront6targetE0EEEvT1_
		.amdhsa_group_segment_fixed_size 0
		.amdhsa_private_segment_fixed_size 0
		.amdhsa_kernarg_size 120
		.amdhsa_user_sgpr_count 15
		.amdhsa_user_sgpr_dispatch_ptr 0
		.amdhsa_user_sgpr_queue_ptr 0
		.amdhsa_user_sgpr_kernarg_segment_ptr 1
		.amdhsa_user_sgpr_dispatch_id 0
		.amdhsa_user_sgpr_private_segment_size 0
		.amdhsa_wavefront_size32 1
		.amdhsa_uses_dynamic_stack 0
		.amdhsa_enable_private_segment 0
		.amdhsa_system_sgpr_workgroup_id_x 1
		.amdhsa_system_sgpr_workgroup_id_y 0
		.amdhsa_system_sgpr_workgroup_id_z 0
		.amdhsa_system_sgpr_workgroup_info 0
		.amdhsa_system_vgpr_workitem_id 0
		.amdhsa_next_free_vgpr 1
		.amdhsa_next_free_sgpr 1
		.amdhsa_reserve_vcc 0
		.amdhsa_float_round_mode_32 0
		.amdhsa_float_round_mode_16_64 0
		.amdhsa_float_denorm_mode_32 3
		.amdhsa_float_denorm_mode_16_64 3
		.amdhsa_dx10_clamp 1
		.amdhsa_ieee_mode 1
		.amdhsa_fp16_overflow 0
		.amdhsa_workgroup_processor_mode 1
		.amdhsa_memory_ordered 1
		.amdhsa_forward_progress 0
		.amdhsa_shared_vgpr_count 0
		.amdhsa_exception_fp_ieee_invalid_op 0
		.amdhsa_exception_fp_denorm_src 0
		.amdhsa_exception_fp_ieee_div_zero 0
		.amdhsa_exception_fp_ieee_overflow 0
		.amdhsa_exception_fp_ieee_underflow 0
		.amdhsa_exception_fp_ieee_inexact 0
		.amdhsa_exception_int_div_zero 0
	.end_amdhsa_kernel
	.section	.text._ZN7rocprim17ROCPRIM_400000_NS6detail17trampoline_kernelINS0_14default_configENS1_25partition_config_selectorILNS1_17partition_subalgoE9EsjbEEZZNS1_14partition_implILS5_9ELb0ES3_jN6thrust23THRUST_200600_302600_NS6detail15normal_iteratorINS9_10device_ptrIsEEEENSB_INSC_IjEEEEPNS0_10empty_typeENS0_5tupleIJNS9_16discard_iteratorINS9_11use_defaultEEESH_EEENSJ_IJSG_SI_EEENS0_18inequality_wrapperINS9_8equal_toIsEEEEPmJSH_EEE10hipError_tPvRmT3_T4_T5_T6_T7_T9_mT8_P12ihipStream_tbDpT10_ENKUlT_T0_E_clISt17integral_constantIbLb0EES1D_EEDaS18_S19_EUlS18_E_NS1_11comp_targetILNS1_3genE2ELNS1_11target_archE906ELNS1_3gpuE6ELNS1_3repE0EEENS1_30default_config_static_selectorELNS0_4arch9wavefront6targetE0EEEvT1_,"axG",@progbits,_ZN7rocprim17ROCPRIM_400000_NS6detail17trampoline_kernelINS0_14default_configENS1_25partition_config_selectorILNS1_17partition_subalgoE9EsjbEEZZNS1_14partition_implILS5_9ELb0ES3_jN6thrust23THRUST_200600_302600_NS6detail15normal_iteratorINS9_10device_ptrIsEEEENSB_INSC_IjEEEEPNS0_10empty_typeENS0_5tupleIJNS9_16discard_iteratorINS9_11use_defaultEEESH_EEENSJ_IJSG_SI_EEENS0_18inequality_wrapperINS9_8equal_toIsEEEEPmJSH_EEE10hipError_tPvRmT3_T4_T5_T6_T7_T9_mT8_P12ihipStream_tbDpT10_ENKUlT_T0_E_clISt17integral_constantIbLb0EES1D_EEDaS18_S19_EUlS18_E_NS1_11comp_targetILNS1_3genE2ELNS1_11target_archE906ELNS1_3gpuE6ELNS1_3repE0EEENS1_30default_config_static_selectorELNS0_4arch9wavefront6targetE0EEEvT1_,comdat
.Lfunc_end1241:
	.size	_ZN7rocprim17ROCPRIM_400000_NS6detail17trampoline_kernelINS0_14default_configENS1_25partition_config_selectorILNS1_17partition_subalgoE9EsjbEEZZNS1_14partition_implILS5_9ELb0ES3_jN6thrust23THRUST_200600_302600_NS6detail15normal_iteratorINS9_10device_ptrIsEEEENSB_INSC_IjEEEEPNS0_10empty_typeENS0_5tupleIJNS9_16discard_iteratorINS9_11use_defaultEEESH_EEENSJ_IJSG_SI_EEENS0_18inequality_wrapperINS9_8equal_toIsEEEEPmJSH_EEE10hipError_tPvRmT3_T4_T5_T6_T7_T9_mT8_P12ihipStream_tbDpT10_ENKUlT_T0_E_clISt17integral_constantIbLb0EES1D_EEDaS18_S19_EUlS18_E_NS1_11comp_targetILNS1_3genE2ELNS1_11target_archE906ELNS1_3gpuE6ELNS1_3repE0EEENS1_30default_config_static_selectorELNS0_4arch9wavefront6targetE0EEEvT1_, .Lfunc_end1241-_ZN7rocprim17ROCPRIM_400000_NS6detail17trampoline_kernelINS0_14default_configENS1_25partition_config_selectorILNS1_17partition_subalgoE9EsjbEEZZNS1_14partition_implILS5_9ELb0ES3_jN6thrust23THRUST_200600_302600_NS6detail15normal_iteratorINS9_10device_ptrIsEEEENSB_INSC_IjEEEEPNS0_10empty_typeENS0_5tupleIJNS9_16discard_iteratorINS9_11use_defaultEEESH_EEENSJ_IJSG_SI_EEENS0_18inequality_wrapperINS9_8equal_toIsEEEEPmJSH_EEE10hipError_tPvRmT3_T4_T5_T6_T7_T9_mT8_P12ihipStream_tbDpT10_ENKUlT_T0_E_clISt17integral_constantIbLb0EES1D_EEDaS18_S19_EUlS18_E_NS1_11comp_targetILNS1_3genE2ELNS1_11target_archE906ELNS1_3gpuE6ELNS1_3repE0EEENS1_30default_config_static_selectorELNS0_4arch9wavefront6targetE0EEEvT1_
                                        ; -- End function
	.section	.AMDGPU.csdata,"",@progbits
; Kernel info:
; codeLenInByte = 0
; NumSgprs: 0
; NumVgprs: 0
; ScratchSize: 0
; MemoryBound: 0
; FloatMode: 240
; IeeeMode: 1
; LDSByteSize: 0 bytes/workgroup (compile time only)
; SGPRBlocks: 0
; VGPRBlocks: 0
; NumSGPRsForWavesPerEU: 1
; NumVGPRsForWavesPerEU: 1
; Occupancy: 16
; WaveLimiterHint : 0
; COMPUTE_PGM_RSRC2:SCRATCH_EN: 0
; COMPUTE_PGM_RSRC2:USER_SGPR: 15
; COMPUTE_PGM_RSRC2:TRAP_HANDLER: 0
; COMPUTE_PGM_RSRC2:TGID_X_EN: 1
; COMPUTE_PGM_RSRC2:TGID_Y_EN: 0
; COMPUTE_PGM_RSRC2:TGID_Z_EN: 0
; COMPUTE_PGM_RSRC2:TIDIG_COMP_CNT: 0
	.section	.text._ZN7rocprim17ROCPRIM_400000_NS6detail17trampoline_kernelINS0_14default_configENS1_25partition_config_selectorILNS1_17partition_subalgoE9EsjbEEZZNS1_14partition_implILS5_9ELb0ES3_jN6thrust23THRUST_200600_302600_NS6detail15normal_iteratorINS9_10device_ptrIsEEEENSB_INSC_IjEEEEPNS0_10empty_typeENS0_5tupleIJNS9_16discard_iteratorINS9_11use_defaultEEESH_EEENSJ_IJSG_SI_EEENS0_18inequality_wrapperINS9_8equal_toIsEEEEPmJSH_EEE10hipError_tPvRmT3_T4_T5_T6_T7_T9_mT8_P12ihipStream_tbDpT10_ENKUlT_T0_E_clISt17integral_constantIbLb0EES1D_EEDaS18_S19_EUlS18_E_NS1_11comp_targetILNS1_3genE10ELNS1_11target_archE1200ELNS1_3gpuE4ELNS1_3repE0EEENS1_30default_config_static_selectorELNS0_4arch9wavefront6targetE0EEEvT1_,"axG",@progbits,_ZN7rocprim17ROCPRIM_400000_NS6detail17trampoline_kernelINS0_14default_configENS1_25partition_config_selectorILNS1_17partition_subalgoE9EsjbEEZZNS1_14partition_implILS5_9ELb0ES3_jN6thrust23THRUST_200600_302600_NS6detail15normal_iteratorINS9_10device_ptrIsEEEENSB_INSC_IjEEEEPNS0_10empty_typeENS0_5tupleIJNS9_16discard_iteratorINS9_11use_defaultEEESH_EEENSJ_IJSG_SI_EEENS0_18inequality_wrapperINS9_8equal_toIsEEEEPmJSH_EEE10hipError_tPvRmT3_T4_T5_T6_T7_T9_mT8_P12ihipStream_tbDpT10_ENKUlT_T0_E_clISt17integral_constantIbLb0EES1D_EEDaS18_S19_EUlS18_E_NS1_11comp_targetILNS1_3genE10ELNS1_11target_archE1200ELNS1_3gpuE4ELNS1_3repE0EEENS1_30default_config_static_selectorELNS0_4arch9wavefront6targetE0EEEvT1_,comdat
	.protected	_ZN7rocprim17ROCPRIM_400000_NS6detail17trampoline_kernelINS0_14default_configENS1_25partition_config_selectorILNS1_17partition_subalgoE9EsjbEEZZNS1_14partition_implILS5_9ELb0ES3_jN6thrust23THRUST_200600_302600_NS6detail15normal_iteratorINS9_10device_ptrIsEEEENSB_INSC_IjEEEEPNS0_10empty_typeENS0_5tupleIJNS9_16discard_iteratorINS9_11use_defaultEEESH_EEENSJ_IJSG_SI_EEENS0_18inequality_wrapperINS9_8equal_toIsEEEEPmJSH_EEE10hipError_tPvRmT3_T4_T5_T6_T7_T9_mT8_P12ihipStream_tbDpT10_ENKUlT_T0_E_clISt17integral_constantIbLb0EES1D_EEDaS18_S19_EUlS18_E_NS1_11comp_targetILNS1_3genE10ELNS1_11target_archE1200ELNS1_3gpuE4ELNS1_3repE0EEENS1_30default_config_static_selectorELNS0_4arch9wavefront6targetE0EEEvT1_ ; -- Begin function _ZN7rocprim17ROCPRIM_400000_NS6detail17trampoline_kernelINS0_14default_configENS1_25partition_config_selectorILNS1_17partition_subalgoE9EsjbEEZZNS1_14partition_implILS5_9ELb0ES3_jN6thrust23THRUST_200600_302600_NS6detail15normal_iteratorINS9_10device_ptrIsEEEENSB_INSC_IjEEEEPNS0_10empty_typeENS0_5tupleIJNS9_16discard_iteratorINS9_11use_defaultEEESH_EEENSJ_IJSG_SI_EEENS0_18inequality_wrapperINS9_8equal_toIsEEEEPmJSH_EEE10hipError_tPvRmT3_T4_T5_T6_T7_T9_mT8_P12ihipStream_tbDpT10_ENKUlT_T0_E_clISt17integral_constantIbLb0EES1D_EEDaS18_S19_EUlS18_E_NS1_11comp_targetILNS1_3genE10ELNS1_11target_archE1200ELNS1_3gpuE4ELNS1_3repE0EEENS1_30default_config_static_selectorELNS0_4arch9wavefront6targetE0EEEvT1_
	.globl	_ZN7rocprim17ROCPRIM_400000_NS6detail17trampoline_kernelINS0_14default_configENS1_25partition_config_selectorILNS1_17partition_subalgoE9EsjbEEZZNS1_14partition_implILS5_9ELb0ES3_jN6thrust23THRUST_200600_302600_NS6detail15normal_iteratorINS9_10device_ptrIsEEEENSB_INSC_IjEEEEPNS0_10empty_typeENS0_5tupleIJNS9_16discard_iteratorINS9_11use_defaultEEESH_EEENSJ_IJSG_SI_EEENS0_18inequality_wrapperINS9_8equal_toIsEEEEPmJSH_EEE10hipError_tPvRmT3_T4_T5_T6_T7_T9_mT8_P12ihipStream_tbDpT10_ENKUlT_T0_E_clISt17integral_constantIbLb0EES1D_EEDaS18_S19_EUlS18_E_NS1_11comp_targetILNS1_3genE10ELNS1_11target_archE1200ELNS1_3gpuE4ELNS1_3repE0EEENS1_30default_config_static_selectorELNS0_4arch9wavefront6targetE0EEEvT1_
	.p2align	8
	.type	_ZN7rocprim17ROCPRIM_400000_NS6detail17trampoline_kernelINS0_14default_configENS1_25partition_config_selectorILNS1_17partition_subalgoE9EsjbEEZZNS1_14partition_implILS5_9ELb0ES3_jN6thrust23THRUST_200600_302600_NS6detail15normal_iteratorINS9_10device_ptrIsEEEENSB_INSC_IjEEEEPNS0_10empty_typeENS0_5tupleIJNS9_16discard_iteratorINS9_11use_defaultEEESH_EEENSJ_IJSG_SI_EEENS0_18inequality_wrapperINS9_8equal_toIsEEEEPmJSH_EEE10hipError_tPvRmT3_T4_T5_T6_T7_T9_mT8_P12ihipStream_tbDpT10_ENKUlT_T0_E_clISt17integral_constantIbLb0EES1D_EEDaS18_S19_EUlS18_E_NS1_11comp_targetILNS1_3genE10ELNS1_11target_archE1200ELNS1_3gpuE4ELNS1_3repE0EEENS1_30default_config_static_selectorELNS0_4arch9wavefront6targetE0EEEvT1_,@function
_ZN7rocprim17ROCPRIM_400000_NS6detail17trampoline_kernelINS0_14default_configENS1_25partition_config_selectorILNS1_17partition_subalgoE9EsjbEEZZNS1_14partition_implILS5_9ELb0ES3_jN6thrust23THRUST_200600_302600_NS6detail15normal_iteratorINS9_10device_ptrIsEEEENSB_INSC_IjEEEEPNS0_10empty_typeENS0_5tupleIJNS9_16discard_iteratorINS9_11use_defaultEEESH_EEENSJ_IJSG_SI_EEENS0_18inequality_wrapperINS9_8equal_toIsEEEEPmJSH_EEE10hipError_tPvRmT3_T4_T5_T6_T7_T9_mT8_P12ihipStream_tbDpT10_ENKUlT_T0_E_clISt17integral_constantIbLb0EES1D_EEDaS18_S19_EUlS18_E_NS1_11comp_targetILNS1_3genE10ELNS1_11target_archE1200ELNS1_3gpuE4ELNS1_3repE0EEENS1_30default_config_static_selectorELNS0_4arch9wavefront6targetE0EEEvT1_: ; @_ZN7rocprim17ROCPRIM_400000_NS6detail17trampoline_kernelINS0_14default_configENS1_25partition_config_selectorILNS1_17partition_subalgoE9EsjbEEZZNS1_14partition_implILS5_9ELb0ES3_jN6thrust23THRUST_200600_302600_NS6detail15normal_iteratorINS9_10device_ptrIsEEEENSB_INSC_IjEEEEPNS0_10empty_typeENS0_5tupleIJNS9_16discard_iteratorINS9_11use_defaultEEESH_EEENSJ_IJSG_SI_EEENS0_18inequality_wrapperINS9_8equal_toIsEEEEPmJSH_EEE10hipError_tPvRmT3_T4_T5_T6_T7_T9_mT8_P12ihipStream_tbDpT10_ENKUlT_T0_E_clISt17integral_constantIbLb0EES1D_EEDaS18_S19_EUlS18_E_NS1_11comp_targetILNS1_3genE10ELNS1_11target_archE1200ELNS1_3gpuE4ELNS1_3repE0EEENS1_30default_config_static_selectorELNS0_4arch9wavefront6targetE0EEEvT1_
; %bb.0:
	.section	.rodata,"a",@progbits
	.p2align	6, 0x0
	.amdhsa_kernel _ZN7rocprim17ROCPRIM_400000_NS6detail17trampoline_kernelINS0_14default_configENS1_25partition_config_selectorILNS1_17partition_subalgoE9EsjbEEZZNS1_14partition_implILS5_9ELb0ES3_jN6thrust23THRUST_200600_302600_NS6detail15normal_iteratorINS9_10device_ptrIsEEEENSB_INSC_IjEEEEPNS0_10empty_typeENS0_5tupleIJNS9_16discard_iteratorINS9_11use_defaultEEESH_EEENSJ_IJSG_SI_EEENS0_18inequality_wrapperINS9_8equal_toIsEEEEPmJSH_EEE10hipError_tPvRmT3_T4_T5_T6_T7_T9_mT8_P12ihipStream_tbDpT10_ENKUlT_T0_E_clISt17integral_constantIbLb0EES1D_EEDaS18_S19_EUlS18_E_NS1_11comp_targetILNS1_3genE10ELNS1_11target_archE1200ELNS1_3gpuE4ELNS1_3repE0EEENS1_30default_config_static_selectorELNS0_4arch9wavefront6targetE0EEEvT1_
		.amdhsa_group_segment_fixed_size 0
		.amdhsa_private_segment_fixed_size 0
		.amdhsa_kernarg_size 120
		.amdhsa_user_sgpr_count 15
		.amdhsa_user_sgpr_dispatch_ptr 0
		.amdhsa_user_sgpr_queue_ptr 0
		.amdhsa_user_sgpr_kernarg_segment_ptr 1
		.amdhsa_user_sgpr_dispatch_id 0
		.amdhsa_user_sgpr_private_segment_size 0
		.amdhsa_wavefront_size32 1
		.amdhsa_uses_dynamic_stack 0
		.amdhsa_enable_private_segment 0
		.amdhsa_system_sgpr_workgroup_id_x 1
		.amdhsa_system_sgpr_workgroup_id_y 0
		.amdhsa_system_sgpr_workgroup_id_z 0
		.amdhsa_system_sgpr_workgroup_info 0
		.amdhsa_system_vgpr_workitem_id 0
		.amdhsa_next_free_vgpr 1
		.amdhsa_next_free_sgpr 1
		.amdhsa_reserve_vcc 0
		.amdhsa_float_round_mode_32 0
		.amdhsa_float_round_mode_16_64 0
		.amdhsa_float_denorm_mode_32 3
		.amdhsa_float_denorm_mode_16_64 3
		.amdhsa_dx10_clamp 1
		.amdhsa_ieee_mode 1
		.amdhsa_fp16_overflow 0
		.amdhsa_workgroup_processor_mode 1
		.amdhsa_memory_ordered 1
		.amdhsa_forward_progress 0
		.amdhsa_shared_vgpr_count 0
		.amdhsa_exception_fp_ieee_invalid_op 0
		.amdhsa_exception_fp_denorm_src 0
		.amdhsa_exception_fp_ieee_div_zero 0
		.amdhsa_exception_fp_ieee_overflow 0
		.amdhsa_exception_fp_ieee_underflow 0
		.amdhsa_exception_fp_ieee_inexact 0
		.amdhsa_exception_int_div_zero 0
	.end_amdhsa_kernel
	.section	.text._ZN7rocprim17ROCPRIM_400000_NS6detail17trampoline_kernelINS0_14default_configENS1_25partition_config_selectorILNS1_17partition_subalgoE9EsjbEEZZNS1_14partition_implILS5_9ELb0ES3_jN6thrust23THRUST_200600_302600_NS6detail15normal_iteratorINS9_10device_ptrIsEEEENSB_INSC_IjEEEEPNS0_10empty_typeENS0_5tupleIJNS9_16discard_iteratorINS9_11use_defaultEEESH_EEENSJ_IJSG_SI_EEENS0_18inequality_wrapperINS9_8equal_toIsEEEEPmJSH_EEE10hipError_tPvRmT3_T4_T5_T6_T7_T9_mT8_P12ihipStream_tbDpT10_ENKUlT_T0_E_clISt17integral_constantIbLb0EES1D_EEDaS18_S19_EUlS18_E_NS1_11comp_targetILNS1_3genE10ELNS1_11target_archE1200ELNS1_3gpuE4ELNS1_3repE0EEENS1_30default_config_static_selectorELNS0_4arch9wavefront6targetE0EEEvT1_,"axG",@progbits,_ZN7rocprim17ROCPRIM_400000_NS6detail17trampoline_kernelINS0_14default_configENS1_25partition_config_selectorILNS1_17partition_subalgoE9EsjbEEZZNS1_14partition_implILS5_9ELb0ES3_jN6thrust23THRUST_200600_302600_NS6detail15normal_iteratorINS9_10device_ptrIsEEEENSB_INSC_IjEEEEPNS0_10empty_typeENS0_5tupleIJNS9_16discard_iteratorINS9_11use_defaultEEESH_EEENSJ_IJSG_SI_EEENS0_18inequality_wrapperINS9_8equal_toIsEEEEPmJSH_EEE10hipError_tPvRmT3_T4_T5_T6_T7_T9_mT8_P12ihipStream_tbDpT10_ENKUlT_T0_E_clISt17integral_constantIbLb0EES1D_EEDaS18_S19_EUlS18_E_NS1_11comp_targetILNS1_3genE10ELNS1_11target_archE1200ELNS1_3gpuE4ELNS1_3repE0EEENS1_30default_config_static_selectorELNS0_4arch9wavefront6targetE0EEEvT1_,comdat
.Lfunc_end1242:
	.size	_ZN7rocprim17ROCPRIM_400000_NS6detail17trampoline_kernelINS0_14default_configENS1_25partition_config_selectorILNS1_17partition_subalgoE9EsjbEEZZNS1_14partition_implILS5_9ELb0ES3_jN6thrust23THRUST_200600_302600_NS6detail15normal_iteratorINS9_10device_ptrIsEEEENSB_INSC_IjEEEEPNS0_10empty_typeENS0_5tupleIJNS9_16discard_iteratorINS9_11use_defaultEEESH_EEENSJ_IJSG_SI_EEENS0_18inequality_wrapperINS9_8equal_toIsEEEEPmJSH_EEE10hipError_tPvRmT3_T4_T5_T6_T7_T9_mT8_P12ihipStream_tbDpT10_ENKUlT_T0_E_clISt17integral_constantIbLb0EES1D_EEDaS18_S19_EUlS18_E_NS1_11comp_targetILNS1_3genE10ELNS1_11target_archE1200ELNS1_3gpuE4ELNS1_3repE0EEENS1_30default_config_static_selectorELNS0_4arch9wavefront6targetE0EEEvT1_, .Lfunc_end1242-_ZN7rocprim17ROCPRIM_400000_NS6detail17trampoline_kernelINS0_14default_configENS1_25partition_config_selectorILNS1_17partition_subalgoE9EsjbEEZZNS1_14partition_implILS5_9ELb0ES3_jN6thrust23THRUST_200600_302600_NS6detail15normal_iteratorINS9_10device_ptrIsEEEENSB_INSC_IjEEEEPNS0_10empty_typeENS0_5tupleIJNS9_16discard_iteratorINS9_11use_defaultEEESH_EEENSJ_IJSG_SI_EEENS0_18inequality_wrapperINS9_8equal_toIsEEEEPmJSH_EEE10hipError_tPvRmT3_T4_T5_T6_T7_T9_mT8_P12ihipStream_tbDpT10_ENKUlT_T0_E_clISt17integral_constantIbLb0EES1D_EEDaS18_S19_EUlS18_E_NS1_11comp_targetILNS1_3genE10ELNS1_11target_archE1200ELNS1_3gpuE4ELNS1_3repE0EEENS1_30default_config_static_selectorELNS0_4arch9wavefront6targetE0EEEvT1_
                                        ; -- End function
	.section	.AMDGPU.csdata,"",@progbits
; Kernel info:
; codeLenInByte = 0
; NumSgprs: 0
; NumVgprs: 0
; ScratchSize: 0
; MemoryBound: 0
; FloatMode: 240
; IeeeMode: 1
; LDSByteSize: 0 bytes/workgroup (compile time only)
; SGPRBlocks: 0
; VGPRBlocks: 0
; NumSGPRsForWavesPerEU: 1
; NumVGPRsForWavesPerEU: 1
; Occupancy: 16
; WaveLimiterHint : 0
; COMPUTE_PGM_RSRC2:SCRATCH_EN: 0
; COMPUTE_PGM_RSRC2:USER_SGPR: 15
; COMPUTE_PGM_RSRC2:TRAP_HANDLER: 0
; COMPUTE_PGM_RSRC2:TGID_X_EN: 1
; COMPUTE_PGM_RSRC2:TGID_Y_EN: 0
; COMPUTE_PGM_RSRC2:TGID_Z_EN: 0
; COMPUTE_PGM_RSRC2:TIDIG_COMP_CNT: 0
	.section	.text._ZN7rocprim17ROCPRIM_400000_NS6detail17trampoline_kernelINS0_14default_configENS1_25partition_config_selectorILNS1_17partition_subalgoE9EsjbEEZZNS1_14partition_implILS5_9ELb0ES3_jN6thrust23THRUST_200600_302600_NS6detail15normal_iteratorINS9_10device_ptrIsEEEENSB_INSC_IjEEEEPNS0_10empty_typeENS0_5tupleIJNS9_16discard_iteratorINS9_11use_defaultEEESH_EEENSJ_IJSG_SI_EEENS0_18inequality_wrapperINS9_8equal_toIsEEEEPmJSH_EEE10hipError_tPvRmT3_T4_T5_T6_T7_T9_mT8_P12ihipStream_tbDpT10_ENKUlT_T0_E_clISt17integral_constantIbLb0EES1D_EEDaS18_S19_EUlS18_E_NS1_11comp_targetILNS1_3genE9ELNS1_11target_archE1100ELNS1_3gpuE3ELNS1_3repE0EEENS1_30default_config_static_selectorELNS0_4arch9wavefront6targetE0EEEvT1_,"axG",@progbits,_ZN7rocprim17ROCPRIM_400000_NS6detail17trampoline_kernelINS0_14default_configENS1_25partition_config_selectorILNS1_17partition_subalgoE9EsjbEEZZNS1_14partition_implILS5_9ELb0ES3_jN6thrust23THRUST_200600_302600_NS6detail15normal_iteratorINS9_10device_ptrIsEEEENSB_INSC_IjEEEEPNS0_10empty_typeENS0_5tupleIJNS9_16discard_iteratorINS9_11use_defaultEEESH_EEENSJ_IJSG_SI_EEENS0_18inequality_wrapperINS9_8equal_toIsEEEEPmJSH_EEE10hipError_tPvRmT3_T4_T5_T6_T7_T9_mT8_P12ihipStream_tbDpT10_ENKUlT_T0_E_clISt17integral_constantIbLb0EES1D_EEDaS18_S19_EUlS18_E_NS1_11comp_targetILNS1_3genE9ELNS1_11target_archE1100ELNS1_3gpuE3ELNS1_3repE0EEENS1_30default_config_static_selectorELNS0_4arch9wavefront6targetE0EEEvT1_,comdat
	.protected	_ZN7rocprim17ROCPRIM_400000_NS6detail17trampoline_kernelINS0_14default_configENS1_25partition_config_selectorILNS1_17partition_subalgoE9EsjbEEZZNS1_14partition_implILS5_9ELb0ES3_jN6thrust23THRUST_200600_302600_NS6detail15normal_iteratorINS9_10device_ptrIsEEEENSB_INSC_IjEEEEPNS0_10empty_typeENS0_5tupleIJNS9_16discard_iteratorINS9_11use_defaultEEESH_EEENSJ_IJSG_SI_EEENS0_18inequality_wrapperINS9_8equal_toIsEEEEPmJSH_EEE10hipError_tPvRmT3_T4_T5_T6_T7_T9_mT8_P12ihipStream_tbDpT10_ENKUlT_T0_E_clISt17integral_constantIbLb0EES1D_EEDaS18_S19_EUlS18_E_NS1_11comp_targetILNS1_3genE9ELNS1_11target_archE1100ELNS1_3gpuE3ELNS1_3repE0EEENS1_30default_config_static_selectorELNS0_4arch9wavefront6targetE0EEEvT1_ ; -- Begin function _ZN7rocprim17ROCPRIM_400000_NS6detail17trampoline_kernelINS0_14default_configENS1_25partition_config_selectorILNS1_17partition_subalgoE9EsjbEEZZNS1_14partition_implILS5_9ELb0ES3_jN6thrust23THRUST_200600_302600_NS6detail15normal_iteratorINS9_10device_ptrIsEEEENSB_INSC_IjEEEEPNS0_10empty_typeENS0_5tupleIJNS9_16discard_iteratorINS9_11use_defaultEEESH_EEENSJ_IJSG_SI_EEENS0_18inequality_wrapperINS9_8equal_toIsEEEEPmJSH_EEE10hipError_tPvRmT3_T4_T5_T6_T7_T9_mT8_P12ihipStream_tbDpT10_ENKUlT_T0_E_clISt17integral_constantIbLb0EES1D_EEDaS18_S19_EUlS18_E_NS1_11comp_targetILNS1_3genE9ELNS1_11target_archE1100ELNS1_3gpuE3ELNS1_3repE0EEENS1_30default_config_static_selectorELNS0_4arch9wavefront6targetE0EEEvT1_
	.globl	_ZN7rocprim17ROCPRIM_400000_NS6detail17trampoline_kernelINS0_14default_configENS1_25partition_config_selectorILNS1_17partition_subalgoE9EsjbEEZZNS1_14partition_implILS5_9ELb0ES3_jN6thrust23THRUST_200600_302600_NS6detail15normal_iteratorINS9_10device_ptrIsEEEENSB_INSC_IjEEEEPNS0_10empty_typeENS0_5tupleIJNS9_16discard_iteratorINS9_11use_defaultEEESH_EEENSJ_IJSG_SI_EEENS0_18inequality_wrapperINS9_8equal_toIsEEEEPmJSH_EEE10hipError_tPvRmT3_T4_T5_T6_T7_T9_mT8_P12ihipStream_tbDpT10_ENKUlT_T0_E_clISt17integral_constantIbLb0EES1D_EEDaS18_S19_EUlS18_E_NS1_11comp_targetILNS1_3genE9ELNS1_11target_archE1100ELNS1_3gpuE3ELNS1_3repE0EEENS1_30default_config_static_selectorELNS0_4arch9wavefront6targetE0EEEvT1_
	.p2align	8
	.type	_ZN7rocprim17ROCPRIM_400000_NS6detail17trampoline_kernelINS0_14default_configENS1_25partition_config_selectorILNS1_17partition_subalgoE9EsjbEEZZNS1_14partition_implILS5_9ELb0ES3_jN6thrust23THRUST_200600_302600_NS6detail15normal_iteratorINS9_10device_ptrIsEEEENSB_INSC_IjEEEEPNS0_10empty_typeENS0_5tupleIJNS9_16discard_iteratorINS9_11use_defaultEEESH_EEENSJ_IJSG_SI_EEENS0_18inequality_wrapperINS9_8equal_toIsEEEEPmJSH_EEE10hipError_tPvRmT3_T4_T5_T6_T7_T9_mT8_P12ihipStream_tbDpT10_ENKUlT_T0_E_clISt17integral_constantIbLb0EES1D_EEDaS18_S19_EUlS18_E_NS1_11comp_targetILNS1_3genE9ELNS1_11target_archE1100ELNS1_3gpuE3ELNS1_3repE0EEENS1_30default_config_static_selectorELNS0_4arch9wavefront6targetE0EEEvT1_,@function
_ZN7rocprim17ROCPRIM_400000_NS6detail17trampoline_kernelINS0_14default_configENS1_25partition_config_selectorILNS1_17partition_subalgoE9EsjbEEZZNS1_14partition_implILS5_9ELb0ES3_jN6thrust23THRUST_200600_302600_NS6detail15normal_iteratorINS9_10device_ptrIsEEEENSB_INSC_IjEEEEPNS0_10empty_typeENS0_5tupleIJNS9_16discard_iteratorINS9_11use_defaultEEESH_EEENSJ_IJSG_SI_EEENS0_18inequality_wrapperINS9_8equal_toIsEEEEPmJSH_EEE10hipError_tPvRmT3_T4_T5_T6_T7_T9_mT8_P12ihipStream_tbDpT10_ENKUlT_T0_E_clISt17integral_constantIbLb0EES1D_EEDaS18_S19_EUlS18_E_NS1_11comp_targetILNS1_3genE9ELNS1_11target_archE1100ELNS1_3gpuE3ELNS1_3repE0EEENS1_30default_config_static_selectorELNS0_4arch9wavefront6targetE0EEEvT1_: ; @_ZN7rocprim17ROCPRIM_400000_NS6detail17trampoline_kernelINS0_14default_configENS1_25partition_config_selectorILNS1_17partition_subalgoE9EsjbEEZZNS1_14partition_implILS5_9ELb0ES3_jN6thrust23THRUST_200600_302600_NS6detail15normal_iteratorINS9_10device_ptrIsEEEENSB_INSC_IjEEEEPNS0_10empty_typeENS0_5tupleIJNS9_16discard_iteratorINS9_11use_defaultEEESH_EEENSJ_IJSG_SI_EEENS0_18inequality_wrapperINS9_8equal_toIsEEEEPmJSH_EEE10hipError_tPvRmT3_T4_T5_T6_T7_T9_mT8_P12ihipStream_tbDpT10_ENKUlT_T0_E_clISt17integral_constantIbLb0EES1D_EEDaS18_S19_EUlS18_E_NS1_11comp_targetILNS1_3genE9ELNS1_11target_archE1100ELNS1_3gpuE3ELNS1_3repE0EEENS1_30default_config_static_selectorELNS0_4arch9wavefront6targetE0EEEvT1_
; %bb.0:
	s_clause 0x4
	s_load_b128 s[4:7], s[0:1], 0x8
	s_load_b32 s14, s[0:1], 0x70
	s_load_b128 s[16:19], s[0:1], 0x48
	s_load_b64 s[2:3], s[0:1], 0x58
	s_load_b64 s[8:9], s[0:1], 0x18
	v_lshlrev_b32_e32 v9, 1, v0
	s_waitcnt lgkmcnt(0)
	s_lshl_b64 s[10:11], s[6:7], 1
	s_mul_i32 s20, s14, 0x580
	s_add_u32 s10, s4, s10
	s_addc_u32 s11, s5, s11
	s_add_i32 s4, s20, s6
	s_load_b64 s[12:13], s[18:19], 0x0
	s_sub_i32 s19, s2, s4
	s_add_i32 s14, s14, -1
	s_addk_i32 s19, 0x580
	s_add_u32 s4, s6, s20
	s_addc_u32 s5, s7, 0
	s_cmp_eq_u32 s15, s14
	v_cmp_ge_u64_e64 s2, s[4:5], s[2:3]
	s_cselect_b32 s14, -1, 0
	s_mov_b32 s5, 0
	s_mul_i32 s4, s15, 0x580
	s_delay_alu instid0(VALU_DEP_1)
	s_and_b32 s20, s14, s2
	s_lshl_b64 s[2:3], s[4:5], 1
	s_xor_b32 s18, s20, -1
	s_add_u32 s10, s10, s2
	s_addc_u32 s3, s11, s3
	s_and_b32 vcc_lo, exec_lo, s18
	s_mov_b32 s11, -1
	s_cbranch_vccz .LBB1243_2
; %bb.1:
	v_add_co_u32 v1, s2, s10, v9
	s_delay_alu instid0(VALU_DEP_1)
	v_add_co_ci_u32_e64 v2, null, s3, 0, s2
	s_mov_b32 s11, s5
	s_clause 0xa
	flat_load_u16 v3, v[1:2]
	flat_load_u16 v4, v[1:2] offset:256
	flat_load_u16 v5, v[1:2] offset:512
	;; [unrolled: 1-line block ×10, first 2 shown]
	s_waitcnt vmcnt(10) lgkmcnt(0)
	ds_store_b16 v9, v3
	s_waitcnt vmcnt(9)
	ds_store_b16 v9, v4 offset:256
	s_waitcnt vmcnt(8)
	ds_store_b16 v9, v5 offset:512
	s_waitcnt vmcnt(7)
	ds_store_b16 v9, v6 offset:768
	s_waitcnt vmcnt(6)
	ds_store_b16 v9, v7 offset:1024
	s_waitcnt vmcnt(5)
	ds_store_b16 v9, v8 offset:1280
	s_waitcnt vmcnt(4)
	ds_store_b16 v9, v10 offset:1536
	s_waitcnt vmcnt(3)
	ds_store_b16 v9, v11 offset:1792
	s_waitcnt vmcnt(2)
	ds_store_b16 v9, v12 offset:2048
	s_waitcnt vmcnt(1)
	ds_store_b16 v9, v13 offset:2304
	s_waitcnt vmcnt(0)
	ds_store_b16 v9, v1 offset:2560
	s_waitcnt lgkmcnt(0)
	s_barrier
.LBB1243_2:
	v_cmp_gt_u32_e64 s2, s19, v0
	s_and_not1_b32 vcc_lo, exec_lo, s11
	s_cbranch_vccnz .LBB1243_26
; %bb.3:
                                        ; implicit-def: $vgpr1_vgpr2_vgpr3_vgpr4_vgpr5_vgpr6_vgpr7_vgpr8
	s_delay_alu instid0(VALU_DEP_1)
	s_and_saveexec_b32 s11, s2
	s_cbranch_execz .LBB1243_5
; %bb.4:
	v_add_co_u32 v1, s2, s10, v9
	s_delay_alu instid0(VALU_DEP_1)
	v_add_co_ci_u32_e64 v2, null, s3, 0, s2
	flat_load_d16_b16 v1, v[1:2]
.LBB1243_5:
	s_or_b32 exec_lo, exec_lo, s11
	v_or_b32_e32 v7, 0x80, v0
	s_mov_b32 s2, exec_lo
	s_delay_alu instid0(VALU_DEP_1)
	v_cmpx_gt_u32_e64 s19, v7
	s_cbranch_execz .LBB1243_7
; %bb.6:
	v_add_co_u32 v7, s11, s10, v9
	s_delay_alu instid0(VALU_DEP_1)
	v_add_co_ci_u32_e64 v8, null, s3, 0, s11
	s_waitcnt vmcnt(0) lgkmcnt(0)
	flat_load_d16_hi_b16 v1, v[7:8] offset:256
.LBB1243_7:
	s_or_b32 exec_lo, exec_lo, s2
	v_or_b32_e32 v7, 0x100, v0
	s_mov_b32 s2, exec_lo
	s_delay_alu instid0(VALU_DEP_1)
	v_cmpx_gt_u32_e64 s19, v7
	s_cbranch_execz .LBB1243_9
; %bb.8:
	v_add_co_u32 v7, s11, s10, v9
	s_delay_alu instid0(VALU_DEP_1)
	v_add_co_ci_u32_e64 v8, null, s3, 0, s11
	flat_load_d16_b16 v2, v[7:8] offset:512
.LBB1243_9:
	s_or_b32 exec_lo, exec_lo, s2
	v_or_b32_e32 v7, 0x180, v0
	s_mov_b32 s2, exec_lo
	s_delay_alu instid0(VALU_DEP_1)
	v_cmpx_gt_u32_e64 s19, v7
	s_cbranch_execz .LBB1243_11
; %bb.10:
	v_add_co_u32 v7, s11, s10, v9
	s_delay_alu instid0(VALU_DEP_1)
	v_add_co_ci_u32_e64 v8, null, s3, 0, s11
	s_waitcnt vmcnt(0) lgkmcnt(0)
	flat_load_d16_hi_b16 v2, v[7:8] offset:768
.LBB1243_11:
	s_or_b32 exec_lo, exec_lo, s2
	v_or_b32_e32 v7, 0x200, v0
	s_mov_b32 s2, exec_lo
	s_delay_alu instid0(VALU_DEP_1)
	v_cmpx_gt_u32_e64 s19, v7
	s_cbranch_execz .LBB1243_13
; %bb.12:
	v_add_co_u32 v7, s11, s10, v9
	s_delay_alu instid0(VALU_DEP_1)
	v_add_co_ci_u32_e64 v8, null, s3, 0, s11
	flat_load_d16_b16 v3, v[7:8] offset:1024
.LBB1243_13:
	;; [unrolled: 25-line block ×5, first 2 shown]
	s_or_b32 exec_lo, exec_lo, s2
	s_waitcnt vmcnt(0) lgkmcnt(0)
	ds_store_b16 v9, v1
	ds_store_b16_d16_hi v9, v1 offset:256
	ds_store_b16 v9, v2 offset:512
	ds_store_b16_d16_hi v9, v2 offset:768
	ds_store_b16 v9, v3 offset:1024
	;; [unrolled: 2-line block ×5, first 2 shown]
	s_waitcnt lgkmcnt(0)
	s_barrier
.LBB1243_26:
	v_mul_u32_u24_e32 v1, 11, v0
	s_waitcnt lgkmcnt(0)
	buffer_gl0_inv
	s_lshl_b64 s[22:23], s[6:7], 2
	s_delay_alu instid0(SALU_CYCLE_1)
	s_add_u32 s2, s8, s22
	v_lshlrev_b32_e32 v2, 1, v1
	s_addc_u32 s8, s9, s23
	s_lshl_b64 s[4:5], s[4:5], 2
	ds_load_b128 v[12:15], v2
	ds_load_u16 v36, v2 offset:16
	ds_load_u16 v35, v2 offset:18
	;; [unrolled: 1-line block ×3, first 2 shown]
	s_add_u32 s2, s2, s4
	s_addc_u32 s4, s8, s5
	s_and_b32 vcc_lo, exec_lo, s18
	s_mov_b32 s5, -1
	s_waitcnt lgkmcnt(0)
	s_barrier
	buffer_gl0_inv
	s_cbranch_vccz .LBB1243_28
; %bb.27:
	v_lshlrev_b32_e32 v7, 2, v0
	s_delay_alu instid0(VALU_DEP_1) | instskip(NEXT) | instid1(VALU_DEP_1)
	v_add_co_u32 v3, s5, s2, v7
	v_add_co_ci_u32_e64 v4, null, s4, 0, s5
	s_mov_b32 s5, 0
	s_delay_alu instid0(VALU_DEP_2) | instskip(NEXT) | instid1(VALU_DEP_2)
	v_add_co_u32 v5, vcc_lo, 0x1000, v3
	v_add_co_ci_u32_e32 v6, vcc_lo, 0, v4, vcc_lo
	s_clause 0xa
	flat_load_b32 v8, v[3:4]
	flat_load_b32 v10, v[3:4] offset:512
	flat_load_b32 v11, v[3:4] offset:1024
	;; [unrolled: 1-line block ×7, first 2 shown]
	flat_load_b32 v4, v[5:6]
	flat_load_b32 v20, v[5:6] offset:512
	flat_load_b32 v5, v[5:6] offset:1024
	s_waitcnt vmcnt(9) lgkmcnt(9)
	ds_store_2addr_stride64_b32 v7, v8, v10 offset1:2
	s_waitcnt vmcnt(7) lgkmcnt(8)
	ds_store_2addr_stride64_b32 v7, v11, v16 offset0:4 offset1:6
	s_waitcnt vmcnt(5) lgkmcnt(7)
	ds_store_2addr_stride64_b32 v7, v17, v18 offset0:8 offset1:10
	;; [unrolled: 2-line block ×4, first 2 shown]
	s_waitcnt vmcnt(0) lgkmcnt(5)
	ds_store_b32 v7, v5 offset:5120
	s_waitcnt lgkmcnt(0)
	s_barrier
.LBB1243_28:
	s_and_not1_b32 vcc_lo, exec_lo, s5
	s_cbranch_vccnz .LBB1243_52
; %bb.29:
	s_mov_b32 s5, exec_lo
                                        ; implicit-def: $vgpr3
	v_cmpx_gt_u32_e64 s19, v0
	s_cbranch_execz .LBB1243_31
; %bb.30:
	v_lshlrev_b32_e32 v3, 2, v0
	s_delay_alu instid0(VALU_DEP_1) | instskip(NEXT) | instid1(VALU_DEP_1)
	v_add_co_u32 v3, s8, s2, v3
	v_add_co_ci_u32_e64 v4, null, s4, 0, s8
	flat_load_b32 v3, v[3:4]
.LBB1243_31:
	s_or_b32 exec_lo, exec_lo, s5
	v_or_b32_e32 v4, 0x80, v0
	s_delay_alu instid0(VALU_DEP_1)
	v_cmp_gt_u32_e32 vcc_lo, s19, v4
                                        ; implicit-def: $vgpr4
	s_and_saveexec_b32 s5, vcc_lo
	s_cbranch_execz .LBB1243_33
; %bb.32:
	v_lshlrev_b32_e32 v4, 2, v0
	s_delay_alu instid0(VALU_DEP_1) | instskip(NEXT) | instid1(VALU_DEP_1)
	v_add_co_u32 v4, s8, s2, v4
	v_add_co_ci_u32_e64 v5, null, s4, 0, s8
	flat_load_b32 v4, v[4:5] offset:512
.LBB1243_33:
	s_or_b32 exec_lo, exec_lo, s5
	v_or_b32_e32 v5, 0x100, v0
	s_delay_alu instid0(VALU_DEP_1)
	v_cmp_gt_u32_e32 vcc_lo, s19, v5
                                        ; implicit-def: $vgpr5
	s_and_saveexec_b32 s5, vcc_lo
	s_cbranch_execz .LBB1243_35
; %bb.34:
	v_lshlrev_b32_e32 v5, 2, v0
	s_delay_alu instid0(VALU_DEP_1) | instskip(NEXT) | instid1(VALU_DEP_1)
	v_add_co_u32 v5, s8, s2, v5
	v_add_co_ci_u32_e64 v6, null, s4, 0, s8
	flat_load_b32 v5, v[5:6] offset:1024
.LBB1243_35:
	s_or_b32 exec_lo, exec_lo, s5
	v_or_b32_e32 v6, 0x180, v0
	s_delay_alu instid0(VALU_DEP_1)
	v_cmp_gt_u32_e32 vcc_lo, s19, v6
                                        ; implicit-def: $vgpr6
	s_and_saveexec_b32 s5, vcc_lo
	s_cbranch_execz .LBB1243_37
; %bb.36:
	v_lshlrev_b32_e32 v6, 2, v0
	s_delay_alu instid0(VALU_DEP_1) | instskip(NEXT) | instid1(VALU_DEP_1)
	v_add_co_u32 v6, s8, s2, v6
	v_add_co_ci_u32_e64 v7, null, s4, 0, s8
	flat_load_b32 v6, v[6:7] offset:1536
.LBB1243_37:
	s_or_b32 exec_lo, exec_lo, s5
	v_or_b32_e32 v7, 0x200, v0
	s_delay_alu instid0(VALU_DEP_1)
	v_cmp_gt_u32_e32 vcc_lo, s19, v7
                                        ; implicit-def: $vgpr7
	s_and_saveexec_b32 s5, vcc_lo
	s_cbranch_execz .LBB1243_39
; %bb.38:
	v_lshlrev_b32_e32 v7, 2, v0
	s_delay_alu instid0(VALU_DEP_1) | instskip(NEXT) | instid1(VALU_DEP_1)
	v_add_co_u32 v7, s8, s2, v7
	v_add_co_ci_u32_e64 v8, null, s4, 0, s8
	flat_load_b32 v7, v[7:8] offset:2048
.LBB1243_39:
	s_or_b32 exec_lo, exec_lo, s5
	v_or_b32_e32 v8, 0x280, v0
	s_delay_alu instid0(VALU_DEP_1)
	v_cmp_gt_u32_e32 vcc_lo, s19, v8
                                        ; implicit-def: $vgpr8
	s_and_saveexec_b32 s5, vcc_lo
	s_cbranch_execz .LBB1243_41
; %bb.40:
	v_lshlrev_b32_e32 v8, 2, v0
	s_delay_alu instid0(VALU_DEP_1) | instskip(NEXT) | instid1(VALU_DEP_1)
	v_add_co_u32 v10, s8, s2, v8
	v_add_co_ci_u32_e64 v11, null, s4, 0, s8
	flat_load_b32 v8, v[10:11] offset:2560
.LBB1243_41:
	s_or_b32 exec_lo, exec_lo, s5
	v_or_b32_e32 v10, 0x300, v0
	s_delay_alu instid0(VALU_DEP_1)
	v_cmp_gt_u32_e32 vcc_lo, s19, v10
                                        ; implicit-def: $vgpr10
	s_and_saveexec_b32 s5, vcc_lo
	s_cbranch_execz .LBB1243_43
; %bb.42:
	v_lshlrev_b32_e32 v10, 2, v0
	s_delay_alu instid0(VALU_DEP_1) | instskip(NEXT) | instid1(VALU_DEP_1)
	v_add_co_u32 v10, s8, s2, v10
	v_add_co_ci_u32_e64 v11, null, s4, 0, s8
	flat_load_b32 v10, v[10:11] offset:3072
.LBB1243_43:
	s_or_b32 exec_lo, exec_lo, s5
	v_or_b32_e32 v11, 0x380, v0
	s_delay_alu instid0(VALU_DEP_1)
	v_cmp_gt_u32_e32 vcc_lo, s19, v11
                                        ; implicit-def: $vgpr11
	s_and_saveexec_b32 s5, vcc_lo
	s_cbranch_execz .LBB1243_45
; %bb.44:
	v_lshlrev_b32_e32 v11, 2, v0
	s_delay_alu instid0(VALU_DEP_1) | instskip(NEXT) | instid1(VALU_DEP_1)
	v_add_co_u32 v16, s8, s2, v11
	v_add_co_ci_u32_e64 v17, null, s4, 0, s8
	flat_load_b32 v11, v[16:17] offset:3584
.LBB1243_45:
	s_or_b32 exec_lo, exec_lo, s5
	v_or_b32_e32 v17, 0x400, v0
	s_mov_b32 s5, exec_lo
                                        ; implicit-def: $vgpr16
	s_delay_alu instid0(VALU_DEP_1)
	v_cmpx_gt_u32_e64 s19, v17
	s_cbranch_execz .LBB1243_47
; %bb.46:
	v_lshlrev_b32_e32 v16, 2, v17
	s_delay_alu instid0(VALU_DEP_1) | instskip(NEXT) | instid1(VALU_DEP_1)
	v_add_co_u32 v16, s8, s2, v16
	v_add_co_ci_u32_e64 v17, null, s4, 0, s8
	flat_load_b32 v16, v[16:17]
.LBB1243_47:
	s_or_b32 exec_lo, exec_lo, s5
	v_or_b32_e32 v18, 0x480, v0
	s_mov_b32 s5, exec_lo
                                        ; implicit-def: $vgpr17
	s_delay_alu instid0(VALU_DEP_1)
	v_cmpx_gt_u32_e64 s19, v18
	s_cbranch_execz .LBB1243_49
; %bb.48:
	v_lshlrev_b32_e32 v17, 2, v18
	s_delay_alu instid0(VALU_DEP_1) | instskip(NEXT) | instid1(VALU_DEP_1)
	v_add_co_u32 v17, s8, s2, v17
	v_add_co_ci_u32_e64 v18, null, s4, 0, s8
	flat_load_b32 v17, v[17:18]
.LBB1243_49:
	s_or_b32 exec_lo, exec_lo, s5
	v_or_b32_e32 v19, 0x500, v0
	s_mov_b32 s5, exec_lo
                                        ; implicit-def: $vgpr18
	s_delay_alu instid0(VALU_DEP_1)
	v_cmpx_gt_u32_e64 s19, v19
	s_cbranch_execz .LBB1243_51
; %bb.50:
	v_lshlrev_b32_e32 v18, 2, v19
	s_delay_alu instid0(VALU_DEP_1) | instskip(NEXT) | instid1(VALU_DEP_1)
	v_add_co_u32 v18, s2, s2, v18
	v_add_co_ci_u32_e64 v19, null, s4, 0, s2
	flat_load_b32 v18, v[18:19]
.LBB1243_51:
	s_or_b32 exec_lo, exec_lo, s5
	v_mad_i32_i24 v2, 0xffffffee, v0, v2
	s_waitcnt vmcnt(0) lgkmcnt(0)
	ds_store_2addr_stride64_b32 v2, v3, v4 offset1:2
	ds_store_2addr_stride64_b32 v2, v5, v6 offset0:4 offset1:6
	ds_store_2addr_stride64_b32 v2, v7, v8 offset0:8 offset1:10
	;; [unrolled: 1-line block ×4, first 2 shown]
	ds_store_b32 v2, v18 offset:5120
	s_waitcnt lgkmcnt(0)
	s_barrier
.LBB1243_52:
	v_lshlrev_b32_e32 v41, 2, v1
	buffer_gl0_inv
	s_cmp_lg_u32 s15, 0
	v_lshrrev_b32_e32 v40, 16, v12
	s_cselect_b32 s21, -1, 0
	ds_load_2addr_b32 v[27:28], v41 offset1:1
	ds_load_2addr_b32 v[25:26], v41 offset0:2 offset1:3
	ds_load_2addr_b32 v[23:24], v41 offset0:4 offset1:5
	;; [unrolled: 1-line block ×4, first 2 shown]
	ds_load_b32 v33, v41 offset:40
	s_cmp_lg_u64 s[6:7], 0
	v_lshrrev_b32_e32 v39, 16, v13
	s_cselect_b32 s2, -1, 0
	v_lshrrev_b32_e32 v38, 16, v14
	v_lshrrev_b32_e32 v37, 16, v15
	v_add_nc_u32_e32 v5, 1, v1
	v_add_nc_u32_e32 v6, 2, v1
	;; [unrolled: 1-line block ×10, first 2 shown]
	s_or_b32 s2, s21, s2
	s_mov_b32 s22, 0
	s_and_b32 vcc_lo, exec_lo, s2
	s_waitcnt lgkmcnt(0)
	s_barrier
	buffer_gl0_inv
	s_cbranch_vccz .LBB1243_57
; %bb.53:
	v_add_co_u32 v16, s2, -2, s10
	s_delay_alu instid0(VALU_DEP_1)
	v_add_co_ci_u32_e64 v17, null, -1, s3, s2
	s_mov_b32 s3, -1
	s_and_b32 vcc_lo, exec_lo, s18
	flat_load_u16 v16, v[16:17]
	ds_store_b16 v9, v34
	s_cbranch_vccz .LBB1243_59
; %bb.54:
	s_waitcnt vmcnt(0) lgkmcnt(1)
	v_mov_b32_e32 v17, v16
	s_mov_b32 s3, 0
	s_mov_b32 s2, exec_lo
	s_waitcnt lgkmcnt(0)
	s_barrier
	buffer_gl0_inv
	v_cmpx_ne_u32_e32 0, v0
	s_cbranch_execz .LBB1243_56
; %bb.55:
	v_add_nc_u32_e32 v17, -2, v9
	ds_load_u16 v17, v17
.LBB1243_56:
	s_or_b32 exec_lo, exec_lo, s2
	v_cmp_ne_u16_e32 vcc_lo, v15, v37
	s_waitcnt lgkmcnt(0)
	v_cmp_ne_u16_e64 s2, v17, v12
	v_cndmask_b32_e64 v18, 0, 1, vcc_lo
	v_cmp_ne_u16_e32 vcc_lo, v38, v15
	s_delay_alu instid0(VALU_DEP_2) | instskip(SKIP_2) | instid1(VALU_DEP_2)
	v_lshlrev_b16 v18, 8, v18
	v_cndmask_b32_e64 v29, 0, 1, vcc_lo
	v_cmp_ne_u16_e32 vcc_lo, v14, v38
	v_or_b32_e32 v18, v29, v18
	v_cndmask_b32_e64 v30, 0, 1, vcc_lo
	v_cmp_ne_u16_e32 vcc_lo, v39, v14
	s_delay_alu instid0(VALU_DEP_3) | instskip(NEXT) | instid1(VALU_DEP_3)
	v_lshlrev_b32_e32 v18, 16, v18
	v_lshlrev_b16 v30, 8, v30
	v_cndmask_b32_e64 v32, 0, 1, vcc_lo
	v_cmp_ne_u16_e32 vcc_lo, v13, v39
	s_delay_alu instid0(VALU_DEP_2) | instskip(SKIP_2) | instid1(VALU_DEP_3)
	v_or_b32_e32 v30, v32, v30
	v_cndmask_b32_e64 v42, 0, 1, vcc_lo
	v_cmp_ne_u16_e32 vcc_lo, v40, v13
	v_and_b32_e32 v30, 0xffff, v30
	s_delay_alu instid0(VALU_DEP_3) | instskip(SKIP_2) | instid1(VALU_DEP_4)
	v_lshlrev_b16 v42, 8, v42
	v_cndmask_b32_e64 v44, 0, 1, vcc_lo
	v_cmp_ne_u16_e32 vcc_lo, v12, v40
	v_or_b32_e32 v30, v30, v18
	s_delay_alu instid0(VALU_DEP_3) | instskip(SKIP_2) | instid1(VALU_DEP_3)
	v_or_b32_e32 v42, v44, v42
	v_cndmask_b32_e64 v45, 0, 1, vcc_lo
	v_cmp_ne_u16_e32 vcc_lo, v35, v34
	v_lshlrev_b32_e32 v29, 16, v42
	s_delay_alu instid0(VALU_DEP_3) | instskip(SKIP_2) | instid1(VALU_DEP_3)
	v_lshlrev_b16 v44, 8, v45
	v_cndmask_b32_e64 v43, 0, 1, vcc_lo
	v_cmp_ne_u16_e32 vcc_lo, v36, v35
	v_and_b32_e32 v44, 0xffff, v44
	v_cndmask_b32_e64 v32, 0, 1, vcc_lo
	v_cmp_ne_u16_e32 vcc_lo, v37, v36
	s_delay_alu instid0(VALU_DEP_3)
	v_or_b32_e32 v29, v44, v29
	v_cndmask_b32_e64 v42, 0, 1, vcc_lo
	s_and_b32 vcc_lo, exec_lo, s3
	s_cbranch_vccnz .LBB1243_60
	s_branch .LBB1243_63
.LBB1243_57:
                                        ; implicit-def: $sgpr2
                                        ; implicit-def: $vgpr43
                                        ; implicit-def: $vgpr32
                                        ; implicit-def: $vgpr42
                                        ; implicit-def: $vgpr30
	s_branch .LBB1243_64
.LBB1243_58:
                                        ; implicit-def: $vgpr16_vgpr17_vgpr18
	s_and_saveexec_b32 s3, s22
	s_cbranch_execnz .LBB1243_72
	s_branch .LBB1243_73
.LBB1243_59:
                                        ; implicit-def: $sgpr2
                                        ; implicit-def: $vgpr43
                                        ; implicit-def: $vgpr32
                                        ; implicit-def: $vgpr42
                                        ; implicit-def: $vgpr30
	s_and_b32 vcc_lo, exec_lo, s3
	s_cbranch_vccz .LBB1243_63
.LBB1243_60:
	s_mov_b32 s2, exec_lo
	s_waitcnt vmcnt(0) lgkmcnt(0)
	s_barrier
	buffer_gl0_inv
	v_cmpx_ne_u32_e32 0, v0
	s_cbranch_execz .LBB1243_62
; %bb.61:
	v_add_nc_u32_e32 v9, -2, v9
	ds_load_u16 v16, v9
.LBB1243_62:
	s_or_b32 exec_lo, exec_lo, s2
	v_cmp_gt_u32_e32 vcc_lo, s19, v10
	v_cmp_ne_u16_e64 s2, v35, v34
	v_cmp_gt_u32_e64 s3, s19, v11
	v_cmp_ne_u16_e64 s4, v36, v35
	v_cmp_gt_u32_e64 s5, s19, v5
	v_cmp_ne_u16_e64 s6, v12, v40
	s_and_b32 s2, vcc_lo, s2
	v_cmp_gt_u32_e32 vcc_lo, s19, v2
	v_cndmask_b32_e64 v43, 0, 1, s2
	v_cmp_ne_u16_e64 s2, v15, v37
	s_and_b32 s3, s3, s4
	v_cmp_ne_u16_e64 s4, v38, v15
	v_cndmask_b32_e64 v32, 0, 1, s3
	v_cmp_gt_u32_e64 s3, s19, v4
	s_and_b32 s2, vcc_lo, s2
	v_cmp_gt_u32_e32 vcc_lo, s19, v7
	v_cndmask_b32_e64 v9, 0, 1, s2
	v_cmp_ne_u16_e64 s2, v14, v38
	s_and_b32 s3, s3, s4
	v_cmp_ne_u16_e64 s4, v13, v39
	v_cndmask_b32_e64 v17, 0, 1, s3
	v_cmp_gt_u32_e64 s3, s19, v3
	s_and_b32 s2, vcc_lo, s2
	v_cmp_gt_u32_e32 vcc_lo, s19, v8
	v_cndmask_b32_e64 v18, 0, 1, s2
	v_cmp_ne_u16_e64 s2, v39, v14
	s_and_b32 s3, s3, s4
	v_cmp_ne_u16_e64 s4, v40, v13
	v_cndmask_b32_e64 v29, 0, 1, s3
	v_cmp_gt_u32_e64 s3, s19, v6
	s_and_b32 s2, vcc_lo, s2
	v_lshlrev_b16 v18, 8, v18
	v_cndmask_b32_e64 v30, 0, 1, s2
	v_lshlrev_b16 v29, 8, v29
	s_and_b32 s2, s3, s4
	v_lshlrev_b16 v9, 8, v9
	v_cndmask_b32_e64 v42, 0, 1, s2
	s_and_b32 s2, s5, s6
	v_or_b32_e32 v18, v30, v18
	v_cndmask_b32_e64 v44, 0, 1, s2
	v_or_b32_e32 v9, v17, v9
	v_or_b32_e32 v29, v42, v29
	v_cmp_gt_u32_e32 vcc_lo, s19, v31
	v_cmp_ne_u16_e64 s2, v37, v36
	v_lshlrev_b16 v42, 8, v44
	v_and_b32_e32 v18, 0xffff, v18
	v_lshlrev_b32_e32 v17, 16, v29
	v_lshlrev_b32_e32 v9, 16, v9
	s_and_b32 s2, vcc_lo, s2
	v_and_b32_e32 v29, 0xffff, v42
	v_cndmask_b32_e64 v42, 0, 1, s2
	v_cmp_gt_u32_e32 vcc_lo, s19, v1
	s_waitcnt lgkmcnt(0)
	v_cmp_ne_u16_e64 s2, v16, v12
	v_or_b32_e32 v30, v18, v9
	v_or_b32_e32 v29, v29, v17
	s_delay_alu instid0(VALU_DEP_3)
	s_and_b32 s2, vcc_lo, s2
.LBB1243_63:
	s_mov_b32 s22, -1
	s_cbranch_execnz .LBB1243_58
.LBB1243_64:
	v_mad_i32_i24 v9, 0xffffffd6, v0, v41
	v_cmp_ne_u16_e64 s2, v35, v34
	v_cmp_ne_u16_e64 s9, v36, v35
	;; [unrolled: 1-line block ×10, first 2 shown]
	s_and_b32 vcc_lo, exec_lo, s18
	ds_store_b16 v9, v34
	s_cbranch_vccz .LBB1243_68
; %bb.65:
	s_waitcnt vmcnt(0) lgkmcnt(2)
	v_cndmask_b32_e64 v16, 0, 1, s11
	v_cndmask_b32_e64 v32, 0, 1, s9
	;; [unrolled: 1-line block ×5, first 2 shown]
	v_lshlrev_b16 v16, 8, v16
	v_cndmask_b32_e64 v44, 0, 1, s4
	v_cndmask_b32_e64 v42, 0, 1, s10
	;; [unrolled: 1-line block ×4, first 2 shown]
	v_lshlrev_b16 v17, 8, v17
	v_lshlrev_b16 v45, 8, v32
	v_or_b32_e32 v16, v29, v16
	v_lshlrev_b16 v29, 8, v30
	v_lshlrev_b16 v30, 8, v44
	v_or_b32_e32 v17, v18, v17
	v_or_b32_e32 v18, v42, v45
	v_and_b32_e32 v16, 0xffff, v16
	v_or_b32_e32 v29, v43, v29
	v_or_b32_e32 v30, 1, v30
	v_lshlrev_b32_e32 v17, 16, v17
	v_and_b32_e32 v18, 0xffff, v18
	v_cndmask_b32_e64 v43, 0, 1, s2
	v_lshlrev_b32_e32 v29, 16, v29
	v_and_b32_e32 v44, 0xffff, v30
	v_or_b32_e32 v30, v16, v17
	s_mov_b32 s3, 0
	v_lshl_or_b32 v18, v43, 16, v18
	s_mov_b32 s4, exec_lo
	v_or_b32_e32 v29, v44, v29
	s_waitcnt lgkmcnt(0)
	s_barrier
	buffer_gl0_inv
                                        ; implicit-def: $sgpr2
	v_cmpx_ne_u32_e32 0, v0
	s_xor_b32 s4, exec_lo, s4
	s_cbranch_execz .LBB1243_67
; %bb.66:
	v_add_nc_u32_e32 v16, -2, v9
	s_or_b32 s22, s22, exec_lo
	ds_load_u16 v16, v16
	s_waitcnt lgkmcnt(0)
	v_cmp_ne_u16_e32 vcc_lo, v16, v12
                                        ; implicit-def: $vgpr16_vgpr17_vgpr18
	s_and_b32 s2, vcc_lo, exec_lo
.LBB1243_67:
	s_or_b32 exec_lo, exec_lo, s4
	s_delay_alu instid0(SALU_CYCLE_1)
	s_and_b32 vcc_lo, exec_lo, s3
	s_cbranch_vccnz .LBB1243_69
	s_branch .LBB1243_71
.LBB1243_68:
                                        ; implicit-def: $sgpr2
                                        ; implicit-def: $vgpr43
                                        ; implicit-def: $vgpr32
                                        ; implicit-def: $vgpr42
                                        ; implicit-def: $vgpr30
                                        ; implicit-def: $vgpr16_vgpr17_vgpr18
	s_cbranch_execz .LBB1243_71
.LBB1243_69:
	v_cmp_gt_u32_e32 vcc_lo, s19, v11
	v_cmp_ne_u16_e64 s2, v36, v35
	v_cmp_gt_u32_e64 s5, s19, v31
	v_cmp_ne_u16_e64 s6, v37, v36
	v_cmp_gt_u32_e64 s3, s19, v10
	v_cmp_ne_u16_e64 s4, v35, v34
	s_and_b32 s2, vcc_lo, s2
	v_cmp_gt_u32_e32 vcc_lo, s19, v2
	v_cndmask_b32_e64 v32, 0, 1, s2
	v_cmp_ne_u16_e64 s2, v15, v37
	s_and_b32 s5, s5, s6
	v_cmp_ne_u16_e64 s6, v38, v15
	v_cndmask_b32_e64 v42, 0, 1, s5
	v_cmp_gt_u32_e64 s5, s19, v4
	s_and_b32 s2, vcc_lo, s2
	v_cmp_gt_u32_e32 vcc_lo, s19, v7
	s_waitcnt vmcnt(0) lgkmcnt(2)
	v_cndmask_b32_e64 v16, 0, 1, s2
	v_cmp_ne_u16_e64 s2, v14, v38
	s_and_b32 s5, s5, s6
	v_cmp_ne_u16_e64 s6, v39, v14
	v_cndmask_b32_e64 v17, 0, 1, s5
	v_cmp_gt_u32_e64 s5, s19, v8
	s_and_b32 s2, vcc_lo, s2
	v_cmp_gt_u32_e32 vcc_lo, s19, v3
	v_cndmask_b32_e64 v18, 0, 1, s2
	v_cmp_ne_u16_e64 s2, v13, v39
	s_and_b32 s5, s5, s6
	v_cmp_ne_u16_e64 s6, v40, v13
	v_cndmask_b32_e64 v29, 0, 1, s5
	v_cmp_gt_u32_e64 s5, s19, v6
	s_and_b32 s2, vcc_lo, s2
	v_cmp_gt_u32_e32 vcc_lo, s19, v5
	v_cndmask_b32_e64 v30, 0, 1, s2
	v_cmp_ne_u16_e64 s2, v12, v40
	v_lshlrev_b16 v18, 8, v18
	v_lshlrev_b16 v16, 8, v16
	s_and_b32 s5, s5, s6
	v_lshlrev_b16 v45, 8, v32
	s_and_b32 s2, vcc_lo, s2
	v_cndmask_b32_e64 v43, 0, 1, s5
	v_cndmask_b32_e64 v44, 0, 1, s2
	v_or_b32_e32 v18, v29, v18
	v_or_b32_e32 v16, v17, v16
	v_lshlrev_b16 v17, 8, v30
	v_or_b32_e32 v30, v42, v45
	v_lshlrev_b16 v29, 8, v44
	s_and_b32 s2, s3, s4
	v_and_b32_e32 v18, 0xffff, v18
	v_or_b32_e32 v17, v43, v17
	v_lshlrev_b32_e32 v16, 16, v16
	v_or_b32_e32 v29, 1, v29
	v_and_b32_e32 v44, 0xffff, v30
	v_cndmask_b32_e64 v43, 0, 1, s2
	v_lshlrev_b32_e32 v17, 16, v17
	v_or_b32_e32 v30, v18, v16
	v_and_b32_e32 v29, 0xffff, v29
	s_mov_b32 s3, exec_lo
	v_lshl_or_b32 v18, v43, 16, v44
	s_waitcnt lgkmcnt(0)
	s_barrier
	v_or_b32_e32 v29, v29, v17
	buffer_gl0_inv
                                        ; implicit-def: $sgpr2
	v_cmpx_ne_u32_e32 0, v0
	s_cbranch_execz .LBB1243_200
; %bb.70:
	v_add_nc_u32_e32 v9, -2, v9
	v_cmp_gt_u32_e32 vcc_lo, s19, v1
	s_or_b32 s22, s22, exec_lo
                                        ; implicit-def: $vgpr16_vgpr17_vgpr18
	ds_load_u16 v9, v9
	s_waitcnt lgkmcnt(0)
	v_cmp_ne_u16_e64 s2, v9, v12
	s_delay_alu instid0(VALU_DEP_1) | instskip(NEXT) | instid1(SALU_CYCLE_1)
	s_and_b32 s2, vcc_lo, s2
	s_and_b32 s2, s2, exec_lo
	s_or_b32 exec_lo, exec_lo, s3
.LBB1243_71:
	s_and_saveexec_b32 s3, s22
	s_cbranch_execz .LBB1243_73
.LBB1243_72:
	s_waitcnt vmcnt(0) lgkmcnt(1)
	v_lshrrev_b32_e32 v16, 24, v29
	v_lshrrev_b32_e32 v17, 16, v29
	v_lshrrev_b32_e32 v18, 8, v29
	v_cndmask_b32_e64 v9, 0, 1, s2
	v_lshlrev_b16 v29, 8, v32
	v_and_b32_e32 v32, 0xff, v42
	v_lshlrev_b16 v16, 8, v16
	v_and_b32_e32 v17, 0xff, v17
	;; [unrolled: 2-line block ×3, first 2 shown]
	v_or_b32_e32 v29, v32, v29
	s_delay_alu instid0(VALU_DEP_4) | instskip(NEXT) | instid1(VALU_DEP_4)
	v_or_b32_e32 v16, v17, v16
	v_or_b32_e32 v9, v9, v18
	s_delay_alu instid0(VALU_DEP_4) | instskip(NEXT) | instid1(VALU_DEP_4)
	v_lshlrev_b32_e32 v17, 16, v42
	v_and_b32_e32 v18, 0xffff, v29
	s_delay_alu instid0(VALU_DEP_4) | instskip(NEXT) | instid1(VALU_DEP_4)
	v_lshlrev_b32_e32 v16, 16, v16
	v_and_b32_e32 v9, 0xffff, v9
	s_delay_alu instid0(VALU_DEP_3) | instskip(NEXT) | instid1(VALU_DEP_2)
	v_or_b32_e32 v18, v18, v17
	v_or_b32_e32 v29, v9, v16
.LBB1243_73:
	s_or_b32 exec_lo, exec_lo, s3
	s_load_b64 s[10:11], s[0:1], 0x68
	s_and_not1_b32 vcc_lo, exec_lo, s20
	s_cbranch_vccnz .LBB1243_75
; %bb.74:
	v_cmp_gt_u32_e32 vcc_lo, s19, v1
	v_cmp_gt_u32_e64 s2, s19, v5
	v_and_b32_e32 v5, 0xffffff00, v30
	v_cmp_gt_u32_e64 s4, s19, v6
	v_cmp_gt_u32_e64 s6, s19, v3
	v_cndmask_b32_e32 v1, 0, v29, vcc_lo
	v_and_b32_e32 v9, 0xff000000, v18
	v_cmp_gt_u32_e32 vcc_lo, s19, v31
	v_cmp_gt_u32_e64 s3, s19, v11
	v_cmp_gt_u32_e64 s5, s19, v10
	v_and_b32_e32 v1, 0xff, v1
	s_delay_alu instid0(VALU_DEP_1) | instskip(SKIP_1) | instid1(VALU_DEP_2)
	v_cndmask_b32_e64 v1, v1, v29, s2
	v_cmp_gt_u32_e64 s2, s19, v8
	v_and_b32_e32 v1, 0xffff, v1
	s_delay_alu instid0(VALU_DEP_2) | instskip(NEXT) | instid1(VALU_DEP_2)
	v_cndmask_b32_e64 v5, v5, v30, s2
	v_cndmask_b32_e64 v1, v1, v29, s4
	s_delay_alu instid0(VALU_DEP_2) | instskip(SKIP_1) | instid1(VALU_DEP_3)
	v_and_b32_e32 v5, 0xffff00ff, v5
	v_cmp_gt_u32_e64 s4, s19, v7
	v_and_b32_e32 v1, 0xffffff, v1
	s_delay_alu instid0(VALU_DEP_2) | instskip(NEXT) | instid1(VALU_DEP_2)
	v_cndmask_b32_e64 v5, v5, v30, s4
	v_cndmask_b32_e64 v1, v1, v29, s6
	s_delay_alu instid0(VALU_DEP_2) | instskip(NEXT) | instid1(VALU_DEP_2)
	v_and_b32_e32 v3, 0xff00ffff, v5
	v_cndmask_b32_e64 v1, v1, v29, s2
	v_cmp_gt_u32_e64 s2, s19, v4
	s_delay_alu instid0(VALU_DEP_2) | instskip(NEXT) | instid1(VALU_DEP_2)
	v_cndmask_b32_e64 v1, v1, v29, s4
	v_cndmask_b32_e64 v3, v3, v30, s2
	v_cndmask_b32_e32 v9, v9, v18, vcc_lo
	v_cmp_gt_u32_e64 s4, s19, v2
	s_delay_alu instid0(VALU_DEP_4) | instskip(NEXT) | instid1(VALU_DEP_4)
	v_cndmask_b32_e64 v1, v1, v29, s2
	v_and_b32_e32 v2, 0xffffff, v3
	s_delay_alu instid0(VALU_DEP_4) | instskip(NEXT) | instid1(VALU_DEP_1)
	v_and_b32_e32 v9, 0xff0000ff, v9
	v_cndmask_b32_e64 v8, v9, v18, s3
	s_or_b32 s3, s5, s3
	s_delay_alu instid0(SALU_CYCLE_1) | instskip(NEXT) | instid1(VALU_DEP_1)
	s_or_b32 s2, s3, vcc_lo
	v_and_b32_e32 v6, 0xff00ffff, v8
	s_or_b32 vcc_lo, s2, s4
	v_dual_cndmask_b32 v30, v2, v30 :: v_dual_cndmask_b32 v1, v1, v29
	s_delay_alu instid0(VALU_DEP_2) | instskip(NEXT) | instid1(VALU_DEP_2)
	v_cndmask_b32_e64 v6, v6, v18, s5
	v_perm_b32 v29, v1, v1, 0x3020104
	s_delay_alu instid0(VALU_DEP_2) | instskip(SKIP_1) | instid1(VALU_DEP_2)
	v_lshrrev_b32_e32 v5, 8, v6
	v_and_b32_e32 v4, 0xff, v6
	v_lshlrev_b16 v5, 8, v5
	s_delay_alu instid0(VALU_DEP_1) | instskip(NEXT) | instid1(VALU_DEP_1)
	v_or_b32_e32 v3, v4, v5
	v_and_b32_e32 v2, 0xffff, v3
	s_delay_alu instid0(VALU_DEP_1)
	v_and_or_b32 v18, 0xff0000, v6, v2
.LBB1243_75:
	v_and_b32_e32 v43, 0xff, v29
	v_bfe_u32 v44, v29, 8, 8
	v_alignbit_b32 v1, v30, v29, 24
	v_bfe_u32 v45, v29, 16, 8
	v_and_b32_e32 v46, 0xff, v30
	v_bfe_u32 v48, v30, 8, 8
	v_bfe_u32 v49, v30, 16, 8
	v_and_b32_e32 v47, 0xff, v1
	v_add3_u32 v1, v44, v43, v45
	v_lshrrev_b32_e32 v42, 24, v30
	v_mbcnt_lo_u32_b32 v52, -1, 0
	v_and_b32_e32 v50, 0xff, v18
	v_bfe_u32 v51, v18, 8, 8
	v_add3_u32 v1, v1, v47, v46
	v_bfe_u32 v3, v18, 16, 8
	v_and_b32_e32 v2, 15, v52
	v_or_b32_e32 v4, 31, v0
	v_and_b32_e32 v5, 16, v52
	v_add3_u32 v1, v1, v48, v49
	v_lshrrev_b32_e32 v53, 5, v0
	v_cmp_eq_u32_e64 s7, 0, v2
	v_cmp_lt_u32_e64 s6, 1, v2
	v_cmp_lt_u32_e64 s5, 3, v2
	v_add3_u32 v1, v1, v42, v50
	v_cmp_lt_u32_e64 s4, 7, v2
	v_cmp_eq_u32_e64 s3, 0, v5
	v_cmp_eq_u32_e64 s2, v4, v0
	s_and_b32 vcc_lo, exec_lo, s21
	v_add3_u32 v54, v1, v51, v3
	s_mov_b32 s19, -1
	s_waitcnt vmcnt(0) lgkmcnt(0)
	s_barrier
	buffer_gl0_inv
	s_cbranch_vccz .LBB1243_101
; %bb.76:
	v_mov_b32_dpp v1, v54 row_shr:1 row_mask:0xf bank_mask:0xf
	s_delay_alu instid0(VALU_DEP_1) | instskip(NEXT) | instid1(VALU_DEP_1)
	v_cndmask_b32_e64 v1, v1, 0, s7
	v_add_nc_u32_e32 v1, v1, v54
	s_delay_alu instid0(VALU_DEP_1) | instskip(NEXT) | instid1(VALU_DEP_1)
	v_mov_b32_dpp v2, v1 row_shr:2 row_mask:0xf bank_mask:0xf
	v_cndmask_b32_e64 v2, 0, v2, s6
	s_delay_alu instid0(VALU_DEP_1) | instskip(NEXT) | instid1(VALU_DEP_1)
	v_add_nc_u32_e32 v1, v1, v2
	v_mov_b32_dpp v2, v1 row_shr:4 row_mask:0xf bank_mask:0xf
	s_delay_alu instid0(VALU_DEP_1) | instskip(NEXT) | instid1(VALU_DEP_1)
	v_cndmask_b32_e64 v2, 0, v2, s5
	v_add_nc_u32_e32 v1, v1, v2
	s_delay_alu instid0(VALU_DEP_1) | instskip(NEXT) | instid1(VALU_DEP_1)
	v_mov_b32_dpp v2, v1 row_shr:8 row_mask:0xf bank_mask:0xf
	v_cndmask_b32_e64 v2, 0, v2, s4
	s_delay_alu instid0(VALU_DEP_1) | instskip(SKIP_3) | instid1(VALU_DEP_1)
	v_add_nc_u32_e32 v1, v1, v2
	ds_swizzle_b32 v2, v1 offset:swizzle(BROADCAST,32,15)
	s_waitcnt lgkmcnt(0)
	v_cndmask_b32_e64 v2, v2, 0, s3
	v_add_nc_u32_e32 v1, v1, v2
	s_and_saveexec_b32 s8, s2
	s_cbranch_execz .LBB1243_78
; %bb.77:
	v_lshlrev_b32_e32 v2, 2, v53
	ds_store_b32 v2, v1
.LBB1243_78:
	s_or_b32 exec_lo, exec_lo, s8
	s_delay_alu instid0(SALU_CYCLE_1)
	s_mov_b32 s8, exec_lo
	s_waitcnt lgkmcnt(0)
	s_barrier
	buffer_gl0_inv
	v_cmpx_gt_u32_e32 4, v0
	s_cbranch_execz .LBB1243_80
; %bb.79:
	v_and_b32_e32 v4, 3, v52
	s_delay_alu instid0(VALU_DEP_1) | instskip(SKIP_4) | instid1(VALU_DEP_1)
	v_cmp_ne_u32_e32 vcc_lo, 0, v4
	v_lshlrev_b32_e32 v2, 2, v0
	ds_load_b32 v3, v2
	s_waitcnt lgkmcnt(0)
	v_mov_b32_dpp v5, v3 row_shr:1 row_mask:0xf bank_mask:0xf
	v_cndmask_b32_e32 v5, 0, v5, vcc_lo
	v_cmp_lt_u32_e32 vcc_lo, 1, v4
	s_delay_alu instid0(VALU_DEP_2) | instskip(NEXT) | instid1(VALU_DEP_1)
	v_add_nc_u32_e32 v3, v5, v3
	v_mov_b32_dpp v5, v3 row_shr:2 row_mask:0xf bank_mask:0xf
	s_delay_alu instid0(VALU_DEP_1) | instskip(NEXT) | instid1(VALU_DEP_1)
	v_cndmask_b32_e32 v4, 0, v5, vcc_lo
	v_add_nc_u32_e32 v3, v3, v4
	ds_store_b32 v2, v3
.LBB1243_80:
	s_or_b32 exec_lo, exec_lo, s8
	v_cmp_gt_u32_e32 vcc_lo, 32, v0
	s_mov_b32 s9, exec_lo
	s_waitcnt lgkmcnt(0)
	s_barrier
	buffer_gl0_inv
                                        ; implicit-def: $vgpr9
	v_cmpx_lt_u32_e32 31, v0
	s_cbranch_execz .LBB1243_82
; %bb.81:
	v_lshl_add_u32 v2, v53, 2, -4
	ds_load_b32 v9, v2
	s_waitcnt lgkmcnt(0)
	v_add_nc_u32_e32 v1, v9, v1
.LBB1243_82:
	s_or_b32 exec_lo, exec_lo, s9
	v_add_nc_u32_e32 v2, -1, v52
	s_delay_alu instid0(VALU_DEP_1) | instskip(NEXT) | instid1(VALU_DEP_1)
	v_cmp_gt_i32_e64 s8, 0, v2
	v_cndmask_b32_e64 v2, v2, v52, s8
	v_cmp_eq_u32_e64 s8, 0, v52
	s_delay_alu instid0(VALU_DEP_2)
	v_lshlrev_b32_e32 v2, 2, v2
	ds_bpermute_b32 v10, v2, v1
	s_and_saveexec_b32 s9, vcc_lo
	s_cbranch_execz .LBB1243_100
; %bb.83:
	v_mov_b32_e32 v5, 0
	ds_load_b32 v1, v5 offset:12
	s_and_saveexec_b32 s19, s8
	s_cbranch_execz .LBB1243_85
; %bb.84:
	s_add_i32 s20, s15, 32
	s_mov_b32 s21, 0
	v_mov_b32_e32 v2, 1
	s_lshl_b64 s[20:21], s[20:21], 3
	s_delay_alu instid0(SALU_CYCLE_1)
	s_add_u32 s20, s10, s20
	s_addc_u32 s21, s11, s21
	s_waitcnt lgkmcnt(0)
	global_store_b64 v5, v[1:2], s[20:21]
.LBB1243_85:
	s_or_b32 exec_lo, exec_lo, s19
	v_xad_u32 v3, v52, -1, s15
	s_mov_b32 s20, 0
	s_mov_b32 s19, exec_lo
	s_delay_alu instid0(VALU_DEP_1) | instskip(NEXT) | instid1(VALU_DEP_1)
	v_add_nc_u32_e32 v4, 32, v3
	v_lshlrev_b64 v[4:5], 3, v[4:5]
	s_delay_alu instid0(VALU_DEP_1) | instskip(NEXT) | instid1(VALU_DEP_2)
	v_add_co_u32 v7, vcc_lo, s10, v4
	v_add_co_ci_u32_e32 v8, vcc_lo, s11, v5, vcc_lo
	global_load_b64 v[5:6], v[7:8], off glc
	s_waitcnt vmcnt(0)
	v_and_b32_e32 v2, 0xff, v6
	s_delay_alu instid0(VALU_DEP_1)
	v_cmpx_eq_u16_e32 0, v2
	s_cbranch_execz .LBB1243_88
.LBB1243_86:                            ; =>This Inner Loop Header: Depth=1
	global_load_b64 v[5:6], v[7:8], off glc
	s_waitcnt vmcnt(0)
	v_and_b32_e32 v2, 0xff, v6
	s_delay_alu instid0(VALU_DEP_1) | instskip(SKIP_1) | instid1(SALU_CYCLE_1)
	v_cmp_ne_u16_e32 vcc_lo, 0, v2
	s_or_b32 s20, vcc_lo, s20
	s_and_not1_b32 exec_lo, exec_lo, s20
	s_cbranch_execnz .LBB1243_86
; %bb.87:
	s_or_b32 exec_lo, exec_lo, s20
.LBB1243_88:
	s_delay_alu instid0(SALU_CYCLE_1)
	s_or_b32 exec_lo, exec_lo, s19
	v_cmp_ne_u32_e32 vcc_lo, 31, v52
	v_lshlrev_b32_e64 v16, v52, -1
	v_add_nc_u32_e32 v31, 2, v52
	v_add_nc_u32_e32 v55, 4, v52
	v_add_nc_u32_e32 v57, 8, v52
	v_add_co_ci_u32_e32 v2, vcc_lo, 0, v52, vcc_lo
	v_add_nc_u32_e32 v59, 16, v52
	s_delay_alu instid0(VALU_DEP_2)
	v_lshlrev_b32_e32 v11, 2, v2
	v_and_b32_e32 v2, 0xff, v6
	ds_bpermute_b32 v4, v11, v5
	v_cmp_eq_u16_e32 vcc_lo, 2, v2
	v_and_or_b32 v2, vcc_lo, v16, 0x80000000
	v_cmp_gt_u32_e32 vcc_lo, 30, v52
	s_delay_alu instid0(VALU_DEP_2) | instskip(SKIP_1) | instid1(VALU_DEP_2)
	v_ctz_i32_b32_e32 v2, v2
	v_cndmask_b32_e64 v7, 0, 1, vcc_lo
	v_cmp_lt_u32_e32 vcc_lo, v52, v2
	s_waitcnt lgkmcnt(0)
	s_delay_alu instid0(VALU_DEP_2) | instskip(NEXT) | instid1(VALU_DEP_1)
	v_dual_cndmask_b32 v4, 0, v4 :: v_dual_lshlrev_b32 v7, 1, v7
	v_add_lshl_u32 v17, v7, v52, 2
	v_cmp_gt_u32_e32 vcc_lo, 28, v52
	s_delay_alu instid0(VALU_DEP_3) | instskip(SKIP_4) | instid1(VALU_DEP_1)
	v_add_nc_u32_e32 v4, v4, v5
	v_cndmask_b32_e64 v7, 0, 1, vcc_lo
	v_cmp_le_u32_e32 vcc_lo, v31, v2
	ds_bpermute_b32 v5, v17, v4
	v_lshlrev_b32_e32 v7, 2, v7
	v_add_lshl_u32 v32, v7, v52, 2
	s_waitcnt lgkmcnt(0)
	v_cndmask_b32_e32 v5, 0, v5, vcc_lo
	v_cmp_gt_u32_e32 vcc_lo, 24, v52
	s_delay_alu instid0(VALU_DEP_2) | instskip(SKIP_4) | instid1(VALU_DEP_1)
	v_add_nc_u32_e32 v4, v4, v5
	v_cndmask_b32_e64 v7, 0, 1, vcc_lo
	v_cmp_le_u32_e32 vcc_lo, v55, v2
	ds_bpermute_b32 v5, v32, v4
	v_lshlrev_b32_e32 v7, 3, v7
	v_add_lshl_u32 v56, v7, v52, 2
	s_waitcnt lgkmcnt(0)
	v_cndmask_b32_e32 v5, 0, v5, vcc_lo
	v_cmp_gt_u32_e32 vcc_lo, 16, v52
	s_delay_alu instid0(VALU_DEP_2) | instskip(SKIP_4) | instid1(VALU_DEP_1)
	v_add_nc_u32_e32 v4, v4, v5
	v_cndmask_b32_e64 v7, 0, 1, vcc_lo
	v_cmp_le_u32_e32 vcc_lo, v57, v2
	ds_bpermute_b32 v5, v56, v4
	v_lshlrev_b32_e32 v7, 4, v7
	v_add_lshl_u32 v58, v7, v52, 2
	s_waitcnt lgkmcnt(0)
	v_cndmask_b32_e32 v5, 0, v5, vcc_lo
	v_cmp_le_u32_e32 vcc_lo, v59, v2
	s_delay_alu instid0(VALU_DEP_2) | instskip(SKIP_3) | instid1(VALU_DEP_1)
	v_add_nc_u32_e32 v4, v4, v5
	ds_bpermute_b32 v5, v58, v4
	s_waitcnt lgkmcnt(0)
	v_cndmask_b32_e32 v2, 0, v5, vcc_lo
	v_dual_mov_b32 v4, 0 :: v_dual_add_nc_u32 v5, v4, v2
	s_branch .LBB1243_90
.LBB1243_89:                            ;   in Loop: Header=BB1243_90 Depth=1
	s_or_b32 exec_lo, exec_lo, s19
	ds_bpermute_b32 v8, v11, v5
	v_and_b32_e32 v7, 0xff, v6
	v_subrev_nc_u32_e32 v3, 32, v3
	s_delay_alu instid0(VALU_DEP_2) | instskip(SKIP_1) | instid1(VALU_DEP_1)
	v_cmp_eq_u16_e32 vcc_lo, 2, v7
	v_and_or_b32 v7, vcc_lo, v16, 0x80000000
	v_ctz_i32_b32_e32 v7, v7
	s_delay_alu instid0(VALU_DEP_1) | instskip(SKIP_3) | instid1(VALU_DEP_2)
	v_cmp_lt_u32_e32 vcc_lo, v52, v7
	s_waitcnt lgkmcnt(0)
	v_cndmask_b32_e32 v8, 0, v8, vcc_lo
	v_cmp_le_u32_e32 vcc_lo, v31, v7
	v_add_nc_u32_e32 v5, v8, v5
	ds_bpermute_b32 v8, v17, v5
	s_waitcnt lgkmcnt(0)
	v_cndmask_b32_e32 v8, 0, v8, vcc_lo
	v_cmp_le_u32_e32 vcc_lo, v55, v7
	s_delay_alu instid0(VALU_DEP_2) | instskip(SKIP_4) | instid1(VALU_DEP_2)
	v_add_nc_u32_e32 v5, v5, v8
	ds_bpermute_b32 v8, v32, v5
	s_waitcnt lgkmcnt(0)
	v_cndmask_b32_e32 v8, 0, v8, vcc_lo
	v_cmp_le_u32_e32 vcc_lo, v57, v7
	v_add_nc_u32_e32 v5, v5, v8
	ds_bpermute_b32 v8, v56, v5
	s_waitcnt lgkmcnt(0)
	v_cndmask_b32_e32 v8, 0, v8, vcc_lo
	v_cmp_le_u32_e32 vcc_lo, v59, v7
	s_delay_alu instid0(VALU_DEP_2) | instskip(SKIP_3) | instid1(VALU_DEP_1)
	v_add_nc_u32_e32 v5, v5, v8
	ds_bpermute_b32 v8, v58, v5
	s_waitcnt lgkmcnt(0)
	v_cndmask_b32_e32 v7, 0, v8, vcc_lo
	v_add3_u32 v5, v7, v2, v5
.LBB1243_90:                            ; =>This Loop Header: Depth=1
                                        ;     Child Loop BB1243_93 Depth 2
	v_and_b32_e32 v2, 0xff, v6
	s_delay_alu instid0(VALU_DEP_1) | instskip(SKIP_2) | instid1(VALU_DEP_1)
	v_cmp_ne_u16_e32 vcc_lo, 2, v2
	v_cndmask_b32_e64 v2, 0, 1, vcc_lo
	;;#ASMSTART
	;;#ASMEND
	v_cmp_ne_u32_e32 vcc_lo, 0, v2
	v_mov_b32_e32 v2, v5
	s_cmp_lg_u32 vcc_lo, exec_lo
	s_cbranch_scc1 .LBB1243_95
; %bb.91:                               ;   in Loop: Header=BB1243_90 Depth=1
	v_lshlrev_b64 v[5:6], 3, v[3:4]
	s_mov_b32 s19, exec_lo
	s_delay_alu instid0(VALU_DEP_1) | instskip(NEXT) | instid1(VALU_DEP_2)
	v_add_co_u32 v7, vcc_lo, s10, v5
	v_add_co_ci_u32_e32 v8, vcc_lo, s11, v6, vcc_lo
	global_load_b64 v[5:6], v[7:8], off glc
	s_waitcnt vmcnt(0)
	v_and_b32_e32 v60, 0xff, v6
	s_delay_alu instid0(VALU_DEP_1)
	v_cmpx_eq_u16_e32 0, v60
	s_cbranch_execz .LBB1243_89
; %bb.92:                               ;   in Loop: Header=BB1243_90 Depth=1
	s_mov_b32 s20, 0
.LBB1243_93:                            ;   Parent Loop BB1243_90 Depth=1
                                        ; =>  This Inner Loop Header: Depth=2
	global_load_b64 v[5:6], v[7:8], off glc
	s_waitcnt vmcnt(0)
	v_and_b32_e32 v60, 0xff, v6
	s_delay_alu instid0(VALU_DEP_1) | instskip(SKIP_1) | instid1(SALU_CYCLE_1)
	v_cmp_ne_u16_e32 vcc_lo, 0, v60
	s_or_b32 s20, vcc_lo, s20
	s_and_not1_b32 exec_lo, exec_lo, s20
	s_cbranch_execnz .LBB1243_93
; %bb.94:                               ;   in Loop: Header=BB1243_90 Depth=1
	s_or_b32 exec_lo, exec_lo, s20
	s_branch .LBB1243_89
.LBB1243_95:                            ;   in Loop: Header=BB1243_90 Depth=1
                                        ; implicit-def: $vgpr5
                                        ; implicit-def: $vgpr6
	s_cbranch_execz .LBB1243_90
; %bb.96:
	s_and_saveexec_b32 s19, s8
	s_cbranch_execz .LBB1243_98
; %bb.97:
	s_add_i32 s20, s15, 32
	s_mov_b32 s21, 0
	v_dual_mov_b32 v4, 2 :: v_dual_add_nc_u32 v3, v2, v1
	s_lshl_b64 s[20:21], s[20:21], 3
	v_mov_b32_e32 v5, 0
	s_add_u32 s20, s10, s20
	s_addc_u32 s21, s11, s21
	global_store_b64 v5, v[3:4], s[20:21]
	ds_store_b64 v5, v[1:2] offset:5632
.LBB1243_98:
	s_or_b32 exec_lo, exec_lo, s19
	v_cmp_eq_u32_e32 vcc_lo, 0, v0
	s_and_b32 exec_lo, exec_lo, vcc_lo
	s_cbranch_execz .LBB1243_100
; %bb.99:
	v_mov_b32_e32 v1, 0
	ds_store_b32 v1, v2 offset:12
.LBB1243_100:
	s_or_b32 exec_lo, exec_lo, s9
	s_waitcnt lgkmcnt(0)
	v_cndmask_b32_e64 v2, v10, v9, s8
	v_cmp_ne_u32_e32 vcc_lo, 0, v0
	v_mov_b32_e32 v11, 0
	s_waitcnt_vscnt null, 0x0
	s_barrier
	buffer_gl0_inv
	v_cndmask_b32_e32 v2, 0, v2, vcc_lo
	ds_load_b32 v1, v11 offset:12
	s_waitcnt lgkmcnt(0)
	s_barrier
	buffer_gl0_inv
	ds_load_b64 v[16:17], v11 offset:5632
	v_add_nc_u32_e32 v1, v1, v2
	s_delay_alu instid0(VALU_DEP_1) | instskip(NEXT) | instid1(VALU_DEP_1)
	v_add_nc_u32_e32 v2, v1, v43
	v_add_nc_u32_e32 v3, v2, v44
	s_delay_alu instid0(VALU_DEP_1) | instskip(NEXT) | instid1(VALU_DEP_1)
	v_add_nc_u32_e32 v4, v3, v45
	;; [unrolled: 3-line block ×5, first 2 shown]
	v_add_nc_u32_e32 v11, v10, v51
	s_load_b64 s[8:9], s[0:1], 0x38
	v_lshrrev_b64 v[31:32], 24, v[29:30]
	s_branch .LBB1243_111
.LBB1243_101:
                                        ; implicit-def: $vgpr17
                                        ; implicit-def: $vgpr1_vgpr2_vgpr3_vgpr4_vgpr5_vgpr6_vgpr7_vgpr8_vgpr9_vgpr10_vgpr11
	s_load_b64 s[8:9], s[0:1], 0x38
	v_lshrrev_b64 v[31:32], 24, v[29:30]
	s_and_b32 vcc_lo, exec_lo, s19
	s_cbranch_vccz .LBB1243_111
; %bb.102:
	v_mov_b32_dpp v1, v54 row_shr:1 row_mask:0xf bank_mask:0xf
	s_delay_alu instid0(VALU_DEP_1) | instskip(NEXT) | instid1(VALU_DEP_1)
	v_cndmask_b32_e64 v1, v1, 0, s7
	v_add_nc_u32_e32 v1, v1, v54
	s_delay_alu instid0(VALU_DEP_1) | instskip(NEXT) | instid1(VALU_DEP_1)
	v_mov_b32_dpp v2, v1 row_shr:2 row_mask:0xf bank_mask:0xf
	v_cndmask_b32_e64 v2, 0, v2, s6
	s_delay_alu instid0(VALU_DEP_1) | instskip(NEXT) | instid1(VALU_DEP_1)
	v_add_nc_u32_e32 v1, v1, v2
	v_mov_b32_dpp v2, v1 row_shr:4 row_mask:0xf bank_mask:0xf
	s_delay_alu instid0(VALU_DEP_1) | instskip(NEXT) | instid1(VALU_DEP_1)
	v_cndmask_b32_e64 v2, 0, v2, s5
	v_add_nc_u32_e32 v1, v1, v2
	s_delay_alu instid0(VALU_DEP_1) | instskip(NEXT) | instid1(VALU_DEP_1)
	v_mov_b32_dpp v2, v1 row_shr:8 row_mask:0xf bank_mask:0xf
	v_cndmask_b32_e64 v2, 0, v2, s4
	s_delay_alu instid0(VALU_DEP_1) | instskip(SKIP_3) | instid1(VALU_DEP_1)
	v_add_nc_u32_e32 v1, v1, v2
	ds_swizzle_b32 v2, v1 offset:swizzle(BROADCAST,32,15)
	s_waitcnt lgkmcnt(0)
	v_cndmask_b32_e64 v2, v2, 0, s3
	v_add_nc_u32_e32 v1, v1, v2
	s_and_saveexec_b32 s0, s2
	s_cbranch_execz .LBB1243_104
; %bb.103:
	v_lshlrev_b32_e32 v2, 2, v53
	ds_store_b32 v2, v1
.LBB1243_104:
	s_or_b32 exec_lo, exec_lo, s0
	s_delay_alu instid0(SALU_CYCLE_1)
	s_mov_b32 s0, exec_lo
	s_waitcnt lgkmcnt(0)
	s_barrier
	buffer_gl0_inv
	v_cmpx_gt_u32_e32 4, v0
	s_cbranch_execz .LBB1243_106
; %bb.105:
	v_mad_i32_i24 v2, 0xffffffd8, v0, v41
	ds_load_b32 v3, v2
	s_waitcnt lgkmcnt(0)
	v_mov_b32_dpp v5, v3 row_shr:1 row_mask:0xf bank_mask:0xf
	v_and_b32_e32 v4, 3, v52
	s_delay_alu instid0(VALU_DEP_1) | instskip(NEXT) | instid1(VALU_DEP_3)
	v_cmp_ne_u32_e32 vcc_lo, 0, v4
	v_cndmask_b32_e32 v5, 0, v5, vcc_lo
	v_cmp_lt_u32_e32 vcc_lo, 1, v4
	s_delay_alu instid0(VALU_DEP_2) | instskip(NEXT) | instid1(VALU_DEP_1)
	v_add_nc_u32_e32 v3, v5, v3
	v_mov_b32_dpp v5, v3 row_shr:2 row_mask:0xf bank_mask:0xf
	s_delay_alu instid0(VALU_DEP_1) | instskip(NEXT) | instid1(VALU_DEP_1)
	v_cndmask_b32_e32 v4, 0, v5, vcc_lo
	v_add_nc_u32_e32 v3, v3, v4
	ds_store_b32 v2, v3
.LBB1243_106:
	s_or_b32 exec_lo, exec_lo, s0
	v_dual_mov_b32 v3, 0 :: v_dual_mov_b32 v2, 0
	s_mov_b32 s0, exec_lo
	s_waitcnt lgkmcnt(0)
	s_barrier
	buffer_gl0_inv
	v_cmpx_lt_u32_e32 31, v0
	s_cbranch_execz .LBB1243_108
; %bb.107:
	v_lshl_add_u32 v2, v53, 2, -4
	ds_load_b32 v2, v2
.LBB1243_108:
	s_or_b32 exec_lo, exec_lo, s0
	v_add_nc_u32_e32 v4, -1, v52
	ds_load_b32 v16, v3 offset:12
	s_waitcnt lgkmcnt(1)
	v_add_nc_u32_e32 v1, v2, v1
	v_cmp_gt_i32_e32 vcc_lo, 0, v4
	v_cndmask_b32_e32 v4, v4, v52, vcc_lo
	v_cmp_eq_u32_e32 vcc_lo, 0, v0
	s_delay_alu instid0(VALU_DEP_2)
	v_lshlrev_b32_e32 v4, 2, v4
	ds_bpermute_b32 v1, v4, v1
	s_and_saveexec_b32 s0, vcc_lo
	s_cbranch_execz .LBB1243_110
; %bb.109:
	v_mov_b32_e32 v3, 0
	v_mov_b32_e32 v17, 2
	s_waitcnt lgkmcnt(1)
	global_store_b64 v3, v[16:17], s[10:11] offset:256
.LBB1243_110:
	s_or_b32 exec_lo, exec_lo, s0
	v_cmp_eq_u32_e64 s0, 0, v52
	s_waitcnt lgkmcnt(0)
	s_waitcnt_vscnt null, 0x0
	s_barrier
	buffer_gl0_inv
	v_mov_b32_e32 v17, 0
	v_cndmask_b32_e64 v1, v1, v2, s0
	s_delay_alu instid0(VALU_DEP_1) | instskip(NEXT) | instid1(VALU_DEP_1)
	v_cndmask_b32_e64 v1, v1, 0, vcc_lo
	v_add_nc_u32_e32 v2, v1, v43
	s_delay_alu instid0(VALU_DEP_1) | instskip(NEXT) | instid1(VALU_DEP_1)
	v_add_nc_u32_e32 v3, v2, v44
	v_add_nc_u32_e32 v4, v3, v45
	s_delay_alu instid0(VALU_DEP_1) | instskip(NEXT) | instid1(VALU_DEP_1)
	v_add_nc_u32_e32 v5, v4, v47
	;; [unrolled: 3-line block ×4, first 2 shown]
	v_add_nc_u32_e32 v10, v9, v50
	s_delay_alu instid0(VALU_DEP_1)
	v_add_nc_u32_e32 v11, v10, v51
.LBB1243_111:
	v_lshrrev_b32_e32 v45, 16, v29
	v_lshrrev_b32_e32 v46, 8, v29
	v_and_b32_e32 v29, 1, v29
	s_waitcnt lgkmcnt(0)
	v_cmp_gt_u32_e64 s0, 0x81, v16
	v_lshrrev_b32_e32 v32, 16, v18
	v_lshrrev_b32_e32 v44, 8, v30
	;; [unrolled: 1-line block ×4, first 2 shown]
	v_cmp_eq_u32_e64 s1, 1, v29
	s_and_b32 vcc_lo, exec_lo, s0
	s_cbranch_vccnz .LBB1243_135
; %bb.112:
	s_delay_alu instid0(VALU_DEP_1)
	s_and_saveexec_b32 s2, s1
	s_cbranch_execz .LBB1243_114
; %bb.113:
	v_sub_nc_u32_e32 v47, v1, v17
	s_delay_alu instid0(VALU_DEP_1)
	v_lshlrev_b32_e32 v47, 1, v47
	ds_store_b16 v47, v12
.LBB1243_114:
	s_or_b32 exec_lo, exec_lo, s2
	v_and_b32_e32 v12, 1, v46
	s_mov_b32 s1, exec_lo
	s_delay_alu instid0(VALU_DEP_1)
	v_cmpx_eq_u32_e32 1, v12
	s_cbranch_execz .LBB1243_116
; %bb.115:
	v_sub_nc_u32_e32 v12, v2, v17
	s_delay_alu instid0(VALU_DEP_1)
	v_lshlrev_b32_e32 v12, 1, v12
	ds_store_b16 v12, v40
.LBB1243_116:
	s_or_b32 exec_lo, exec_lo, s1
	v_and_b32_e32 v12, 1, v45
	s_mov_b32 s1, exec_lo
	s_delay_alu instid0(VALU_DEP_1)
	v_cmpx_eq_u32_e32 1, v12
	;; [unrolled: 12-line block ×10, first 2 shown]
	s_cbranch_execz .LBB1243_134
; %bb.133:
	v_sub_nc_u32_e32 v12, v11, v17
	s_delay_alu instid0(VALU_DEP_1)
	v_lshlrev_b32_e32 v12, 1, v12
	ds_store_b16 v12, v34
.LBB1243_134:
	s_or_b32 exec_lo, exec_lo, s1
	s_waitcnt lgkmcnt(0)
	s_barrier
	buffer_gl0_inv
.LBB1243_135:
	s_and_b32 vcc_lo, exec_lo, s0
	s_mov_b32 s0, -1
	s_barrier
	buffer_gl0_inv
	s_cbranch_vccnz .LBB1243_139
; %bb.136:
	s_and_b32 vcc_lo, exec_lo, s0
	s_cbranch_vccnz .LBB1243_173
.LBB1243_137:
	v_cmp_eq_u32_e32 vcc_lo, 0, v0
	s_and_b32 s0, vcc_lo, s14
	s_delay_alu instid0(SALU_CYCLE_1)
	s_and_saveexec_b32 s1, s0
	s_cbranch_execnz .LBB1243_199
.LBB1243_138:
	s_nop 0
	s_sendmsg sendmsg(MSG_DEALLOC_VGPRS)
	s_endpgm
.LBB1243_139:
	v_add_nc_u32_e32 v12, v17, v16
	s_lshl_b64 s[0:1], s[12:13], 2
	s_delay_alu instid0(SALU_CYCLE_1) | instskip(SKIP_1) | instid1(VALU_DEP_1)
	s_add_u32 s0, s8, s0
	s_addc_u32 s1, s9, s1
	v_cmp_lt_u32_e32 vcc_lo, v1, v12
	s_or_b32 s3, s18, vcc_lo
	s_delay_alu instid0(SALU_CYCLE_1)
	s_and_saveexec_b32 s2, s3
	s_cbranch_execz .LBB1243_142
; %bb.140:
	v_cmp_eq_u32_e32 vcc_lo, 1, v29
	s_and_b32 exec_lo, exec_lo, vcc_lo
	s_cbranch_execz .LBB1243_142
; %bb.141:
	v_dual_mov_b32 v14, 0 :: v_dual_mov_b32 v13, v1
	s_delay_alu instid0(VALU_DEP_1) | instskip(NEXT) | instid1(VALU_DEP_1)
	v_lshlrev_b64 v[13:14], 2, v[13:14]
	v_add_co_u32 v13, vcc_lo, s0, v13
	s_delay_alu instid0(VALU_DEP_2)
	v_add_co_ci_u32_e32 v14, vcc_lo, s1, v14, vcc_lo
	global_store_b32 v[13:14], v27, off
.LBB1243_142:
	s_or_b32 exec_lo, exec_lo, s2
	v_cmp_lt_u32_e32 vcc_lo, v2, v12
	s_or_b32 s3, s18, vcc_lo
	s_delay_alu instid0(SALU_CYCLE_1)
	s_and_saveexec_b32 s2, s3
	s_cbranch_execz .LBB1243_145
; %bb.143:
	v_and_b32_e32 v13, 1, v46
	s_delay_alu instid0(VALU_DEP_1)
	v_cmp_eq_u32_e32 vcc_lo, 1, v13
	s_and_b32 exec_lo, exec_lo, vcc_lo
	s_cbranch_execz .LBB1243_145
; %bb.144:
	v_dual_mov_b32 v14, 0 :: v_dual_mov_b32 v13, v2
	s_delay_alu instid0(VALU_DEP_1) | instskip(NEXT) | instid1(VALU_DEP_1)
	v_lshlrev_b64 v[13:14], 2, v[13:14]
	v_add_co_u32 v13, vcc_lo, s0, v13
	s_delay_alu instid0(VALU_DEP_2)
	v_add_co_ci_u32_e32 v14, vcc_lo, s1, v14, vcc_lo
	global_store_b32 v[13:14], v28, off
.LBB1243_145:
	s_or_b32 exec_lo, exec_lo, s2
	v_cmp_lt_u32_e32 vcc_lo, v3, v12
	s_or_b32 s3, s18, vcc_lo
	s_delay_alu instid0(SALU_CYCLE_1)
	s_and_saveexec_b32 s2, s3
	s_cbranch_execz .LBB1243_148
; %bb.146:
	v_and_b32_e32 v13, 1, v45
	s_delay_alu instid0(VALU_DEP_1)
	v_cmp_eq_u32_e32 vcc_lo, 1, v13
	s_and_b32 exec_lo, exec_lo, vcc_lo
	s_cbranch_execz .LBB1243_148
; %bb.147:
	v_dual_mov_b32 v14, 0 :: v_dual_mov_b32 v13, v3
	s_delay_alu instid0(VALU_DEP_1) | instskip(NEXT) | instid1(VALU_DEP_1)
	v_lshlrev_b64 v[13:14], 2, v[13:14]
	v_add_co_u32 v13, vcc_lo, s0, v13
	s_delay_alu instid0(VALU_DEP_2)
	v_add_co_ci_u32_e32 v14, vcc_lo, s1, v14, vcc_lo
	global_store_b32 v[13:14], v25, off
.LBB1243_148:
	;; [unrolled: 21-line block ×10, first 2 shown]
	s_or_b32 exec_lo, exec_lo, s2
	s_branch .LBB1243_137
.LBB1243_173:
	s_mov_b32 s0, exec_lo
	v_cmpx_eq_u32_e32 1, v29
	s_cbranch_execz .LBB1243_175
; %bb.174:
	v_sub_nc_u32_e32 v1, v1, v17
	s_delay_alu instid0(VALU_DEP_1)
	v_lshlrev_b32_e32 v1, 2, v1
	ds_store_b32 v1, v27
.LBB1243_175:
	s_or_b32 exec_lo, exec_lo, s0
	v_and_b32_e32 v1, 1, v46
	s_mov_b32 s0, exec_lo
	s_delay_alu instid0(VALU_DEP_1)
	v_cmpx_eq_u32_e32 1, v1
	s_cbranch_execz .LBB1243_177
; %bb.176:
	v_sub_nc_u32_e32 v1, v2, v17
	s_delay_alu instid0(VALU_DEP_1)
	v_lshlrev_b32_e32 v1, 2, v1
	ds_store_b32 v1, v28
.LBB1243_177:
	s_or_b32 exec_lo, exec_lo, s0
	v_and_b32_e32 v1, 1, v45
	s_mov_b32 s0, exec_lo
	s_delay_alu instid0(VALU_DEP_1)
	;; [unrolled: 12-line block ×10, first 2 shown]
	v_cmpx_eq_u32_e32 1, v1
	s_cbranch_execz .LBB1243_195
; %bb.194:
	v_sub_nc_u32_e32 v1, v11, v17
	s_delay_alu instid0(VALU_DEP_1)
	v_lshlrev_b32_e32 v1, 2, v1
	ds_store_b32 v1, v33
.LBB1243_195:
	s_or_b32 exec_lo, exec_lo, s0
	s_delay_alu instid0(SALU_CYCLE_1)
	s_mov_b32 s1, exec_lo
	s_waitcnt lgkmcnt(0)
	s_waitcnt_vscnt null, 0x0
	s_barrier
	buffer_gl0_inv
	v_cmpx_lt_u32_e64 v0, v16
	s_cbranch_execz .LBB1243_198
; %bb.196:
	v_dual_mov_b32 v2, 0 :: v_dual_mov_b32 v1, v17
	s_lshl_b64 s[2:3], s[12:13], 2
	v_lshlrev_b32_e32 v3, 2, v0
	s_add_u32 s0, s8, s2
	s_addc_u32 s2, s9, s3
	v_lshlrev_b64 v[4:5], 2, v[1:2]
	v_mov_b32_e32 v1, v0
	s_delay_alu instid0(VALU_DEP_2) | instskip(NEXT) | instid1(VALU_DEP_3)
	v_add_co_u32 v4, vcc_lo, s0, v4
	v_add_co_ci_u32_e32 v5, vcc_lo, s2, v5, vcc_lo
	s_mov_b32 s2, 0
	.p2align	6
.LBB1243_197:                           ; =>This Inner Loop Header: Depth=1
	ds_load_b32 v8, v3
	v_lshlrev_b64 v[6:7], 2, v[1:2]
	v_add_nc_u32_e32 v1, 0x80, v1
	v_add_nc_u32_e32 v3, 0x200, v3
	s_delay_alu instid0(VALU_DEP_2) | instskip(NEXT) | instid1(VALU_DEP_4)
	v_cmp_ge_u32_e32 vcc_lo, v1, v16
	v_add_co_u32 v6, s0, v4, v6
	s_delay_alu instid0(VALU_DEP_1)
	v_add_co_ci_u32_e64 v7, s0, v5, v7, s0
	s_or_b32 s2, vcc_lo, s2
	s_waitcnt lgkmcnt(0)
	global_store_b32 v[6:7], v8, off
	s_and_not1_b32 exec_lo, exec_lo, s2
	s_cbranch_execnz .LBB1243_197
.LBB1243_198:
	s_or_b32 exec_lo, exec_lo, s1
	v_cmp_eq_u32_e32 vcc_lo, 0, v0
	s_and_b32 s0, vcc_lo, s14
	s_delay_alu instid0(SALU_CYCLE_1)
	s_and_saveexec_b32 s1, s0
	s_cbranch_execz .LBB1243_138
.LBB1243_199:
	v_add_co_u32 v0, s0, s12, v16
	s_delay_alu instid0(VALU_DEP_1) | instskip(SKIP_1) | instid1(VALU_DEP_3)
	v_add_co_ci_u32_e64 v1, null, s13, 0, s0
	v_mov_b32_e32 v2, 0
	v_add_co_u32 v0, vcc_lo, v0, v17
	s_delay_alu instid0(VALU_DEP_3)
	v_add_co_ci_u32_e32 v1, vcc_lo, 0, v1, vcc_lo
	global_store_b64 v2, v[0:1], s[16:17]
	s_nop 0
	s_sendmsg sendmsg(MSG_DEALLOC_VGPRS)
	s_endpgm
.LBB1243_200:
	s_or_b32 exec_lo, exec_lo, s3
	s_and_saveexec_b32 s3, s22
	s_cbranch_execnz .LBB1243_72
	s_branch .LBB1243_73
	.section	.rodata,"a",@progbits
	.p2align	6, 0x0
	.amdhsa_kernel _ZN7rocprim17ROCPRIM_400000_NS6detail17trampoline_kernelINS0_14default_configENS1_25partition_config_selectorILNS1_17partition_subalgoE9EsjbEEZZNS1_14partition_implILS5_9ELb0ES3_jN6thrust23THRUST_200600_302600_NS6detail15normal_iteratorINS9_10device_ptrIsEEEENSB_INSC_IjEEEEPNS0_10empty_typeENS0_5tupleIJNS9_16discard_iteratorINS9_11use_defaultEEESH_EEENSJ_IJSG_SI_EEENS0_18inequality_wrapperINS9_8equal_toIsEEEEPmJSH_EEE10hipError_tPvRmT3_T4_T5_T6_T7_T9_mT8_P12ihipStream_tbDpT10_ENKUlT_T0_E_clISt17integral_constantIbLb0EES1D_EEDaS18_S19_EUlS18_E_NS1_11comp_targetILNS1_3genE9ELNS1_11target_archE1100ELNS1_3gpuE3ELNS1_3repE0EEENS1_30default_config_static_selectorELNS0_4arch9wavefront6targetE0EEEvT1_
		.amdhsa_group_segment_fixed_size 5640
		.amdhsa_private_segment_fixed_size 0
		.amdhsa_kernarg_size 120
		.amdhsa_user_sgpr_count 15
		.amdhsa_user_sgpr_dispatch_ptr 0
		.amdhsa_user_sgpr_queue_ptr 0
		.amdhsa_user_sgpr_kernarg_segment_ptr 1
		.amdhsa_user_sgpr_dispatch_id 0
		.amdhsa_user_sgpr_private_segment_size 0
		.amdhsa_wavefront_size32 1
		.amdhsa_uses_dynamic_stack 0
		.amdhsa_enable_private_segment 0
		.amdhsa_system_sgpr_workgroup_id_x 1
		.amdhsa_system_sgpr_workgroup_id_y 0
		.amdhsa_system_sgpr_workgroup_id_z 0
		.amdhsa_system_sgpr_workgroup_info 0
		.amdhsa_system_vgpr_workitem_id 0
		.amdhsa_next_free_vgpr 61
		.amdhsa_next_free_sgpr 24
		.amdhsa_reserve_vcc 1
		.amdhsa_float_round_mode_32 0
		.amdhsa_float_round_mode_16_64 0
		.amdhsa_float_denorm_mode_32 3
		.amdhsa_float_denorm_mode_16_64 3
		.amdhsa_dx10_clamp 1
		.amdhsa_ieee_mode 1
		.amdhsa_fp16_overflow 0
		.amdhsa_workgroup_processor_mode 1
		.amdhsa_memory_ordered 1
		.amdhsa_forward_progress 0
		.amdhsa_shared_vgpr_count 0
		.amdhsa_exception_fp_ieee_invalid_op 0
		.amdhsa_exception_fp_denorm_src 0
		.amdhsa_exception_fp_ieee_div_zero 0
		.amdhsa_exception_fp_ieee_overflow 0
		.amdhsa_exception_fp_ieee_underflow 0
		.amdhsa_exception_fp_ieee_inexact 0
		.amdhsa_exception_int_div_zero 0
	.end_amdhsa_kernel
	.section	.text._ZN7rocprim17ROCPRIM_400000_NS6detail17trampoline_kernelINS0_14default_configENS1_25partition_config_selectorILNS1_17partition_subalgoE9EsjbEEZZNS1_14partition_implILS5_9ELb0ES3_jN6thrust23THRUST_200600_302600_NS6detail15normal_iteratorINS9_10device_ptrIsEEEENSB_INSC_IjEEEEPNS0_10empty_typeENS0_5tupleIJNS9_16discard_iteratorINS9_11use_defaultEEESH_EEENSJ_IJSG_SI_EEENS0_18inequality_wrapperINS9_8equal_toIsEEEEPmJSH_EEE10hipError_tPvRmT3_T4_T5_T6_T7_T9_mT8_P12ihipStream_tbDpT10_ENKUlT_T0_E_clISt17integral_constantIbLb0EES1D_EEDaS18_S19_EUlS18_E_NS1_11comp_targetILNS1_3genE9ELNS1_11target_archE1100ELNS1_3gpuE3ELNS1_3repE0EEENS1_30default_config_static_selectorELNS0_4arch9wavefront6targetE0EEEvT1_,"axG",@progbits,_ZN7rocprim17ROCPRIM_400000_NS6detail17trampoline_kernelINS0_14default_configENS1_25partition_config_selectorILNS1_17partition_subalgoE9EsjbEEZZNS1_14partition_implILS5_9ELb0ES3_jN6thrust23THRUST_200600_302600_NS6detail15normal_iteratorINS9_10device_ptrIsEEEENSB_INSC_IjEEEEPNS0_10empty_typeENS0_5tupleIJNS9_16discard_iteratorINS9_11use_defaultEEESH_EEENSJ_IJSG_SI_EEENS0_18inequality_wrapperINS9_8equal_toIsEEEEPmJSH_EEE10hipError_tPvRmT3_T4_T5_T6_T7_T9_mT8_P12ihipStream_tbDpT10_ENKUlT_T0_E_clISt17integral_constantIbLb0EES1D_EEDaS18_S19_EUlS18_E_NS1_11comp_targetILNS1_3genE9ELNS1_11target_archE1100ELNS1_3gpuE3ELNS1_3repE0EEENS1_30default_config_static_selectorELNS0_4arch9wavefront6targetE0EEEvT1_,comdat
.Lfunc_end1243:
	.size	_ZN7rocprim17ROCPRIM_400000_NS6detail17trampoline_kernelINS0_14default_configENS1_25partition_config_selectorILNS1_17partition_subalgoE9EsjbEEZZNS1_14partition_implILS5_9ELb0ES3_jN6thrust23THRUST_200600_302600_NS6detail15normal_iteratorINS9_10device_ptrIsEEEENSB_INSC_IjEEEEPNS0_10empty_typeENS0_5tupleIJNS9_16discard_iteratorINS9_11use_defaultEEESH_EEENSJ_IJSG_SI_EEENS0_18inequality_wrapperINS9_8equal_toIsEEEEPmJSH_EEE10hipError_tPvRmT3_T4_T5_T6_T7_T9_mT8_P12ihipStream_tbDpT10_ENKUlT_T0_E_clISt17integral_constantIbLb0EES1D_EEDaS18_S19_EUlS18_E_NS1_11comp_targetILNS1_3genE9ELNS1_11target_archE1100ELNS1_3gpuE3ELNS1_3repE0EEENS1_30default_config_static_selectorELNS0_4arch9wavefront6targetE0EEEvT1_, .Lfunc_end1243-_ZN7rocprim17ROCPRIM_400000_NS6detail17trampoline_kernelINS0_14default_configENS1_25partition_config_selectorILNS1_17partition_subalgoE9EsjbEEZZNS1_14partition_implILS5_9ELb0ES3_jN6thrust23THRUST_200600_302600_NS6detail15normal_iteratorINS9_10device_ptrIsEEEENSB_INSC_IjEEEEPNS0_10empty_typeENS0_5tupleIJNS9_16discard_iteratorINS9_11use_defaultEEESH_EEENSJ_IJSG_SI_EEENS0_18inequality_wrapperINS9_8equal_toIsEEEEPmJSH_EEE10hipError_tPvRmT3_T4_T5_T6_T7_T9_mT8_P12ihipStream_tbDpT10_ENKUlT_T0_E_clISt17integral_constantIbLb0EES1D_EEDaS18_S19_EUlS18_E_NS1_11comp_targetILNS1_3genE9ELNS1_11target_archE1100ELNS1_3gpuE3ELNS1_3repE0EEENS1_30default_config_static_selectorELNS0_4arch9wavefront6targetE0EEEvT1_
                                        ; -- End function
	.section	.AMDGPU.csdata,"",@progbits
; Kernel info:
; codeLenInByte = 9216
; NumSgprs: 26
; NumVgprs: 61
; ScratchSize: 0
; MemoryBound: 0
; FloatMode: 240
; IeeeMode: 1
; LDSByteSize: 5640 bytes/workgroup (compile time only)
; SGPRBlocks: 3
; VGPRBlocks: 7
; NumSGPRsForWavesPerEU: 26
; NumVGPRsForWavesPerEU: 61
; Occupancy: 16
; WaveLimiterHint : 1
; COMPUTE_PGM_RSRC2:SCRATCH_EN: 0
; COMPUTE_PGM_RSRC2:USER_SGPR: 15
; COMPUTE_PGM_RSRC2:TRAP_HANDLER: 0
; COMPUTE_PGM_RSRC2:TGID_X_EN: 1
; COMPUTE_PGM_RSRC2:TGID_Y_EN: 0
; COMPUTE_PGM_RSRC2:TGID_Z_EN: 0
; COMPUTE_PGM_RSRC2:TIDIG_COMP_CNT: 0
	.section	.text._ZN7rocprim17ROCPRIM_400000_NS6detail17trampoline_kernelINS0_14default_configENS1_25partition_config_selectorILNS1_17partition_subalgoE9EsjbEEZZNS1_14partition_implILS5_9ELb0ES3_jN6thrust23THRUST_200600_302600_NS6detail15normal_iteratorINS9_10device_ptrIsEEEENSB_INSC_IjEEEEPNS0_10empty_typeENS0_5tupleIJNS9_16discard_iteratorINS9_11use_defaultEEESH_EEENSJ_IJSG_SI_EEENS0_18inequality_wrapperINS9_8equal_toIsEEEEPmJSH_EEE10hipError_tPvRmT3_T4_T5_T6_T7_T9_mT8_P12ihipStream_tbDpT10_ENKUlT_T0_E_clISt17integral_constantIbLb0EES1D_EEDaS18_S19_EUlS18_E_NS1_11comp_targetILNS1_3genE8ELNS1_11target_archE1030ELNS1_3gpuE2ELNS1_3repE0EEENS1_30default_config_static_selectorELNS0_4arch9wavefront6targetE0EEEvT1_,"axG",@progbits,_ZN7rocprim17ROCPRIM_400000_NS6detail17trampoline_kernelINS0_14default_configENS1_25partition_config_selectorILNS1_17partition_subalgoE9EsjbEEZZNS1_14partition_implILS5_9ELb0ES3_jN6thrust23THRUST_200600_302600_NS6detail15normal_iteratorINS9_10device_ptrIsEEEENSB_INSC_IjEEEEPNS0_10empty_typeENS0_5tupleIJNS9_16discard_iteratorINS9_11use_defaultEEESH_EEENSJ_IJSG_SI_EEENS0_18inequality_wrapperINS9_8equal_toIsEEEEPmJSH_EEE10hipError_tPvRmT3_T4_T5_T6_T7_T9_mT8_P12ihipStream_tbDpT10_ENKUlT_T0_E_clISt17integral_constantIbLb0EES1D_EEDaS18_S19_EUlS18_E_NS1_11comp_targetILNS1_3genE8ELNS1_11target_archE1030ELNS1_3gpuE2ELNS1_3repE0EEENS1_30default_config_static_selectorELNS0_4arch9wavefront6targetE0EEEvT1_,comdat
	.protected	_ZN7rocprim17ROCPRIM_400000_NS6detail17trampoline_kernelINS0_14default_configENS1_25partition_config_selectorILNS1_17partition_subalgoE9EsjbEEZZNS1_14partition_implILS5_9ELb0ES3_jN6thrust23THRUST_200600_302600_NS6detail15normal_iteratorINS9_10device_ptrIsEEEENSB_INSC_IjEEEEPNS0_10empty_typeENS0_5tupleIJNS9_16discard_iteratorINS9_11use_defaultEEESH_EEENSJ_IJSG_SI_EEENS0_18inequality_wrapperINS9_8equal_toIsEEEEPmJSH_EEE10hipError_tPvRmT3_T4_T5_T6_T7_T9_mT8_P12ihipStream_tbDpT10_ENKUlT_T0_E_clISt17integral_constantIbLb0EES1D_EEDaS18_S19_EUlS18_E_NS1_11comp_targetILNS1_3genE8ELNS1_11target_archE1030ELNS1_3gpuE2ELNS1_3repE0EEENS1_30default_config_static_selectorELNS0_4arch9wavefront6targetE0EEEvT1_ ; -- Begin function _ZN7rocprim17ROCPRIM_400000_NS6detail17trampoline_kernelINS0_14default_configENS1_25partition_config_selectorILNS1_17partition_subalgoE9EsjbEEZZNS1_14partition_implILS5_9ELb0ES3_jN6thrust23THRUST_200600_302600_NS6detail15normal_iteratorINS9_10device_ptrIsEEEENSB_INSC_IjEEEEPNS0_10empty_typeENS0_5tupleIJNS9_16discard_iteratorINS9_11use_defaultEEESH_EEENSJ_IJSG_SI_EEENS0_18inequality_wrapperINS9_8equal_toIsEEEEPmJSH_EEE10hipError_tPvRmT3_T4_T5_T6_T7_T9_mT8_P12ihipStream_tbDpT10_ENKUlT_T0_E_clISt17integral_constantIbLb0EES1D_EEDaS18_S19_EUlS18_E_NS1_11comp_targetILNS1_3genE8ELNS1_11target_archE1030ELNS1_3gpuE2ELNS1_3repE0EEENS1_30default_config_static_selectorELNS0_4arch9wavefront6targetE0EEEvT1_
	.globl	_ZN7rocprim17ROCPRIM_400000_NS6detail17trampoline_kernelINS0_14default_configENS1_25partition_config_selectorILNS1_17partition_subalgoE9EsjbEEZZNS1_14partition_implILS5_9ELb0ES3_jN6thrust23THRUST_200600_302600_NS6detail15normal_iteratorINS9_10device_ptrIsEEEENSB_INSC_IjEEEEPNS0_10empty_typeENS0_5tupleIJNS9_16discard_iteratorINS9_11use_defaultEEESH_EEENSJ_IJSG_SI_EEENS0_18inequality_wrapperINS9_8equal_toIsEEEEPmJSH_EEE10hipError_tPvRmT3_T4_T5_T6_T7_T9_mT8_P12ihipStream_tbDpT10_ENKUlT_T0_E_clISt17integral_constantIbLb0EES1D_EEDaS18_S19_EUlS18_E_NS1_11comp_targetILNS1_3genE8ELNS1_11target_archE1030ELNS1_3gpuE2ELNS1_3repE0EEENS1_30default_config_static_selectorELNS0_4arch9wavefront6targetE0EEEvT1_
	.p2align	8
	.type	_ZN7rocprim17ROCPRIM_400000_NS6detail17trampoline_kernelINS0_14default_configENS1_25partition_config_selectorILNS1_17partition_subalgoE9EsjbEEZZNS1_14partition_implILS5_9ELb0ES3_jN6thrust23THRUST_200600_302600_NS6detail15normal_iteratorINS9_10device_ptrIsEEEENSB_INSC_IjEEEEPNS0_10empty_typeENS0_5tupleIJNS9_16discard_iteratorINS9_11use_defaultEEESH_EEENSJ_IJSG_SI_EEENS0_18inequality_wrapperINS9_8equal_toIsEEEEPmJSH_EEE10hipError_tPvRmT3_T4_T5_T6_T7_T9_mT8_P12ihipStream_tbDpT10_ENKUlT_T0_E_clISt17integral_constantIbLb0EES1D_EEDaS18_S19_EUlS18_E_NS1_11comp_targetILNS1_3genE8ELNS1_11target_archE1030ELNS1_3gpuE2ELNS1_3repE0EEENS1_30default_config_static_selectorELNS0_4arch9wavefront6targetE0EEEvT1_,@function
_ZN7rocprim17ROCPRIM_400000_NS6detail17trampoline_kernelINS0_14default_configENS1_25partition_config_selectorILNS1_17partition_subalgoE9EsjbEEZZNS1_14partition_implILS5_9ELb0ES3_jN6thrust23THRUST_200600_302600_NS6detail15normal_iteratorINS9_10device_ptrIsEEEENSB_INSC_IjEEEEPNS0_10empty_typeENS0_5tupleIJNS9_16discard_iteratorINS9_11use_defaultEEESH_EEENSJ_IJSG_SI_EEENS0_18inequality_wrapperINS9_8equal_toIsEEEEPmJSH_EEE10hipError_tPvRmT3_T4_T5_T6_T7_T9_mT8_P12ihipStream_tbDpT10_ENKUlT_T0_E_clISt17integral_constantIbLb0EES1D_EEDaS18_S19_EUlS18_E_NS1_11comp_targetILNS1_3genE8ELNS1_11target_archE1030ELNS1_3gpuE2ELNS1_3repE0EEENS1_30default_config_static_selectorELNS0_4arch9wavefront6targetE0EEEvT1_: ; @_ZN7rocprim17ROCPRIM_400000_NS6detail17trampoline_kernelINS0_14default_configENS1_25partition_config_selectorILNS1_17partition_subalgoE9EsjbEEZZNS1_14partition_implILS5_9ELb0ES3_jN6thrust23THRUST_200600_302600_NS6detail15normal_iteratorINS9_10device_ptrIsEEEENSB_INSC_IjEEEEPNS0_10empty_typeENS0_5tupleIJNS9_16discard_iteratorINS9_11use_defaultEEESH_EEENSJ_IJSG_SI_EEENS0_18inequality_wrapperINS9_8equal_toIsEEEEPmJSH_EEE10hipError_tPvRmT3_T4_T5_T6_T7_T9_mT8_P12ihipStream_tbDpT10_ENKUlT_T0_E_clISt17integral_constantIbLb0EES1D_EEDaS18_S19_EUlS18_E_NS1_11comp_targetILNS1_3genE8ELNS1_11target_archE1030ELNS1_3gpuE2ELNS1_3repE0EEENS1_30default_config_static_selectorELNS0_4arch9wavefront6targetE0EEEvT1_
; %bb.0:
	.section	.rodata,"a",@progbits
	.p2align	6, 0x0
	.amdhsa_kernel _ZN7rocprim17ROCPRIM_400000_NS6detail17trampoline_kernelINS0_14default_configENS1_25partition_config_selectorILNS1_17partition_subalgoE9EsjbEEZZNS1_14partition_implILS5_9ELb0ES3_jN6thrust23THRUST_200600_302600_NS6detail15normal_iteratorINS9_10device_ptrIsEEEENSB_INSC_IjEEEEPNS0_10empty_typeENS0_5tupleIJNS9_16discard_iteratorINS9_11use_defaultEEESH_EEENSJ_IJSG_SI_EEENS0_18inequality_wrapperINS9_8equal_toIsEEEEPmJSH_EEE10hipError_tPvRmT3_T4_T5_T6_T7_T9_mT8_P12ihipStream_tbDpT10_ENKUlT_T0_E_clISt17integral_constantIbLb0EES1D_EEDaS18_S19_EUlS18_E_NS1_11comp_targetILNS1_3genE8ELNS1_11target_archE1030ELNS1_3gpuE2ELNS1_3repE0EEENS1_30default_config_static_selectorELNS0_4arch9wavefront6targetE0EEEvT1_
		.amdhsa_group_segment_fixed_size 0
		.amdhsa_private_segment_fixed_size 0
		.amdhsa_kernarg_size 120
		.amdhsa_user_sgpr_count 15
		.amdhsa_user_sgpr_dispatch_ptr 0
		.amdhsa_user_sgpr_queue_ptr 0
		.amdhsa_user_sgpr_kernarg_segment_ptr 1
		.amdhsa_user_sgpr_dispatch_id 0
		.amdhsa_user_sgpr_private_segment_size 0
		.amdhsa_wavefront_size32 1
		.amdhsa_uses_dynamic_stack 0
		.amdhsa_enable_private_segment 0
		.amdhsa_system_sgpr_workgroup_id_x 1
		.amdhsa_system_sgpr_workgroup_id_y 0
		.amdhsa_system_sgpr_workgroup_id_z 0
		.amdhsa_system_sgpr_workgroup_info 0
		.amdhsa_system_vgpr_workitem_id 0
		.amdhsa_next_free_vgpr 1
		.amdhsa_next_free_sgpr 1
		.amdhsa_reserve_vcc 0
		.amdhsa_float_round_mode_32 0
		.amdhsa_float_round_mode_16_64 0
		.amdhsa_float_denorm_mode_32 3
		.amdhsa_float_denorm_mode_16_64 3
		.amdhsa_dx10_clamp 1
		.amdhsa_ieee_mode 1
		.amdhsa_fp16_overflow 0
		.amdhsa_workgroup_processor_mode 1
		.amdhsa_memory_ordered 1
		.amdhsa_forward_progress 0
		.amdhsa_shared_vgpr_count 0
		.amdhsa_exception_fp_ieee_invalid_op 0
		.amdhsa_exception_fp_denorm_src 0
		.amdhsa_exception_fp_ieee_div_zero 0
		.amdhsa_exception_fp_ieee_overflow 0
		.amdhsa_exception_fp_ieee_underflow 0
		.amdhsa_exception_fp_ieee_inexact 0
		.amdhsa_exception_int_div_zero 0
	.end_amdhsa_kernel
	.section	.text._ZN7rocprim17ROCPRIM_400000_NS6detail17trampoline_kernelINS0_14default_configENS1_25partition_config_selectorILNS1_17partition_subalgoE9EsjbEEZZNS1_14partition_implILS5_9ELb0ES3_jN6thrust23THRUST_200600_302600_NS6detail15normal_iteratorINS9_10device_ptrIsEEEENSB_INSC_IjEEEEPNS0_10empty_typeENS0_5tupleIJNS9_16discard_iteratorINS9_11use_defaultEEESH_EEENSJ_IJSG_SI_EEENS0_18inequality_wrapperINS9_8equal_toIsEEEEPmJSH_EEE10hipError_tPvRmT3_T4_T5_T6_T7_T9_mT8_P12ihipStream_tbDpT10_ENKUlT_T0_E_clISt17integral_constantIbLb0EES1D_EEDaS18_S19_EUlS18_E_NS1_11comp_targetILNS1_3genE8ELNS1_11target_archE1030ELNS1_3gpuE2ELNS1_3repE0EEENS1_30default_config_static_selectorELNS0_4arch9wavefront6targetE0EEEvT1_,"axG",@progbits,_ZN7rocprim17ROCPRIM_400000_NS6detail17trampoline_kernelINS0_14default_configENS1_25partition_config_selectorILNS1_17partition_subalgoE9EsjbEEZZNS1_14partition_implILS5_9ELb0ES3_jN6thrust23THRUST_200600_302600_NS6detail15normal_iteratorINS9_10device_ptrIsEEEENSB_INSC_IjEEEEPNS0_10empty_typeENS0_5tupleIJNS9_16discard_iteratorINS9_11use_defaultEEESH_EEENSJ_IJSG_SI_EEENS0_18inequality_wrapperINS9_8equal_toIsEEEEPmJSH_EEE10hipError_tPvRmT3_T4_T5_T6_T7_T9_mT8_P12ihipStream_tbDpT10_ENKUlT_T0_E_clISt17integral_constantIbLb0EES1D_EEDaS18_S19_EUlS18_E_NS1_11comp_targetILNS1_3genE8ELNS1_11target_archE1030ELNS1_3gpuE2ELNS1_3repE0EEENS1_30default_config_static_selectorELNS0_4arch9wavefront6targetE0EEEvT1_,comdat
.Lfunc_end1244:
	.size	_ZN7rocprim17ROCPRIM_400000_NS6detail17trampoline_kernelINS0_14default_configENS1_25partition_config_selectorILNS1_17partition_subalgoE9EsjbEEZZNS1_14partition_implILS5_9ELb0ES3_jN6thrust23THRUST_200600_302600_NS6detail15normal_iteratorINS9_10device_ptrIsEEEENSB_INSC_IjEEEEPNS0_10empty_typeENS0_5tupleIJNS9_16discard_iteratorINS9_11use_defaultEEESH_EEENSJ_IJSG_SI_EEENS0_18inequality_wrapperINS9_8equal_toIsEEEEPmJSH_EEE10hipError_tPvRmT3_T4_T5_T6_T7_T9_mT8_P12ihipStream_tbDpT10_ENKUlT_T0_E_clISt17integral_constantIbLb0EES1D_EEDaS18_S19_EUlS18_E_NS1_11comp_targetILNS1_3genE8ELNS1_11target_archE1030ELNS1_3gpuE2ELNS1_3repE0EEENS1_30default_config_static_selectorELNS0_4arch9wavefront6targetE0EEEvT1_, .Lfunc_end1244-_ZN7rocprim17ROCPRIM_400000_NS6detail17trampoline_kernelINS0_14default_configENS1_25partition_config_selectorILNS1_17partition_subalgoE9EsjbEEZZNS1_14partition_implILS5_9ELb0ES3_jN6thrust23THRUST_200600_302600_NS6detail15normal_iteratorINS9_10device_ptrIsEEEENSB_INSC_IjEEEEPNS0_10empty_typeENS0_5tupleIJNS9_16discard_iteratorINS9_11use_defaultEEESH_EEENSJ_IJSG_SI_EEENS0_18inequality_wrapperINS9_8equal_toIsEEEEPmJSH_EEE10hipError_tPvRmT3_T4_T5_T6_T7_T9_mT8_P12ihipStream_tbDpT10_ENKUlT_T0_E_clISt17integral_constantIbLb0EES1D_EEDaS18_S19_EUlS18_E_NS1_11comp_targetILNS1_3genE8ELNS1_11target_archE1030ELNS1_3gpuE2ELNS1_3repE0EEENS1_30default_config_static_selectorELNS0_4arch9wavefront6targetE0EEEvT1_
                                        ; -- End function
	.section	.AMDGPU.csdata,"",@progbits
; Kernel info:
; codeLenInByte = 0
; NumSgprs: 0
; NumVgprs: 0
; ScratchSize: 0
; MemoryBound: 0
; FloatMode: 240
; IeeeMode: 1
; LDSByteSize: 0 bytes/workgroup (compile time only)
; SGPRBlocks: 0
; VGPRBlocks: 0
; NumSGPRsForWavesPerEU: 1
; NumVGPRsForWavesPerEU: 1
; Occupancy: 16
; WaveLimiterHint : 0
; COMPUTE_PGM_RSRC2:SCRATCH_EN: 0
; COMPUTE_PGM_RSRC2:USER_SGPR: 15
; COMPUTE_PGM_RSRC2:TRAP_HANDLER: 0
; COMPUTE_PGM_RSRC2:TGID_X_EN: 1
; COMPUTE_PGM_RSRC2:TGID_Y_EN: 0
; COMPUTE_PGM_RSRC2:TGID_Z_EN: 0
; COMPUTE_PGM_RSRC2:TIDIG_COMP_CNT: 0
	.section	.text._ZN7rocprim17ROCPRIM_400000_NS6detail17trampoline_kernelINS0_14default_configENS1_25partition_config_selectorILNS1_17partition_subalgoE9EsjbEEZZNS1_14partition_implILS5_9ELb0ES3_jN6thrust23THRUST_200600_302600_NS6detail15normal_iteratorINS9_10device_ptrIsEEEENSB_INSC_IjEEEEPNS0_10empty_typeENS0_5tupleIJNS9_16discard_iteratorINS9_11use_defaultEEESH_EEENSJ_IJSG_SI_EEENS0_18inequality_wrapperINS9_8equal_toIsEEEEPmJSH_EEE10hipError_tPvRmT3_T4_T5_T6_T7_T9_mT8_P12ihipStream_tbDpT10_ENKUlT_T0_E_clISt17integral_constantIbLb1EES1D_EEDaS18_S19_EUlS18_E_NS1_11comp_targetILNS1_3genE0ELNS1_11target_archE4294967295ELNS1_3gpuE0ELNS1_3repE0EEENS1_30default_config_static_selectorELNS0_4arch9wavefront6targetE0EEEvT1_,"axG",@progbits,_ZN7rocprim17ROCPRIM_400000_NS6detail17trampoline_kernelINS0_14default_configENS1_25partition_config_selectorILNS1_17partition_subalgoE9EsjbEEZZNS1_14partition_implILS5_9ELb0ES3_jN6thrust23THRUST_200600_302600_NS6detail15normal_iteratorINS9_10device_ptrIsEEEENSB_INSC_IjEEEEPNS0_10empty_typeENS0_5tupleIJNS9_16discard_iteratorINS9_11use_defaultEEESH_EEENSJ_IJSG_SI_EEENS0_18inequality_wrapperINS9_8equal_toIsEEEEPmJSH_EEE10hipError_tPvRmT3_T4_T5_T6_T7_T9_mT8_P12ihipStream_tbDpT10_ENKUlT_T0_E_clISt17integral_constantIbLb1EES1D_EEDaS18_S19_EUlS18_E_NS1_11comp_targetILNS1_3genE0ELNS1_11target_archE4294967295ELNS1_3gpuE0ELNS1_3repE0EEENS1_30default_config_static_selectorELNS0_4arch9wavefront6targetE0EEEvT1_,comdat
	.protected	_ZN7rocprim17ROCPRIM_400000_NS6detail17trampoline_kernelINS0_14default_configENS1_25partition_config_selectorILNS1_17partition_subalgoE9EsjbEEZZNS1_14partition_implILS5_9ELb0ES3_jN6thrust23THRUST_200600_302600_NS6detail15normal_iteratorINS9_10device_ptrIsEEEENSB_INSC_IjEEEEPNS0_10empty_typeENS0_5tupleIJNS9_16discard_iteratorINS9_11use_defaultEEESH_EEENSJ_IJSG_SI_EEENS0_18inequality_wrapperINS9_8equal_toIsEEEEPmJSH_EEE10hipError_tPvRmT3_T4_T5_T6_T7_T9_mT8_P12ihipStream_tbDpT10_ENKUlT_T0_E_clISt17integral_constantIbLb1EES1D_EEDaS18_S19_EUlS18_E_NS1_11comp_targetILNS1_3genE0ELNS1_11target_archE4294967295ELNS1_3gpuE0ELNS1_3repE0EEENS1_30default_config_static_selectorELNS0_4arch9wavefront6targetE0EEEvT1_ ; -- Begin function _ZN7rocprim17ROCPRIM_400000_NS6detail17trampoline_kernelINS0_14default_configENS1_25partition_config_selectorILNS1_17partition_subalgoE9EsjbEEZZNS1_14partition_implILS5_9ELb0ES3_jN6thrust23THRUST_200600_302600_NS6detail15normal_iteratorINS9_10device_ptrIsEEEENSB_INSC_IjEEEEPNS0_10empty_typeENS0_5tupleIJNS9_16discard_iteratorINS9_11use_defaultEEESH_EEENSJ_IJSG_SI_EEENS0_18inequality_wrapperINS9_8equal_toIsEEEEPmJSH_EEE10hipError_tPvRmT3_T4_T5_T6_T7_T9_mT8_P12ihipStream_tbDpT10_ENKUlT_T0_E_clISt17integral_constantIbLb1EES1D_EEDaS18_S19_EUlS18_E_NS1_11comp_targetILNS1_3genE0ELNS1_11target_archE4294967295ELNS1_3gpuE0ELNS1_3repE0EEENS1_30default_config_static_selectorELNS0_4arch9wavefront6targetE0EEEvT1_
	.globl	_ZN7rocprim17ROCPRIM_400000_NS6detail17trampoline_kernelINS0_14default_configENS1_25partition_config_selectorILNS1_17partition_subalgoE9EsjbEEZZNS1_14partition_implILS5_9ELb0ES3_jN6thrust23THRUST_200600_302600_NS6detail15normal_iteratorINS9_10device_ptrIsEEEENSB_INSC_IjEEEEPNS0_10empty_typeENS0_5tupleIJNS9_16discard_iteratorINS9_11use_defaultEEESH_EEENSJ_IJSG_SI_EEENS0_18inequality_wrapperINS9_8equal_toIsEEEEPmJSH_EEE10hipError_tPvRmT3_T4_T5_T6_T7_T9_mT8_P12ihipStream_tbDpT10_ENKUlT_T0_E_clISt17integral_constantIbLb1EES1D_EEDaS18_S19_EUlS18_E_NS1_11comp_targetILNS1_3genE0ELNS1_11target_archE4294967295ELNS1_3gpuE0ELNS1_3repE0EEENS1_30default_config_static_selectorELNS0_4arch9wavefront6targetE0EEEvT1_
	.p2align	8
	.type	_ZN7rocprim17ROCPRIM_400000_NS6detail17trampoline_kernelINS0_14default_configENS1_25partition_config_selectorILNS1_17partition_subalgoE9EsjbEEZZNS1_14partition_implILS5_9ELb0ES3_jN6thrust23THRUST_200600_302600_NS6detail15normal_iteratorINS9_10device_ptrIsEEEENSB_INSC_IjEEEEPNS0_10empty_typeENS0_5tupleIJNS9_16discard_iteratorINS9_11use_defaultEEESH_EEENSJ_IJSG_SI_EEENS0_18inequality_wrapperINS9_8equal_toIsEEEEPmJSH_EEE10hipError_tPvRmT3_T4_T5_T6_T7_T9_mT8_P12ihipStream_tbDpT10_ENKUlT_T0_E_clISt17integral_constantIbLb1EES1D_EEDaS18_S19_EUlS18_E_NS1_11comp_targetILNS1_3genE0ELNS1_11target_archE4294967295ELNS1_3gpuE0ELNS1_3repE0EEENS1_30default_config_static_selectorELNS0_4arch9wavefront6targetE0EEEvT1_,@function
_ZN7rocprim17ROCPRIM_400000_NS6detail17trampoline_kernelINS0_14default_configENS1_25partition_config_selectorILNS1_17partition_subalgoE9EsjbEEZZNS1_14partition_implILS5_9ELb0ES3_jN6thrust23THRUST_200600_302600_NS6detail15normal_iteratorINS9_10device_ptrIsEEEENSB_INSC_IjEEEEPNS0_10empty_typeENS0_5tupleIJNS9_16discard_iteratorINS9_11use_defaultEEESH_EEENSJ_IJSG_SI_EEENS0_18inequality_wrapperINS9_8equal_toIsEEEEPmJSH_EEE10hipError_tPvRmT3_T4_T5_T6_T7_T9_mT8_P12ihipStream_tbDpT10_ENKUlT_T0_E_clISt17integral_constantIbLb1EES1D_EEDaS18_S19_EUlS18_E_NS1_11comp_targetILNS1_3genE0ELNS1_11target_archE4294967295ELNS1_3gpuE0ELNS1_3repE0EEENS1_30default_config_static_selectorELNS0_4arch9wavefront6targetE0EEEvT1_: ; @_ZN7rocprim17ROCPRIM_400000_NS6detail17trampoline_kernelINS0_14default_configENS1_25partition_config_selectorILNS1_17partition_subalgoE9EsjbEEZZNS1_14partition_implILS5_9ELb0ES3_jN6thrust23THRUST_200600_302600_NS6detail15normal_iteratorINS9_10device_ptrIsEEEENSB_INSC_IjEEEEPNS0_10empty_typeENS0_5tupleIJNS9_16discard_iteratorINS9_11use_defaultEEESH_EEENSJ_IJSG_SI_EEENS0_18inequality_wrapperINS9_8equal_toIsEEEEPmJSH_EEE10hipError_tPvRmT3_T4_T5_T6_T7_T9_mT8_P12ihipStream_tbDpT10_ENKUlT_T0_E_clISt17integral_constantIbLb1EES1D_EEDaS18_S19_EUlS18_E_NS1_11comp_targetILNS1_3genE0ELNS1_11target_archE4294967295ELNS1_3gpuE0ELNS1_3repE0EEENS1_30default_config_static_selectorELNS0_4arch9wavefront6targetE0EEEvT1_
; %bb.0:
	.section	.rodata,"a",@progbits
	.p2align	6, 0x0
	.amdhsa_kernel _ZN7rocprim17ROCPRIM_400000_NS6detail17trampoline_kernelINS0_14default_configENS1_25partition_config_selectorILNS1_17partition_subalgoE9EsjbEEZZNS1_14partition_implILS5_9ELb0ES3_jN6thrust23THRUST_200600_302600_NS6detail15normal_iteratorINS9_10device_ptrIsEEEENSB_INSC_IjEEEEPNS0_10empty_typeENS0_5tupleIJNS9_16discard_iteratorINS9_11use_defaultEEESH_EEENSJ_IJSG_SI_EEENS0_18inequality_wrapperINS9_8equal_toIsEEEEPmJSH_EEE10hipError_tPvRmT3_T4_T5_T6_T7_T9_mT8_P12ihipStream_tbDpT10_ENKUlT_T0_E_clISt17integral_constantIbLb1EES1D_EEDaS18_S19_EUlS18_E_NS1_11comp_targetILNS1_3genE0ELNS1_11target_archE4294967295ELNS1_3gpuE0ELNS1_3repE0EEENS1_30default_config_static_selectorELNS0_4arch9wavefront6targetE0EEEvT1_
		.amdhsa_group_segment_fixed_size 0
		.amdhsa_private_segment_fixed_size 0
		.amdhsa_kernarg_size 136
		.amdhsa_user_sgpr_count 15
		.amdhsa_user_sgpr_dispatch_ptr 0
		.amdhsa_user_sgpr_queue_ptr 0
		.amdhsa_user_sgpr_kernarg_segment_ptr 1
		.amdhsa_user_sgpr_dispatch_id 0
		.amdhsa_user_sgpr_private_segment_size 0
		.amdhsa_wavefront_size32 1
		.amdhsa_uses_dynamic_stack 0
		.amdhsa_enable_private_segment 0
		.amdhsa_system_sgpr_workgroup_id_x 1
		.amdhsa_system_sgpr_workgroup_id_y 0
		.amdhsa_system_sgpr_workgroup_id_z 0
		.amdhsa_system_sgpr_workgroup_info 0
		.amdhsa_system_vgpr_workitem_id 0
		.amdhsa_next_free_vgpr 1
		.amdhsa_next_free_sgpr 1
		.amdhsa_reserve_vcc 0
		.amdhsa_float_round_mode_32 0
		.amdhsa_float_round_mode_16_64 0
		.amdhsa_float_denorm_mode_32 3
		.amdhsa_float_denorm_mode_16_64 3
		.amdhsa_dx10_clamp 1
		.amdhsa_ieee_mode 1
		.amdhsa_fp16_overflow 0
		.amdhsa_workgroup_processor_mode 1
		.amdhsa_memory_ordered 1
		.amdhsa_forward_progress 0
		.amdhsa_shared_vgpr_count 0
		.amdhsa_exception_fp_ieee_invalid_op 0
		.amdhsa_exception_fp_denorm_src 0
		.amdhsa_exception_fp_ieee_div_zero 0
		.amdhsa_exception_fp_ieee_overflow 0
		.amdhsa_exception_fp_ieee_underflow 0
		.amdhsa_exception_fp_ieee_inexact 0
		.amdhsa_exception_int_div_zero 0
	.end_amdhsa_kernel
	.section	.text._ZN7rocprim17ROCPRIM_400000_NS6detail17trampoline_kernelINS0_14default_configENS1_25partition_config_selectorILNS1_17partition_subalgoE9EsjbEEZZNS1_14partition_implILS5_9ELb0ES3_jN6thrust23THRUST_200600_302600_NS6detail15normal_iteratorINS9_10device_ptrIsEEEENSB_INSC_IjEEEEPNS0_10empty_typeENS0_5tupleIJNS9_16discard_iteratorINS9_11use_defaultEEESH_EEENSJ_IJSG_SI_EEENS0_18inequality_wrapperINS9_8equal_toIsEEEEPmJSH_EEE10hipError_tPvRmT3_T4_T5_T6_T7_T9_mT8_P12ihipStream_tbDpT10_ENKUlT_T0_E_clISt17integral_constantIbLb1EES1D_EEDaS18_S19_EUlS18_E_NS1_11comp_targetILNS1_3genE0ELNS1_11target_archE4294967295ELNS1_3gpuE0ELNS1_3repE0EEENS1_30default_config_static_selectorELNS0_4arch9wavefront6targetE0EEEvT1_,"axG",@progbits,_ZN7rocprim17ROCPRIM_400000_NS6detail17trampoline_kernelINS0_14default_configENS1_25partition_config_selectorILNS1_17partition_subalgoE9EsjbEEZZNS1_14partition_implILS5_9ELb0ES3_jN6thrust23THRUST_200600_302600_NS6detail15normal_iteratorINS9_10device_ptrIsEEEENSB_INSC_IjEEEEPNS0_10empty_typeENS0_5tupleIJNS9_16discard_iteratorINS9_11use_defaultEEESH_EEENSJ_IJSG_SI_EEENS0_18inequality_wrapperINS9_8equal_toIsEEEEPmJSH_EEE10hipError_tPvRmT3_T4_T5_T6_T7_T9_mT8_P12ihipStream_tbDpT10_ENKUlT_T0_E_clISt17integral_constantIbLb1EES1D_EEDaS18_S19_EUlS18_E_NS1_11comp_targetILNS1_3genE0ELNS1_11target_archE4294967295ELNS1_3gpuE0ELNS1_3repE0EEENS1_30default_config_static_selectorELNS0_4arch9wavefront6targetE0EEEvT1_,comdat
.Lfunc_end1245:
	.size	_ZN7rocprim17ROCPRIM_400000_NS6detail17trampoline_kernelINS0_14default_configENS1_25partition_config_selectorILNS1_17partition_subalgoE9EsjbEEZZNS1_14partition_implILS5_9ELb0ES3_jN6thrust23THRUST_200600_302600_NS6detail15normal_iteratorINS9_10device_ptrIsEEEENSB_INSC_IjEEEEPNS0_10empty_typeENS0_5tupleIJNS9_16discard_iteratorINS9_11use_defaultEEESH_EEENSJ_IJSG_SI_EEENS0_18inequality_wrapperINS9_8equal_toIsEEEEPmJSH_EEE10hipError_tPvRmT3_T4_T5_T6_T7_T9_mT8_P12ihipStream_tbDpT10_ENKUlT_T0_E_clISt17integral_constantIbLb1EES1D_EEDaS18_S19_EUlS18_E_NS1_11comp_targetILNS1_3genE0ELNS1_11target_archE4294967295ELNS1_3gpuE0ELNS1_3repE0EEENS1_30default_config_static_selectorELNS0_4arch9wavefront6targetE0EEEvT1_, .Lfunc_end1245-_ZN7rocprim17ROCPRIM_400000_NS6detail17trampoline_kernelINS0_14default_configENS1_25partition_config_selectorILNS1_17partition_subalgoE9EsjbEEZZNS1_14partition_implILS5_9ELb0ES3_jN6thrust23THRUST_200600_302600_NS6detail15normal_iteratorINS9_10device_ptrIsEEEENSB_INSC_IjEEEEPNS0_10empty_typeENS0_5tupleIJNS9_16discard_iteratorINS9_11use_defaultEEESH_EEENSJ_IJSG_SI_EEENS0_18inequality_wrapperINS9_8equal_toIsEEEEPmJSH_EEE10hipError_tPvRmT3_T4_T5_T6_T7_T9_mT8_P12ihipStream_tbDpT10_ENKUlT_T0_E_clISt17integral_constantIbLb1EES1D_EEDaS18_S19_EUlS18_E_NS1_11comp_targetILNS1_3genE0ELNS1_11target_archE4294967295ELNS1_3gpuE0ELNS1_3repE0EEENS1_30default_config_static_selectorELNS0_4arch9wavefront6targetE0EEEvT1_
                                        ; -- End function
	.section	.AMDGPU.csdata,"",@progbits
; Kernel info:
; codeLenInByte = 0
; NumSgprs: 0
; NumVgprs: 0
; ScratchSize: 0
; MemoryBound: 0
; FloatMode: 240
; IeeeMode: 1
; LDSByteSize: 0 bytes/workgroup (compile time only)
; SGPRBlocks: 0
; VGPRBlocks: 0
; NumSGPRsForWavesPerEU: 1
; NumVGPRsForWavesPerEU: 1
; Occupancy: 16
; WaveLimiterHint : 0
; COMPUTE_PGM_RSRC2:SCRATCH_EN: 0
; COMPUTE_PGM_RSRC2:USER_SGPR: 15
; COMPUTE_PGM_RSRC2:TRAP_HANDLER: 0
; COMPUTE_PGM_RSRC2:TGID_X_EN: 1
; COMPUTE_PGM_RSRC2:TGID_Y_EN: 0
; COMPUTE_PGM_RSRC2:TGID_Z_EN: 0
; COMPUTE_PGM_RSRC2:TIDIG_COMP_CNT: 0
	.section	.text._ZN7rocprim17ROCPRIM_400000_NS6detail17trampoline_kernelINS0_14default_configENS1_25partition_config_selectorILNS1_17partition_subalgoE9EsjbEEZZNS1_14partition_implILS5_9ELb0ES3_jN6thrust23THRUST_200600_302600_NS6detail15normal_iteratorINS9_10device_ptrIsEEEENSB_INSC_IjEEEEPNS0_10empty_typeENS0_5tupleIJNS9_16discard_iteratorINS9_11use_defaultEEESH_EEENSJ_IJSG_SI_EEENS0_18inequality_wrapperINS9_8equal_toIsEEEEPmJSH_EEE10hipError_tPvRmT3_T4_T5_T6_T7_T9_mT8_P12ihipStream_tbDpT10_ENKUlT_T0_E_clISt17integral_constantIbLb1EES1D_EEDaS18_S19_EUlS18_E_NS1_11comp_targetILNS1_3genE5ELNS1_11target_archE942ELNS1_3gpuE9ELNS1_3repE0EEENS1_30default_config_static_selectorELNS0_4arch9wavefront6targetE0EEEvT1_,"axG",@progbits,_ZN7rocprim17ROCPRIM_400000_NS6detail17trampoline_kernelINS0_14default_configENS1_25partition_config_selectorILNS1_17partition_subalgoE9EsjbEEZZNS1_14partition_implILS5_9ELb0ES3_jN6thrust23THRUST_200600_302600_NS6detail15normal_iteratorINS9_10device_ptrIsEEEENSB_INSC_IjEEEEPNS0_10empty_typeENS0_5tupleIJNS9_16discard_iteratorINS9_11use_defaultEEESH_EEENSJ_IJSG_SI_EEENS0_18inequality_wrapperINS9_8equal_toIsEEEEPmJSH_EEE10hipError_tPvRmT3_T4_T5_T6_T7_T9_mT8_P12ihipStream_tbDpT10_ENKUlT_T0_E_clISt17integral_constantIbLb1EES1D_EEDaS18_S19_EUlS18_E_NS1_11comp_targetILNS1_3genE5ELNS1_11target_archE942ELNS1_3gpuE9ELNS1_3repE0EEENS1_30default_config_static_selectorELNS0_4arch9wavefront6targetE0EEEvT1_,comdat
	.protected	_ZN7rocprim17ROCPRIM_400000_NS6detail17trampoline_kernelINS0_14default_configENS1_25partition_config_selectorILNS1_17partition_subalgoE9EsjbEEZZNS1_14partition_implILS5_9ELb0ES3_jN6thrust23THRUST_200600_302600_NS6detail15normal_iteratorINS9_10device_ptrIsEEEENSB_INSC_IjEEEEPNS0_10empty_typeENS0_5tupleIJNS9_16discard_iteratorINS9_11use_defaultEEESH_EEENSJ_IJSG_SI_EEENS0_18inequality_wrapperINS9_8equal_toIsEEEEPmJSH_EEE10hipError_tPvRmT3_T4_T5_T6_T7_T9_mT8_P12ihipStream_tbDpT10_ENKUlT_T0_E_clISt17integral_constantIbLb1EES1D_EEDaS18_S19_EUlS18_E_NS1_11comp_targetILNS1_3genE5ELNS1_11target_archE942ELNS1_3gpuE9ELNS1_3repE0EEENS1_30default_config_static_selectorELNS0_4arch9wavefront6targetE0EEEvT1_ ; -- Begin function _ZN7rocprim17ROCPRIM_400000_NS6detail17trampoline_kernelINS0_14default_configENS1_25partition_config_selectorILNS1_17partition_subalgoE9EsjbEEZZNS1_14partition_implILS5_9ELb0ES3_jN6thrust23THRUST_200600_302600_NS6detail15normal_iteratorINS9_10device_ptrIsEEEENSB_INSC_IjEEEEPNS0_10empty_typeENS0_5tupleIJNS9_16discard_iteratorINS9_11use_defaultEEESH_EEENSJ_IJSG_SI_EEENS0_18inequality_wrapperINS9_8equal_toIsEEEEPmJSH_EEE10hipError_tPvRmT3_T4_T5_T6_T7_T9_mT8_P12ihipStream_tbDpT10_ENKUlT_T0_E_clISt17integral_constantIbLb1EES1D_EEDaS18_S19_EUlS18_E_NS1_11comp_targetILNS1_3genE5ELNS1_11target_archE942ELNS1_3gpuE9ELNS1_3repE0EEENS1_30default_config_static_selectorELNS0_4arch9wavefront6targetE0EEEvT1_
	.globl	_ZN7rocprim17ROCPRIM_400000_NS6detail17trampoline_kernelINS0_14default_configENS1_25partition_config_selectorILNS1_17partition_subalgoE9EsjbEEZZNS1_14partition_implILS5_9ELb0ES3_jN6thrust23THRUST_200600_302600_NS6detail15normal_iteratorINS9_10device_ptrIsEEEENSB_INSC_IjEEEEPNS0_10empty_typeENS0_5tupleIJNS9_16discard_iteratorINS9_11use_defaultEEESH_EEENSJ_IJSG_SI_EEENS0_18inequality_wrapperINS9_8equal_toIsEEEEPmJSH_EEE10hipError_tPvRmT3_T4_T5_T6_T7_T9_mT8_P12ihipStream_tbDpT10_ENKUlT_T0_E_clISt17integral_constantIbLb1EES1D_EEDaS18_S19_EUlS18_E_NS1_11comp_targetILNS1_3genE5ELNS1_11target_archE942ELNS1_3gpuE9ELNS1_3repE0EEENS1_30default_config_static_selectorELNS0_4arch9wavefront6targetE0EEEvT1_
	.p2align	8
	.type	_ZN7rocprim17ROCPRIM_400000_NS6detail17trampoline_kernelINS0_14default_configENS1_25partition_config_selectorILNS1_17partition_subalgoE9EsjbEEZZNS1_14partition_implILS5_9ELb0ES3_jN6thrust23THRUST_200600_302600_NS6detail15normal_iteratorINS9_10device_ptrIsEEEENSB_INSC_IjEEEEPNS0_10empty_typeENS0_5tupleIJNS9_16discard_iteratorINS9_11use_defaultEEESH_EEENSJ_IJSG_SI_EEENS0_18inequality_wrapperINS9_8equal_toIsEEEEPmJSH_EEE10hipError_tPvRmT3_T4_T5_T6_T7_T9_mT8_P12ihipStream_tbDpT10_ENKUlT_T0_E_clISt17integral_constantIbLb1EES1D_EEDaS18_S19_EUlS18_E_NS1_11comp_targetILNS1_3genE5ELNS1_11target_archE942ELNS1_3gpuE9ELNS1_3repE0EEENS1_30default_config_static_selectorELNS0_4arch9wavefront6targetE0EEEvT1_,@function
_ZN7rocprim17ROCPRIM_400000_NS6detail17trampoline_kernelINS0_14default_configENS1_25partition_config_selectorILNS1_17partition_subalgoE9EsjbEEZZNS1_14partition_implILS5_9ELb0ES3_jN6thrust23THRUST_200600_302600_NS6detail15normal_iteratorINS9_10device_ptrIsEEEENSB_INSC_IjEEEEPNS0_10empty_typeENS0_5tupleIJNS9_16discard_iteratorINS9_11use_defaultEEESH_EEENSJ_IJSG_SI_EEENS0_18inequality_wrapperINS9_8equal_toIsEEEEPmJSH_EEE10hipError_tPvRmT3_T4_T5_T6_T7_T9_mT8_P12ihipStream_tbDpT10_ENKUlT_T0_E_clISt17integral_constantIbLb1EES1D_EEDaS18_S19_EUlS18_E_NS1_11comp_targetILNS1_3genE5ELNS1_11target_archE942ELNS1_3gpuE9ELNS1_3repE0EEENS1_30default_config_static_selectorELNS0_4arch9wavefront6targetE0EEEvT1_: ; @_ZN7rocprim17ROCPRIM_400000_NS6detail17trampoline_kernelINS0_14default_configENS1_25partition_config_selectorILNS1_17partition_subalgoE9EsjbEEZZNS1_14partition_implILS5_9ELb0ES3_jN6thrust23THRUST_200600_302600_NS6detail15normal_iteratorINS9_10device_ptrIsEEEENSB_INSC_IjEEEEPNS0_10empty_typeENS0_5tupleIJNS9_16discard_iteratorINS9_11use_defaultEEESH_EEENSJ_IJSG_SI_EEENS0_18inequality_wrapperINS9_8equal_toIsEEEEPmJSH_EEE10hipError_tPvRmT3_T4_T5_T6_T7_T9_mT8_P12ihipStream_tbDpT10_ENKUlT_T0_E_clISt17integral_constantIbLb1EES1D_EEDaS18_S19_EUlS18_E_NS1_11comp_targetILNS1_3genE5ELNS1_11target_archE942ELNS1_3gpuE9ELNS1_3repE0EEENS1_30default_config_static_selectorELNS0_4arch9wavefront6targetE0EEEvT1_
; %bb.0:
	.section	.rodata,"a",@progbits
	.p2align	6, 0x0
	.amdhsa_kernel _ZN7rocprim17ROCPRIM_400000_NS6detail17trampoline_kernelINS0_14default_configENS1_25partition_config_selectorILNS1_17partition_subalgoE9EsjbEEZZNS1_14partition_implILS5_9ELb0ES3_jN6thrust23THRUST_200600_302600_NS6detail15normal_iteratorINS9_10device_ptrIsEEEENSB_INSC_IjEEEEPNS0_10empty_typeENS0_5tupleIJNS9_16discard_iteratorINS9_11use_defaultEEESH_EEENSJ_IJSG_SI_EEENS0_18inequality_wrapperINS9_8equal_toIsEEEEPmJSH_EEE10hipError_tPvRmT3_T4_T5_T6_T7_T9_mT8_P12ihipStream_tbDpT10_ENKUlT_T0_E_clISt17integral_constantIbLb1EES1D_EEDaS18_S19_EUlS18_E_NS1_11comp_targetILNS1_3genE5ELNS1_11target_archE942ELNS1_3gpuE9ELNS1_3repE0EEENS1_30default_config_static_selectorELNS0_4arch9wavefront6targetE0EEEvT1_
		.amdhsa_group_segment_fixed_size 0
		.amdhsa_private_segment_fixed_size 0
		.amdhsa_kernarg_size 136
		.amdhsa_user_sgpr_count 15
		.amdhsa_user_sgpr_dispatch_ptr 0
		.amdhsa_user_sgpr_queue_ptr 0
		.amdhsa_user_sgpr_kernarg_segment_ptr 1
		.amdhsa_user_sgpr_dispatch_id 0
		.amdhsa_user_sgpr_private_segment_size 0
		.amdhsa_wavefront_size32 1
		.amdhsa_uses_dynamic_stack 0
		.amdhsa_enable_private_segment 0
		.amdhsa_system_sgpr_workgroup_id_x 1
		.amdhsa_system_sgpr_workgroup_id_y 0
		.amdhsa_system_sgpr_workgroup_id_z 0
		.amdhsa_system_sgpr_workgroup_info 0
		.amdhsa_system_vgpr_workitem_id 0
		.amdhsa_next_free_vgpr 1
		.amdhsa_next_free_sgpr 1
		.amdhsa_reserve_vcc 0
		.amdhsa_float_round_mode_32 0
		.amdhsa_float_round_mode_16_64 0
		.amdhsa_float_denorm_mode_32 3
		.amdhsa_float_denorm_mode_16_64 3
		.amdhsa_dx10_clamp 1
		.amdhsa_ieee_mode 1
		.amdhsa_fp16_overflow 0
		.amdhsa_workgroup_processor_mode 1
		.amdhsa_memory_ordered 1
		.amdhsa_forward_progress 0
		.amdhsa_shared_vgpr_count 0
		.amdhsa_exception_fp_ieee_invalid_op 0
		.amdhsa_exception_fp_denorm_src 0
		.amdhsa_exception_fp_ieee_div_zero 0
		.amdhsa_exception_fp_ieee_overflow 0
		.amdhsa_exception_fp_ieee_underflow 0
		.amdhsa_exception_fp_ieee_inexact 0
		.amdhsa_exception_int_div_zero 0
	.end_amdhsa_kernel
	.section	.text._ZN7rocprim17ROCPRIM_400000_NS6detail17trampoline_kernelINS0_14default_configENS1_25partition_config_selectorILNS1_17partition_subalgoE9EsjbEEZZNS1_14partition_implILS5_9ELb0ES3_jN6thrust23THRUST_200600_302600_NS6detail15normal_iteratorINS9_10device_ptrIsEEEENSB_INSC_IjEEEEPNS0_10empty_typeENS0_5tupleIJNS9_16discard_iteratorINS9_11use_defaultEEESH_EEENSJ_IJSG_SI_EEENS0_18inequality_wrapperINS9_8equal_toIsEEEEPmJSH_EEE10hipError_tPvRmT3_T4_T5_T6_T7_T9_mT8_P12ihipStream_tbDpT10_ENKUlT_T0_E_clISt17integral_constantIbLb1EES1D_EEDaS18_S19_EUlS18_E_NS1_11comp_targetILNS1_3genE5ELNS1_11target_archE942ELNS1_3gpuE9ELNS1_3repE0EEENS1_30default_config_static_selectorELNS0_4arch9wavefront6targetE0EEEvT1_,"axG",@progbits,_ZN7rocprim17ROCPRIM_400000_NS6detail17trampoline_kernelINS0_14default_configENS1_25partition_config_selectorILNS1_17partition_subalgoE9EsjbEEZZNS1_14partition_implILS5_9ELb0ES3_jN6thrust23THRUST_200600_302600_NS6detail15normal_iteratorINS9_10device_ptrIsEEEENSB_INSC_IjEEEEPNS0_10empty_typeENS0_5tupleIJNS9_16discard_iteratorINS9_11use_defaultEEESH_EEENSJ_IJSG_SI_EEENS0_18inequality_wrapperINS9_8equal_toIsEEEEPmJSH_EEE10hipError_tPvRmT3_T4_T5_T6_T7_T9_mT8_P12ihipStream_tbDpT10_ENKUlT_T0_E_clISt17integral_constantIbLb1EES1D_EEDaS18_S19_EUlS18_E_NS1_11comp_targetILNS1_3genE5ELNS1_11target_archE942ELNS1_3gpuE9ELNS1_3repE0EEENS1_30default_config_static_selectorELNS0_4arch9wavefront6targetE0EEEvT1_,comdat
.Lfunc_end1246:
	.size	_ZN7rocprim17ROCPRIM_400000_NS6detail17trampoline_kernelINS0_14default_configENS1_25partition_config_selectorILNS1_17partition_subalgoE9EsjbEEZZNS1_14partition_implILS5_9ELb0ES3_jN6thrust23THRUST_200600_302600_NS6detail15normal_iteratorINS9_10device_ptrIsEEEENSB_INSC_IjEEEEPNS0_10empty_typeENS0_5tupleIJNS9_16discard_iteratorINS9_11use_defaultEEESH_EEENSJ_IJSG_SI_EEENS0_18inequality_wrapperINS9_8equal_toIsEEEEPmJSH_EEE10hipError_tPvRmT3_T4_T5_T6_T7_T9_mT8_P12ihipStream_tbDpT10_ENKUlT_T0_E_clISt17integral_constantIbLb1EES1D_EEDaS18_S19_EUlS18_E_NS1_11comp_targetILNS1_3genE5ELNS1_11target_archE942ELNS1_3gpuE9ELNS1_3repE0EEENS1_30default_config_static_selectorELNS0_4arch9wavefront6targetE0EEEvT1_, .Lfunc_end1246-_ZN7rocprim17ROCPRIM_400000_NS6detail17trampoline_kernelINS0_14default_configENS1_25partition_config_selectorILNS1_17partition_subalgoE9EsjbEEZZNS1_14partition_implILS5_9ELb0ES3_jN6thrust23THRUST_200600_302600_NS6detail15normal_iteratorINS9_10device_ptrIsEEEENSB_INSC_IjEEEEPNS0_10empty_typeENS0_5tupleIJNS9_16discard_iteratorINS9_11use_defaultEEESH_EEENSJ_IJSG_SI_EEENS0_18inequality_wrapperINS9_8equal_toIsEEEEPmJSH_EEE10hipError_tPvRmT3_T4_T5_T6_T7_T9_mT8_P12ihipStream_tbDpT10_ENKUlT_T0_E_clISt17integral_constantIbLb1EES1D_EEDaS18_S19_EUlS18_E_NS1_11comp_targetILNS1_3genE5ELNS1_11target_archE942ELNS1_3gpuE9ELNS1_3repE0EEENS1_30default_config_static_selectorELNS0_4arch9wavefront6targetE0EEEvT1_
                                        ; -- End function
	.section	.AMDGPU.csdata,"",@progbits
; Kernel info:
; codeLenInByte = 0
; NumSgprs: 0
; NumVgprs: 0
; ScratchSize: 0
; MemoryBound: 0
; FloatMode: 240
; IeeeMode: 1
; LDSByteSize: 0 bytes/workgroup (compile time only)
; SGPRBlocks: 0
; VGPRBlocks: 0
; NumSGPRsForWavesPerEU: 1
; NumVGPRsForWavesPerEU: 1
; Occupancy: 16
; WaveLimiterHint : 0
; COMPUTE_PGM_RSRC2:SCRATCH_EN: 0
; COMPUTE_PGM_RSRC2:USER_SGPR: 15
; COMPUTE_PGM_RSRC2:TRAP_HANDLER: 0
; COMPUTE_PGM_RSRC2:TGID_X_EN: 1
; COMPUTE_PGM_RSRC2:TGID_Y_EN: 0
; COMPUTE_PGM_RSRC2:TGID_Z_EN: 0
; COMPUTE_PGM_RSRC2:TIDIG_COMP_CNT: 0
	.section	.text._ZN7rocprim17ROCPRIM_400000_NS6detail17trampoline_kernelINS0_14default_configENS1_25partition_config_selectorILNS1_17partition_subalgoE9EsjbEEZZNS1_14partition_implILS5_9ELb0ES3_jN6thrust23THRUST_200600_302600_NS6detail15normal_iteratorINS9_10device_ptrIsEEEENSB_INSC_IjEEEEPNS0_10empty_typeENS0_5tupleIJNS9_16discard_iteratorINS9_11use_defaultEEESH_EEENSJ_IJSG_SI_EEENS0_18inequality_wrapperINS9_8equal_toIsEEEEPmJSH_EEE10hipError_tPvRmT3_T4_T5_T6_T7_T9_mT8_P12ihipStream_tbDpT10_ENKUlT_T0_E_clISt17integral_constantIbLb1EES1D_EEDaS18_S19_EUlS18_E_NS1_11comp_targetILNS1_3genE4ELNS1_11target_archE910ELNS1_3gpuE8ELNS1_3repE0EEENS1_30default_config_static_selectorELNS0_4arch9wavefront6targetE0EEEvT1_,"axG",@progbits,_ZN7rocprim17ROCPRIM_400000_NS6detail17trampoline_kernelINS0_14default_configENS1_25partition_config_selectorILNS1_17partition_subalgoE9EsjbEEZZNS1_14partition_implILS5_9ELb0ES3_jN6thrust23THRUST_200600_302600_NS6detail15normal_iteratorINS9_10device_ptrIsEEEENSB_INSC_IjEEEEPNS0_10empty_typeENS0_5tupleIJNS9_16discard_iteratorINS9_11use_defaultEEESH_EEENSJ_IJSG_SI_EEENS0_18inequality_wrapperINS9_8equal_toIsEEEEPmJSH_EEE10hipError_tPvRmT3_T4_T5_T6_T7_T9_mT8_P12ihipStream_tbDpT10_ENKUlT_T0_E_clISt17integral_constantIbLb1EES1D_EEDaS18_S19_EUlS18_E_NS1_11comp_targetILNS1_3genE4ELNS1_11target_archE910ELNS1_3gpuE8ELNS1_3repE0EEENS1_30default_config_static_selectorELNS0_4arch9wavefront6targetE0EEEvT1_,comdat
	.protected	_ZN7rocprim17ROCPRIM_400000_NS6detail17trampoline_kernelINS0_14default_configENS1_25partition_config_selectorILNS1_17partition_subalgoE9EsjbEEZZNS1_14partition_implILS5_9ELb0ES3_jN6thrust23THRUST_200600_302600_NS6detail15normal_iteratorINS9_10device_ptrIsEEEENSB_INSC_IjEEEEPNS0_10empty_typeENS0_5tupleIJNS9_16discard_iteratorINS9_11use_defaultEEESH_EEENSJ_IJSG_SI_EEENS0_18inequality_wrapperINS9_8equal_toIsEEEEPmJSH_EEE10hipError_tPvRmT3_T4_T5_T6_T7_T9_mT8_P12ihipStream_tbDpT10_ENKUlT_T0_E_clISt17integral_constantIbLb1EES1D_EEDaS18_S19_EUlS18_E_NS1_11comp_targetILNS1_3genE4ELNS1_11target_archE910ELNS1_3gpuE8ELNS1_3repE0EEENS1_30default_config_static_selectorELNS0_4arch9wavefront6targetE0EEEvT1_ ; -- Begin function _ZN7rocprim17ROCPRIM_400000_NS6detail17trampoline_kernelINS0_14default_configENS1_25partition_config_selectorILNS1_17partition_subalgoE9EsjbEEZZNS1_14partition_implILS5_9ELb0ES3_jN6thrust23THRUST_200600_302600_NS6detail15normal_iteratorINS9_10device_ptrIsEEEENSB_INSC_IjEEEEPNS0_10empty_typeENS0_5tupleIJNS9_16discard_iteratorINS9_11use_defaultEEESH_EEENSJ_IJSG_SI_EEENS0_18inequality_wrapperINS9_8equal_toIsEEEEPmJSH_EEE10hipError_tPvRmT3_T4_T5_T6_T7_T9_mT8_P12ihipStream_tbDpT10_ENKUlT_T0_E_clISt17integral_constantIbLb1EES1D_EEDaS18_S19_EUlS18_E_NS1_11comp_targetILNS1_3genE4ELNS1_11target_archE910ELNS1_3gpuE8ELNS1_3repE0EEENS1_30default_config_static_selectorELNS0_4arch9wavefront6targetE0EEEvT1_
	.globl	_ZN7rocprim17ROCPRIM_400000_NS6detail17trampoline_kernelINS0_14default_configENS1_25partition_config_selectorILNS1_17partition_subalgoE9EsjbEEZZNS1_14partition_implILS5_9ELb0ES3_jN6thrust23THRUST_200600_302600_NS6detail15normal_iteratorINS9_10device_ptrIsEEEENSB_INSC_IjEEEEPNS0_10empty_typeENS0_5tupleIJNS9_16discard_iteratorINS9_11use_defaultEEESH_EEENSJ_IJSG_SI_EEENS0_18inequality_wrapperINS9_8equal_toIsEEEEPmJSH_EEE10hipError_tPvRmT3_T4_T5_T6_T7_T9_mT8_P12ihipStream_tbDpT10_ENKUlT_T0_E_clISt17integral_constantIbLb1EES1D_EEDaS18_S19_EUlS18_E_NS1_11comp_targetILNS1_3genE4ELNS1_11target_archE910ELNS1_3gpuE8ELNS1_3repE0EEENS1_30default_config_static_selectorELNS0_4arch9wavefront6targetE0EEEvT1_
	.p2align	8
	.type	_ZN7rocprim17ROCPRIM_400000_NS6detail17trampoline_kernelINS0_14default_configENS1_25partition_config_selectorILNS1_17partition_subalgoE9EsjbEEZZNS1_14partition_implILS5_9ELb0ES3_jN6thrust23THRUST_200600_302600_NS6detail15normal_iteratorINS9_10device_ptrIsEEEENSB_INSC_IjEEEEPNS0_10empty_typeENS0_5tupleIJNS9_16discard_iteratorINS9_11use_defaultEEESH_EEENSJ_IJSG_SI_EEENS0_18inequality_wrapperINS9_8equal_toIsEEEEPmJSH_EEE10hipError_tPvRmT3_T4_T5_T6_T7_T9_mT8_P12ihipStream_tbDpT10_ENKUlT_T0_E_clISt17integral_constantIbLb1EES1D_EEDaS18_S19_EUlS18_E_NS1_11comp_targetILNS1_3genE4ELNS1_11target_archE910ELNS1_3gpuE8ELNS1_3repE0EEENS1_30default_config_static_selectorELNS0_4arch9wavefront6targetE0EEEvT1_,@function
_ZN7rocprim17ROCPRIM_400000_NS6detail17trampoline_kernelINS0_14default_configENS1_25partition_config_selectorILNS1_17partition_subalgoE9EsjbEEZZNS1_14partition_implILS5_9ELb0ES3_jN6thrust23THRUST_200600_302600_NS6detail15normal_iteratorINS9_10device_ptrIsEEEENSB_INSC_IjEEEEPNS0_10empty_typeENS0_5tupleIJNS9_16discard_iteratorINS9_11use_defaultEEESH_EEENSJ_IJSG_SI_EEENS0_18inequality_wrapperINS9_8equal_toIsEEEEPmJSH_EEE10hipError_tPvRmT3_T4_T5_T6_T7_T9_mT8_P12ihipStream_tbDpT10_ENKUlT_T0_E_clISt17integral_constantIbLb1EES1D_EEDaS18_S19_EUlS18_E_NS1_11comp_targetILNS1_3genE4ELNS1_11target_archE910ELNS1_3gpuE8ELNS1_3repE0EEENS1_30default_config_static_selectorELNS0_4arch9wavefront6targetE0EEEvT1_: ; @_ZN7rocprim17ROCPRIM_400000_NS6detail17trampoline_kernelINS0_14default_configENS1_25partition_config_selectorILNS1_17partition_subalgoE9EsjbEEZZNS1_14partition_implILS5_9ELb0ES3_jN6thrust23THRUST_200600_302600_NS6detail15normal_iteratorINS9_10device_ptrIsEEEENSB_INSC_IjEEEEPNS0_10empty_typeENS0_5tupleIJNS9_16discard_iteratorINS9_11use_defaultEEESH_EEENSJ_IJSG_SI_EEENS0_18inequality_wrapperINS9_8equal_toIsEEEEPmJSH_EEE10hipError_tPvRmT3_T4_T5_T6_T7_T9_mT8_P12ihipStream_tbDpT10_ENKUlT_T0_E_clISt17integral_constantIbLb1EES1D_EEDaS18_S19_EUlS18_E_NS1_11comp_targetILNS1_3genE4ELNS1_11target_archE910ELNS1_3gpuE8ELNS1_3repE0EEENS1_30default_config_static_selectorELNS0_4arch9wavefront6targetE0EEEvT1_
; %bb.0:
	.section	.rodata,"a",@progbits
	.p2align	6, 0x0
	.amdhsa_kernel _ZN7rocprim17ROCPRIM_400000_NS6detail17trampoline_kernelINS0_14default_configENS1_25partition_config_selectorILNS1_17partition_subalgoE9EsjbEEZZNS1_14partition_implILS5_9ELb0ES3_jN6thrust23THRUST_200600_302600_NS6detail15normal_iteratorINS9_10device_ptrIsEEEENSB_INSC_IjEEEEPNS0_10empty_typeENS0_5tupleIJNS9_16discard_iteratorINS9_11use_defaultEEESH_EEENSJ_IJSG_SI_EEENS0_18inequality_wrapperINS9_8equal_toIsEEEEPmJSH_EEE10hipError_tPvRmT3_T4_T5_T6_T7_T9_mT8_P12ihipStream_tbDpT10_ENKUlT_T0_E_clISt17integral_constantIbLb1EES1D_EEDaS18_S19_EUlS18_E_NS1_11comp_targetILNS1_3genE4ELNS1_11target_archE910ELNS1_3gpuE8ELNS1_3repE0EEENS1_30default_config_static_selectorELNS0_4arch9wavefront6targetE0EEEvT1_
		.amdhsa_group_segment_fixed_size 0
		.amdhsa_private_segment_fixed_size 0
		.amdhsa_kernarg_size 136
		.amdhsa_user_sgpr_count 15
		.amdhsa_user_sgpr_dispatch_ptr 0
		.amdhsa_user_sgpr_queue_ptr 0
		.amdhsa_user_sgpr_kernarg_segment_ptr 1
		.amdhsa_user_sgpr_dispatch_id 0
		.amdhsa_user_sgpr_private_segment_size 0
		.amdhsa_wavefront_size32 1
		.amdhsa_uses_dynamic_stack 0
		.amdhsa_enable_private_segment 0
		.amdhsa_system_sgpr_workgroup_id_x 1
		.amdhsa_system_sgpr_workgroup_id_y 0
		.amdhsa_system_sgpr_workgroup_id_z 0
		.amdhsa_system_sgpr_workgroup_info 0
		.amdhsa_system_vgpr_workitem_id 0
		.amdhsa_next_free_vgpr 1
		.amdhsa_next_free_sgpr 1
		.amdhsa_reserve_vcc 0
		.amdhsa_float_round_mode_32 0
		.amdhsa_float_round_mode_16_64 0
		.amdhsa_float_denorm_mode_32 3
		.amdhsa_float_denorm_mode_16_64 3
		.amdhsa_dx10_clamp 1
		.amdhsa_ieee_mode 1
		.amdhsa_fp16_overflow 0
		.amdhsa_workgroup_processor_mode 1
		.amdhsa_memory_ordered 1
		.amdhsa_forward_progress 0
		.amdhsa_shared_vgpr_count 0
		.amdhsa_exception_fp_ieee_invalid_op 0
		.amdhsa_exception_fp_denorm_src 0
		.amdhsa_exception_fp_ieee_div_zero 0
		.amdhsa_exception_fp_ieee_overflow 0
		.amdhsa_exception_fp_ieee_underflow 0
		.amdhsa_exception_fp_ieee_inexact 0
		.amdhsa_exception_int_div_zero 0
	.end_amdhsa_kernel
	.section	.text._ZN7rocprim17ROCPRIM_400000_NS6detail17trampoline_kernelINS0_14default_configENS1_25partition_config_selectorILNS1_17partition_subalgoE9EsjbEEZZNS1_14partition_implILS5_9ELb0ES3_jN6thrust23THRUST_200600_302600_NS6detail15normal_iteratorINS9_10device_ptrIsEEEENSB_INSC_IjEEEEPNS0_10empty_typeENS0_5tupleIJNS9_16discard_iteratorINS9_11use_defaultEEESH_EEENSJ_IJSG_SI_EEENS0_18inequality_wrapperINS9_8equal_toIsEEEEPmJSH_EEE10hipError_tPvRmT3_T4_T5_T6_T7_T9_mT8_P12ihipStream_tbDpT10_ENKUlT_T0_E_clISt17integral_constantIbLb1EES1D_EEDaS18_S19_EUlS18_E_NS1_11comp_targetILNS1_3genE4ELNS1_11target_archE910ELNS1_3gpuE8ELNS1_3repE0EEENS1_30default_config_static_selectorELNS0_4arch9wavefront6targetE0EEEvT1_,"axG",@progbits,_ZN7rocprim17ROCPRIM_400000_NS6detail17trampoline_kernelINS0_14default_configENS1_25partition_config_selectorILNS1_17partition_subalgoE9EsjbEEZZNS1_14partition_implILS5_9ELb0ES3_jN6thrust23THRUST_200600_302600_NS6detail15normal_iteratorINS9_10device_ptrIsEEEENSB_INSC_IjEEEEPNS0_10empty_typeENS0_5tupleIJNS9_16discard_iteratorINS9_11use_defaultEEESH_EEENSJ_IJSG_SI_EEENS0_18inequality_wrapperINS9_8equal_toIsEEEEPmJSH_EEE10hipError_tPvRmT3_T4_T5_T6_T7_T9_mT8_P12ihipStream_tbDpT10_ENKUlT_T0_E_clISt17integral_constantIbLb1EES1D_EEDaS18_S19_EUlS18_E_NS1_11comp_targetILNS1_3genE4ELNS1_11target_archE910ELNS1_3gpuE8ELNS1_3repE0EEENS1_30default_config_static_selectorELNS0_4arch9wavefront6targetE0EEEvT1_,comdat
.Lfunc_end1247:
	.size	_ZN7rocprim17ROCPRIM_400000_NS6detail17trampoline_kernelINS0_14default_configENS1_25partition_config_selectorILNS1_17partition_subalgoE9EsjbEEZZNS1_14partition_implILS5_9ELb0ES3_jN6thrust23THRUST_200600_302600_NS6detail15normal_iteratorINS9_10device_ptrIsEEEENSB_INSC_IjEEEEPNS0_10empty_typeENS0_5tupleIJNS9_16discard_iteratorINS9_11use_defaultEEESH_EEENSJ_IJSG_SI_EEENS0_18inequality_wrapperINS9_8equal_toIsEEEEPmJSH_EEE10hipError_tPvRmT3_T4_T5_T6_T7_T9_mT8_P12ihipStream_tbDpT10_ENKUlT_T0_E_clISt17integral_constantIbLb1EES1D_EEDaS18_S19_EUlS18_E_NS1_11comp_targetILNS1_3genE4ELNS1_11target_archE910ELNS1_3gpuE8ELNS1_3repE0EEENS1_30default_config_static_selectorELNS0_4arch9wavefront6targetE0EEEvT1_, .Lfunc_end1247-_ZN7rocprim17ROCPRIM_400000_NS6detail17trampoline_kernelINS0_14default_configENS1_25partition_config_selectorILNS1_17partition_subalgoE9EsjbEEZZNS1_14partition_implILS5_9ELb0ES3_jN6thrust23THRUST_200600_302600_NS6detail15normal_iteratorINS9_10device_ptrIsEEEENSB_INSC_IjEEEEPNS0_10empty_typeENS0_5tupleIJNS9_16discard_iteratorINS9_11use_defaultEEESH_EEENSJ_IJSG_SI_EEENS0_18inequality_wrapperINS9_8equal_toIsEEEEPmJSH_EEE10hipError_tPvRmT3_T4_T5_T6_T7_T9_mT8_P12ihipStream_tbDpT10_ENKUlT_T0_E_clISt17integral_constantIbLb1EES1D_EEDaS18_S19_EUlS18_E_NS1_11comp_targetILNS1_3genE4ELNS1_11target_archE910ELNS1_3gpuE8ELNS1_3repE0EEENS1_30default_config_static_selectorELNS0_4arch9wavefront6targetE0EEEvT1_
                                        ; -- End function
	.section	.AMDGPU.csdata,"",@progbits
; Kernel info:
; codeLenInByte = 0
; NumSgprs: 0
; NumVgprs: 0
; ScratchSize: 0
; MemoryBound: 0
; FloatMode: 240
; IeeeMode: 1
; LDSByteSize: 0 bytes/workgroup (compile time only)
; SGPRBlocks: 0
; VGPRBlocks: 0
; NumSGPRsForWavesPerEU: 1
; NumVGPRsForWavesPerEU: 1
; Occupancy: 15
; WaveLimiterHint : 0
; COMPUTE_PGM_RSRC2:SCRATCH_EN: 0
; COMPUTE_PGM_RSRC2:USER_SGPR: 15
; COMPUTE_PGM_RSRC2:TRAP_HANDLER: 0
; COMPUTE_PGM_RSRC2:TGID_X_EN: 1
; COMPUTE_PGM_RSRC2:TGID_Y_EN: 0
; COMPUTE_PGM_RSRC2:TGID_Z_EN: 0
; COMPUTE_PGM_RSRC2:TIDIG_COMP_CNT: 0
	.section	.text._ZN7rocprim17ROCPRIM_400000_NS6detail17trampoline_kernelINS0_14default_configENS1_25partition_config_selectorILNS1_17partition_subalgoE9EsjbEEZZNS1_14partition_implILS5_9ELb0ES3_jN6thrust23THRUST_200600_302600_NS6detail15normal_iteratorINS9_10device_ptrIsEEEENSB_INSC_IjEEEEPNS0_10empty_typeENS0_5tupleIJNS9_16discard_iteratorINS9_11use_defaultEEESH_EEENSJ_IJSG_SI_EEENS0_18inequality_wrapperINS9_8equal_toIsEEEEPmJSH_EEE10hipError_tPvRmT3_T4_T5_T6_T7_T9_mT8_P12ihipStream_tbDpT10_ENKUlT_T0_E_clISt17integral_constantIbLb1EES1D_EEDaS18_S19_EUlS18_E_NS1_11comp_targetILNS1_3genE3ELNS1_11target_archE908ELNS1_3gpuE7ELNS1_3repE0EEENS1_30default_config_static_selectorELNS0_4arch9wavefront6targetE0EEEvT1_,"axG",@progbits,_ZN7rocprim17ROCPRIM_400000_NS6detail17trampoline_kernelINS0_14default_configENS1_25partition_config_selectorILNS1_17partition_subalgoE9EsjbEEZZNS1_14partition_implILS5_9ELb0ES3_jN6thrust23THRUST_200600_302600_NS6detail15normal_iteratorINS9_10device_ptrIsEEEENSB_INSC_IjEEEEPNS0_10empty_typeENS0_5tupleIJNS9_16discard_iteratorINS9_11use_defaultEEESH_EEENSJ_IJSG_SI_EEENS0_18inequality_wrapperINS9_8equal_toIsEEEEPmJSH_EEE10hipError_tPvRmT3_T4_T5_T6_T7_T9_mT8_P12ihipStream_tbDpT10_ENKUlT_T0_E_clISt17integral_constantIbLb1EES1D_EEDaS18_S19_EUlS18_E_NS1_11comp_targetILNS1_3genE3ELNS1_11target_archE908ELNS1_3gpuE7ELNS1_3repE0EEENS1_30default_config_static_selectorELNS0_4arch9wavefront6targetE0EEEvT1_,comdat
	.protected	_ZN7rocprim17ROCPRIM_400000_NS6detail17trampoline_kernelINS0_14default_configENS1_25partition_config_selectorILNS1_17partition_subalgoE9EsjbEEZZNS1_14partition_implILS5_9ELb0ES3_jN6thrust23THRUST_200600_302600_NS6detail15normal_iteratorINS9_10device_ptrIsEEEENSB_INSC_IjEEEEPNS0_10empty_typeENS0_5tupleIJNS9_16discard_iteratorINS9_11use_defaultEEESH_EEENSJ_IJSG_SI_EEENS0_18inequality_wrapperINS9_8equal_toIsEEEEPmJSH_EEE10hipError_tPvRmT3_T4_T5_T6_T7_T9_mT8_P12ihipStream_tbDpT10_ENKUlT_T0_E_clISt17integral_constantIbLb1EES1D_EEDaS18_S19_EUlS18_E_NS1_11comp_targetILNS1_3genE3ELNS1_11target_archE908ELNS1_3gpuE7ELNS1_3repE0EEENS1_30default_config_static_selectorELNS0_4arch9wavefront6targetE0EEEvT1_ ; -- Begin function _ZN7rocprim17ROCPRIM_400000_NS6detail17trampoline_kernelINS0_14default_configENS1_25partition_config_selectorILNS1_17partition_subalgoE9EsjbEEZZNS1_14partition_implILS5_9ELb0ES3_jN6thrust23THRUST_200600_302600_NS6detail15normal_iteratorINS9_10device_ptrIsEEEENSB_INSC_IjEEEEPNS0_10empty_typeENS0_5tupleIJNS9_16discard_iteratorINS9_11use_defaultEEESH_EEENSJ_IJSG_SI_EEENS0_18inequality_wrapperINS9_8equal_toIsEEEEPmJSH_EEE10hipError_tPvRmT3_T4_T5_T6_T7_T9_mT8_P12ihipStream_tbDpT10_ENKUlT_T0_E_clISt17integral_constantIbLb1EES1D_EEDaS18_S19_EUlS18_E_NS1_11comp_targetILNS1_3genE3ELNS1_11target_archE908ELNS1_3gpuE7ELNS1_3repE0EEENS1_30default_config_static_selectorELNS0_4arch9wavefront6targetE0EEEvT1_
	.globl	_ZN7rocprim17ROCPRIM_400000_NS6detail17trampoline_kernelINS0_14default_configENS1_25partition_config_selectorILNS1_17partition_subalgoE9EsjbEEZZNS1_14partition_implILS5_9ELb0ES3_jN6thrust23THRUST_200600_302600_NS6detail15normal_iteratorINS9_10device_ptrIsEEEENSB_INSC_IjEEEEPNS0_10empty_typeENS0_5tupleIJNS9_16discard_iteratorINS9_11use_defaultEEESH_EEENSJ_IJSG_SI_EEENS0_18inequality_wrapperINS9_8equal_toIsEEEEPmJSH_EEE10hipError_tPvRmT3_T4_T5_T6_T7_T9_mT8_P12ihipStream_tbDpT10_ENKUlT_T0_E_clISt17integral_constantIbLb1EES1D_EEDaS18_S19_EUlS18_E_NS1_11comp_targetILNS1_3genE3ELNS1_11target_archE908ELNS1_3gpuE7ELNS1_3repE0EEENS1_30default_config_static_selectorELNS0_4arch9wavefront6targetE0EEEvT1_
	.p2align	8
	.type	_ZN7rocprim17ROCPRIM_400000_NS6detail17trampoline_kernelINS0_14default_configENS1_25partition_config_selectorILNS1_17partition_subalgoE9EsjbEEZZNS1_14partition_implILS5_9ELb0ES3_jN6thrust23THRUST_200600_302600_NS6detail15normal_iteratorINS9_10device_ptrIsEEEENSB_INSC_IjEEEEPNS0_10empty_typeENS0_5tupleIJNS9_16discard_iteratorINS9_11use_defaultEEESH_EEENSJ_IJSG_SI_EEENS0_18inequality_wrapperINS9_8equal_toIsEEEEPmJSH_EEE10hipError_tPvRmT3_T4_T5_T6_T7_T9_mT8_P12ihipStream_tbDpT10_ENKUlT_T0_E_clISt17integral_constantIbLb1EES1D_EEDaS18_S19_EUlS18_E_NS1_11comp_targetILNS1_3genE3ELNS1_11target_archE908ELNS1_3gpuE7ELNS1_3repE0EEENS1_30default_config_static_selectorELNS0_4arch9wavefront6targetE0EEEvT1_,@function
_ZN7rocprim17ROCPRIM_400000_NS6detail17trampoline_kernelINS0_14default_configENS1_25partition_config_selectorILNS1_17partition_subalgoE9EsjbEEZZNS1_14partition_implILS5_9ELb0ES3_jN6thrust23THRUST_200600_302600_NS6detail15normal_iteratorINS9_10device_ptrIsEEEENSB_INSC_IjEEEEPNS0_10empty_typeENS0_5tupleIJNS9_16discard_iteratorINS9_11use_defaultEEESH_EEENSJ_IJSG_SI_EEENS0_18inequality_wrapperINS9_8equal_toIsEEEEPmJSH_EEE10hipError_tPvRmT3_T4_T5_T6_T7_T9_mT8_P12ihipStream_tbDpT10_ENKUlT_T0_E_clISt17integral_constantIbLb1EES1D_EEDaS18_S19_EUlS18_E_NS1_11comp_targetILNS1_3genE3ELNS1_11target_archE908ELNS1_3gpuE7ELNS1_3repE0EEENS1_30default_config_static_selectorELNS0_4arch9wavefront6targetE0EEEvT1_: ; @_ZN7rocprim17ROCPRIM_400000_NS6detail17trampoline_kernelINS0_14default_configENS1_25partition_config_selectorILNS1_17partition_subalgoE9EsjbEEZZNS1_14partition_implILS5_9ELb0ES3_jN6thrust23THRUST_200600_302600_NS6detail15normal_iteratorINS9_10device_ptrIsEEEENSB_INSC_IjEEEEPNS0_10empty_typeENS0_5tupleIJNS9_16discard_iteratorINS9_11use_defaultEEESH_EEENSJ_IJSG_SI_EEENS0_18inequality_wrapperINS9_8equal_toIsEEEEPmJSH_EEE10hipError_tPvRmT3_T4_T5_T6_T7_T9_mT8_P12ihipStream_tbDpT10_ENKUlT_T0_E_clISt17integral_constantIbLb1EES1D_EEDaS18_S19_EUlS18_E_NS1_11comp_targetILNS1_3genE3ELNS1_11target_archE908ELNS1_3gpuE7ELNS1_3repE0EEENS1_30default_config_static_selectorELNS0_4arch9wavefront6targetE0EEEvT1_
; %bb.0:
	.section	.rodata,"a",@progbits
	.p2align	6, 0x0
	.amdhsa_kernel _ZN7rocprim17ROCPRIM_400000_NS6detail17trampoline_kernelINS0_14default_configENS1_25partition_config_selectorILNS1_17partition_subalgoE9EsjbEEZZNS1_14partition_implILS5_9ELb0ES3_jN6thrust23THRUST_200600_302600_NS6detail15normal_iteratorINS9_10device_ptrIsEEEENSB_INSC_IjEEEEPNS0_10empty_typeENS0_5tupleIJNS9_16discard_iteratorINS9_11use_defaultEEESH_EEENSJ_IJSG_SI_EEENS0_18inequality_wrapperINS9_8equal_toIsEEEEPmJSH_EEE10hipError_tPvRmT3_T4_T5_T6_T7_T9_mT8_P12ihipStream_tbDpT10_ENKUlT_T0_E_clISt17integral_constantIbLb1EES1D_EEDaS18_S19_EUlS18_E_NS1_11comp_targetILNS1_3genE3ELNS1_11target_archE908ELNS1_3gpuE7ELNS1_3repE0EEENS1_30default_config_static_selectorELNS0_4arch9wavefront6targetE0EEEvT1_
		.amdhsa_group_segment_fixed_size 0
		.amdhsa_private_segment_fixed_size 0
		.amdhsa_kernarg_size 136
		.amdhsa_user_sgpr_count 15
		.amdhsa_user_sgpr_dispatch_ptr 0
		.amdhsa_user_sgpr_queue_ptr 0
		.amdhsa_user_sgpr_kernarg_segment_ptr 1
		.amdhsa_user_sgpr_dispatch_id 0
		.amdhsa_user_sgpr_private_segment_size 0
		.amdhsa_wavefront_size32 1
		.amdhsa_uses_dynamic_stack 0
		.amdhsa_enable_private_segment 0
		.amdhsa_system_sgpr_workgroup_id_x 1
		.amdhsa_system_sgpr_workgroup_id_y 0
		.amdhsa_system_sgpr_workgroup_id_z 0
		.amdhsa_system_sgpr_workgroup_info 0
		.amdhsa_system_vgpr_workitem_id 0
		.amdhsa_next_free_vgpr 1
		.amdhsa_next_free_sgpr 1
		.amdhsa_reserve_vcc 0
		.amdhsa_float_round_mode_32 0
		.amdhsa_float_round_mode_16_64 0
		.amdhsa_float_denorm_mode_32 3
		.amdhsa_float_denorm_mode_16_64 3
		.amdhsa_dx10_clamp 1
		.amdhsa_ieee_mode 1
		.amdhsa_fp16_overflow 0
		.amdhsa_workgroup_processor_mode 1
		.amdhsa_memory_ordered 1
		.amdhsa_forward_progress 0
		.amdhsa_shared_vgpr_count 0
		.amdhsa_exception_fp_ieee_invalid_op 0
		.amdhsa_exception_fp_denorm_src 0
		.amdhsa_exception_fp_ieee_div_zero 0
		.amdhsa_exception_fp_ieee_overflow 0
		.amdhsa_exception_fp_ieee_underflow 0
		.amdhsa_exception_fp_ieee_inexact 0
		.amdhsa_exception_int_div_zero 0
	.end_amdhsa_kernel
	.section	.text._ZN7rocprim17ROCPRIM_400000_NS6detail17trampoline_kernelINS0_14default_configENS1_25partition_config_selectorILNS1_17partition_subalgoE9EsjbEEZZNS1_14partition_implILS5_9ELb0ES3_jN6thrust23THRUST_200600_302600_NS6detail15normal_iteratorINS9_10device_ptrIsEEEENSB_INSC_IjEEEEPNS0_10empty_typeENS0_5tupleIJNS9_16discard_iteratorINS9_11use_defaultEEESH_EEENSJ_IJSG_SI_EEENS0_18inequality_wrapperINS9_8equal_toIsEEEEPmJSH_EEE10hipError_tPvRmT3_T4_T5_T6_T7_T9_mT8_P12ihipStream_tbDpT10_ENKUlT_T0_E_clISt17integral_constantIbLb1EES1D_EEDaS18_S19_EUlS18_E_NS1_11comp_targetILNS1_3genE3ELNS1_11target_archE908ELNS1_3gpuE7ELNS1_3repE0EEENS1_30default_config_static_selectorELNS0_4arch9wavefront6targetE0EEEvT1_,"axG",@progbits,_ZN7rocprim17ROCPRIM_400000_NS6detail17trampoline_kernelINS0_14default_configENS1_25partition_config_selectorILNS1_17partition_subalgoE9EsjbEEZZNS1_14partition_implILS5_9ELb0ES3_jN6thrust23THRUST_200600_302600_NS6detail15normal_iteratorINS9_10device_ptrIsEEEENSB_INSC_IjEEEEPNS0_10empty_typeENS0_5tupleIJNS9_16discard_iteratorINS9_11use_defaultEEESH_EEENSJ_IJSG_SI_EEENS0_18inequality_wrapperINS9_8equal_toIsEEEEPmJSH_EEE10hipError_tPvRmT3_T4_T5_T6_T7_T9_mT8_P12ihipStream_tbDpT10_ENKUlT_T0_E_clISt17integral_constantIbLb1EES1D_EEDaS18_S19_EUlS18_E_NS1_11comp_targetILNS1_3genE3ELNS1_11target_archE908ELNS1_3gpuE7ELNS1_3repE0EEENS1_30default_config_static_selectorELNS0_4arch9wavefront6targetE0EEEvT1_,comdat
.Lfunc_end1248:
	.size	_ZN7rocprim17ROCPRIM_400000_NS6detail17trampoline_kernelINS0_14default_configENS1_25partition_config_selectorILNS1_17partition_subalgoE9EsjbEEZZNS1_14partition_implILS5_9ELb0ES3_jN6thrust23THRUST_200600_302600_NS6detail15normal_iteratorINS9_10device_ptrIsEEEENSB_INSC_IjEEEEPNS0_10empty_typeENS0_5tupleIJNS9_16discard_iteratorINS9_11use_defaultEEESH_EEENSJ_IJSG_SI_EEENS0_18inequality_wrapperINS9_8equal_toIsEEEEPmJSH_EEE10hipError_tPvRmT3_T4_T5_T6_T7_T9_mT8_P12ihipStream_tbDpT10_ENKUlT_T0_E_clISt17integral_constantIbLb1EES1D_EEDaS18_S19_EUlS18_E_NS1_11comp_targetILNS1_3genE3ELNS1_11target_archE908ELNS1_3gpuE7ELNS1_3repE0EEENS1_30default_config_static_selectorELNS0_4arch9wavefront6targetE0EEEvT1_, .Lfunc_end1248-_ZN7rocprim17ROCPRIM_400000_NS6detail17trampoline_kernelINS0_14default_configENS1_25partition_config_selectorILNS1_17partition_subalgoE9EsjbEEZZNS1_14partition_implILS5_9ELb0ES3_jN6thrust23THRUST_200600_302600_NS6detail15normal_iteratorINS9_10device_ptrIsEEEENSB_INSC_IjEEEEPNS0_10empty_typeENS0_5tupleIJNS9_16discard_iteratorINS9_11use_defaultEEESH_EEENSJ_IJSG_SI_EEENS0_18inequality_wrapperINS9_8equal_toIsEEEEPmJSH_EEE10hipError_tPvRmT3_T4_T5_T6_T7_T9_mT8_P12ihipStream_tbDpT10_ENKUlT_T0_E_clISt17integral_constantIbLb1EES1D_EEDaS18_S19_EUlS18_E_NS1_11comp_targetILNS1_3genE3ELNS1_11target_archE908ELNS1_3gpuE7ELNS1_3repE0EEENS1_30default_config_static_selectorELNS0_4arch9wavefront6targetE0EEEvT1_
                                        ; -- End function
	.section	.AMDGPU.csdata,"",@progbits
; Kernel info:
; codeLenInByte = 0
; NumSgprs: 0
; NumVgprs: 0
; ScratchSize: 0
; MemoryBound: 0
; FloatMode: 240
; IeeeMode: 1
; LDSByteSize: 0 bytes/workgroup (compile time only)
; SGPRBlocks: 0
; VGPRBlocks: 0
; NumSGPRsForWavesPerEU: 1
; NumVGPRsForWavesPerEU: 1
; Occupancy: 16
; WaveLimiterHint : 0
; COMPUTE_PGM_RSRC2:SCRATCH_EN: 0
; COMPUTE_PGM_RSRC2:USER_SGPR: 15
; COMPUTE_PGM_RSRC2:TRAP_HANDLER: 0
; COMPUTE_PGM_RSRC2:TGID_X_EN: 1
; COMPUTE_PGM_RSRC2:TGID_Y_EN: 0
; COMPUTE_PGM_RSRC2:TGID_Z_EN: 0
; COMPUTE_PGM_RSRC2:TIDIG_COMP_CNT: 0
	.section	.text._ZN7rocprim17ROCPRIM_400000_NS6detail17trampoline_kernelINS0_14default_configENS1_25partition_config_selectorILNS1_17partition_subalgoE9EsjbEEZZNS1_14partition_implILS5_9ELb0ES3_jN6thrust23THRUST_200600_302600_NS6detail15normal_iteratorINS9_10device_ptrIsEEEENSB_INSC_IjEEEEPNS0_10empty_typeENS0_5tupleIJNS9_16discard_iteratorINS9_11use_defaultEEESH_EEENSJ_IJSG_SI_EEENS0_18inequality_wrapperINS9_8equal_toIsEEEEPmJSH_EEE10hipError_tPvRmT3_T4_T5_T6_T7_T9_mT8_P12ihipStream_tbDpT10_ENKUlT_T0_E_clISt17integral_constantIbLb1EES1D_EEDaS18_S19_EUlS18_E_NS1_11comp_targetILNS1_3genE2ELNS1_11target_archE906ELNS1_3gpuE6ELNS1_3repE0EEENS1_30default_config_static_selectorELNS0_4arch9wavefront6targetE0EEEvT1_,"axG",@progbits,_ZN7rocprim17ROCPRIM_400000_NS6detail17trampoline_kernelINS0_14default_configENS1_25partition_config_selectorILNS1_17partition_subalgoE9EsjbEEZZNS1_14partition_implILS5_9ELb0ES3_jN6thrust23THRUST_200600_302600_NS6detail15normal_iteratorINS9_10device_ptrIsEEEENSB_INSC_IjEEEEPNS0_10empty_typeENS0_5tupleIJNS9_16discard_iteratorINS9_11use_defaultEEESH_EEENSJ_IJSG_SI_EEENS0_18inequality_wrapperINS9_8equal_toIsEEEEPmJSH_EEE10hipError_tPvRmT3_T4_T5_T6_T7_T9_mT8_P12ihipStream_tbDpT10_ENKUlT_T0_E_clISt17integral_constantIbLb1EES1D_EEDaS18_S19_EUlS18_E_NS1_11comp_targetILNS1_3genE2ELNS1_11target_archE906ELNS1_3gpuE6ELNS1_3repE0EEENS1_30default_config_static_selectorELNS0_4arch9wavefront6targetE0EEEvT1_,comdat
	.protected	_ZN7rocprim17ROCPRIM_400000_NS6detail17trampoline_kernelINS0_14default_configENS1_25partition_config_selectorILNS1_17partition_subalgoE9EsjbEEZZNS1_14partition_implILS5_9ELb0ES3_jN6thrust23THRUST_200600_302600_NS6detail15normal_iteratorINS9_10device_ptrIsEEEENSB_INSC_IjEEEEPNS0_10empty_typeENS0_5tupleIJNS9_16discard_iteratorINS9_11use_defaultEEESH_EEENSJ_IJSG_SI_EEENS0_18inequality_wrapperINS9_8equal_toIsEEEEPmJSH_EEE10hipError_tPvRmT3_T4_T5_T6_T7_T9_mT8_P12ihipStream_tbDpT10_ENKUlT_T0_E_clISt17integral_constantIbLb1EES1D_EEDaS18_S19_EUlS18_E_NS1_11comp_targetILNS1_3genE2ELNS1_11target_archE906ELNS1_3gpuE6ELNS1_3repE0EEENS1_30default_config_static_selectorELNS0_4arch9wavefront6targetE0EEEvT1_ ; -- Begin function _ZN7rocprim17ROCPRIM_400000_NS6detail17trampoline_kernelINS0_14default_configENS1_25partition_config_selectorILNS1_17partition_subalgoE9EsjbEEZZNS1_14partition_implILS5_9ELb0ES3_jN6thrust23THRUST_200600_302600_NS6detail15normal_iteratorINS9_10device_ptrIsEEEENSB_INSC_IjEEEEPNS0_10empty_typeENS0_5tupleIJNS9_16discard_iteratorINS9_11use_defaultEEESH_EEENSJ_IJSG_SI_EEENS0_18inequality_wrapperINS9_8equal_toIsEEEEPmJSH_EEE10hipError_tPvRmT3_T4_T5_T6_T7_T9_mT8_P12ihipStream_tbDpT10_ENKUlT_T0_E_clISt17integral_constantIbLb1EES1D_EEDaS18_S19_EUlS18_E_NS1_11comp_targetILNS1_3genE2ELNS1_11target_archE906ELNS1_3gpuE6ELNS1_3repE0EEENS1_30default_config_static_selectorELNS0_4arch9wavefront6targetE0EEEvT1_
	.globl	_ZN7rocprim17ROCPRIM_400000_NS6detail17trampoline_kernelINS0_14default_configENS1_25partition_config_selectorILNS1_17partition_subalgoE9EsjbEEZZNS1_14partition_implILS5_9ELb0ES3_jN6thrust23THRUST_200600_302600_NS6detail15normal_iteratorINS9_10device_ptrIsEEEENSB_INSC_IjEEEEPNS0_10empty_typeENS0_5tupleIJNS9_16discard_iteratorINS9_11use_defaultEEESH_EEENSJ_IJSG_SI_EEENS0_18inequality_wrapperINS9_8equal_toIsEEEEPmJSH_EEE10hipError_tPvRmT3_T4_T5_T6_T7_T9_mT8_P12ihipStream_tbDpT10_ENKUlT_T0_E_clISt17integral_constantIbLb1EES1D_EEDaS18_S19_EUlS18_E_NS1_11comp_targetILNS1_3genE2ELNS1_11target_archE906ELNS1_3gpuE6ELNS1_3repE0EEENS1_30default_config_static_selectorELNS0_4arch9wavefront6targetE0EEEvT1_
	.p2align	8
	.type	_ZN7rocprim17ROCPRIM_400000_NS6detail17trampoline_kernelINS0_14default_configENS1_25partition_config_selectorILNS1_17partition_subalgoE9EsjbEEZZNS1_14partition_implILS5_9ELb0ES3_jN6thrust23THRUST_200600_302600_NS6detail15normal_iteratorINS9_10device_ptrIsEEEENSB_INSC_IjEEEEPNS0_10empty_typeENS0_5tupleIJNS9_16discard_iteratorINS9_11use_defaultEEESH_EEENSJ_IJSG_SI_EEENS0_18inequality_wrapperINS9_8equal_toIsEEEEPmJSH_EEE10hipError_tPvRmT3_T4_T5_T6_T7_T9_mT8_P12ihipStream_tbDpT10_ENKUlT_T0_E_clISt17integral_constantIbLb1EES1D_EEDaS18_S19_EUlS18_E_NS1_11comp_targetILNS1_3genE2ELNS1_11target_archE906ELNS1_3gpuE6ELNS1_3repE0EEENS1_30default_config_static_selectorELNS0_4arch9wavefront6targetE0EEEvT1_,@function
_ZN7rocprim17ROCPRIM_400000_NS6detail17trampoline_kernelINS0_14default_configENS1_25partition_config_selectorILNS1_17partition_subalgoE9EsjbEEZZNS1_14partition_implILS5_9ELb0ES3_jN6thrust23THRUST_200600_302600_NS6detail15normal_iteratorINS9_10device_ptrIsEEEENSB_INSC_IjEEEEPNS0_10empty_typeENS0_5tupleIJNS9_16discard_iteratorINS9_11use_defaultEEESH_EEENSJ_IJSG_SI_EEENS0_18inequality_wrapperINS9_8equal_toIsEEEEPmJSH_EEE10hipError_tPvRmT3_T4_T5_T6_T7_T9_mT8_P12ihipStream_tbDpT10_ENKUlT_T0_E_clISt17integral_constantIbLb1EES1D_EEDaS18_S19_EUlS18_E_NS1_11comp_targetILNS1_3genE2ELNS1_11target_archE906ELNS1_3gpuE6ELNS1_3repE0EEENS1_30default_config_static_selectorELNS0_4arch9wavefront6targetE0EEEvT1_: ; @_ZN7rocprim17ROCPRIM_400000_NS6detail17trampoline_kernelINS0_14default_configENS1_25partition_config_selectorILNS1_17partition_subalgoE9EsjbEEZZNS1_14partition_implILS5_9ELb0ES3_jN6thrust23THRUST_200600_302600_NS6detail15normal_iteratorINS9_10device_ptrIsEEEENSB_INSC_IjEEEEPNS0_10empty_typeENS0_5tupleIJNS9_16discard_iteratorINS9_11use_defaultEEESH_EEENSJ_IJSG_SI_EEENS0_18inequality_wrapperINS9_8equal_toIsEEEEPmJSH_EEE10hipError_tPvRmT3_T4_T5_T6_T7_T9_mT8_P12ihipStream_tbDpT10_ENKUlT_T0_E_clISt17integral_constantIbLb1EES1D_EEDaS18_S19_EUlS18_E_NS1_11comp_targetILNS1_3genE2ELNS1_11target_archE906ELNS1_3gpuE6ELNS1_3repE0EEENS1_30default_config_static_selectorELNS0_4arch9wavefront6targetE0EEEvT1_
; %bb.0:
	.section	.rodata,"a",@progbits
	.p2align	6, 0x0
	.amdhsa_kernel _ZN7rocprim17ROCPRIM_400000_NS6detail17trampoline_kernelINS0_14default_configENS1_25partition_config_selectorILNS1_17partition_subalgoE9EsjbEEZZNS1_14partition_implILS5_9ELb0ES3_jN6thrust23THRUST_200600_302600_NS6detail15normal_iteratorINS9_10device_ptrIsEEEENSB_INSC_IjEEEEPNS0_10empty_typeENS0_5tupleIJNS9_16discard_iteratorINS9_11use_defaultEEESH_EEENSJ_IJSG_SI_EEENS0_18inequality_wrapperINS9_8equal_toIsEEEEPmJSH_EEE10hipError_tPvRmT3_T4_T5_T6_T7_T9_mT8_P12ihipStream_tbDpT10_ENKUlT_T0_E_clISt17integral_constantIbLb1EES1D_EEDaS18_S19_EUlS18_E_NS1_11comp_targetILNS1_3genE2ELNS1_11target_archE906ELNS1_3gpuE6ELNS1_3repE0EEENS1_30default_config_static_selectorELNS0_4arch9wavefront6targetE0EEEvT1_
		.amdhsa_group_segment_fixed_size 0
		.amdhsa_private_segment_fixed_size 0
		.amdhsa_kernarg_size 136
		.amdhsa_user_sgpr_count 15
		.amdhsa_user_sgpr_dispatch_ptr 0
		.amdhsa_user_sgpr_queue_ptr 0
		.amdhsa_user_sgpr_kernarg_segment_ptr 1
		.amdhsa_user_sgpr_dispatch_id 0
		.amdhsa_user_sgpr_private_segment_size 0
		.amdhsa_wavefront_size32 1
		.amdhsa_uses_dynamic_stack 0
		.amdhsa_enable_private_segment 0
		.amdhsa_system_sgpr_workgroup_id_x 1
		.amdhsa_system_sgpr_workgroup_id_y 0
		.amdhsa_system_sgpr_workgroup_id_z 0
		.amdhsa_system_sgpr_workgroup_info 0
		.amdhsa_system_vgpr_workitem_id 0
		.amdhsa_next_free_vgpr 1
		.amdhsa_next_free_sgpr 1
		.amdhsa_reserve_vcc 0
		.amdhsa_float_round_mode_32 0
		.amdhsa_float_round_mode_16_64 0
		.amdhsa_float_denorm_mode_32 3
		.amdhsa_float_denorm_mode_16_64 3
		.amdhsa_dx10_clamp 1
		.amdhsa_ieee_mode 1
		.amdhsa_fp16_overflow 0
		.amdhsa_workgroup_processor_mode 1
		.amdhsa_memory_ordered 1
		.amdhsa_forward_progress 0
		.amdhsa_shared_vgpr_count 0
		.amdhsa_exception_fp_ieee_invalid_op 0
		.amdhsa_exception_fp_denorm_src 0
		.amdhsa_exception_fp_ieee_div_zero 0
		.amdhsa_exception_fp_ieee_overflow 0
		.amdhsa_exception_fp_ieee_underflow 0
		.amdhsa_exception_fp_ieee_inexact 0
		.amdhsa_exception_int_div_zero 0
	.end_amdhsa_kernel
	.section	.text._ZN7rocprim17ROCPRIM_400000_NS6detail17trampoline_kernelINS0_14default_configENS1_25partition_config_selectorILNS1_17partition_subalgoE9EsjbEEZZNS1_14partition_implILS5_9ELb0ES3_jN6thrust23THRUST_200600_302600_NS6detail15normal_iteratorINS9_10device_ptrIsEEEENSB_INSC_IjEEEEPNS0_10empty_typeENS0_5tupleIJNS9_16discard_iteratorINS9_11use_defaultEEESH_EEENSJ_IJSG_SI_EEENS0_18inequality_wrapperINS9_8equal_toIsEEEEPmJSH_EEE10hipError_tPvRmT3_T4_T5_T6_T7_T9_mT8_P12ihipStream_tbDpT10_ENKUlT_T0_E_clISt17integral_constantIbLb1EES1D_EEDaS18_S19_EUlS18_E_NS1_11comp_targetILNS1_3genE2ELNS1_11target_archE906ELNS1_3gpuE6ELNS1_3repE0EEENS1_30default_config_static_selectorELNS0_4arch9wavefront6targetE0EEEvT1_,"axG",@progbits,_ZN7rocprim17ROCPRIM_400000_NS6detail17trampoline_kernelINS0_14default_configENS1_25partition_config_selectorILNS1_17partition_subalgoE9EsjbEEZZNS1_14partition_implILS5_9ELb0ES3_jN6thrust23THRUST_200600_302600_NS6detail15normal_iteratorINS9_10device_ptrIsEEEENSB_INSC_IjEEEEPNS0_10empty_typeENS0_5tupleIJNS9_16discard_iteratorINS9_11use_defaultEEESH_EEENSJ_IJSG_SI_EEENS0_18inequality_wrapperINS9_8equal_toIsEEEEPmJSH_EEE10hipError_tPvRmT3_T4_T5_T6_T7_T9_mT8_P12ihipStream_tbDpT10_ENKUlT_T0_E_clISt17integral_constantIbLb1EES1D_EEDaS18_S19_EUlS18_E_NS1_11comp_targetILNS1_3genE2ELNS1_11target_archE906ELNS1_3gpuE6ELNS1_3repE0EEENS1_30default_config_static_selectorELNS0_4arch9wavefront6targetE0EEEvT1_,comdat
.Lfunc_end1249:
	.size	_ZN7rocprim17ROCPRIM_400000_NS6detail17trampoline_kernelINS0_14default_configENS1_25partition_config_selectorILNS1_17partition_subalgoE9EsjbEEZZNS1_14partition_implILS5_9ELb0ES3_jN6thrust23THRUST_200600_302600_NS6detail15normal_iteratorINS9_10device_ptrIsEEEENSB_INSC_IjEEEEPNS0_10empty_typeENS0_5tupleIJNS9_16discard_iteratorINS9_11use_defaultEEESH_EEENSJ_IJSG_SI_EEENS0_18inequality_wrapperINS9_8equal_toIsEEEEPmJSH_EEE10hipError_tPvRmT3_T4_T5_T6_T7_T9_mT8_P12ihipStream_tbDpT10_ENKUlT_T0_E_clISt17integral_constantIbLb1EES1D_EEDaS18_S19_EUlS18_E_NS1_11comp_targetILNS1_3genE2ELNS1_11target_archE906ELNS1_3gpuE6ELNS1_3repE0EEENS1_30default_config_static_selectorELNS0_4arch9wavefront6targetE0EEEvT1_, .Lfunc_end1249-_ZN7rocprim17ROCPRIM_400000_NS6detail17trampoline_kernelINS0_14default_configENS1_25partition_config_selectorILNS1_17partition_subalgoE9EsjbEEZZNS1_14partition_implILS5_9ELb0ES3_jN6thrust23THRUST_200600_302600_NS6detail15normal_iteratorINS9_10device_ptrIsEEEENSB_INSC_IjEEEEPNS0_10empty_typeENS0_5tupleIJNS9_16discard_iteratorINS9_11use_defaultEEESH_EEENSJ_IJSG_SI_EEENS0_18inequality_wrapperINS9_8equal_toIsEEEEPmJSH_EEE10hipError_tPvRmT3_T4_T5_T6_T7_T9_mT8_P12ihipStream_tbDpT10_ENKUlT_T0_E_clISt17integral_constantIbLb1EES1D_EEDaS18_S19_EUlS18_E_NS1_11comp_targetILNS1_3genE2ELNS1_11target_archE906ELNS1_3gpuE6ELNS1_3repE0EEENS1_30default_config_static_selectorELNS0_4arch9wavefront6targetE0EEEvT1_
                                        ; -- End function
	.section	.AMDGPU.csdata,"",@progbits
; Kernel info:
; codeLenInByte = 0
; NumSgprs: 0
; NumVgprs: 0
; ScratchSize: 0
; MemoryBound: 0
; FloatMode: 240
; IeeeMode: 1
; LDSByteSize: 0 bytes/workgroup (compile time only)
; SGPRBlocks: 0
; VGPRBlocks: 0
; NumSGPRsForWavesPerEU: 1
; NumVGPRsForWavesPerEU: 1
; Occupancy: 16
; WaveLimiterHint : 0
; COMPUTE_PGM_RSRC2:SCRATCH_EN: 0
; COMPUTE_PGM_RSRC2:USER_SGPR: 15
; COMPUTE_PGM_RSRC2:TRAP_HANDLER: 0
; COMPUTE_PGM_RSRC2:TGID_X_EN: 1
; COMPUTE_PGM_RSRC2:TGID_Y_EN: 0
; COMPUTE_PGM_RSRC2:TGID_Z_EN: 0
; COMPUTE_PGM_RSRC2:TIDIG_COMP_CNT: 0
	.section	.text._ZN7rocprim17ROCPRIM_400000_NS6detail17trampoline_kernelINS0_14default_configENS1_25partition_config_selectorILNS1_17partition_subalgoE9EsjbEEZZNS1_14partition_implILS5_9ELb0ES3_jN6thrust23THRUST_200600_302600_NS6detail15normal_iteratorINS9_10device_ptrIsEEEENSB_INSC_IjEEEEPNS0_10empty_typeENS0_5tupleIJNS9_16discard_iteratorINS9_11use_defaultEEESH_EEENSJ_IJSG_SI_EEENS0_18inequality_wrapperINS9_8equal_toIsEEEEPmJSH_EEE10hipError_tPvRmT3_T4_T5_T6_T7_T9_mT8_P12ihipStream_tbDpT10_ENKUlT_T0_E_clISt17integral_constantIbLb1EES1D_EEDaS18_S19_EUlS18_E_NS1_11comp_targetILNS1_3genE10ELNS1_11target_archE1200ELNS1_3gpuE4ELNS1_3repE0EEENS1_30default_config_static_selectorELNS0_4arch9wavefront6targetE0EEEvT1_,"axG",@progbits,_ZN7rocprim17ROCPRIM_400000_NS6detail17trampoline_kernelINS0_14default_configENS1_25partition_config_selectorILNS1_17partition_subalgoE9EsjbEEZZNS1_14partition_implILS5_9ELb0ES3_jN6thrust23THRUST_200600_302600_NS6detail15normal_iteratorINS9_10device_ptrIsEEEENSB_INSC_IjEEEEPNS0_10empty_typeENS0_5tupleIJNS9_16discard_iteratorINS9_11use_defaultEEESH_EEENSJ_IJSG_SI_EEENS0_18inequality_wrapperINS9_8equal_toIsEEEEPmJSH_EEE10hipError_tPvRmT3_T4_T5_T6_T7_T9_mT8_P12ihipStream_tbDpT10_ENKUlT_T0_E_clISt17integral_constantIbLb1EES1D_EEDaS18_S19_EUlS18_E_NS1_11comp_targetILNS1_3genE10ELNS1_11target_archE1200ELNS1_3gpuE4ELNS1_3repE0EEENS1_30default_config_static_selectorELNS0_4arch9wavefront6targetE0EEEvT1_,comdat
	.protected	_ZN7rocprim17ROCPRIM_400000_NS6detail17trampoline_kernelINS0_14default_configENS1_25partition_config_selectorILNS1_17partition_subalgoE9EsjbEEZZNS1_14partition_implILS5_9ELb0ES3_jN6thrust23THRUST_200600_302600_NS6detail15normal_iteratorINS9_10device_ptrIsEEEENSB_INSC_IjEEEEPNS0_10empty_typeENS0_5tupleIJNS9_16discard_iteratorINS9_11use_defaultEEESH_EEENSJ_IJSG_SI_EEENS0_18inequality_wrapperINS9_8equal_toIsEEEEPmJSH_EEE10hipError_tPvRmT3_T4_T5_T6_T7_T9_mT8_P12ihipStream_tbDpT10_ENKUlT_T0_E_clISt17integral_constantIbLb1EES1D_EEDaS18_S19_EUlS18_E_NS1_11comp_targetILNS1_3genE10ELNS1_11target_archE1200ELNS1_3gpuE4ELNS1_3repE0EEENS1_30default_config_static_selectorELNS0_4arch9wavefront6targetE0EEEvT1_ ; -- Begin function _ZN7rocprim17ROCPRIM_400000_NS6detail17trampoline_kernelINS0_14default_configENS1_25partition_config_selectorILNS1_17partition_subalgoE9EsjbEEZZNS1_14partition_implILS5_9ELb0ES3_jN6thrust23THRUST_200600_302600_NS6detail15normal_iteratorINS9_10device_ptrIsEEEENSB_INSC_IjEEEEPNS0_10empty_typeENS0_5tupleIJNS9_16discard_iteratorINS9_11use_defaultEEESH_EEENSJ_IJSG_SI_EEENS0_18inequality_wrapperINS9_8equal_toIsEEEEPmJSH_EEE10hipError_tPvRmT3_T4_T5_T6_T7_T9_mT8_P12ihipStream_tbDpT10_ENKUlT_T0_E_clISt17integral_constantIbLb1EES1D_EEDaS18_S19_EUlS18_E_NS1_11comp_targetILNS1_3genE10ELNS1_11target_archE1200ELNS1_3gpuE4ELNS1_3repE0EEENS1_30default_config_static_selectorELNS0_4arch9wavefront6targetE0EEEvT1_
	.globl	_ZN7rocprim17ROCPRIM_400000_NS6detail17trampoline_kernelINS0_14default_configENS1_25partition_config_selectorILNS1_17partition_subalgoE9EsjbEEZZNS1_14partition_implILS5_9ELb0ES3_jN6thrust23THRUST_200600_302600_NS6detail15normal_iteratorINS9_10device_ptrIsEEEENSB_INSC_IjEEEEPNS0_10empty_typeENS0_5tupleIJNS9_16discard_iteratorINS9_11use_defaultEEESH_EEENSJ_IJSG_SI_EEENS0_18inequality_wrapperINS9_8equal_toIsEEEEPmJSH_EEE10hipError_tPvRmT3_T4_T5_T6_T7_T9_mT8_P12ihipStream_tbDpT10_ENKUlT_T0_E_clISt17integral_constantIbLb1EES1D_EEDaS18_S19_EUlS18_E_NS1_11comp_targetILNS1_3genE10ELNS1_11target_archE1200ELNS1_3gpuE4ELNS1_3repE0EEENS1_30default_config_static_selectorELNS0_4arch9wavefront6targetE0EEEvT1_
	.p2align	8
	.type	_ZN7rocprim17ROCPRIM_400000_NS6detail17trampoline_kernelINS0_14default_configENS1_25partition_config_selectorILNS1_17partition_subalgoE9EsjbEEZZNS1_14partition_implILS5_9ELb0ES3_jN6thrust23THRUST_200600_302600_NS6detail15normal_iteratorINS9_10device_ptrIsEEEENSB_INSC_IjEEEEPNS0_10empty_typeENS0_5tupleIJNS9_16discard_iteratorINS9_11use_defaultEEESH_EEENSJ_IJSG_SI_EEENS0_18inequality_wrapperINS9_8equal_toIsEEEEPmJSH_EEE10hipError_tPvRmT3_T4_T5_T6_T7_T9_mT8_P12ihipStream_tbDpT10_ENKUlT_T0_E_clISt17integral_constantIbLb1EES1D_EEDaS18_S19_EUlS18_E_NS1_11comp_targetILNS1_3genE10ELNS1_11target_archE1200ELNS1_3gpuE4ELNS1_3repE0EEENS1_30default_config_static_selectorELNS0_4arch9wavefront6targetE0EEEvT1_,@function
_ZN7rocprim17ROCPRIM_400000_NS6detail17trampoline_kernelINS0_14default_configENS1_25partition_config_selectorILNS1_17partition_subalgoE9EsjbEEZZNS1_14partition_implILS5_9ELb0ES3_jN6thrust23THRUST_200600_302600_NS6detail15normal_iteratorINS9_10device_ptrIsEEEENSB_INSC_IjEEEEPNS0_10empty_typeENS0_5tupleIJNS9_16discard_iteratorINS9_11use_defaultEEESH_EEENSJ_IJSG_SI_EEENS0_18inequality_wrapperINS9_8equal_toIsEEEEPmJSH_EEE10hipError_tPvRmT3_T4_T5_T6_T7_T9_mT8_P12ihipStream_tbDpT10_ENKUlT_T0_E_clISt17integral_constantIbLb1EES1D_EEDaS18_S19_EUlS18_E_NS1_11comp_targetILNS1_3genE10ELNS1_11target_archE1200ELNS1_3gpuE4ELNS1_3repE0EEENS1_30default_config_static_selectorELNS0_4arch9wavefront6targetE0EEEvT1_: ; @_ZN7rocprim17ROCPRIM_400000_NS6detail17trampoline_kernelINS0_14default_configENS1_25partition_config_selectorILNS1_17partition_subalgoE9EsjbEEZZNS1_14partition_implILS5_9ELb0ES3_jN6thrust23THRUST_200600_302600_NS6detail15normal_iteratorINS9_10device_ptrIsEEEENSB_INSC_IjEEEEPNS0_10empty_typeENS0_5tupleIJNS9_16discard_iteratorINS9_11use_defaultEEESH_EEENSJ_IJSG_SI_EEENS0_18inequality_wrapperINS9_8equal_toIsEEEEPmJSH_EEE10hipError_tPvRmT3_T4_T5_T6_T7_T9_mT8_P12ihipStream_tbDpT10_ENKUlT_T0_E_clISt17integral_constantIbLb1EES1D_EEDaS18_S19_EUlS18_E_NS1_11comp_targetILNS1_3genE10ELNS1_11target_archE1200ELNS1_3gpuE4ELNS1_3repE0EEENS1_30default_config_static_selectorELNS0_4arch9wavefront6targetE0EEEvT1_
; %bb.0:
	.section	.rodata,"a",@progbits
	.p2align	6, 0x0
	.amdhsa_kernel _ZN7rocprim17ROCPRIM_400000_NS6detail17trampoline_kernelINS0_14default_configENS1_25partition_config_selectorILNS1_17partition_subalgoE9EsjbEEZZNS1_14partition_implILS5_9ELb0ES3_jN6thrust23THRUST_200600_302600_NS6detail15normal_iteratorINS9_10device_ptrIsEEEENSB_INSC_IjEEEEPNS0_10empty_typeENS0_5tupleIJNS9_16discard_iteratorINS9_11use_defaultEEESH_EEENSJ_IJSG_SI_EEENS0_18inequality_wrapperINS9_8equal_toIsEEEEPmJSH_EEE10hipError_tPvRmT3_T4_T5_T6_T7_T9_mT8_P12ihipStream_tbDpT10_ENKUlT_T0_E_clISt17integral_constantIbLb1EES1D_EEDaS18_S19_EUlS18_E_NS1_11comp_targetILNS1_3genE10ELNS1_11target_archE1200ELNS1_3gpuE4ELNS1_3repE0EEENS1_30default_config_static_selectorELNS0_4arch9wavefront6targetE0EEEvT1_
		.amdhsa_group_segment_fixed_size 0
		.amdhsa_private_segment_fixed_size 0
		.amdhsa_kernarg_size 136
		.amdhsa_user_sgpr_count 15
		.amdhsa_user_sgpr_dispatch_ptr 0
		.amdhsa_user_sgpr_queue_ptr 0
		.amdhsa_user_sgpr_kernarg_segment_ptr 1
		.amdhsa_user_sgpr_dispatch_id 0
		.amdhsa_user_sgpr_private_segment_size 0
		.amdhsa_wavefront_size32 1
		.amdhsa_uses_dynamic_stack 0
		.amdhsa_enable_private_segment 0
		.amdhsa_system_sgpr_workgroup_id_x 1
		.amdhsa_system_sgpr_workgroup_id_y 0
		.amdhsa_system_sgpr_workgroup_id_z 0
		.amdhsa_system_sgpr_workgroup_info 0
		.amdhsa_system_vgpr_workitem_id 0
		.amdhsa_next_free_vgpr 1
		.amdhsa_next_free_sgpr 1
		.amdhsa_reserve_vcc 0
		.amdhsa_float_round_mode_32 0
		.amdhsa_float_round_mode_16_64 0
		.amdhsa_float_denorm_mode_32 3
		.amdhsa_float_denorm_mode_16_64 3
		.amdhsa_dx10_clamp 1
		.amdhsa_ieee_mode 1
		.amdhsa_fp16_overflow 0
		.amdhsa_workgroup_processor_mode 1
		.amdhsa_memory_ordered 1
		.amdhsa_forward_progress 0
		.amdhsa_shared_vgpr_count 0
		.amdhsa_exception_fp_ieee_invalid_op 0
		.amdhsa_exception_fp_denorm_src 0
		.amdhsa_exception_fp_ieee_div_zero 0
		.amdhsa_exception_fp_ieee_overflow 0
		.amdhsa_exception_fp_ieee_underflow 0
		.amdhsa_exception_fp_ieee_inexact 0
		.amdhsa_exception_int_div_zero 0
	.end_amdhsa_kernel
	.section	.text._ZN7rocprim17ROCPRIM_400000_NS6detail17trampoline_kernelINS0_14default_configENS1_25partition_config_selectorILNS1_17partition_subalgoE9EsjbEEZZNS1_14partition_implILS5_9ELb0ES3_jN6thrust23THRUST_200600_302600_NS6detail15normal_iteratorINS9_10device_ptrIsEEEENSB_INSC_IjEEEEPNS0_10empty_typeENS0_5tupleIJNS9_16discard_iteratorINS9_11use_defaultEEESH_EEENSJ_IJSG_SI_EEENS0_18inequality_wrapperINS9_8equal_toIsEEEEPmJSH_EEE10hipError_tPvRmT3_T4_T5_T6_T7_T9_mT8_P12ihipStream_tbDpT10_ENKUlT_T0_E_clISt17integral_constantIbLb1EES1D_EEDaS18_S19_EUlS18_E_NS1_11comp_targetILNS1_3genE10ELNS1_11target_archE1200ELNS1_3gpuE4ELNS1_3repE0EEENS1_30default_config_static_selectorELNS0_4arch9wavefront6targetE0EEEvT1_,"axG",@progbits,_ZN7rocprim17ROCPRIM_400000_NS6detail17trampoline_kernelINS0_14default_configENS1_25partition_config_selectorILNS1_17partition_subalgoE9EsjbEEZZNS1_14partition_implILS5_9ELb0ES3_jN6thrust23THRUST_200600_302600_NS6detail15normal_iteratorINS9_10device_ptrIsEEEENSB_INSC_IjEEEEPNS0_10empty_typeENS0_5tupleIJNS9_16discard_iteratorINS9_11use_defaultEEESH_EEENSJ_IJSG_SI_EEENS0_18inequality_wrapperINS9_8equal_toIsEEEEPmJSH_EEE10hipError_tPvRmT3_T4_T5_T6_T7_T9_mT8_P12ihipStream_tbDpT10_ENKUlT_T0_E_clISt17integral_constantIbLb1EES1D_EEDaS18_S19_EUlS18_E_NS1_11comp_targetILNS1_3genE10ELNS1_11target_archE1200ELNS1_3gpuE4ELNS1_3repE0EEENS1_30default_config_static_selectorELNS0_4arch9wavefront6targetE0EEEvT1_,comdat
.Lfunc_end1250:
	.size	_ZN7rocprim17ROCPRIM_400000_NS6detail17trampoline_kernelINS0_14default_configENS1_25partition_config_selectorILNS1_17partition_subalgoE9EsjbEEZZNS1_14partition_implILS5_9ELb0ES3_jN6thrust23THRUST_200600_302600_NS6detail15normal_iteratorINS9_10device_ptrIsEEEENSB_INSC_IjEEEEPNS0_10empty_typeENS0_5tupleIJNS9_16discard_iteratorINS9_11use_defaultEEESH_EEENSJ_IJSG_SI_EEENS0_18inequality_wrapperINS9_8equal_toIsEEEEPmJSH_EEE10hipError_tPvRmT3_T4_T5_T6_T7_T9_mT8_P12ihipStream_tbDpT10_ENKUlT_T0_E_clISt17integral_constantIbLb1EES1D_EEDaS18_S19_EUlS18_E_NS1_11comp_targetILNS1_3genE10ELNS1_11target_archE1200ELNS1_3gpuE4ELNS1_3repE0EEENS1_30default_config_static_selectorELNS0_4arch9wavefront6targetE0EEEvT1_, .Lfunc_end1250-_ZN7rocprim17ROCPRIM_400000_NS6detail17trampoline_kernelINS0_14default_configENS1_25partition_config_selectorILNS1_17partition_subalgoE9EsjbEEZZNS1_14partition_implILS5_9ELb0ES3_jN6thrust23THRUST_200600_302600_NS6detail15normal_iteratorINS9_10device_ptrIsEEEENSB_INSC_IjEEEEPNS0_10empty_typeENS0_5tupleIJNS9_16discard_iteratorINS9_11use_defaultEEESH_EEENSJ_IJSG_SI_EEENS0_18inequality_wrapperINS9_8equal_toIsEEEEPmJSH_EEE10hipError_tPvRmT3_T4_T5_T6_T7_T9_mT8_P12ihipStream_tbDpT10_ENKUlT_T0_E_clISt17integral_constantIbLb1EES1D_EEDaS18_S19_EUlS18_E_NS1_11comp_targetILNS1_3genE10ELNS1_11target_archE1200ELNS1_3gpuE4ELNS1_3repE0EEENS1_30default_config_static_selectorELNS0_4arch9wavefront6targetE0EEEvT1_
                                        ; -- End function
	.section	.AMDGPU.csdata,"",@progbits
; Kernel info:
; codeLenInByte = 0
; NumSgprs: 0
; NumVgprs: 0
; ScratchSize: 0
; MemoryBound: 0
; FloatMode: 240
; IeeeMode: 1
; LDSByteSize: 0 bytes/workgroup (compile time only)
; SGPRBlocks: 0
; VGPRBlocks: 0
; NumSGPRsForWavesPerEU: 1
; NumVGPRsForWavesPerEU: 1
; Occupancy: 16
; WaveLimiterHint : 0
; COMPUTE_PGM_RSRC2:SCRATCH_EN: 0
; COMPUTE_PGM_RSRC2:USER_SGPR: 15
; COMPUTE_PGM_RSRC2:TRAP_HANDLER: 0
; COMPUTE_PGM_RSRC2:TGID_X_EN: 1
; COMPUTE_PGM_RSRC2:TGID_Y_EN: 0
; COMPUTE_PGM_RSRC2:TGID_Z_EN: 0
; COMPUTE_PGM_RSRC2:TIDIG_COMP_CNT: 0
	.section	.text._ZN7rocprim17ROCPRIM_400000_NS6detail17trampoline_kernelINS0_14default_configENS1_25partition_config_selectorILNS1_17partition_subalgoE9EsjbEEZZNS1_14partition_implILS5_9ELb0ES3_jN6thrust23THRUST_200600_302600_NS6detail15normal_iteratorINS9_10device_ptrIsEEEENSB_INSC_IjEEEEPNS0_10empty_typeENS0_5tupleIJNS9_16discard_iteratorINS9_11use_defaultEEESH_EEENSJ_IJSG_SI_EEENS0_18inequality_wrapperINS9_8equal_toIsEEEEPmJSH_EEE10hipError_tPvRmT3_T4_T5_T6_T7_T9_mT8_P12ihipStream_tbDpT10_ENKUlT_T0_E_clISt17integral_constantIbLb1EES1D_EEDaS18_S19_EUlS18_E_NS1_11comp_targetILNS1_3genE9ELNS1_11target_archE1100ELNS1_3gpuE3ELNS1_3repE0EEENS1_30default_config_static_selectorELNS0_4arch9wavefront6targetE0EEEvT1_,"axG",@progbits,_ZN7rocprim17ROCPRIM_400000_NS6detail17trampoline_kernelINS0_14default_configENS1_25partition_config_selectorILNS1_17partition_subalgoE9EsjbEEZZNS1_14partition_implILS5_9ELb0ES3_jN6thrust23THRUST_200600_302600_NS6detail15normal_iteratorINS9_10device_ptrIsEEEENSB_INSC_IjEEEEPNS0_10empty_typeENS0_5tupleIJNS9_16discard_iteratorINS9_11use_defaultEEESH_EEENSJ_IJSG_SI_EEENS0_18inequality_wrapperINS9_8equal_toIsEEEEPmJSH_EEE10hipError_tPvRmT3_T4_T5_T6_T7_T9_mT8_P12ihipStream_tbDpT10_ENKUlT_T0_E_clISt17integral_constantIbLb1EES1D_EEDaS18_S19_EUlS18_E_NS1_11comp_targetILNS1_3genE9ELNS1_11target_archE1100ELNS1_3gpuE3ELNS1_3repE0EEENS1_30default_config_static_selectorELNS0_4arch9wavefront6targetE0EEEvT1_,comdat
	.protected	_ZN7rocprim17ROCPRIM_400000_NS6detail17trampoline_kernelINS0_14default_configENS1_25partition_config_selectorILNS1_17partition_subalgoE9EsjbEEZZNS1_14partition_implILS5_9ELb0ES3_jN6thrust23THRUST_200600_302600_NS6detail15normal_iteratorINS9_10device_ptrIsEEEENSB_INSC_IjEEEEPNS0_10empty_typeENS0_5tupleIJNS9_16discard_iteratorINS9_11use_defaultEEESH_EEENSJ_IJSG_SI_EEENS0_18inequality_wrapperINS9_8equal_toIsEEEEPmJSH_EEE10hipError_tPvRmT3_T4_T5_T6_T7_T9_mT8_P12ihipStream_tbDpT10_ENKUlT_T0_E_clISt17integral_constantIbLb1EES1D_EEDaS18_S19_EUlS18_E_NS1_11comp_targetILNS1_3genE9ELNS1_11target_archE1100ELNS1_3gpuE3ELNS1_3repE0EEENS1_30default_config_static_selectorELNS0_4arch9wavefront6targetE0EEEvT1_ ; -- Begin function _ZN7rocprim17ROCPRIM_400000_NS6detail17trampoline_kernelINS0_14default_configENS1_25partition_config_selectorILNS1_17partition_subalgoE9EsjbEEZZNS1_14partition_implILS5_9ELb0ES3_jN6thrust23THRUST_200600_302600_NS6detail15normal_iteratorINS9_10device_ptrIsEEEENSB_INSC_IjEEEEPNS0_10empty_typeENS0_5tupleIJNS9_16discard_iteratorINS9_11use_defaultEEESH_EEENSJ_IJSG_SI_EEENS0_18inequality_wrapperINS9_8equal_toIsEEEEPmJSH_EEE10hipError_tPvRmT3_T4_T5_T6_T7_T9_mT8_P12ihipStream_tbDpT10_ENKUlT_T0_E_clISt17integral_constantIbLb1EES1D_EEDaS18_S19_EUlS18_E_NS1_11comp_targetILNS1_3genE9ELNS1_11target_archE1100ELNS1_3gpuE3ELNS1_3repE0EEENS1_30default_config_static_selectorELNS0_4arch9wavefront6targetE0EEEvT1_
	.globl	_ZN7rocprim17ROCPRIM_400000_NS6detail17trampoline_kernelINS0_14default_configENS1_25partition_config_selectorILNS1_17partition_subalgoE9EsjbEEZZNS1_14partition_implILS5_9ELb0ES3_jN6thrust23THRUST_200600_302600_NS6detail15normal_iteratorINS9_10device_ptrIsEEEENSB_INSC_IjEEEEPNS0_10empty_typeENS0_5tupleIJNS9_16discard_iteratorINS9_11use_defaultEEESH_EEENSJ_IJSG_SI_EEENS0_18inequality_wrapperINS9_8equal_toIsEEEEPmJSH_EEE10hipError_tPvRmT3_T4_T5_T6_T7_T9_mT8_P12ihipStream_tbDpT10_ENKUlT_T0_E_clISt17integral_constantIbLb1EES1D_EEDaS18_S19_EUlS18_E_NS1_11comp_targetILNS1_3genE9ELNS1_11target_archE1100ELNS1_3gpuE3ELNS1_3repE0EEENS1_30default_config_static_selectorELNS0_4arch9wavefront6targetE0EEEvT1_
	.p2align	8
	.type	_ZN7rocprim17ROCPRIM_400000_NS6detail17trampoline_kernelINS0_14default_configENS1_25partition_config_selectorILNS1_17partition_subalgoE9EsjbEEZZNS1_14partition_implILS5_9ELb0ES3_jN6thrust23THRUST_200600_302600_NS6detail15normal_iteratorINS9_10device_ptrIsEEEENSB_INSC_IjEEEEPNS0_10empty_typeENS0_5tupleIJNS9_16discard_iteratorINS9_11use_defaultEEESH_EEENSJ_IJSG_SI_EEENS0_18inequality_wrapperINS9_8equal_toIsEEEEPmJSH_EEE10hipError_tPvRmT3_T4_T5_T6_T7_T9_mT8_P12ihipStream_tbDpT10_ENKUlT_T0_E_clISt17integral_constantIbLb1EES1D_EEDaS18_S19_EUlS18_E_NS1_11comp_targetILNS1_3genE9ELNS1_11target_archE1100ELNS1_3gpuE3ELNS1_3repE0EEENS1_30default_config_static_selectorELNS0_4arch9wavefront6targetE0EEEvT1_,@function
_ZN7rocprim17ROCPRIM_400000_NS6detail17trampoline_kernelINS0_14default_configENS1_25partition_config_selectorILNS1_17partition_subalgoE9EsjbEEZZNS1_14partition_implILS5_9ELb0ES3_jN6thrust23THRUST_200600_302600_NS6detail15normal_iteratorINS9_10device_ptrIsEEEENSB_INSC_IjEEEEPNS0_10empty_typeENS0_5tupleIJNS9_16discard_iteratorINS9_11use_defaultEEESH_EEENSJ_IJSG_SI_EEENS0_18inequality_wrapperINS9_8equal_toIsEEEEPmJSH_EEE10hipError_tPvRmT3_T4_T5_T6_T7_T9_mT8_P12ihipStream_tbDpT10_ENKUlT_T0_E_clISt17integral_constantIbLb1EES1D_EEDaS18_S19_EUlS18_E_NS1_11comp_targetILNS1_3genE9ELNS1_11target_archE1100ELNS1_3gpuE3ELNS1_3repE0EEENS1_30default_config_static_selectorELNS0_4arch9wavefront6targetE0EEEvT1_: ; @_ZN7rocprim17ROCPRIM_400000_NS6detail17trampoline_kernelINS0_14default_configENS1_25partition_config_selectorILNS1_17partition_subalgoE9EsjbEEZZNS1_14partition_implILS5_9ELb0ES3_jN6thrust23THRUST_200600_302600_NS6detail15normal_iteratorINS9_10device_ptrIsEEEENSB_INSC_IjEEEEPNS0_10empty_typeENS0_5tupleIJNS9_16discard_iteratorINS9_11use_defaultEEESH_EEENSJ_IJSG_SI_EEENS0_18inequality_wrapperINS9_8equal_toIsEEEEPmJSH_EEE10hipError_tPvRmT3_T4_T5_T6_T7_T9_mT8_P12ihipStream_tbDpT10_ENKUlT_T0_E_clISt17integral_constantIbLb1EES1D_EEDaS18_S19_EUlS18_E_NS1_11comp_targetILNS1_3genE9ELNS1_11target_archE1100ELNS1_3gpuE3ELNS1_3repE0EEENS1_30default_config_static_selectorELNS0_4arch9wavefront6targetE0EEEvT1_
; %bb.0:
	s_clause 0x5
	s_load_b128 s[4:7], s[0:1], 0x8
	s_load_b64 s[8:9], s[0:1], 0x18
	s_load_b64 s[16:17], s[0:1], 0x38
	s_load_b128 s[12:15], s[0:1], 0x48
	s_load_b64 s[10:11], s[0:1], 0x58
	s_load_b64 s[18:19], s[0:1], 0x68
	v_cmp_ne_u32_e64 s3, 0, v0
	v_cmp_eq_u32_e64 s2, 0, v0
	s_delay_alu instid0(VALU_DEP_1)
	s_and_saveexec_b32 s20, s2
	s_cbranch_execz .LBB1251_4
; %bb.1:
	s_mov_b32 s22, exec_lo
	s_mov_b32 s21, exec_lo
	v_mbcnt_lo_u32_b32 v1, s22, 0
                                        ; implicit-def: $vgpr2
	s_delay_alu instid0(VALU_DEP_1)
	v_cmpx_eq_u32_e32 0, v1
	s_cbranch_execz .LBB1251_3
; %bb.2:
	s_load_b64 s[24:25], s[0:1], 0x78
	s_bcnt1_i32_b32 s22, s22
	s_delay_alu instid0(SALU_CYCLE_1)
	v_dual_mov_b32 v2, 0 :: v_dual_mov_b32 v3, s22
	s_waitcnt lgkmcnt(0)
	global_atomic_add_u32 v2, v2, v3, s[24:25] glc
.LBB1251_3:
	s_or_b32 exec_lo, exec_lo, s21
	s_waitcnt vmcnt(0)
	v_readfirstlane_b32 s21, v2
	s_delay_alu instid0(VALU_DEP_1)
	v_dual_mov_b32 v2, 0 :: v_dual_add_nc_u32 v1, s21, v1
	ds_store_b32 v2, v1
.LBB1251_4:
	s_or_b32 exec_lo, exec_lo, s20
	v_mov_b32_e32 v1, 0
	s_waitcnt lgkmcnt(0)
	s_barrier
	buffer_gl0_inv
	s_load_b32 s0, s[0:1], 0x70
	ds_load_b32 v2, v1
	s_waitcnt lgkmcnt(0)
	s_barrier
	buffer_gl0_inv
	global_load_b64 v[19:20], v1, s[14:15]
	s_lshl_b64 s[14:15], s[6:7], 1
	v_lshlrev_b32_e32 v9, 1, v0
	s_add_u32 s23, s4, s14
	s_addc_u32 s24, s5, s15
	s_mov_b32 s5, 0
	s_mul_i32 s1, s0, 0x580
	v_readfirstlane_b32 s20, v2
	s_add_i32 s4, s1, s6
	s_delay_alu instid0(SALU_CYCLE_1)
	s_sub_i32 s21, s10, s4
	s_add_i32 s4, s0, -1
	s_addk_i32 s21, 0x580
	s_add_u32 s0, s6, s1
	s_addc_u32 s1, s7, 0
	s_cmp_eq_u32 s20, s4
	v_cmp_ge_u64_e64 s0, s[0:1], s[10:11]
	s_cselect_b32 s14, -1, 0
	s_mul_i32 s4, s20, 0x580
	s_mov_b32 s11, -1
	s_delay_alu instid0(VALU_DEP_1)
	s_and_b32 s22, s0, s14
	s_lshl_b64 s[0:1], s[4:5], 1
	s_xor_b32 s15, s22, -1
	s_add_u32 s10, s23, s0
	s_addc_u32 s1, s24, s1
	s_and_b32 vcc_lo, exec_lo, s15
	s_cbranch_vccz .LBB1251_6
; %bb.5:
	v_add_co_u32 v1, s0, s10, v9
	s_delay_alu instid0(VALU_DEP_1)
	v_add_co_ci_u32_e64 v2, null, s1, 0, s0
	s_mov_b32 s11, s5
	s_clause 0xa
	flat_load_u16 v3, v[1:2]
	flat_load_u16 v4, v[1:2] offset:256
	flat_load_u16 v5, v[1:2] offset:512
	;; [unrolled: 1-line block ×10, first 2 shown]
	s_waitcnt vmcnt(10) lgkmcnt(10)
	ds_store_b16 v9, v3
	s_waitcnt vmcnt(9) lgkmcnt(10)
	ds_store_b16 v9, v4 offset:256
	s_waitcnt vmcnt(8) lgkmcnt(10)
	ds_store_b16 v9, v5 offset:512
	;; [unrolled: 2-line block ×10, first 2 shown]
	s_waitcnt lgkmcnt(0)
	s_barrier
.LBB1251_6:
	v_cmp_gt_u32_e64 s0, s21, v0
	s_and_not1_b32 vcc_lo, exec_lo, s11
	s_cbranch_vccnz .LBB1251_30
; %bb.7:
                                        ; implicit-def: $vgpr1_vgpr2_vgpr3_vgpr4_vgpr5_vgpr6_vgpr7_vgpr8
	s_delay_alu instid0(VALU_DEP_1)
	s_and_saveexec_b32 s11, s0
	s_cbranch_execz .LBB1251_9
; %bb.8:
	v_add_co_u32 v1, s0, s10, v9
	s_delay_alu instid0(VALU_DEP_1)
	v_add_co_ci_u32_e64 v2, null, s1, 0, s0
	flat_load_d16_b16 v1, v[1:2]
.LBB1251_9:
	s_or_b32 exec_lo, exec_lo, s11
	v_or_b32_e32 v7, 0x80, v0
	s_mov_b32 s0, exec_lo
	s_delay_alu instid0(VALU_DEP_1)
	v_cmpx_gt_u32_e64 s21, v7
	s_cbranch_execz .LBB1251_11
; %bb.10:
	v_add_co_u32 v7, s11, s10, v9
	s_delay_alu instid0(VALU_DEP_1)
	v_add_co_ci_u32_e64 v8, null, s1, 0, s11
	s_waitcnt vmcnt(0) lgkmcnt(0)
	flat_load_d16_hi_b16 v1, v[7:8] offset:256
.LBB1251_11:
	s_or_b32 exec_lo, exec_lo, s0
	v_or_b32_e32 v7, 0x100, v0
	s_mov_b32 s0, exec_lo
	s_delay_alu instid0(VALU_DEP_1)
	v_cmpx_gt_u32_e64 s21, v7
	s_cbranch_execz .LBB1251_13
; %bb.12:
	v_add_co_u32 v7, s11, s10, v9
	s_delay_alu instid0(VALU_DEP_1)
	v_add_co_ci_u32_e64 v8, null, s1, 0, s11
	flat_load_d16_b16 v2, v[7:8] offset:512
.LBB1251_13:
	s_or_b32 exec_lo, exec_lo, s0
	v_or_b32_e32 v7, 0x180, v0
	s_mov_b32 s0, exec_lo
	s_delay_alu instid0(VALU_DEP_1)
	v_cmpx_gt_u32_e64 s21, v7
	s_cbranch_execz .LBB1251_15
; %bb.14:
	v_add_co_u32 v7, s11, s10, v9
	s_delay_alu instid0(VALU_DEP_1)
	v_add_co_ci_u32_e64 v8, null, s1, 0, s11
	s_waitcnt vmcnt(0) lgkmcnt(0)
	flat_load_d16_hi_b16 v2, v[7:8] offset:768
.LBB1251_15:
	s_or_b32 exec_lo, exec_lo, s0
	v_or_b32_e32 v7, 0x200, v0
	s_mov_b32 s0, exec_lo
	s_delay_alu instid0(VALU_DEP_1)
	v_cmpx_gt_u32_e64 s21, v7
	s_cbranch_execz .LBB1251_17
; %bb.16:
	v_add_co_u32 v7, s11, s10, v9
	s_delay_alu instid0(VALU_DEP_1)
	v_add_co_ci_u32_e64 v8, null, s1, 0, s11
	flat_load_d16_b16 v3, v[7:8] offset:1024
.LBB1251_17:
	;; [unrolled: 25-line block ×5, first 2 shown]
	s_or_b32 exec_lo, exec_lo, s0
	s_waitcnt vmcnt(0) lgkmcnt(0)
	ds_store_b16 v9, v1
	ds_store_b16_d16_hi v9, v1 offset:256
	ds_store_b16 v9, v2 offset:512
	ds_store_b16_d16_hi v9, v2 offset:768
	ds_store_b16 v9, v3 offset:1024
	;; [unrolled: 2-line block ×5, first 2 shown]
	s_waitcnt lgkmcnt(0)
	s_barrier
.LBB1251_30:
	v_mul_u32_u24_e32 v1, 11, v0
	s_waitcnt vmcnt(0)
	buffer_gl0_inv
	s_lshl_b64 s[24:25], s[6:7], 2
	s_delay_alu instid0(SALU_CYCLE_1)
	s_add_u32 s0, s8, s24
	v_lshlrev_b32_e32 v2, 1, v1
	s_addc_u32 s8, s9, s25
	s_lshl_b64 s[4:5], s[4:5], 2
	ds_load_b128 v[12:15], v2
	ds_load_u16 v38, v2 offset:16
	ds_load_u16 v37, v2 offset:18
	;; [unrolled: 1-line block ×3, first 2 shown]
	s_add_u32 s0, s0, s4
	s_addc_u32 s4, s8, s5
	s_and_b32 vcc_lo, exec_lo, s15
	s_mov_b32 s5, -1
	s_waitcnt lgkmcnt(0)
	s_barrier
	buffer_gl0_inv
	s_cbranch_vccz .LBB1251_32
; %bb.31:
	v_lshlrev_b32_e32 v7, 2, v0
	s_delay_alu instid0(VALU_DEP_1) | instskip(NEXT) | instid1(VALU_DEP_1)
	v_add_co_u32 v3, s5, s0, v7
	v_add_co_ci_u32_e64 v4, null, s4, 0, s5
	s_mov_b32 s5, 0
	s_delay_alu instid0(VALU_DEP_2) | instskip(NEXT) | instid1(VALU_DEP_2)
	v_add_co_u32 v5, vcc_lo, 0x1000, v3
	v_add_co_ci_u32_e32 v6, vcc_lo, 0, v4, vcc_lo
	s_clause 0xa
	flat_load_b32 v8, v[3:4]
	flat_load_b32 v10, v[3:4] offset:512
	flat_load_b32 v11, v[3:4] offset:1024
	;; [unrolled: 1-line block ×7, first 2 shown]
	flat_load_b32 v4, v[5:6]
	flat_load_b32 v22, v[5:6] offset:512
	flat_load_b32 v5, v[5:6] offset:1024
	s_waitcnt vmcnt(9) lgkmcnt(9)
	ds_store_2addr_stride64_b32 v7, v8, v10 offset1:2
	s_waitcnt vmcnt(7) lgkmcnt(8)
	ds_store_2addr_stride64_b32 v7, v11, v16 offset0:4 offset1:6
	s_waitcnt vmcnt(5) lgkmcnt(7)
	ds_store_2addr_stride64_b32 v7, v17, v18 offset0:8 offset1:10
	;; [unrolled: 2-line block ×4, first 2 shown]
	s_waitcnt vmcnt(0) lgkmcnt(5)
	ds_store_b32 v7, v5 offset:5120
	s_waitcnt lgkmcnt(0)
	s_barrier
.LBB1251_32:
	s_and_not1_b32 vcc_lo, exec_lo, s5
	s_cbranch_vccnz .LBB1251_56
; %bb.33:
	s_mov_b32 s5, exec_lo
                                        ; implicit-def: $vgpr3
	v_cmpx_gt_u32_e64 s21, v0
	s_cbranch_execz .LBB1251_35
; %bb.34:
	v_lshlrev_b32_e32 v3, 2, v0
	s_delay_alu instid0(VALU_DEP_1) | instskip(NEXT) | instid1(VALU_DEP_1)
	v_add_co_u32 v3, s8, s0, v3
	v_add_co_ci_u32_e64 v4, null, s4, 0, s8
	flat_load_b32 v3, v[3:4]
.LBB1251_35:
	s_or_b32 exec_lo, exec_lo, s5
	v_or_b32_e32 v4, 0x80, v0
	s_delay_alu instid0(VALU_DEP_1)
	v_cmp_gt_u32_e32 vcc_lo, s21, v4
                                        ; implicit-def: $vgpr4
	s_and_saveexec_b32 s5, vcc_lo
	s_cbranch_execz .LBB1251_37
; %bb.36:
	v_lshlrev_b32_e32 v4, 2, v0
	s_delay_alu instid0(VALU_DEP_1) | instskip(NEXT) | instid1(VALU_DEP_1)
	v_add_co_u32 v4, s8, s0, v4
	v_add_co_ci_u32_e64 v5, null, s4, 0, s8
	flat_load_b32 v4, v[4:5] offset:512
.LBB1251_37:
	s_or_b32 exec_lo, exec_lo, s5
	v_or_b32_e32 v5, 0x100, v0
	s_delay_alu instid0(VALU_DEP_1)
	v_cmp_gt_u32_e32 vcc_lo, s21, v5
                                        ; implicit-def: $vgpr5
	s_and_saveexec_b32 s5, vcc_lo
	s_cbranch_execz .LBB1251_39
; %bb.38:
	v_lshlrev_b32_e32 v5, 2, v0
	s_delay_alu instid0(VALU_DEP_1) | instskip(NEXT) | instid1(VALU_DEP_1)
	v_add_co_u32 v5, s8, s0, v5
	v_add_co_ci_u32_e64 v6, null, s4, 0, s8
	flat_load_b32 v5, v[5:6] offset:1024
.LBB1251_39:
	s_or_b32 exec_lo, exec_lo, s5
	v_or_b32_e32 v6, 0x180, v0
	s_delay_alu instid0(VALU_DEP_1)
	v_cmp_gt_u32_e32 vcc_lo, s21, v6
                                        ; implicit-def: $vgpr6
	s_and_saveexec_b32 s5, vcc_lo
	s_cbranch_execz .LBB1251_41
; %bb.40:
	v_lshlrev_b32_e32 v6, 2, v0
	s_delay_alu instid0(VALU_DEP_1) | instskip(NEXT) | instid1(VALU_DEP_1)
	v_add_co_u32 v6, s8, s0, v6
	v_add_co_ci_u32_e64 v7, null, s4, 0, s8
	flat_load_b32 v6, v[6:7] offset:1536
.LBB1251_41:
	s_or_b32 exec_lo, exec_lo, s5
	v_or_b32_e32 v7, 0x200, v0
	s_delay_alu instid0(VALU_DEP_1)
	v_cmp_gt_u32_e32 vcc_lo, s21, v7
                                        ; implicit-def: $vgpr7
	s_and_saveexec_b32 s5, vcc_lo
	s_cbranch_execz .LBB1251_43
; %bb.42:
	v_lshlrev_b32_e32 v7, 2, v0
	s_delay_alu instid0(VALU_DEP_1) | instskip(NEXT) | instid1(VALU_DEP_1)
	v_add_co_u32 v7, s8, s0, v7
	v_add_co_ci_u32_e64 v8, null, s4, 0, s8
	flat_load_b32 v7, v[7:8] offset:2048
.LBB1251_43:
	s_or_b32 exec_lo, exec_lo, s5
	v_or_b32_e32 v8, 0x280, v0
	s_delay_alu instid0(VALU_DEP_1)
	v_cmp_gt_u32_e32 vcc_lo, s21, v8
                                        ; implicit-def: $vgpr8
	s_and_saveexec_b32 s5, vcc_lo
	s_cbranch_execz .LBB1251_45
; %bb.44:
	v_lshlrev_b32_e32 v8, 2, v0
	s_delay_alu instid0(VALU_DEP_1) | instskip(NEXT) | instid1(VALU_DEP_1)
	v_add_co_u32 v10, s8, s0, v8
	v_add_co_ci_u32_e64 v11, null, s4, 0, s8
	flat_load_b32 v8, v[10:11] offset:2560
.LBB1251_45:
	s_or_b32 exec_lo, exec_lo, s5
	v_or_b32_e32 v10, 0x300, v0
	s_delay_alu instid0(VALU_DEP_1)
	v_cmp_gt_u32_e32 vcc_lo, s21, v10
                                        ; implicit-def: $vgpr10
	s_and_saveexec_b32 s5, vcc_lo
	s_cbranch_execz .LBB1251_47
; %bb.46:
	v_lshlrev_b32_e32 v10, 2, v0
	s_delay_alu instid0(VALU_DEP_1) | instskip(NEXT) | instid1(VALU_DEP_1)
	v_add_co_u32 v10, s8, s0, v10
	v_add_co_ci_u32_e64 v11, null, s4, 0, s8
	flat_load_b32 v10, v[10:11] offset:3072
.LBB1251_47:
	s_or_b32 exec_lo, exec_lo, s5
	v_or_b32_e32 v11, 0x380, v0
	s_delay_alu instid0(VALU_DEP_1)
	v_cmp_gt_u32_e32 vcc_lo, s21, v11
                                        ; implicit-def: $vgpr11
	s_and_saveexec_b32 s5, vcc_lo
	s_cbranch_execz .LBB1251_49
; %bb.48:
	v_lshlrev_b32_e32 v11, 2, v0
	s_delay_alu instid0(VALU_DEP_1) | instskip(NEXT) | instid1(VALU_DEP_1)
	v_add_co_u32 v16, s8, s0, v11
	v_add_co_ci_u32_e64 v17, null, s4, 0, s8
	flat_load_b32 v11, v[16:17] offset:3584
.LBB1251_49:
	s_or_b32 exec_lo, exec_lo, s5
	v_or_b32_e32 v17, 0x400, v0
	s_mov_b32 s5, exec_lo
                                        ; implicit-def: $vgpr16
	s_delay_alu instid0(VALU_DEP_1)
	v_cmpx_gt_u32_e64 s21, v17
	s_cbranch_execz .LBB1251_51
; %bb.50:
	v_lshlrev_b32_e32 v16, 2, v17
	s_delay_alu instid0(VALU_DEP_1) | instskip(NEXT) | instid1(VALU_DEP_1)
	v_add_co_u32 v16, s8, s0, v16
	v_add_co_ci_u32_e64 v17, null, s4, 0, s8
	flat_load_b32 v16, v[16:17]
.LBB1251_51:
	s_or_b32 exec_lo, exec_lo, s5
	v_or_b32_e32 v18, 0x480, v0
	s_mov_b32 s5, exec_lo
                                        ; implicit-def: $vgpr17
	s_delay_alu instid0(VALU_DEP_1)
	v_cmpx_gt_u32_e64 s21, v18
	s_cbranch_execz .LBB1251_53
; %bb.52:
	v_lshlrev_b32_e32 v17, 2, v18
	s_delay_alu instid0(VALU_DEP_1) | instskip(NEXT) | instid1(VALU_DEP_1)
	v_add_co_u32 v17, s8, s0, v17
	v_add_co_ci_u32_e64 v18, null, s4, 0, s8
	flat_load_b32 v17, v[17:18]
.LBB1251_53:
	s_or_b32 exec_lo, exec_lo, s5
	v_or_b32_e32 v21, 0x500, v0
	s_mov_b32 s5, exec_lo
                                        ; implicit-def: $vgpr18
	s_delay_alu instid0(VALU_DEP_1)
	v_cmpx_gt_u32_e64 s21, v21
	s_cbranch_execz .LBB1251_55
; %bb.54:
	v_lshlrev_b32_e32 v18, 2, v21
	s_delay_alu instid0(VALU_DEP_1) | instskip(NEXT) | instid1(VALU_DEP_1)
	v_add_co_u32 v21, s0, s0, v18
	v_add_co_ci_u32_e64 v22, null, s4, 0, s0
	flat_load_b32 v18, v[21:22]
.LBB1251_55:
	s_or_b32 exec_lo, exec_lo, s5
	v_mad_i32_i24 v2, 0xffffffee, v0, v2
	s_waitcnt vmcnt(0) lgkmcnt(0)
	ds_store_2addr_stride64_b32 v2, v3, v4 offset1:2
	ds_store_2addr_stride64_b32 v2, v5, v6 offset0:4 offset1:6
	ds_store_2addr_stride64_b32 v2, v7, v8 offset0:8 offset1:10
	;; [unrolled: 1-line block ×4, first 2 shown]
	ds_store_b32 v2, v18 offset:5120
	s_waitcnt lgkmcnt(0)
	s_barrier
.LBB1251_56:
	v_lshlrev_b32_e32 v43, 2, v1
	buffer_gl0_inv
	s_cmp_lg_u32 s20, 0
	v_lshrrev_b32_e32 v42, 16, v12
	s_cselect_b32 s23, -1, 0
	ds_load_2addr_b32 v[29:30], v43 offset1:1
	ds_load_2addr_b32 v[27:28], v43 offset0:2 offset1:3
	ds_load_2addr_b32 v[25:26], v43 offset0:4 offset1:5
	ds_load_2addr_b32 v[23:24], v43 offset0:6 offset1:7
	ds_load_2addr_b32 v[21:22], v43 offset0:8 offset1:9
	ds_load_b32 v35, v43 offset:40
	s_cmp_lg_u64 s[6:7], 0
	v_lshrrev_b32_e32 v41, 16, v13
	s_cselect_b32 s0, -1, 0
	v_lshrrev_b32_e32 v40, 16, v14
	v_lshrrev_b32_e32 v39, 16, v15
	v_add_nc_u32_e32 v5, 1, v1
	v_add_nc_u32_e32 v6, 2, v1
	;; [unrolled: 1-line block ×10, first 2 shown]
	s_or_b32 s0, s0, s23
	s_mov_b32 s24, 0
	s_and_b32 vcc_lo, exec_lo, s0
	s_waitcnt lgkmcnt(0)
	s_barrier
	buffer_gl0_inv
	s_cbranch_vccz .LBB1251_61
; %bb.57:
	v_add_co_u32 v16, s0, -2, s10
	s_delay_alu instid0(VALU_DEP_1)
	v_add_co_ci_u32_e64 v17, null, -1, s1, s0
	s_mov_b32 s1, -1
	s_and_b32 vcc_lo, exec_lo, s15
	flat_load_u16 v16, v[16:17]
	ds_store_b16 v9, v36
	s_cbranch_vccz .LBB1251_63
; %bb.58:
	s_waitcnt vmcnt(0) lgkmcnt(1)
	v_mov_b32_e32 v17, v16
	s_waitcnt lgkmcnt(0)
	s_barrier
	buffer_gl0_inv
	s_and_saveexec_b32 s0, s3
	s_cbranch_execz .LBB1251_60
; %bb.59:
	v_add_nc_u32_e32 v17, -2, v9
	ds_load_u16 v17, v17
.LBB1251_60:
	s_or_b32 exec_lo, exec_lo, s0
	v_cmp_ne_u16_e32 vcc_lo, v15, v39
	s_waitcnt lgkmcnt(0)
	v_cmp_ne_u16_e64 s0, v17, v12
	v_cndmask_b32_e64 v18, 0, 1, vcc_lo
	v_cmp_ne_u16_e32 vcc_lo, v40, v15
	s_delay_alu instid0(VALU_DEP_2) | instskip(SKIP_2) | instid1(VALU_DEP_2)
	v_lshlrev_b16 v18, 8, v18
	v_cndmask_b32_e64 v31, 0, 1, vcc_lo
	v_cmp_ne_u16_e32 vcc_lo, v14, v40
	v_or_b32_e32 v18, v31, v18
	v_cndmask_b32_e64 v32, 0, 1, vcc_lo
	v_cmp_ne_u16_e32 vcc_lo, v41, v14
	s_delay_alu instid0(VALU_DEP_3) | instskip(NEXT) | instid1(VALU_DEP_3)
	v_lshlrev_b32_e32 v18, 16, v18
	v_lshlrev_b16 v32, 8, v32
	v_cndmask_b32_e64 v34, 0, 1, vcc_lo
	v_cmp_ne_u16_e32 vcc_lo, v13, v41
	s_delay_alu instid0(VALU_DEP_2) | instskip(SKIP_2) | instid1(VALU_DEP_3)
	v_or_b32_e32 v32, v34, v32
	v_cndmask_b32_e64 v44, 0, 1, vcc_lo
	v_cmp_ne_u16_e32 vcc_lo, v42, v13
	v_and_b32_e32 v32, 0xffff, v32
	s_delay_alu instid0(VALU_DEP_3) | instskip(SKIP_2) | instid1(VALU_DEP_4)
	v_lshlrev_b16 v44, 8, v44
	v_cndmask_b32_e64 v46, 0, 1, vcc_lo
	v_cmp_ne_u16_e32 vcc_lo, v12, v42
	v_or_b32_e32 v32, v32, v18
	s_delay_alu instid0(VALU_DEP_3) | instskip(SKIP_2) | instid1(VALU_DEP_3)
	v_or_b32_e32 v44, v46, v44
	v_cndmask_b32_e64 v47, 0, 1, vcc_lo
	v_cmp_ne_u16_e32 vcc_lo, v37, v36
	v_lshlrev_b32_e32 v31, 16, v44
	s_delay_alu instid0(VALU_DEP_3) | instskip(SKIP_2) | instid1(VALU_DEP_3)
	v_lshlrev_b16 v46, 8, v47
	v_cndmask_b32_e64 v45, 0, 1, vcc_lo
	v_cmp_ne_u16_e32 vcc_lo, v38, v37
	v_and_b32_e32 v46, 0xffff, v46
	v_cndmask_b32_e64 v34, 0, 1, vcc_lo
	v_cmp_ne_u16_e32 vcc_lo, v39, v38
	s_delay_alu instid0(VALU_DEP_3)
	v_or_b32_e32 v31, v46, v31
	v_cndmask_b32_e64 v44, 0, 1, vcc_lo
	s_branch .LBB1251_67
.LBB1251_61:
                                        ; implicit-def: $sgpr0
                                        ; implicit-def: $vgpr45
                                        ; implicit-def: $vgpr34
                                        ; implicit-def: $vgpr44
                                        ; implicit-def: $vgpr32
	s_branch .LBB1251_68
.LBB1251_62:
                                        ; implicit-def: $vgpr16_vgpr17_vgpr18
	s_and_saveexec_b32 s1, s24
	s_cbranch_execnz .LBB1251_76
	s_branch .LBB1251_77
.LBB1251_63:
                                        ; implicit-def: $sgpr0
                                        ; implicit-def: $vgpr45
                                        ; implicit-def: $vgpr34
                                        ; implicit-def: $vgpr44
                                        ; implicit-def: $vgpr32
	s_and_b32 vcc_lo, exec_lo, s1
	s_cbranch_vccz .LBB1251_67
; %bb.64:
	s_waitcnt vmcnt(0) lgkmcnt(0)
	s_barrier
	buffer_gl0_inv
	s_and_saveexec_b32 s0, s3
	s_cbranch_execz .LBB1251_66
; %bb.65:
	v_add_nc_u32_e32 v9, -2, v9
	ds_load_u16 v16, v9
.LBB1251_66:
	s_or_b32 exec_lo, exec_lo, s0
	v_cmp_gt_u32_e32 vcc_lo, s21, v10
	v_cmp_ne_u16_e64 s0, v37, v36
	v_cmp_gt_u32_e64 s1, s21, v11
	v_cmp_ne_u16_e64 s4, v38, v37
	v_cmp_gt_u32_e64 s5, s21, v5
	v_cmp_ne_u16_e64 s6, v12, v42
	s_and_b32 s0, vcc_lo, s0
	v_cmp_gt_u32_e32 vcc_lo, s21, v2
	v_cndmask_b32_e64 v45, 0, 1, s0
	v_cmp_ne_u16_e64 s0, v15, v39
	s_and_b32 s1, s1, s4
	v_cmp_ne_u16_e64 s4, v40, v15
	v_cndmask_b32_e64 v34, 0, 1, s1
	v_cmp_gt_u32_e64 s1, s21, v4
	s_and_b32 s0, vcc_lo, s0
	v_cmp_gt_u32_e32 vcc_lo, s21, v7
	v_cndmask_b32_e64 v9, 0, 1, s0
	v_cmp_ne_u16_e64 s0, v14, v40
	s_and_b32 s1, s1, s4
	v_cmp_ne_u16_e64 s4, v13, v41
	v_cndmask_b32_e64 v17, 0, 1, s1
	v_cmp_gt_u32_e64 s1, s21, v3
	;; [unrolled: 8-line block ×3, first 2 shown]
	s_and_b32 s0, vcc_lo, s0
	v_lshlrev_b16 v18, 8, v18
	v_cndmask_b32_e64 v32, 0, 1, s0
	v_lshlrev_b16 v31, 8, v31
	s_and_b32 s0, s1, s4
	v_lshlrev_b16 v9, 8, v9
	v_cndmask_b32_e64 v44, 0, 1, s0
	s_and_b32 s0, s5, s6
	v_or_b32_e32 v18, v32, v18
	v_cndmask_b32_e64 v46, 0, 1, s0
	v_or_b32_e32 v9, v17, v9
	v_or_b32_e32 v31, v44, v31
	v_cmp_gt_u32_e32 vcc_lo, s21, v33
	v_cmp_ne_u16_e64 s0, v39, v38
	v_lshlrev_b16 v44, 8, v46
	v_and_b32_e32 v18, 0xffff, v18
	v_lshlrev_b32_e32 v17, 16, v31
	v_lshlrev_b32_e32 v9, 16, v9
	s_and_b32 s0, vcc_lo, s0
	v_and_b32_e32 v31, 0xffff, v44
	v_cndmask_b32_e64 v44, 0, 1, s0
	v_cmp_gt_u32_e32 vcc_lo, s21, v1
	s_waitcnt lgkmcnt(0)
	v_cmp_ne_u16_e64 s0, v16, v12
	v_or_b32_e32 v32, v18, v9
	v_or_b32_e32 v31, v31, v17
	s_delay_alu instid0(VALU_DEP_3)
	s_and_b32 s0, vcc_lo, s0
.LBB1251_67:
	s_mov_b32 s24, -1
	s_cbranch_execnz .LBB1251_62
.LBB1251_68:
	v_mad_i32_i24 v9, 0xffffffd6, v0, v43
	v_cmp_ne_u16_e64 s0, v37, v36
	v_cmp_ne_u16_e64 s9, v38, v37
	;; [unrolled: 1-line block ×10, first 2 shown]
	s_and_b32 vcc_lo, exec_lo, s15
	ds_store_b16 v9, v36
	s_cbranch_vccz .LBB1251_72
; %bb.69:
	s_waitcnt vmcnt(0) lgkmcnt(2)
	v_cndmask_b32_e64 v16, 0, 1, s11
	v_cndmask_b32_e64 v34, 0, 1, s9
	;; [unrolled: 1-line block ×5, first 2 shown]
	v_lshlrev_b16 v16, 8, v16
	v_cndmask_b32_e64 v46, 0, 1, s4
	v_cndmask_b32_e64 v44, 0, 1, s10
	;; [unrolled: 1-line block ×4, first 2 shown]
	v_lshlrev_b16 v17, 8, v17
	v_lshlrev_b16 v47, 8, v34
	v_or_b32_e32 v16, v31, v16
	v_lshlrev_b16 v31, 8, v32
	v_lshlrev_b16 v32, 8, v46
	v_or_b32_e32 v17, v18, v17
	v_or_b32_e32 v18, v44, v47
	v_and_b32_e32 v16, 0xffff, v16
	v_or_b32_e32 v31, v45, v31
	v_or_b32_e32 v32, 1, v32
	v_lshlrev_b32_e32 v17, 16, v17
	v_and_b32_e32 v18, 0xffff, v18
	v_cndmask_b32_e64 v45, 0, 1, s0
	v_lshlrev_b32_e32 v31, 16, v31
	v_and_b32_e32 v46, 0xffff, v32
	v_or_b32_e32 v32, v16, v17
	s_waitcnt lgkmcnt(0)
	v_lshl_or_b32 v18, v45, 16, v18
	s_barrier
	v_or_b32_e32 v31, v46, v31
	buffer_gl0_inv
                                        ; implicit-def: $sgpr0
	s_and_saveexec_b32 s1, s3
	s_delay_alu instid0(SALU_CYCLE_1)
	s_xor_b32 s1, exec_lo, s1
	s_cbranch_execz .LBB1251_71
; %bb.70:
	v_add_nc_u32_e32 v16, -2, v9
	s_or_b32 s24, s24, exec_lo
	ds_load_u16 v16, v16
	s_waitcnt lgkmcnt(0)
	v_cmp_ne_u16_e32 vcc_lo, v16, v12
                                        ; implicit-def: $vgpr16_vgpr17_vgpr18
	s_and_b32 s0, vcc_lo, exec_lo
.LBB1251_71:
	s_or_b32 exec_lo, exec_lo, s1
	s_branch .LBB1251_75
.LBB1251_72:
                                        ; implicit-def: $sgpr0
                                        ; implicit-def: $vgpr45
                                        ; implicit-def: $vgpr34
                                        ; implicit-def: $vgpr44
                                        ; implicit-def: $vgpr32
                                        ; implicit-def: $vgpr16_vgpr17_vgpr18
	s_cbranch_execz .LBB1251_75
; %bb.73:
	v_cmp_gt_u32_e32 vcc_lo, s21, v11
	v_cmp_ne_u16_e64 s0, v38, v37
	v_cmp_gt_u32_e64 s5, s21, v33
	v_cmp_ne_u16_e64 s6, v39, v38
	v_cmp_gt_u32_e64 s1, s21, v10
	v_cmp_ne_u16_e64 s4, v37, v36
	s_and_b32 s0, vcc_lo, s0
	v_cmp_gt_u32_e32 vcc_lo, s21, v2
	v_cndmask_b32_e64 v34, 0, 1, s0
	v_cmp_ne_u16_e64 s0, v15, v39
	s_and_b32 s5, s5, s6
	v_cmp_ne_u16_e64 s6, v40, v15
	v_cndmask_b32_e64 v44, 0, 1, s5
	v_cmp_gt_u32_e64 s5, s21, v4
	s_and_b32 s0, vcc_lo, s0
	v_cmp_gt_u32_e32 vcc_lo, s21, v7
	s_waitcnt vmcnt(0) lgkmcnt(2)
	v_cndmask_b32_e64 v16, 0, 1, s0
	v_cmp_ne_u16_e64 s0, v14, v40
	s_and_b32 s5, s5, s6
	v_cmp_ne_u16_e64 s6, v41, v14
	v_cndmask_b32_e64 v17, 0, 1, s5
	v_cmp_gt_u32_e64 s5, s21, v8
	s_and_b32 s0, vcc_lo, s0
	v_cmp_gt_u32_e32 vcc_lo, s21, v3
	v_cndmask_b32_e64 v18, 0, 1, s0
	v_cmp_ne_u16_e64 s0, v13, v41
	s_and_b32 s5, s5, s6
	v_cmp_ne_u16_e64 s6, v42, v13
	v_cndmask_b32_e64 v31, 0, 1, s5
	v_cmp_gt_u32_e64 s5, s21, v6
	s_and_b32 s0, vcc_lo, s0
	v_cmp_gt_u32_e32 vcc_lo, s21, v5
	v_cndmask_b32_e64 v32, 0, 1, s0
	v_cmp_ne_u16_e64 s0, v12, v42
	v_lshlrev_b16 v18, 8, v18
	v_lshlrev_b16 v16, 8, v16
	s_and_b32 s5, s5, s6
	v_lshlrev_b16 v47, 8, v34
	s_and_b32 s0, vcc_lo, s0
	v_cndmask_b32_e64 v45, 0, 1, s5
	v_cndmask_b32_e64 v46, 0, 1, s0
	v_or_b32_e32 v18, v31, v18
	v_or_b32_e32 v16, v17, v16
	v_lshlrev_b16 v17, 8, v32
	v_or_b32_e32 v32, v44, v47
	v_lshlrev_b16 v31, 8, v46
	s_and_b32 s0, s1, s4
	v_and_b32_e32 v18, 0xffff, v18
	v_or_b32_e32 v17, v45, v17
	v_lshlrev_b32_e32 v16, 16, v16
	v_or_b32_e32 v31, 1, v31
	v_and_b32_e32 v46, 0xffff, v32
	v_cndmask_b32_e64 v45, 0, 1, s0
	v_lshlrev_b32_e32 v17, 16, v17
	v_or_b32_e32 v32, v18, v16
	v_and_b32_e32 v31, 0xffff, v31
	s_waitcnt lgkmcnt(0)
	v_lshl_or_b32 v18, v45, 16, v46
	s_barrier
	buffer_gl0_inv
	v_or_b32_e32 v31, v31, v17
                                        ; implicit-def: $sgpr0
	s_and_saveexec_b32 s1, s3
	s_cbranch_execz .LBB1251_209
; %bb.74:
	v_add_nc_u32_e32 v9, -2, v9
	v_cmp_gt_u32_e32 vcc_lo, s21, v1
	s_or_b32 s24, s24, exec_lo
                                        ; implicit-def: $vgpr16_vgpr17_vgpr18
	ds_load_u16 v9, v9
	s_waitcnt lgkmcnt(0)
	v_cmp_ne_u16_e64 s0, v9, v12
	s_delay_alu instid0(VALU_DEP_1) | instskip(NEXT) | instid1(SALU_CYCLE_1)
	s_and_b32 s0, vcc_lo, s0
	s_and_b32 s0, s0, exec_lo
	s_or_b32 exec_lo, exec_lo, s1
.LBB1251_75:
	s_and_saveexec_b32 s1, s24
	s_cbranch_execz .LBB1251_77
.LBB1251_76:
	s_waitcnt vmcnt(0) lgkmcnt(1)
	v_lshrrev_b32_e32 v16, 24, v31
	v_lshrrev_b32_e32 v17, 16, v31
	;; [unrolled: 1-line block ×3, first 2 shown]
	v_cndmask_b32_e64 v9, 0, 1, s0
	v_lshlrev_b16 v31, 8, v34
	v_and_b32_e32 v34, 0xff, v44
	v_lshlrev_b16 v16, 8, v16
	v_and_b32_e32 v17, 0xff, v17
	v_lshlrev_b16 v18, 8, v18
	v_and_b32_e32 v44, 0xff, v45
	v_or_b32_e32 v31, v34, v31
	s_delay_alu instid0(VALU_DEP_4) | instskip(NEXT) | instid1(VALU_DEP_4)
	v_or_b32_e32 v16, v17, v16
	v_or_b32_e32 v9, v9, v18
	s_delay_alu instid0(VALU_DEP_4) | instskip(NEXT) | instid1(VALU_DEP_4)
	v_lshlrev_b32_e32 v17, 16, v44
	v_and_b32_e32 v18, 0xffff, v31
	s_delay_alu instid0(VALU_DEP_4) | instskip(NEXT) | instid1(VALU_DEP_4)
	v_lshlrev_b32_e32 v16, 16, v16
	v_and_b32_e32 v9, 0xffff, v9
	s_delay_alu instid0(VALU_DEP_3) | instskip(NEXT) | instid1(VALU_DEP_2)
	v_or_b32_e32 v18, v18, v17
	v_or_b32_e32 v31, v9, v16
.LBB1251_77:
	s_or_b32 exec_lo, exec_lo, s1
	s_delay_alu instid0(SALU_CYCLE_1)
	s_and_not1_b32 vcc_lo, exec_lo, s22
	s_cbranch_vccnz .LBB1251_79
; %bb.78:
	v_cmp_gt_u32_e32 vcc_lo, s21, v1
	v_cmp_gt_u32_e64 s0, s21, v5
	v_and_b32_e32 v5, 0xffffff00, v32
	v_cmp_gt_u32_e64 s3, s21, v6
	v_cmp_gt_u32_e64 s5, s21, v3
	v_cndmask_b32_e32 v1, 0, v31, vcc_lo
	v_cmp_gt_u32_e32 vcc_lo, s21, v33
	v_cmp_gt_u32_e64 s1, s21, v11
	v_cmp_gt_u32_e64 s4, s21, v10
	s_delay_alu instid0(VALU_DEP_4) | instskip(NEXT) | instid1(VALU_DEP_1)
	v_and_b32_e32 v1, 0xff, v1
	v_cndmask_b32_e64 v1, v1, v31, s0
	v_cmp_gt_u32_e64 s0, s21, v8
	s_delay_alu instid0(VALU_DEP_2) | instskip(NEXT) | instid1(VALU_DEP_2)
	v_and_b32_e32 v1, 0xffff, v1
	v_cndmask_b32_e64 v5, v5, v32, s0
	s_delay_alu instid0(VALU_DEP_2) | instskip(NEXT) | instid1(VALU_DEP_2)
	v_cndmask_b32_e64 v1, v1, v31, s3
	v_and_b32_e32 v5, 0xffff00ff, v5
	v_cmp_gt_u32_e64 s3, s21, v7
	s_delay_alu instid0(VALU_DEP_3) | instskip(NEXT) | instid1(VALU_DEP_2)
	v_and_b32_e32 v1, 0xffffff, v1
	v_cndmask_b32_e64 v5, v5, v32, s3
	s_delay_alu instid0(VALU_DEP_2) | instskip(NEXT) | instid1(VALU_DEP_2)
	v_cndmask_b32_e64 v1, v1, v31, s5
	v_and_b32_e32 v3, 0xff00ffff, v5
	s_delay_alu instid0(VALU_DEP_2) | instskip(SKIP_1) | instid1(VALU_DEP_2)
	v_cndmask_b32_e64 v1, v1, v31, s0
	v_cmp_gt_u32_e64 s0, s21, v4
	v_cndmask_b32_e64 v1, v1, v31, s3
	s_delay_alu instid0(VALU_DEP_2) | instskip(SKIP_1) | instid1(VALU_DEP_3)
	v_cndmask_b32_e64 v3, v3, v32, s0
	v_cmp_gt_u32_e64 s3, s21, v2
	v_cndmask_b32_e64 v1, v1, v31, s0
	s_delay_alu instid0(VALU_DEP_3) | instskip(SKIP_1) | instid1(VALU_DEP_1)
	v_and_b32_e32 v2, 0xffffff, v3
	v_and_b32_e32 v9, 0xff000000, v18
	v_cndmask_b32_e32 v9, v9, v18, vcc_lo
	s_delay_alu instid0(VALU_DEP_1) | instskip(NEXT) | instid1(VALU_DEP_1)
	v_and_b32_e32 v9, 0xff0000ff, v9
	v_cndmask_b32_e64 v8, v9, v18, s1
	s_or_b32 s1, s4, s1
	s_delay_alu instid0(SALU_CYCLE_1) | instskip(NEXT) | instid1(VALU_DEP_1)
	s_or_b32 s0, s1, vcc_lo
	v_and_b32_e32 v6, 0xff00ffff, v8
	s_or_b32 vcc_lo, s0, s3
	v_dual_cndmask_b32 v32, v2, v32 :: v_dual_cndmask_b32 v1, v1, v31
	s_delay_alu instid0(VALU_DEP_2) | instskip(NEXT) | instid1(VALU_DEP_2)
	v_cndmask_b32_e64 v6, v6, v18, s4
	v_perm_b32 v31, v1, v1, 0x3020104
	s_delay_alu instid0(VALU_DEP_2) | instskip(SKIP_1) | instid1(VALU_DEP_2)
	v_lshrrev_b32_e32 v5, 8, v6
	v_and_b32_e32 v4, 0xff, v6
	v_lshlrev_b16 v5, 8, v5
	s_delay_alu instid0(VALU_DEP_1) | instskip(NEXT) | instid1(VALU_DEP_1)
	v_or_b32_e32 v3, v4, v5
	v_and_b32_e32 v2, 0xffff, v3
	s_delay_alu instid0(VALU_DEP_1)
	v_and_or_b32 v18, 0xff0000, v6, v2
.LBB1251_79:
	s_delay_alu instid0(VALU_DEP_1)
	v_and_b32_e32 v45, 0xff, v31
	v_bfe_u32 v46, v31, 8, 8
	v_alignbit_b32 v1, v32, v31, 24
	v_bfe_u32 v47, v31, 16, 8
	v_and_b32_e32 v48, 0xff, v32
	v_bfe_u32 v50, v32, 8, 8
	v_bfe_u32 v51, v32, 16, 8
	v_and_b32_e32 v49, 0xff, v1
	v_add3_u32 v1, v46, v45, v47
	v_lshrrev_b32_e32 v44, 24, v32
	v_mbcnt_lo_u32_b32 v54, -1, 0
	v_and_b32_e32 v52, 0xff, v18
	v_bfe_u32 v53, v18, 8, 8
	v_add3_u32 v1, v1, v49, v48
	v_bfe_u32 v3, v18, 16, 8
	v_and_b32_e32 v2, 15, v54
	v_or_b32_e32 v4, 31, v0
	v_and_b32_e32 v5, 16, v54
	v_add3_u32 v1, v1, v50, v51
	v_lshrrev_b32_e32 v55, 5, v0
	v_cmp_eq_u32_e64 s6, 0, v2
	v_cmp_lt_u32_e64 s5, 1, v2
	v_cmp_lt_u32_e64 s4, 3, v2
	v_add3_u32 v1, v1, v44, v52
	v_cmp_lt_u32_e64 s3, 7, v2
	v_cmp_eq_u32_e64 s1, 0, v5
	v_cmp_eq_u32_e64 s0, v4, v0
	s_and_b32 vcc_lo, exec_lo, s23
	v_add3_u32 v56, v1, v53, v3
	s_mov_b32 s7, -1
	s_waitcnt vmcnt(0) lgkmcnt(0)
	s_barrier
	buffer_gl0_inv
	s_cbranch_vccz .LBB1251_110
; %bb.80:
	v_mov_b32_dpp v1, v56 row_shr:1 row_mask:0xf bank_mask:0xf
	s_delay_alu instid0(VALU_DEP_1) | instskip(NEXT) | instid1(VALU_DEP_1)
	v_cndmask_b32_e64 v1, v1, 0, s6
	v_add_nc_u32_e32 v1, v1, v56
	s_delay_alu instid0(VALU_DEP_1) | instskip(NEXT) | instid1(VALU_DEP_1)
	v_mov_b32_dpp v2, v1 row_shr:2 row_mask:0xf bank_mask:0xf
	v_cndmask_b32_e64 v2, 0, v2, s5
	s_delay_alu instid0(VALU_DEP_1) | instskip(NEXT) | instid1(VALU_DEP_1)
	v_add_nc_u32_e32 v1, v1, v2
	v_mov_b32_dpp v2, v1 row_shr:4 row_mask:0xf bank_mask:0xf
	s_delay_alu instid0(VALU_DEP_1) | instskip(NEXT) | instid1(VALU_DEP_1)
	v_cndmask_b32_e64 v2, 0, v2, s4
	v_add_nc_u32_e32 v1, v1, v2
	s_delay_alu instid0(VALU_DEP_1) | instskip(NEXT) | instid1(VALU_DEP_1)
	v_mov_b32_dpp v2, v1 row_shr:8 row_mask:0xf bank_mask:0xf
	v_cndmask_b32_e64 v2, 0, v2, s3
	s_delay_alu instid0(VALU_DEP_1) | instskip(SKIP_3) | instid1(VALU_DEP_1)
	v_add_nc_u32_e32 v1, v1, v2
	ds_swizzle_b32 v2, v1 offset:swizzle(BROADCAST,32,15)
	s_waitcnt lgkmcnt(0)
	v_cndmask_b32_e64 v2, v2, 0, s1
	v_add_nc_u32_e32 v1, v1, v2
	s_and_saveexec_b32 s7, s0
	s_cbranch_execz .LBB1251_82
; %bb.81:
	v_lshlrev_b32_e32 v2, 2, v55
	ds_store_b32 v2, v1
.LBB1251_82:
	s_or_b32 exec_lo, exec_lo, s7
	s_delay_alu instid0(SALU_CYCLE_1)
	s_mov_b32 s7, exec_lo
	s_waitcnt lgkmcnt(0)
	s_barrier
	buffer_gl0_inv
	v_cmpx_gt_u32_e32 4, v0
	s_cbranch_execz .LBB1251_84
; %bb.83:
	v_and_b32_e32 v4, 3, v54
	s_delay_alu instid0(VALU_DEP_1) | instskip(SKIP_4) | instid1(VALU_DEP_1)
	v_cmp_ne_u32_e32 vcc_lo, 0, v4
	v_lshlrev_b32_e32 v2, 2, v0
	ds_load_b32 v3, v2
	s_waitcnt lgkmcnt(0)
	v_mov_b32_dpp v5, v3 row_shr:1 row_mask:0xf bank_mask:0xf
	v_cndmask_b32_e32 v5, 0, v5, vcc_lo
	v_cmp_lt_u32_e32 vcc_lo, 1, v4
	s_delay_alu instid0(VALU_DEP_2) | instskip(NEXT) | instid1(VALU_DEP_1)
	v_add_nc_u32_e32 v3, v5, v3
	v_mov_b32_dpp v5, v3 row_shr:2 row_mask:0xf bank_mask:0xf
	s_delay_alu instid0(VALU_DEP_1) | instskip(NEXT) | instid1(VALU_DEP_1)
	v_cndmask_b32_e32 v4, 0, v5, vcc_lo
	v_add_nc_u32_e32 v3, v3, v4
	ds_store_b32 v2, v3
.LBB1251_84:
	s_or_b32 exec_lo, exec_lo, s7
	v_cmp_gt_u32_e32 vcc_lo, 32, v0
	s_mov_b32 s8, exec_lo
	s_waitcnt lgkmcnt(0)
	s_barrier
	buffer_gl0_inv
                                        ; implicit-def: $vgpr9
	v_cmpx_lt_u32_e32 31, v0
	s_cbranch_execz .LBB1251_86
; %bb.85:
	v_lshl_add_u32 v2, v55, 2, -4
	ds_load_b32 v9, v2
	s_waitcnt lgkmcnt(0)
	v_add_nc_u32_e32 v1, v9, v1
.LBB1251_86:
	s_or_b32 exec_lo, exec_lo, s8
	v_add_nc_u32_e32 v2, -1, v54
	s_delay_alu instid0(VALU_DEP_1) | instskip(NEXT) | instid1(VALU_DEP_1)
	v_cmp_gt_i32_e64 s7, 0, v2
	v_cndmask_b32_e64 v2, v2, v54, s7
	v_cmp_eq_u32_e64 s7, 0, v54
	s_delay_alu instid0(VALU_DEP_2)
	v_lshlrev_b32_e32 v2, 2, v2
	ds_bpermute_b32 v10, v2, v1
	s_and_saveexec_b32 s8, vcc_lo
	s_cbranch_execz .LBB1251_109
; %bb.87:
	v_mov_b32_e32 v5, 0
	ds_load_b32 v1, v5 offset:12
	s_and_saveexec_b32 s9, s7
	s_cbranch_execz .LBB1251_89
; %bb.88:
	s_add_i32 s10, s20, 32
	s_mov_b32 s11, 0
	v_mov_b32_e32 v2, 1
	s_lshl_b64 s[10:11], s[10:11], 3
	s_delay_alu instid0(SALU_CYCLE_1)
	s_add_u32 s10, s18, s10
	s_addc_u32 s11, s19, s11
	s_waitcnt lgkmcnt(0)
	global_store_b64 v5, v[1:2], s[10:11]
.LBB1251_89:
	s_or_b32 exec_lo, exec_lo, s9
	v_xad_u32 v3, v54, -1, s20
	s_mov_b32 s10, 0
	s_mov_b32 s9, exec_lo
	s_delay_alu instid0(VALU_DEP_1) | instskip(NEXT) | instid1(VALU_DEP_1)
	v_add_nc_u32_e32 v4, 32, v3
	v_lshlrev_b64 v[4:5], 3, v[4:5]
	s_delay_alu instid0(VALU_DEP_1) | instskip(NEXT) | instid1(VALU_DEP_2)
	v_add_co_u32 v7, vcc_lo, s18, v4
	v_add_co_ci_u32_e32 v8, vcc_lo, s19, v5, vcc_lo
	global_load_b64 v[5:6], v[7:8], off glc
	s_waitcnt vmcnt(0)
	v_and_b32_e32 v2, 0xff, v6
	s_delay_alu instid0(VALU_DEP_1)
	v_cmpx_eq_u16_e32 0, v2
	s_cbranch_execz .LBB1251_95
; %bb.90:
	s_mov_b32 s11, 1
	.p2align	6
.LBB1251_91:                            ; =>This Loop Header: Depth=1
                                        ;     Child Loop BB1251_92 Depth 2
	s_delay_alu instid0(SALU_CYCLE_1)
	s_max_u32 s21, s11, 1
.LBB1251_92:                            ;   Parent Loop BB1251_91 Depth=1
                                        ; =>  This Inner Loop Header: Depth=2
	s_delay_alu instid0(SALU_CYCLE_1)
	s_add_i32 s21, s21, -1
	s_sleep 1
	s_cmp_eq_u32 s21, 0
	s_cbranch_scc0 .LBB1251_92
; %bb.93:                               ;   in Loop: Header=BB1251_91 Depth=1
	global_load_b64 v[5:6], v[7:8], off glc
	s_cmp_lt_u32 s11, 32
	s_cselect_b32 s21, -1, 0
	s_delay_alu instid0(SALU_CYCLE_1) | instskip(SKIP_3) | instid1(VALU_DEP_1)
	s_cmp_lg_u32 s21, 0
	s_addc_u32 s11, s11, 0
	s_waitcnt vmcnt(0)
	v_and_b32_e32 v2, 0xff, v6
	v_cmp_ne_u16_e32 vcc_lo, 0, v2
	s_or_b32 s10, vcc_lo, s10
	s_delay_alu instid0(SALU_CYCLE_1)
	s_and_not1_b32 exec_lo, exec_lo, s10
	s_cbranch_execnz .LBB1251_91
; %bb.94:
	s_or_b32 exec_lo, exec_lo, s10
.LBB1251_95:
	s_delay_alu instid0(SALU_CYCLE_1)
	s_or_b32 exec_lo, exec_lo, s9
	v_cmp_ne_u32_e32 vcc_lo, 31, v54
	v_lshlrev_b32_e64 v16, v54, -1
	v_add_nc_u32_e32 v33, 2, v54
	v_add_nc_u32_e32 v57, 4, v54
	;; [unrolled: 1-line block ×3, first 2 shown]
	v_add_co_ci_u32_e32 v2, vcc_lo, 0, v54, vcc_lo
	v_add_nc_u32_e32 v61, 16, v54
	s_delay_alu instid0(VALU_DEP_2)
	v_lshlrev_b32_e32 v11, 2, v2
	v_and_b32_e32 v2, 0xff, v6
	ds_bpermute_b32 v4, v11, v5
	v_cmp_eq_u16_e32 vcc_lo, 2, v2
	v_and_or_b32 v2, vcc_lo, v16, 0x80000000
	v_cmp_gt_u32_e32 vcc_lo, 30, v54
	s_delay_alu instid0(VALU_DEP_2) | instskip(SKIP_1) | instid1(VALU_DEP_2)
	v_ctz_i32_b32_e32 v2, v2
	v_cndmask_b32_e64 v7, 0, 1, vcc_lo
	v_cmp_lt_u32_e32 vcc_lo, v54, v2
	s_waitcnt lgkmcnt(0)
	s_delay_alu instid0(VALU_DEP_2) | instskip(NEXT) | instid1(VALU_DEP_1)
	v_dual_cndmask_b32 v4, 0, v4 :: v_dual_lshlrev_b32 v7, 1, v7
	v_add_lshl_u32 v17, v7, v54, 2
	v_cmp_gt_u32_e32 vcc_lo, 28, v54
	s_delay_alu instid0(VALU_DEP_3) | instskip(SKIP_4) | instid1(VALU_DEP_1)
	v_add_nc_u32_e32 v4, v4, v5
	v_cndmask_b32_e64 v7, 0, 1, vcc_lo
	v_cmp_le_u32_e32 vcc_lo, v33, v2
	ds_bpermute_b32 v5, v17, v4
	v_lshlrev_b32_e32 v7, 2, v7
	v_add_lshl_u32 v34, v7, v54, 2
	s_waitcnt lgkmcnt(0)
	v_cndmask_b32_e32 v5, 0, v5, vcc_lo
	v_cmp_gt_u32_e32 vcc_lo, 24, v54
	s_delay_alu instid0(VALU_DEP_2) | instskip(SKIP_4) | instid1(VALU_DEP_1)
	v_add_nc_u32_e32 v4, v4, v5
	v_cndmask_b32_e64 v7, 0, 1, vcc_lo
	v_cmp_le_u32_e32 vcc_lo, v57, v2
	ds_bpermute_b32 v5, v34, v4
	v_lshlrev_b32_e32 v7, 3, v7
	v_add_lshl_u32 v58, v7, v54, 2
	s_waitcnt lgkmcnt(0)
	v_cndmask_b32_e32 v5, 0, v5, vcc_lo
	v_cmp_gt_u32_e32 vcc_lo, 16, v54
	s_delay_alu instid0(VALU_DEP_2) | instskip(SKIP_4) | instid1(VALU_DEP_1)
	v_add_nc_u32_e32 v4, v4, v5
	v_cndmask_b32_e64 v7, 0, 1, vcc_lo
	v_cmp_le_u32_e32 vcc_lo, v59, v2
	ds_bpermute_b32 v5, v58, v4
	v_lshlrev_b32_e32 v7, 4, v7
	v_add_lshl_u32 v60, v7, v54, 2
	s_waitcnt lgkmcnt(0)
	v_cndmask_b32_e32 v5, 0, v5, vcc_lo
	v_cmp_le_u32_e32 vcc_lo, v61, v2
	s_delay_alu instid0(VALU_DEP_2) | instskip(SKIP_3) | instid1(VALU_DEP_1)
	v_add_nc_u32_e32 v4, v4, v5
	ds_bpermute_b32 v5, v60, v4
	s_waitcnt lgkmcnt(0)
	v_cndmask_b32_e32 v2, 0, v5, vcc_lo
	v_dual_mov_b32 v4, 0 :: v_dual_add_nc_u32 v5, v4, v2
	s_branch .LBB1251_97
.LBB1251_96:                            ;   in Loop: Header=BB1251_97 Depth=1
	s_or_b32 exec_lo, exec_lo, s9
	ds_bpermute_b32 v8, v11, v5
	v_and_b32_e32 v7, 0xff, v6
	v_subrev_nc_u32_e32 v3, 32, v3
	s_delay_alu instid0(VALU_DEP_2) | instskip(SKIP_1) | instid1(VALU_DEP_1)
	v_cmp_eq_u16_e32 vcc_lo, 2, v7
	v_and_or_b32 v7, vcc_lo, v16, 0x80000000
	v_ctz_i32_b32_e32 v7, v7
	s_delay_alu instid0(VALU_DEP_1) | instskip(SKIP_3) | instid1(VALU_DEP_2)
	v_cmp_lt_u32_e32 vcc_lo, v54, v7
	s_waitcnt lgkmcnt(0)
	v_cndmask_b32_e32 v8, 0, v8, vcc_lo
	v_cmp_le_u32_e32 vcc_lo, v33, v7
	v_add_nc_u32_e32 v5, v8, v5
	ds_bpermute_b32 v8, v17, v5
	s_waitcnt lgkmcnt(0)
	v_cndmask_b32_e32 v8, 0, v8, vcc_lo
	v_cmp_le_u32_e32 vcc_lo, v57, v7
	s_delay_alu instid0(VALU_DEP_2) | instskip(SKIP_4) | instid1(VALU_DEP_2)
	v_add_nc_u32_e32 v5, v5, v8
	ds_bpermute_b32 v8, v34, v5
	s_waitcnt lgkmcnt(0)
	v_cndmask_b32_e32 v8, 0, v8, vcc_lo
	v_cmp_le_u32_e32 vcc_lo, v59, v7
	v_add_nc_u32_e32 v5, v5, v8
	ds_bpermute_b32 v8, v58, v5
	s_waitcnt lgkmcnt(0)
	v_cndmask_b32_e32 v8, 0, v8, vcc_lo
	v_cmp_le_u32_e32 vcc_lo, v61, v7
	s_delay_alu instid0(VALU_DEP_2) | instskip(SKIP_3) | instid1(VALU_DEP_1)
	v_add_nc_u32_e32 v5, v5, v8
	ds_bpermute_b32 v8, v60, v5
	s_waitcnt lgkmcnt(0)
	v_cndmask_b32_e32 v7, 0, v8, vcc_lo
	v_add3_u32 v5, v7, v2, v5
.LBB1251_97:                            ; =>This Loop Header: Depth=1
                                        ;     Child Loop BB1251_100 Depth 2
                                        ;       Child Loop BB1251_101 Depth 3
	v_and_b32_e32 v2, 0xff, v6
	s_delay_alu instid0(VALU_DEP_1) | instskip(SKIP_2) | instid1(VALU_DEP_1)
	v_cmp_ne_u16_e32 vcc_lo, 2, v2
	v_cndmask_b32_e64 v2, 0, 1, vcc_lo
	;;#ASMSTART
	;;#ASMEND
	v_cmp_ne_u32_e32 vcc_lo, 0, v2
	v_mov_b32_e32 v2, v5
	s_cmp_lg_u32 vcc_lo, exec_lo
	s_cbranch_scc1 .LBB1251_104
; %bb.98:                               ;   in Loop: Header=BB1251_97 Depth=1
	v_lshlrev_b64 v[5:6], 3, v[3:4]
	s_mov_b32 s9, exec_lo
	s_delay_alu instid0(VALU_DEP_1) | instskip(NEXT) | instid1(VALU_DEP_2)
	v_add_co_u32 v7, vcc_lo, s18, v5
	v_add_co_ci_u32_e32 v8, vcc_lo, s19, v6, vcc_lo
	global_load_b64 v[5:6], v[7:8], off glc
	s_waitcnt vmcnt(0)
	v_and_b32_e32 v62, 0xff, v6
	s_delay_alu instid0(VALU_DEP_1)
	v_cmpx_eq_u16_e32 0, v62
	s_cbranch_execz .LBB1251_96
; %bb.99:                               ;   in Loop: Header=BB1251_97 Depth=1
	s_mov_b32 s11, 1
	s_mov_b32 s10, 0
	.p2align	6
.LBB1251_100:                           ;   Parent Loop BB1251_97 Depth=1
                                        ; =>  This Loop Header: Depth=2
                                        ;       Child Loop BB1251_101 Depth 3
	s_max_u32 s21, s11, 1
.LBB1251_101:                           ;   Parent Loop BB1251_97 Depth=1
                                        ;     Parent Loop BB1251_100 Depth=2
                                        ; =>    This Inner Loop Header: Depth=3
	s_delay_alu instid0(SALU_CYCLE_1)
	s_add_i32 s21, s21, -1
	s_sleep 1
	s_cmp_eq_u32 s21, 0
	s_cbranch_scc0 .LBB1251_101
; %bb.102:                              ;   in Loop: Header=BB1251_100 Depth=2
	global_load_b64 v[5:6], v[7:8], off glc
	s_cmp_lt_u32 s11, 32
	s_cselect_b32 s21, -1, 0
	s_delay_alu instid0(SALU_CYCLE_1) | instskip(SKIP_3) | instid1(VALU_DEP_1)
	s_cmp_lg_u32 s21, 0
	s_addc_u32 s11, s11, 0
	s_waitcnt vmcnt(0)
	v_and_b32_e32 v62, 0xff, v6
	v_cmp_ne_u16_e32 vcc_lo, 0, v62
	s_or_b32 s10, vcc_lo, s10
	s_delay_alu instid0(SALU_CYCLE_1)
	s_and_not1_b32 exec_lo, exec_lo, s10
	s_cbranch_execnz .LBB1251_100
; %bb.103:                              ;   in Loop: Header=BB1251_97 Depth=1
	s_or_b32 exec_lo, exec_lo, s10
	s_branch .LBB1251_96
.LBB1251_104:                           ;   in Loop: Header=BB1251_97 Depth=1
                                        ; implicit-def: $vgpr5
                                        ; implicit-def: $vgpr6
	s_cbranch_execz .LBB1251_97
; %bb.105:
	s_and_saveexec_b32 s9, s7
	s_cbranch_execz .LBB1251_107
; %bb.106:
	s_add_i32 s10, s20, 32
	s_mov_b32 s11, 0
	v_dual_mov_b32 v4, 2 :: v_dual_add_nc_u32 v3, v2, v1
	s_lshl_b64 s[10:11], s[10:11], 3
	v_mov_b32_e32 v5, 0
	s_add_u32 s10, s18, s10
	s_addc_u32 s11, s19, s11
	global_store_b64 v5, v[3:4], s[10:11]
	ds_store_b64 v5, v[1:2] offset:5632
.LBB1251_107:
	s_or_b32 exec_lo, exec_lo, s9
	s_delay_alu instid0(SALU_CYCLE_1)
	s_and_b32 exec_lo, exec_lo, s2
	s_cbranch_execz .LBB1251_109
; %bb.108:
	v_mov_b32_e32 v1, 0
	ds_store_b32 v1, v2 offset:12
.LBB1251_109:
	s_or_b32 exec_lo, exec_lo, s8
	v_mov_b32_e32 v11, 0
	s_waitcnt lgkmcnt(0)
	s_waitcnt_vscnt null, 0x0
	s_barrier
	buffer_gl0_inv
	v_cndmask_b32_e64 v2, v10, v9, s7
	ds_load_b32 v1, v11 offset:12
	s_waitcnt lgkmcnt(0)
	s_barrier
	buffer_gl0_inv
	v_cndmask_b32_e64 v2, v2, 0, s2
	s_delay_alu instid0(VALU_DEP_1) | instskip(NEXT) | instid1(VALU_DEP_1)
	v_add_nc_u32_e32 v1, v1, v2
	v_add_nc_u32_e32 v2, v1, v45
	ds_load_b64 v[16:17], v11 offset:5632
	v_add_nc_u32_e32 v3, v2, v46
	s_delay_alu instid0(VALU_DEP_1) | instskip(NEXT) | instid1(VALU_DEP_1)
	v_add_nc_u32_e32 v4, v3, v47
	v_add_nc_u32_e32 v5, v4, v49
	s_delay_alu instid0(VALU_DEP_1) | instskip(NEXT) | instid1(VALU_DEP_1)
	v_add_nc_u32_e32 v6, v5, v48
	;; [unrolled: 3-line block ×4, first 2 shown]
	v_add_nc_u32_e32 v11, v10, v53
	v_lshrrev_b64 v[33:34], 24, v[31:32]
	s_branch .LBB1251_120
.LBB1251_110:
                                        ; implicit-def: $vgpr17
                                        ; implicit-def: $vgpr1_vgpr2_vgpr3_vgpr4_vgpr5_vgpr6_vgpr7_vgpr8_vgpr9_vgpr10_vgpr11
	v_lshrrev_b64 v[33:34], 24, v[31:32]
	s_and_b32 vcc_lo, exec_lo, s7
	s_cbranch_vccz .LBB1251_120
; %bb.111:
	v_mov_b32_dpp v1, v56 row_shr:1 row_mask:0xf bank_mask:0xf
	s_delay_alu instid0(VALU_DEP_1) | instskip(NEXT) | instid1(VALU_DEP_1)
	v_cndmask_b32_e64 v1, v1, 0, s6
	v_add_nc_u32_e32 v1, v1, v56
	s_delay_alu instid0(VALU_DEP_1) | instskip(NEXT) | instid1(VALU_DEP_1)
	v_mov_b32_dpp v2, v1 row_shr:2 row_mask:0xf bank_mask:0xf
	v_cndmask_b32_e64 v2, 0, v2, s5
	s_delay_alu instid0(VALU_DEP_1) | instskip(NEXT) | instid1(VALU_DEP_1)
	v_add_nc_u32_e32 v1, v1, v2
	v_mov_b32_dpp v2, v1 row_shr:4 row_mask:0xf bank_mask:0xf
	s_delay_alu instid0(VALU_DEP_1) | instskip(NEXT) | instid1(VALU_DEP_1)
	v_cndmask_b32_e64 v2, 0, v2, s4
	v_add_nc_u32_e32 v1, v1, v2
	s_delay_alu instid0(VALU_DEP_1) | instskip(NEXT) | instid1(VALU_DEP_1)
	v_mov_b32_dpp v2, v1 row_shr:8 row_mask:0xf bank_mask:0xf
	v_cndmask_b32_e64 v2, 0, v2, s3
	s_delay_alu instid0(VALU_DEP_1) | instskip(SKIP_3) | instid1(VALU_DEP_1)
	v_add_nc_u32_e32 v1, v1, v2
	ds_swizzle_b32 v2, v1 offset:swizzle(BROADCAST,32,15)
	s_waitcnt lgkmcnt(0)
	v_cndmask_b32_e64 v2, v2, 0, s1
	v_add_nc_u32_e32 v1, v1, v2
	s_and_saveexec_b32 s1, s0
	s_cbranch_execz .LBB1251_113
; %bb.112:
	v_lshlrev_b32_e32 v2, 2, v55
	ds_store_b32 v2, v1
.LBB1251_113:
	s_or_b32 exec_lo, exec_lo, s1
	s_delay_alu instid0(SALU_CYCLE_1)
	s_mov_b32 s0, exec_lo
	s_waitcnt lgkmcnt(0)
	s_barrier
	buffer_gl0_inv
	v_cmpx_gt_u32_e32 4, v0
	s_cbranch_execz .LBB1251_115
; %bb.114:
	v_mad_i32_i24 v2, 0xffffffd8, v0, v43
	ds_load_b32 v3, v2
	s_waitcnt lgkmcnt(0)
	v_mov_b32_dpp v5, v3 row_shr:1 row_mask:0xf bank_mask:0xf
	v_and_b32_e32 v4, 3, v54
	s_delay_alu instid0(VALU_DEP_1) | instskip(NEXT) | instid1(VALU_DEP_3)
	v_cmp_ne_u32_e32 vcc_lo, 0, v4
	v_cndmask_b32_e32 v5, 0, v5, vcc_lo
	v_cmp_lt_u32_e32 vcc_lo, 1, v4
	s_delay_alu instid0(VALU_DEP_2) | instskip(NEXT) | instid1(VALU_DEP_1)
	v_add_nc_u32_e32 v3, v5, v3
	v_mov_b32_dpp v5, v3 row_shr:2 row_mask:0xf bank_mask:0xf
	s_delay_alu instid0(VALU_DEP_1) | instskip(NEXT) | instid1(VALU_DEP_1)
	v_cndmask_b32_e32 v4, 0, v5, vcc_lo
	v_add_nc_u32_e32 v3, v3, v4
	ds_store_b32 v2, v3
.LBB1251_115:
	s_or_b32 exec_lo, exec_lo, s0
	v_dual_mov_b32 v3, 0 :: v_dual_mov_b32 v2, 0
	s_mov_b32 s0, exec_lo
	s_waitcnt lgkmcnt(0)
	s_barrier
	buffer_gl0_inv
	v_cmpx_lt_u32_e32 31, v0
	s_cbranch_execz .LBB1251_117
; %bb.116:
	v_lshl_add_u32 v2, v55, 2, -4
	ds_load_b32 v2, v2
.LBB1251_117:
	s_or_b32 exec_lo, exec_lo, s0
	v_add_nc_u32_e32 v4, -1, v54
	ds_load_b32 v16, v3 offset:12
	s_waitcnt lgkmcnt(1)
	v_add_nc_u32_e32 v1, v2, v1
	v_cmp_gt_i32_e32 vcc_lo, 0, v4
	v_cndmask_b32_e32 v4, v4, v54, vcc_lo
	s_delay_alu instid0(VALU_DEP_1)
	v_lshlrev_b32_e32 v4, 2, v4
	ds_bpermute_b32 v1, v4, v1
	s_and_saveexec_b32 s0, s2
	s_cbranch_execz .LBB1251_119
; %bb.118:
	v_mov_b32_e32 v3, 0
	v_mov_b32_e32 v17, 2
	s_waitcnt lgkmcnt(1)
	global_store_b64 v3, v[16:17], s[18:19] offset:256
.LBB1251_119:
	s_or_b32 exec_lo, exec_lo, s0
	v_cmp_eq_u32_e32 vcc_lo, 0, v54
	s_waitcnt lgkmcnt(0)
	s_waitcnt_vscnt null, 0x0
	s_barrier
	buffer_gl0_inv
	v_mov_b32_e32 v17, 0
	v_cndmask_b32_e32 v1, v1, v2, vcc_lo
	s_delay_alu instid0(VALU_DEP_1) | instskip(NEXT) | instid1(VALU_DEP_1)
	v_cndmask_b32_e64 v1, v1, 0, s2
	v_add_nc_u32_e32 v2, v1, v45
	s_delay_alu instid0(VALU_DEP_1) | instskip(NEXT) | instid1(VALU_DEP_1)
	v_add_nc_u32_e32 v3, v2, v46
	v_add_nc_u32_e32 v4, v3, v47
	s_delay_alu instid0(VALU_DEP_1) | instskip(NEXT) | instid1(VALU_DEP_1)
	v_add_nc_u32_e32 v5, v4, v49
	;; [unrolled: 3-line block ×4, first 2 shown]
	v_add_nc_u32_e32 v10, v9, v52
	s_delay_alu instid0(VALU_DEP_1)
	v_add_nc_u32_e32 v11, v10, v53
.LBB1251_120:
	v_lshrrev_b32_e32 v47, 16, v31
	v_lshrrev_b32_e32 v48, 8, v31
	v_and_b32_e32 v31, 1, v31
	s_waitcnt lgkmcnt(0)
	v_cmp_gt_u32_e64 s0, 0x81, v16
	v_lshrrev_b32_e32 v34, 16, v18
	v_lshrrev_b32_e32 v46, 8, v32
	;; [unrolled: 1-line block ×4, first 2 shown]
	v_cmp_eq_u32_e64 s1, 1, v31
	s_and_b32 vcc_lo, exec_lo, s0
	s_cbranch_vccnz .LBB1251_144
; %bb.121:
	s_delay_alu instid0(VALU_DEP_1)
	s_and_saveexec_b32 s3, s1
	s_cbranch_execz .LBB1251_123
; %bb.122:
	v_sub_nc_u32_e32 v49, v1, v17
	s_delay_alu instid0(VALU_DEP_1)
	v_lshlrev_b32_e32 v49, 1, v49
	ds_store_b16 v49, v12
.LBB1251_123:
	s_or_b32 exec_lo, exec_lo, s3
	v_and_b32_e32 v12, 1, v48
	s_mov_b32 s1, exec_lo
	s_delay_alu instid0(VALU_DEP_1)
	v_cmpx_eq_u32_e32 1, v12
	s_cbranch_execz .LBB1251_125
; %bb.124:
	v_sub_nc_u32_e32 v12, v2, v17
	s_delay_alu instid0(VALU_DEP_1)
	v_lshlrev_b32_e32 v12, 1, v12
	ds_store_b16 v12, v42
.LBB1251_125:
	s_or_b32 exec_lo, exec_lo, s1
	v_and_b32_e32 v12, 1, v47
	s_mov_b32 s1, exec_lo
	s_delay_alu instid0(VALU_DEP_1)
	v_cmpx_eq_u32_e32 1, v12
	;; [unrolled: 12-line block ×10, first 2 shown]
	s_cbranch_execz .LBB1251_143
; %bb.142:
	v_sub_nc_u32_e32 v12, v11, v17
	s_delay_alu instid0(VALU_DEP_1)
	v_lshlrev_b32_e32 v12, 1, v12
	ds_store_b16 v12, v36
.LBB1251_143:
	s_or_b32 exec_lo, exec_lo, s1
	s_waitcnt lgkmcnt(0)
	s_barrier
	buffer_gl0_inv
.LBB1251_144:
	s_and_b32 vcc_lo, exec_lo, s0
	s_mov_b32 s0, -1
	s_barrier
	buffer_gl0_inv
	s_cbranch_vccnz .LBB1251_148
; %bb.145:
	s_and_b32 vcc_lo, exec_lo, s0
	s_cbranch_vccnz .LBB1251_182
.LBB1251_146:
	s_and_b32 s0, s2, s14
	s_delay_alu instid0(SALU_CYCLE_1)
	s_and_saveexec_b32 s1, s0
	s_cbranch_execnz .LBB1251_208
.LBB1251_147:
	s_nop 0
	s_sendmsg sendmsg(MSG_DEALLOC_VGPRS)
	s_endpgm
.LBB1251_148:
	v_lshlrev_b64 v[12:13], 2, v[19:20]
	v_add_nc_u32_e32 v14, v17, v16
	s_delay_alu instid0(VALU_DEP_1) | instskip(NEXT) | instid1(VALU_DEP_3)
	v_cmp_lt_u32_e32 vcc_lo, v1, v14
	v_add_co_u32 v12, s0, s16, v12
	s_delay_alu instid0(VALU_DEP_1) | instskip(SKIP_1) | instid1(SALU_CYCLE_1)
	v_add_co_ci_u32_e64 v13, s0, s17, v13, s0
	s_or_b32 s1, s15, vcc_lo
	s_and_saveexec_b32 s0, s1
	s_cbranch_execz .LBB1251_151
; %bb.149:
	v_cmp_eq_u32_e32 vcc_lo, 1, v31
	s_and_b32 exec_lo, exec_lo, vcc_lo
	s_cbranch_execz .LBB1251_151
; %bb.150:
	v_dual_mov_b32 v37, 0 :: v_dual_mov_b32 v36, v1
	s_delay_alu instid0(VALU_DEP_1) | instskip(NEXT) | instid1(VALU_DEP_1)
	v_lshlrev_b64 v[36:37], 2, v[36:37]
	v_add_co_u32 v36, vcc_lo, v12, v36
	s_delay_alu instid0(VALU_DEP_2)
	v_add_co_ci_u32_e32 v37, vcc_lo, v13, v37, vcc_lo
	global_store_b32 v[36:37], v29, off
.LBB1251_151:
	s_or_b32 exec_lo, exec_lo, s0
	v_cmp_lt_u32_e32 vcc_lo, v2, v14
	s_or_b32 s1, s15, vcc_lo
	s_delay_alu instid0(SALU_CYCLE_1)
	s_and_saveexec_b32 s0, s1
	s_cbranch_execz .LBB1251_154
; %bb.152:
	v_and_b32_e32 v15, 1, v48
	s_delay_alu instid0(VALU_DEP_1)
	v_cmp_eq_u32_e32 vcc_lo, 1, v15
	s_and_b32 exec_lo, exec_lo, vcc_lo
	s_cbranch_execz .LBB1251_154
; %bb.153:
	v_dual_mov_b32 v37, 0 :: v_dual_mov_b32 v36, v2
	s_delay_alu instid0(VALU_DEP_1) | instskip(NEXT) | instid1(VALU_DEP_1)
	v_lshlrev_b64 v[36:37], 2, v[36:37]
	v_add_co_u32 v36, vcc_lo, v12, v36
	s_delay_alu instid0(VALU_DEP_2)
	v_add_co_ci_u32_e32 v37, vcc_lo, v13, v37, vcc_lo
	global_store_b32 v[36:37], v30, off
.LBB1251_154:
	s_or_b32 exec_lo, exec_lo, s0
	v_cmp_lt_u32_e32 vcc_lo, v3, v14
	s_or_b32 s1, s15, vcc_lo
	s_delay_alu instid0(SALU_CYCLE_1)
	s_and_saveexec_b32 s0, s1
	s_cbranch_execz .LBB1251_157
; %bb.155:
	v_and_b32_e32 v15, 1, v47
	s_delay_alu instid0(VALU_DEP_1)
	v_cmp_eq_u32_e32 vcc_lo, 1, v15
	s_and_b32 exec_lo, exec_lo, vcc_lo
	s_cbranch_execz .LBB1251_157
; %bb.156:
	v_dual_mov_b32 v37, 0 :: v_dual_mov_b32 v36, v3
	s_delay_alu instid0(VALU_DEP_1) | instskip(NEXT) | instid1(VALU_DEP_1)
	v_lshlrev_b64 v[36:37], 2, v[36:37]
	v_add_co_u32 v36, vcc_lo, v12, v36
	s_delay_alu instid0(VALU_DEP_2)
	v_add_co_ci_u32_e32 v37, vcc_lo, v13, v37, vcc_lo
	global_store_b32 v[36:37], v27, off
.LBB1251_157:
	;; [unrolled: 21-line block ×10, first 2 shown]
	s_or_b32 exec_lo, exec_lo, s0
	s_branch .LBB1251_146
.LBB1251_182:
	s_mov_b32 s0, exec_lo
	v_cmpx_eq_u32_e32 1, v31
	s_cbranch_execz .LBB1251_184
; %bb.183:
	v_sub_nc_u32_e32 v1, v1, v17
	s_delay_alu instid0(VALU_DEP_1)
	v_lshlrev_b32_e32 v1, 2, v1
	ds_store_b32 v1, v29
.LBB1251_184:
	s_or_b32 exec_lo, exec_lo, s0
	v_and_b32_e32 v1, 1, v48
	s_mov_b32 s0, exec_lo
	s_delay_alu instid0(VALU_DEP_1)
	v_cmpx_eq_u32_e32 1, v1
	s_cbranch_execz .LBB1251_186
; %bb.185:
	v_sub_nc_u32_e32 v1, v2, v17
	s_delay_alu instid0(VALU_DEP_1)
	v_lshlrev_b32_e32 v1, 2, v1
	ds_store_b32 v1, v30
.LBB1251_186:
	s_or_b32 exec_lo, exec_lo, s0
	v_and_b32_e32 v1, 1, v47
	s_mov_b32 s0, exec_lo
	s_delay_alu instid0(VALU_DEP_1)
	;; [unrolled: 12-line block ×10, first 2 shown]
	v_cmpx_eq_u32_e32 1, v1
	s_cbranch_execz .LBB1251_204
; %bb.203:
	v_sub_nc_u32_e32 v1, v11, v17
	s_delay_alu instid0(VALU_DEP_1)
	v_lshlrev_b32_e32 v1, 2, v1
	ds_store_b32 v1, v35
.LBB1251_204:
	s_or_b32 exec_lo, exec_lo, s0
	s_delay_alu instid0(SALU_CYCLE_1)
	s_mov_b32 s1, exec_lo
	s_waitcnt lgkmcnt(0)
	s_waitcnt_vscnt null, 0x0
	s_barrier
	buffer_gl0_inv
	v_cmpx_lt_u32_e64 v0, v16
	s_cbranch_execz .LBB1251_207
; %bb.205:
	v_dual_mov_b32 v1, 0 :: v_dual_mov_b32 v2, v17
	v_lshlrev_b64 v[4:5], 2, v[19:20]
	s_mov_b32 s3, 0
	s_delay_alu instid0(VALU_DEP_2) | instskip(NEXT) | instid1(VALU_DEP_2)
	v_mov_b32_e32 v3, v1
	v_add_co_u32 v4, vcc_lo, s16, v4
	s_delay_alu instid0(VALU_DEP_2) | instskip(NEXT) | instid1(VALU_DEP_4)
	v_lshlrev_b64 v[2:3], 2, v[2:3]
	v_add_co_ci_u32_e32 v5, vcc_lo, s17, v5, vcc_lo
	s_delay_alu instid0(VALU_DEP_2) | instskip(SKIP_1) | instid1(VALU_DEP_3)
	v_add_co_u32 v2, vcc_lo, v4, v2
	v_lshlrev_b32_e32 v4, 2, v0
	v_add_co_ci_u32_e32 v3, vcc_lo, v5, v3, vcc_lo
	.p2align	6
.LBB1251_206:                           ; =>This Inner Loop Header: Depth=1
	ds_load_b32 v7, v4
	v_lshlrev_b64 v[5:6], 2, v[0:1]
	v_add_nc_u32_e32 v0, 0x80, v0
	v_add_nc_u32_e32 v4, 0x200, v4
	s_delay_alu instid0(VALU_DEP_2) | instskip(NEXT) | instid1(VALU_DEP_4)
	v_cmp_ge_u32_e32 vcc_lo, v0, v16
	v_add_co_u32 v5, s0, v2, v5
	s_delay_alu instid0(VALU_DEP_1)
	v_add_co_ci_u32_e64 v6, s0, v3, v6, s0
	s_or_b32 s3, vcc_lo, s3
	s_waitcnt lgkmcnt(0)
	global_store_b32 v[5:6], v7, off
	s_and_not1_b32 exec_lo, exec_lo, s3
	s_cbranch_execnz .LBB1251_206
.LBB1251_207:
	s_or_b32 exec_lo, exec_lo, s1
	s_and_b32 s0, s2, s14
	s_delay_alu instid0(SALU_CYCLE_1)
	s_and_saveexec_b32 s1, s0
	s_cbranch_execz .LBB1251_147
.LBB1251_208:
	v_add_co_u32 v0, vcc_lo, v19, v16
	v_add_co_ci_u32_e32 v1, vcc_lo, 0, v20, vcc_lo
	v_mov_b32_e32 v2, 0
	s_delay_alu instid0(VALU_DEP_3) | instskip(NEXT) | instid1(VALU_DEP_3)
	v_add_co_u32 v0, vcc_lo, v0, v17
	v_add_co_ci_u32_e32 v1, vcc_lo, 0, v1, vcc_lo
	global_store_b64 v2, v[0:1], s[12:13]
	s_nop 0
	s_sendmsg sendmsg(MSG_DEALLOC_VGPRS)
	s_endpgm
.LBB1251_209:
	s_or_b32 exec_lo, exec_lo, s1
	s_and_saveexec_b32 s1, s24
	s_cbranch_execnz .LBB1251_76
	s_branch .LBB1251_77
	.section	.rodata,"a",@progbits
	.p2align	6, 0x0
	.amdhsa_kernel _ZN7rocprim17ROCPRIM_400000_NS6detail17trampoline_kernelINS0_14default_configENS1_25partition_config_selectorILNS1_17partition_subalgoE9EsjbEEZZNS1_14partition_implILS5_9ELb0ES3_jN6thrust23THRUST_200600_302600_NS6detail15normal_iteratorINS9_10device_ptrIsEEEENSB_INSC_IjEEEEPNS0_10empty_typeENS0_5tupleIJNS9_16discard_iteratorINS9_11use_defaultEEESH_EEENSJ_IJSG_SI_EEENS0_18inequality_wrapperINS9_8equal_toIsEEEEPmJSH_EEE10hipError_tPvRmT3_T4_T5_T6_T7_T9_mT8_P12ihipStream_tbDpT10_ENKUlT_T0_E_clISt17integral_constantIbLb1EES1D_EEDaS18_S19_EUlS18_E_NS1_11comp_targetILNS1_3genE9ELNS1_11target_archE1100ELNS1_3gpuE3ELNS1_3repE0EEENS1_30default_config_static_selectorELNS0_4arch9wavefront6targetE0EEEvT1_
		.amdhsa_group_segment_fixed_size 5640
		.amdhsa_private_segment_fixed_size 0
		.amdhsa_kernarg_size 136
		.amdhsa_user_sgpr_count 15
		.amdhsa_user_sgpr_dispatch_ptr 0
		.amdhsa_user_sgpr_queue_ptr 0
		.amdhsa_user_sgpr_kernarg_segment_ptr 1
		.amdhsa_user_sgpr_dispatch_id 0
		.amdhsa_user_sgpr_private_segment_size 0
		.amdhsa_wavefront_size32 1
		.amdhsa_uses_dynamic_stack 0
		.amdhsa_enable_private_segment 0
		.amdhsa_system_sgpr_workgroup_id_x 1
		.amdhsa_system_sgpr_workgroup_id_y 0
		.amdhsa_system_sgpr_workgroup_id_z 0
		.amdhsa_system_sgpr_workgroup_info 0
		.amdhsa_system_vgpr_workitem_id 0
		.amdhsa_next_free_vgpr 63
		.amdhsa_next_free_sgpr 26
		.amdhsa_reserve_vcc 1
		.amdhsa_float_round_mode_32 0
		.amdhsa_float_round_mode_16_64 0
		.amdhsa_float_denorm_mode_32 3
		.amdhsa_float_denorm_mode_16_64 3
		.amdhsa_dx10_clamp 1
		.amdhsa_ieee_mode 1
		.amdhsa_fp16_overflow 0
		.amdhsa_workgroup_processor_mode 1
		.amdhsa_memory_ordered 1
		.amdhsa_forward_progress 0
		.amdhsa_shared_vgpr_count 0
		.amdhsa_exception_fp_ieee_invalid_op 0
		.amdhsa_exception_fp_denorm_src 0
		.amdhsa_exception_fp_ieee_div_zero 0
		.amdhsa_exception_fp_ieee_overflow 0
		.amdhsa_exception_fp_ieee_underflow 0
		.amdhsa_exception_fp_ieee_inexact 0
		.amdhsa_exception_int_div_zero 0
	.end_amdhsa_kernel
	.section	.text._ZN7rocprim17ROCPRIM_400000_NS6detail17trampoline_kernelINS0_14default_configENS1_25partition_config_selectorILNS1_17partition_subalgoE9EsjbEEZZNS1_14partition_implILS5_9ELb0ES3_jN6thrust23THRUST_200600_302600_NS6detail15normal_iteratorINS9_10device_ptrIsEEEENSB_INSC_IjEEEEPNS0_10empty_typeENS0_5tupleIJNS9_16discard_iteratorINS9_11use_defaultEEESH_EEENSJ_IJSG_SI_EEENS0_18inequality_wrapperINS9_8equal_toIsEEEEPmJSH_EEE10hipError_tPvRmT3_T4_T5_T6_T7_T9_mT8_P12ihipStream_tbDpT10_ENKUlT_T0_E_clISt17integral_constantIbLb1EES1D_EEDaS18_S19_EUlS18_E_NS1_11comp_targetILNS1_3genE9ELNS1_11target_archE1100ELNS1_3gpuE3ELNS1_3repE0EEENS1_30default_config_static_selectorELNS0_4arch9wavefront6targetE0EEEvT1_,"axG",@progbits,_ZN7rocprim17ROCPRIM_400000_NS6detail17trampoline_kernelINS0_14default_configENS1_25partition_config_selectorILNS1_17partition_subalgoE9EsjbEEZZNS1_14partition_implILS5_9ELb0ES3_jN6thrust23THRUST_200600_302600_NS6detail15normal_iteratorINS9_10device_ptrIsEEEENSB_INSC_IjEEEEPNS0_10empty_typeENS0_5tupleIJNS9_16discard_iteratorINS9_11use_defaultEEESH_EEENSJ_IJSG_SI_EEENS0_18inequality_wrapperINS9_8equal_toIsEEEEPmJSH_EEE10hipError_tPvRmT3_T4_T5_T6_T7_T9_mT8_P12ihipStream_tbDpT10_ENKUlT_T0_E_clISt17integral_constantIbLb1EES1D_EEDaS18_S19_EUlS18_E_NS1_11comp_targetILNS1_3genE9ELNS1_11target_archE1100ELNS1_3gpuE3ELNS1_3repE0EEENS1_30default_config_static_selectorELNS0_4arch9wavefront6targetE0EEEvT1_,comdat
.Lfunc_end1251:
	.size	_ZN7rocprim17ROCPRIM_400000_NS6detail17trampoline_kernelINS0_14default_configENS1_25partition_config_selectorILNS1_17partition_subalgoE9EsjbEEZZNS1_14partition_implILS5_9ELb0ES3_jN6thrust23THRUST_200600_302600_NS6detail15normal_iteratorINS9_10device_ptrIsEEEENSB_INSC_IjEEEEPNS0_10empty_typeENS0_5tupleIJNS9_16discard_iteratorINS9_11use_defaultEEESH_EEENSJ_IJSG_SI_EEENS0_18inequality_wrapperINS9_8equal_toIsEEEEPmJSH_EEE10hipError_tPvRmT3_T4_T5_T6_T7_T9_mT8_P12ihipStream_tbDpT10_ENKUlT_T0_E_clISt17integral_constantIbLb1EES1D_EEDaS18_S19_EUlS18_E_NS1_11comp_targetILNS1_3genE9ELNS1_11target_archE1100ELNS1_3gpuE3ELNS1_3repE0EEENS1_30default_config_static_selectorELNS0_4arch9wavefront6targetE0EEEvT1_, .Lfunc_end1251-_ZN7rocprim17ROCPRIM_400000_NS6detail17trampoline_kernelINS0_14default_configENS1_25partition_config_selectorILNS1_17partition_subalgoE9EsjbEEZZNS1_14partition_implILS5_9ELb0ES3_jN6thrust23THRUST_200600_302600_NS6detail15normal_iteratorINS9_10device_ptrIsEEEENSB_INSC_IjEEEEPNS0_10empty_typeENS0_5tupleIJNS9_16discard_iteratorINS9_11use_defaultEEESH_EEENSJ_IJSG_SI_EEENS0_18inequality_wrapperINS9_8equal_toIsEEEEPmJSH_EEE10hipError_tPvRmT3_T4_T5_T6_T7_T9_mT8_P12ihipStream_tbDpT10_ENKUlT_T0_E_clISt17integral_constantIbLb1EES1D_EEDaS18_S19_EUlS18_E_NS1_11comp_targetILNS1_3genE9ELNS1_11target_archE1100ELNS1_3gpuE3ELNS1_3repE0EEENS1_30default_config_static_selectorELNS0_4arch9wavefront6targetE0EEEvT1_
                                        ; -- End function
	.section	.AMDGPU.csdata,"",@progbits
; Kernel info:
; codeLenInByte = 9456
; NumSgprs: 28
; NumVgprs: 63
; ScratchSize: 0
; MemoryBound: 0
; FloatMode: 240
; IeeeMode: 1
; LDSByteSize: 5640 bytes/workgroup (compile time only)
; SGPRBlocks: 3
; VGPRBlocks: 7
; NumSGPRsForWavesPerEU: 28
; NumVGPRsForWavesPerEU: 63
; Occupancy: 16
; WaveLimiterHint : 1
; COMPUTE_PGM_RSRC2:SCRATCH_EN: 0
; COMPUTE_PGM_RSRC2:USER_SGPR: 15
; COMPUTE_PGM_RSRC2:TRAP_HANDLER: 0
; COMPUTE_PGM_RSRC2:TGID_X_EN: 1
; COMPUTE_PGM_RSRC2:TGID_Y_EN: 0
; COMPUTE_PGM_RSRC2:TGID_Z_EN: 0
; COMPUTE_PGM_RSRC2:TIDIG_COMP_CNT: 0
	.section	.text._ZN7rocprim17ROCPRIM_400000_NS6detail17trampoline_kernelINS0_14default_configENS1_25partition_config_selectorILNS1_17partition_subalgoE9EsjbEEZZNS1_14partition_implILS5_9ELb0ES3_jN6thrust23THRUST_200600_302600_NS6detail15normal_iteratorINS9_10device_ptrIsEEEENSB_INSC_IjEEEEPNS0_10empty_typeENS0_5tupleIJNS9_16discard_iteratorINS9_11use_defaultEEESH_EEENSJ_IJSG_SI_EEENS0_18inequality_wrapperINS9_8equal_toIsEEEEPmJSH_EEE10hipError_tPvRmT3_T4_T5_T6_T7_T9_mT8_P12ihipStream_tbDpT10_ENKUlT_T0_E_clISt17integral_constantIbLb1EES1D_EEDaS18_S19_EUlS18_E_NS1_11comp_targetILNS1_3genE8ELNS1_11target_archE1030ELNS1_3gpuE2ELNS1_3repE0EEENS1_30default_config_static_selectorELNS0_4arch9wavefront6targetE0EEEvT1_,"axG",@progbits,_ZN7rocprim17ROCPRIM_400000_NS6detail17trampoline_kernelINS0_14default_configENS1_25partition_config_selectorILNS1_17partition_subalgoE9EsjbEEZZNS1_14partition_implILS5_9ELb0ES3_jN6thrust23THRUST_200600_302600_NS6detail15normal_iteratorINS9_10device_ptrIsEEEENSB_INSC_IjEEEEPNS0_10empty_typeENS0_5tupleIJNS9_16discard_iteratorINS9_11use_defaultEEESH_EEENSJ_IJSG_SI_EEENS0_18inequality_wrapperINS9_8equal_toIsEEEEPmJSH_EEE10hipError_tPvRmT3_T4_T5_T6_T7_T9_mT8_P12ihipStream_tbDpT10_ENKUlT_T0_E_clISt17integral_constantIbLb1EES1D_EEDaS18_S19_EUlS18_E_NS1_11comp_targetILNS1_3genE8ELNS1_11target_archE1030ELNS1_3gpuE2ELNS1_3repE0EEENS1_30default_config_static_selectorELNS0_4arch9wavefront6targetE0EEEvT1_,comdat
	.protected	_ZN7rocprim17ROCPRIM_400000_NS6detail17trampoline_kernelINS0_14default_configENS1_25partition_config_selectorILNS1_17partition_subalgoE9EsjbEEZZNS1_14partition_implILS5_9ELb0ES3_jN6thrust23THRUST_200600_302600_NS6detail15normal_iteratorINS9_10device_ptrIsEEEENSB_INSC_IjEEEEPNS0_10empty_typeENS0_5tupleIJNS9_16discard_iteratorINS9_11use_defaultEEESH_EEENSJ_IJSG_SI_EEENS0_18inequality_wrapperINS9_8equal_toIsEEEEPmJSH_EEE10hipError_tPvRmT3_T4_T5_T6_T7_T9_mT8_P12ihipStream_tbDpT10_ENKUlT_T0_E_clISt17integral_constantIbLb1EES1D_EEDaS18_S19_EUlS18_E_NS1_11comp_targetILNS1_3genE8ELNS1_11target_archE1030ELNS1_3gpuE2ELNS1_3repE0EEENS1_30default_config_static_selectorELNS0_4arch9wavefront6targetE0EEEvT1_ ; -- Begin function _ZN7rocprim17ROCPRIM_400000_NS6detail17trampoline_kernelINS0_14default_configENS1_25partition_config_selectorILNS1_17partition_subalgoE9EsjbEEZZNS1_14partition_implILS5_9ELb0ES3_jN6thrust23THRUST_200600_302600_NS6detail15normal_iteratorINS9_10device_ptrIsEEEENSB_INSC_IjEEEEPNS0_10empty_typeENS0_5tupleIJNS9_16discard_iteratorINS9_11use_defaultEEESH_EEENSJ_IJSG_SI_EEENS0_18inequality_wrapperINS9_8equal_toIsEEEEPmJSH_EEE10hipError_tPvRmT3_T4_T5_T6_T7_T9_mT8_P12ihipStream_tbDpT10_ENKUlT_T0_E_clISt17integral_constantIbLb1EES1D_EEDaS18_S19_EUlS18_E_NS1_11comp_targetILNS1_3genE8ELNS1_11target_archE1030ELNS1_3gpuE2ELNS1_3repE0EEENS1_30default_config_static_selectorELNS0_4arch9wavefront6targetE0EEEvT1_
	.globl	_ZN7rocprim17ROCPRIM_400000_NS6detail17trampoline_kernelINS0_14default_configENS1_25partition_config_selectorILNS1_17partition_subalgoE9EsjbEEZZNS1_14partition_implILS5_9ELb0ES3_jN6thrust23THRUST_200600_302600_NS6detail15normal_iteratorINS9_10device_ptrIsEEEENSB_INSC_IjEEEEPNS0_10empty_typeENS0_5tupleIJNS9_16discard_iteratorINS9_11use_defaultEEESH_EEENSJ_IJSG_SI_EEENS0_18inequality_wrapperINS9_8equal_toIsEEEEPmJSH_EEE10hipError_tPvRmT3_T4_T5_T6_T7_T9_mT8_P12ihipStream_tbDpT10_ENKUlT_T0_E_clISt17integral_constantIbLb1EES1D_EEDaS18_S19_EUlS18_E_NS1_11comp_targetILNS1_3genE8ELNS1_11target_archE1030ELNS1_3gpuE2ELNS1_3repE0EEENS1_30default_config_static_selectorELNS0_4arch9wavefront6targetE0EEEvT1_
	.p2align	8
	.type	_ZN7rocprim17ROCPRIM_400000_NS6detail17trampoline_kernelINS0_14default_configENS1_25partition_config_selectorILNS1_17partition_subalgoE9EsjbEEZZNS1_14partition_implILS5_9ELb0ES3_jN6thrust23THRUST_200600_302600_NS6detail15normal_iteratorINS9_10device_ptrIsEEEENSB_INSC_IjEEEEPNS0_10empty_typeENS0_5tupleIJNS9_16discard_iteratorINS9_11use_defaultEEESH_EEENSJ_IJSG_SI_EEENS0_18inequality_wrapperINS9_8equal_toIsEEEEPmJSH_EEE10hipError_tPvRmT3_T4_T5_T6_T7_T9_mT8_P12ihipStream_tbDpT10_ENKUlT_T0_E_clISt17integral_constantIbLb1EES1D_EEDaS18_S19_EUlS18_E_NS1_11comp_targetILNS1_3genE8ELNS1_11target_archE1030ELNS1_3gpuE2ELNS1_3repE0EEENS1_30default_config_static_selectorELNS0_4arch9wavefront6targetE0EEEvT1_,@function
_ZN7rocprim17ROCPRIM_400000_NS6detail17trampoline_kernelINS0_14default_configENS1_25partition_config_selectorILNS1_17partition_subalgoE9EsjbEEZZNS1_14partition_implILS5_9ELb0ES3_jN6thrust23THRUST_200600_302600_NS6detail15normal_iteratorINS9_10device_ptrIsEEEENSB_INSC_IjEEEEPNS0_10empty_typeENS0_5tupleIJNS9_16discard_iteratorINS9_11use_defaultEEESH_EEENSJ_IJSG_SI_EEENS0_18inequality_wrapperINS9_8equal_toIsEEEEPmJSH_EEE10hipError_tPvRmT3_T4_T5_T6_T7_T9_mT8_P12ihipStream_tbDpT10_ENKUlT_T0_E_clISt17integral_constantIbLb1EES1D_EEDaS18_S19_EUlS18_E_NS1_11comp_targetILNS1_3genE8ELNS1_11target_archE1030ELNS1_3gpuE2ELNS1_3repE0EEENS1_30default_config_static_selectorELNS0_4arch9wavefront6targetE0EEEvT1_: ; @_ZN7rocprim17ROCPRIM_400000_NS6detail17trampoline_kernelINS0_14default_configENS1_25partition_config_selectorILNS1_17partition_subalgoE9EsjbEEZZNS1_14partition_implILS5_9ELb0ES3_jN6thrust23THRUST_200600_302600_NS6detail15normal_iteratorINS9_10device_ptrIsEEEENSB_INSC_IjEEEEPNS0_10empty_typeENS0_5tupleIJNS9_16discard_iteratorINS9_11use_defaultEEESH_EEENSJ_IJSG_SI_EEENS0_18inequality_wrapperINS9_8equal_toIsEEEEPmJSH_EEE10hipError_tPvRmT3_T4_T5_T6_T7_T9_mT8_P12ihipStream_tbDpT10_ENKUlT_T0_E_clISt17integral_constantIbLb1EES1D_EEDaS18_S19_EUlS18_E_NS1_11comp_targetILNS1_3genE8ELNS1_11target_archE1030ELNS1_3gpuE2ELNS1_3repE0EEENS1_30default_config_static_selectorELNS0_4arch9wavefront6targetE0EEEvT1_
; %bb.0:
	.section	.rodata,"a",@progbits
	.p2align	6, 0x0
	.amdhsa_kernel _ZN7rocprim17ROCPRIM_400000_NS6detail17trampoline_kernelINS0_14default_configENS1_25partition_config_selectorILNS1_17partition_subalgoE9EsjbEEZZNS1_14partition_implILS5_9ELb0ES3_jN6thrust23THRUST_200600_302600_NS6detail15normal_iteratorINS9_10device_ptrIsEEEENSB_INSC_IjEEEEPNS0_10empty_typeENS0_5tupleIJNS9_16discard_iteratorINS9_11use_defaultEEESH_EEENSJ_IJSG_SI_EEENS0_18inequality_wrapperINS9_8equal_toIsEEEEPmJSH_EEE10hipError_tPvRmT3_T4_T5_T6_T7_T9_mT8_P12ihipStream_tbDpT10_ENKUlT_T0_E_clISt17integral_constantIbLb1EES1D_EEDaS18_S19_EUlS18_E_NS1_11comp_targetILNS1_3genE8ELNS1_11target_archE1030ELNS1_3gpuE2ELNS1_3repE0EEENS1_30default_config_static_selectorELNS0_4arch9wavefront6targetE0EEEvT1_
		.amdhsa_group_segment_fixed_size 0
		.amdhsa_private_segment_fixed_size 0
		.amdhsa_kernarg_size 136
		.amdhsa_user_sgpr_count 15
		.amdhsa_user_sgpr_dispatch_ptr 0
		.amdhsa_user_sgpr_queue_ptr 0
		.amdhsa_user_sgpr_kernarg_segment_ptr 1
		.amdhsa_user_sgpr_dispatch_id 0
		.amdhsa_user_sgpr_private_segment_size 0
		.amdhsa_wavefront_size32 1
		.amdhsa_uses_dynamic_stack 0
		.amdhsa_enable_private_segment 0
		.amdhsa_system_sgpr_workgroup_id_x 1
		.amdhsa_system_sgpr_workgroup_id_y 0
		.amdhsa_system_sgpr_workgroup_id_z 0
		.amdhsa_system_sgpr_workgroup_info 0
		.amdhsa_system_vgpr_workitem_id 0
		.amdhsa_next_free_vgpr 1
		.amdhsa_next_free_sgpr 1
		.amdhsa_reserve_vcc 0
		.amdhsa_float_round_mode_32 0
		.amdhsa_float_round_mode_16_64 0
		.amdhsa_float_denorm_mode_32 3
		.amdhsa_float_denorm_mode_16_64 3
		.amdhsa_dx10_clamp 1
		.amdhsa_ieee_mode 1
		.amdhsa_fp16_overflow 0
		.amdhsa_workgroup_processor_mode 1
		.amdhsa_memory_ordered 1
		.amdhsa_forward_progress 0
		.amdhsa_shared_vgpr_count 0
		.amdhsa_exception_fp_ieee_invalid_op 0
		.amdhsa_exception_fp_denorm_src 0
		.amdhsa_exception_fp_ieee_div_zero 0
		.amdhsa_exception_fp_ieee_overflow 0
		.amdhsa_exception_fp_ieee_underflow 0
		.amdhsa_exception_fp_ieee_inexact 0
		.amdhsa_exception_int_div_zero 0
	.end_amdhsa_kernel
	.section	.text._ZN7rocprim17ROCPRIM_400000_NS6detail17trampoline_kernelINS0_14default_configENS1_25partition_config_selectorILNS1_17partition_subalgoE9EsjbEEZZNS1_14partition_implILS5_9ELb0ES3_jN6thrust23THRUST_200600_302600_NS6detail15normal_iteratorINS9_10device_ptrIsEEEENSB_INSC_IjEEEEPNS0_10empty_typeENS0_5tupleIJNS9_16discard_iteratorINS9_11use_defaultEEESH_EEENSJ_IJSG_SI_EEENS0_18inequality_wrapperINS9_8equal_toIsEEEEPmJSH_EEE10hipError_tPvRmT3_T4_T5_T6_T7_T9_mT8_P12ihipStream_tbDpT10_ENKUlT_T0_E_clISt17integral_constantIbLb1EES1D_EEDaS18_S19_EUlS18_E_NS1_11comp_targetILNS1_3genE8ELNS1_11target_archE1030ELNS1_3gpuE2ELNS1_3repE0EEENS1_30default_config_static_selectorELNS0_4arch9wavefront6targetE0EEEvT1_,"axG",@progbits,_ZN7rocprim17ROCPRIM_400000_NS6detail17trampoline_kernelINS0_14default_configENS1_25partition_config_selectorILNS1_17partition_subalgoE9EsjbEEZZNS1_14partition_implILS5_9ELb0ES3_jN6thrust23THRUST_200600_302600_NS6detail15normal_iteratorINS9_10device_ptrIsEEEENSB_INSC_IjEEEEPNS0_10empty_typeENS0_5tupleIJNS9_16discard_iteratorINS9_11use_defaultEEESH_EEENSJ_IJSG_SI_EEENS0_18inequality_wrapperINS9_8equal_toIsEEEEPmJSH_EEE10hipError_tPvRmT3_T4_T5_T6_T7_T9_mT8_P12ihipStream_tbDpT10_ENKUlT_T0_E_clISt17integral_constantIbLb1EES1D_EEDaS18_S19_EUlS18_E_NS1_11comp_targetILNS1_3genE8ELNS1_11target_archE1030ELNS1_3gpuE2ELNS1_3repE0EEENS1_30default_config_static_selectorELNS0_4arch9wavefront6targetE0EEEvT1_,comdat
.Lfunc_end1252:
	.size	_ZN7rocprim17ROCPRIM_400000_NS6detail17trampoline_kernelINS0_14default_configENS1_25partition_config_selectorILNS1_17partition_subalgoE9EsjbEEZZNS1_14partition_implILS5_9ELb0ES3_jN6thrust23THRUST_200600_302600_NS6detail15normal_iteratorINS9_10device_ptrIsEEEENSB_INSC_IjEEEEPNS0_10empty_typeENS0_5tupleIJNS9_16discard_iteratorINS9_11use_defaultEEESH_EEENSJ_IJSG_SI_EEENS0_18inequality_wrapperINS9_8equal_toIsEEEEPmJSH_EEE10hipError_tPvRmT3_T4_T5_T6_T7_T9_mT8_P12ihipStream_tbDpT10_ENKUlT_T0_E_clISt17integral_constantIbLb1EES1D_EEDaS18_S19_EUlS18_E_NS1_11comp_targetILNS1_3genE8ELNS1_11target_archE1030ELNS1_3gpuE2ELNS1_3repE0EEENS1_30default_config_static_selectorELNS0_4arch9wavefront6targetE0EEEvT1_, .Lfunc_end1252-_ZN7rocprim17ROCPRIM_400000_NS6detail17trampoline_kernelINS0_14default_configENS1_25partition_config_selectorILNS1_17partition_subalgoE9EsjbEEZZNS1_14partition_implILS5_9ELb0ES3_jN6thrust23THRUST_200600_302600_NS6detail15normal_iteratorINS9_10device_ptrIsEEEENSB_INSC_IjEEEEPNS0_10empty_typeENS0_5tupleIJNS9_16discard_iteratorINS9_11use_defaultEEESH_EEENSJ_IJSG_SI_EEENS0_18inequality_wrapperINS9_8equal_toIsEEEEPmJSH_EEE10hipError_tPvRmT3_T4_T5_T6_T7_T9_mT8_P12ihipStream_tbDpT10_ENKUlT_T0_E_clISt17integral_constantIbLb1EES1D_EEDaS18_S19_EUlS18_E_NS1_11comp_targetILNS1_3genE8ELNS1_11target_archE1030ELNS1_3gpuE2ELNS1_3repE0EEENS1_30default_config_static_selectorELNS0_4arch9wavefront6targetE0EEEvT1_
                                        ; -- End function
	.section	.AMDGPU.csdata,"",@progbits
; Kernel info:
; codeLenInByte = 0
; NumSgprs: 0
; NumVgprs: 0
; ScratchSize: 0
; MemoryBound: 0
; FloatMode: 240
; IeeeMode: 1
; LDSByteSize: 0 bytes/workgroup (compile time only)
; SGPRBlocks: 0
; VGPRBlocks: 0
; NumSGPRsForWavesPerEU: 1
; NumVGPRsForWavesPerEU: 1
; Occupancy: 16
; WaveLimiterHint : 0
; COMPUTE_PGM_RSRC2:SCRATCH_EN: 0
; COMPUTE_PGM_RSRC2:USER_SGPR: 15
; COMPUTE_PGM_RSRC2:TRAP_HANDLER: 0
; COMPUTE_PGM_RSRC2:TGID_X_EN: 1
; COMPUTE_PGM_RSRC2:TGID_Y_EN: 0
; COMPUTE_PGM_RSRC2:TGID_Z_EN: 0
; COMPUTE_PGM_RSRC2:TIDIG_COMP_CNT: 0
	.section	.text._ZN7rocprim17ROCPRIM_400000_NS6detail17trampoline_kernelINS0_14default_configENS1_25partition_config_selectorILNS1_17partition_subalgoE9EsjbEEZZNS1_14partition_implILS5_9ELb0ES3_jN6thrust23THRUST_200600_302600_NS6detail15normal_iteratorINS9_10device_ptrIsEEEENSB_INSC_IjEEEEPNS0_10empty_typeENS0_5tupleIJNS9_16discard_iteratorINS9_11use_defaultEEESH_EEENSJ_IJSG_SI_EEENS0_18inequality_wrapperINS9_8equal_toIsEEEEPmJSH_EEE10hipError_tPvRmT3_T4_T5_T6_T7_T9_mT8_P12ihipStream_tbDpT10_ENKUlT_T0_E_clISt17integral_constantIbLb1EES1C_IbLb0EEEEDaS18_S19_EUlS18_E_NS1_11comp_targetILNS1_3genE0ELNS1_11target_archE4294967295ELNS1_3gpuE0ELNS1_3repE0EEENS1_30default_config_static_selectorELNS0_4arch9wavefront6targetE0EEEvT1_,"axG",@progbits,_ZN7rocprim17ROCPRIM_400000_NS6detail17trampoline_kernelINS0_14default_configENS1_25partition_config_selectorILNS1_17partition_subalgoE9EsjbEEZZNS1_14partition_implILS5_9ELb0ES3_jN6thrust23THRUST_200600_302600_NS6detail15normal_iteratorINS9_10device_ptrIsEEEENSB_INSC_IjEEEEPNS0_10empty_typeENS0_5tupleIJNS9_16discard_iteratorINS9_11use_defaultEEESH_EEENSJ_IJSG_SI_EEENS0_18inequality_wrapperINS9_8equal_toIsEEEEPmJSH_EEE10hipError_tPvRmT3_T4_T5_T6_T7_T9_mT8_P12ihipStream_tbDpT10_ENKUlT_T0_E_clISt17integral_constantIbLb1EES1C_IbLb0EEEEDaS18_S19_EUlS18_E_NS1_11comp_targetILNS1_3genE0ELNS1_11target_archE4294967295ELNS1_3gpuE0ELNS1_3repE0EEENS1_30default_config_static_selectorELNS0_4arch9wavefront6targetE0EEEvT1_,comdat
	.protected	_ZN7rocprim17ROCPRIM_400000_NS6detail17trampoline_kernelINS0_14default_configENS1_25partition_config_selectorILNS1_17partition_subalgoE9EsjbEEZZNS1_14partition_implILS5_9ELb0ES3_jN6thrust23THRUST_200600_302600_NS6detail15normal_iteratorINS9_10device_ptrIsEEEENSB_INSC_IjEEEEPNS0_10empty_typeENS0_5tupleIJNS9_16discard_iteratorINS9_11use_defaultEEESH_EEENSJ_IJSG_SI_EEENS0_18inequality_wrapperINS9_8equal_toIsEEEEPmJSH_EEE10hipError_tPvRmT3_T4_T5_T6_T7_T9_mT8_P12ihipStream_tbDpT10_ENKUlT_T0_E_clISt17integral_constantIbLb1EES1C_IbLb0EEEEDaS18_S19_EUlS18_E_NS1_11comp_targetILNS1_3genE0ELNS1_11target_archE4294967295ELNS1_3gpuE0ELNS1_3repE0EEENS1_30default_config_static_selectorELNS0_4arch9wavefront6targetE0EEEvT1_ ; -- Begin function _ZN7rocprim17ROCPRIM_400000_NS6detail17trampoline_kernelINS0_14default_configENS1_25partition_config_selectorILNS1_17partition_subalgoE9EsjbEEZZNS1_14partition_implILS5_9ELb0ES3_jN6thrust23THRUST_200600_302600_NS6detail15normal_iteratorINS9_10device_ptrIsEEEENSB_INSC_IjEEEEPNS0_10empty_typeENS0_5tupleIJNS9_16discard_iteratorINS9_11use_defaultEEESH_EEENSJ_IJSG_SI_EEENS0_18inequality_wrapperINS9_8equal_toIsEEEEPmJSH_EEE10hipError_tPvRmT3_T4_T5_T6_T7_T9_mT8_P12ihipStream_tbDpT10_ENKUlT_T0_E_clISt17integral_constantIbLb1EES1C_IbLb0EEEEDaS18_S19_EUlS18_E_NS1_11comp_targetILNS1_3genE0ELNS1_11target_archE4294967295ELNS1_3gpuE0ELNS1_3repE0EEENS1_30default_config_static_selectorELNS0_4arch9wavefront6targetE0EEEvT1_
	.globl	_ZN7rocprim17ROCPRIM_400000_NS6detail17trampoline_kernelINS0_14default_configENS1_25partition_config_selectorILNS1_17partition_subalgoE9EsjbEEZZNS1_14partition_implILS5_9ELb0ES3_jN6thrust23THRUST_200600_302600_NS6detail15normal_iteratorINS9_10device_ptrIsEEEENSB_INSC_IjEEEEPNS0_10empty_typeENS0_5tupleIJNS9_16discard_iteratorINS9_11use_defaultEEESH_EEENSJ_IJSG_SI_EEENS0_18inequality_wrapperINS9_8equal_toIsEEEEPmJSH_EEE10hipError_tPvRmT3_T4_T5_T6_T7_T9_mT8_P12ihipStream_tbDpT10_ENKUlT_T0_E_clISt17integral_constantIbLb1EES1C_IbLb0EEEEDaS18_S19_EUlS18_E_NS1_11comp_targetILNS1_3genE0ELNS1_11target_archE4294967295ELNS1_3gpuE0ELNS1_3repE0EEENS1_30default_config_static_selectorELNS0_4arch9wavefront6targetE0EEEvT1_
	.p2align	8
	.type	_ZN7rocprim17ROCPRIM_400000_NS6detail17trampoline_kernelINS0_14default_configENS1_25partition_config_selectorILNS1_17partition_subalgoE9EsjbEEZZNS1_14partition_implILS5_9ELb0ES3_jN6thrust23THRUST_200600_302600_NS6detail15normal_iteratorINS9_10device_ptrIsEEEENSB_INSC_IjEEEEPNS0_10empty_typeENS0_5tupleIJNS9_16discard_iteratorINS9_11use_defaultEEESH_EEENSJ_IJSG_SI_EEENS0_18inequality_wrapperINS9_8equal_toIsEEEEPmJSH_EEE10hipError_tPvRmT3_T4_T5_T6_T7_T9_mT8_P12ihipStream_tbDpT10_ENKUlT_T0_E_clISt17integral_constantIbLb1EES1C_IbLb0EEEEDaS18_S19_EUlS18_E_NS1_11comp_targetILNS1_3genE0ELNS1_11target_archE4294967295ELNS1_3gpuE0ELNS1_3repE0EEENS1_30default_config_static_selectorELNS0_4arch9wavefront6targetE0EEEvT1_,@function
_ZN7rocprim17ROCPRIM_400000_NS6detail17trampoline_kernelINS0_14default_configENS1_25partition_config_selectorILNS1_17partition_subalgoE9EsjbEEZZNS1_14partition_implILS5_9ELb0ES3_jN6thrust23THRUST_200600_302600_NS6detail15normal_iteratorINS9_10device_ptrIsEEEENSB_INSC_IjEEEEPNS0_10empty_typeENS0_5tupleIJNS9_16discard_iteratorINS9_11use_defaultEEESH_EEENSJ_IJSG_SI_EEENS0_18inequality_wrapperINS9_8equal_toIsEEEEPmJSH_EEE10hipError_tPvRmT3_T4_T5_T6_T7_T9_mT8_P12ihipStream_tbDpT10_ENKUlT_T0_E_clISt17integral_constantIbLb1EES1C_IbLb0EEEEDaS18_S19_EUlS18_E_NS1_11comp_targetILNS1_3genE0ELNS1_11target_archE4294967295ELNS1_3gpuE0ELNS1_3repE0EEENS1_30default_config_static_selectorELNS0_4arch9wavefront6targetE0EEEvT1_: ; @_ZN7rocprim17ROCPRIM_400000_NS6detail17trampoline_kernelINS0_14default_configENS1_25partition_config_selectorILNS1_17partition_subalgoE9EsjbEEZZNS1_14partition_implILS5_9ELb0ES3_jN6thrust23THRUST_200600_302600_NS6detail15normal_iteratorINS9_10device_ptrIsEEEENSB_INSC_IjEEEEPNS0_10empty_typeENS0_5tupleIJNS9_16discard_iteratorINS9_11use_defaultEEESH_EEENSJ_IJSG_SI_EEENS0_18inequality_wrapperINS9_8equal_toIsEEEEPmJSH_EEE10hipError_tPvRmT3_T4_T5_T6_T7_T9_mT8_P12ihipStream_tbDpT10_ENKUlT_T0_E_clISt17integral_constantIbLb1EES1C_IbLb0EEEEDaS18_S19_EUlS18_E_NS1_11comp_targetILNS1_3genE0ELNS1_11target_archE4294967295ELNS1_3gpuE0ELNS1_3repE0EEENS1_30default_config_static_selectorELNS0_4arch9wavefront6targetE0EEEvT1_
; %bb.0:
	.section	.rodata,"a",@progbits
	.p2align	6, 0x0
	.amdhsa_kernel _ZN7rocprim17ROCPRIM_400000_NS6detail17trampoline_kernelINS0_14default_configENS1_25partition_config_selectorILNS1_17partition_subalgoE9EsjbEEZZNS1_14partition_implILS5_9ELb0ES3_jN6thrust23THRUST_200600_302600_NS6detail15normal_iteratorINS9_10device_ptrIsEEEENSB_INSC_IjEEEEPNS0_10empty_typeENS0_5tupleIJNS9_16discard_iteratorINS9_11use_defaultEEESH_EEENSJ_IJSG_SI_EEENS0_18inequality_wrapperINS9_8equal_toIsEEEEPmJSH_EEE10hipError_tPvRmT3_T4_T5_T6_T7_T9_mT8_P12ihipStream_tbDpT10_ENKUlT_T0_E_clISt17integral_constantIbLb1EES1C_IbLb0EEEEDaS18_S19_EUlS18_E_NS1_11comp_targetILNS1_3genE0ELNS1_11target_archE4294967295ELNS1_3gpuE0ELNS1_3repE0EEENS1_30default_config_static_selectorELNS0_4arch9wavefront6targetE0EEEvT1_
		.amdhsa_group_segment_fixed_size 0
		.amdhsa_private_segment_fixed_size 0
		.amdhsa_kernarg_size 120
		.amdhsa_user_sgpr_count 15
		.amdhsa_user_sgpr_dispatch_ptr 0
		.amdhsa_user_sgpr_queue_ptr 0
		.amdhsa_user_sgpr_kernarg_segment_ptr 1
		.amdhsa_user_sgpr_dispatch_id 0
		.amdhsa_user_sgpr_private_segment_size 0
		.amdhsa_wavefront_size32 1
		.amdhsa_uses_dynamic_stack 0
		.amdhsa_enable_private_segment 0
		.amdhsa_system_sgpr_workgroup_id_x 1
		.amdhsa_system_sgpr_workgroup_id_y 0
		.amdhsa_system_sgpr_workgroup_id_z 0
		.amdhsa_system_sgpr_workgroup_info 0
		.amdhsa_system_vgpr_workitem_id 0
		.amdhsa_next_free_vgpr 1
		.amdhsa_next_free_sgpr 1
		.amdhsa_reserve_vcc 0
		.amdhsa_float_round_mode_32 0
		.amdhsa_float_round_mode_16_64 0
		.amdhsa_float_denorm_mode_32 3
		.amdhsa_float_denorm_mode_16_64 3
		.amdhsa_dx10_clamp 1
		.amdhsa_ieee_mode 1
		.amdhsa_fp16_overflow 0
		.amdhsa_workgroup_processor_mode 1
		.amdhsa_memory_ordered 1
		.amdhsa_forward_progress 0
		.amdhsa_shared_vgpr_count 0
		.amdhsa_exception_fp_ieee_invalid_op 0
		.amdhsa_exception_fp_denorm_src 0
		.amdhsa_exception_fp_ieee_div_zero 0
		.amdhsa_exception_fp_ieee_overflow 0
		.amdhsa_exception_fp_ieee_underflow 0
		.amdhsa_exception_fp_ieee_inexact 0
		.amdhsa_exception_int_div_zero 0
	.end_amdhsa_kernel
	.section	.text._ZN7rocprim17ROCPRIM_400000_NS6detail17trampoline_kernelINS0_14default_configENS1_25partition_config_selectorILNS1_17partition_subalgoE9EsjbEEZZNS1_14partition_implILS5_9ELb0ES3_jN6thrust23THRUST_200600_302600_NS6detail15normal_iteratorINS9_10device_ptrIsEEEENSB_INSC_IjEEEEPNS0_10empty_typeENS0_5tupleIJNS9_16discard_iteratorINS9_11use_defaultEEESH_EEENSJ_IJSG_SI_EEENS0_18inequality_wrapperINS9_8equal_toIsEEEEPmJSH_EEE10hipError_tPvRmT3_T4_T5_T6_T7_T9_mT8_P12ihipStream_tbDpT10_ENKUlT_T0_E_clISt17integral_constantIbLb1EES1C_IbLb0EEEEDaS18_S19_EUlS18_E_NS1_11comp_targetILNS1_3genE0ELNS1_11target_archE4294967295ELNS1_3gpuE0ELNS1_3repE0EEENS1_30default_config_static_selectorELNS0_4arch9wavefront6targetE0EEEvT1_,"axG",@progbits,_ZN7rocprim17ROCPRIM_400000_NS6detail17trampoline_kernelINS0_14default_configENS1_25partition_config_selectorILNS1_17partition_subalgoE9EsjbEEZZNS1_14partition_implILS5_9ELb0ES3_jN6thrust23THRUST_200600_302600_NS6detail15normal_iteratorINS9_10device_ptrIsEEEENSB_INSC_IjEEEEPNS0_10empty_typeENS0_5tupleIJNS9_16discard_iteratorINS9_11use_defaultEEESH_EEENSJ_IJSG_SI_EEENS0_18inequality_wrapperINS9_8equal_toIsEEEEPmJSH_EEE10hipError_tPvRmT3_T4_T5_T6_T7_T9_mT8_P12ihipStream_tbDpT10_ENKUlT_T0_E_clISt17integral_constantIbLb1EES1C_IbLb0EEEEDaS18_S19_EUlS18_E_NS1_11comp_targetILNS1_3genE0ELNS1_11target_archE4294967295ELNS1_3gpuE0ELNS1_3repE0EEENS1_30default_config_static_selectorELNS0_4arch9wavefront6targetE0EEEvT1_,comdat
.Lfunc_end1253:
	.size	_ZN7rocprim17ROCPRIM_400000_NS6detail17trampoline_kernelINS0_14default_configENS1_25partition_config_selectorILNS1_17partition_subalgoE9EsjbEEZZNS1_14partition_implILS5_9ELb0ES3_jN6thrust23THRUST_200600_302600_NS6detail15normal_iteratorINS9_10device_ptrIsEEEENSB_INSC_IjEEEEPNS0_10empty_typeENS0_5tupleIJNS9_16discard_iteratorINS9_11use_defaultEEESH_EEENSJ_IJSG_SI_EEENS0_18inequality_wrapperINS9_8equal_toIsEEEEPmJSH_EEE10hipError_tPvRmT3_T4_T5_T6_T7_T9_mT8_P12ihipStream_tbDpT10_ENKUlT_T0_E_clISt17integral_constantIbLb1EES1C_IbLb0EEEEDaS18_S19_EUlS18_E_NS1_11comp_targetILNS1_3genE0ELNS1_11target_archE4294967295ELNS1_3gpuE0ELNS1_3repE0EEENS1_30default_config_static_selectorELNS0_4arch9wavefront6targetE0EEEvT1_, .Lfunc_end1253-_ZN7rocprim17ROCPRIM_400000_NS6detail17trampoline_kernelINS0_14default_configENS1_25partition_config_selectorILNS1_17partition_subalgoE9EsjbEEZZNS1_14partition_implILS5_9ELb0ES3_jN6thrust23THRUST_200600_302600_NS6detail15normal_iteratorINS9_10device_ptrIsEEEENSB_INSC_IjEEEEPNS0_10empty_typeENS0_5tupleIJNS9_16discard_iteratorINS9_11use_defaultEEESH_EEENSJ_IJSG_SI_EEENS0_18inequality_wrapperINS9_8equal_toIsEEEEPmJSH_EEE10hipError_tPvRmT3_T4_T5_T6_T7_T9_mT8_P12ihipStream_tbDpT10_ENKUlT_T0_E_clISt17integral_constantIbLb1EES1C_IbLb0EEEEDaS18_S19_EUlS18_E_NS1_11comp_targetILNS1_3genE0ELNS1_11target_archE4294967295ELNS1_3gpuE0ELNS1_3repE0EEENS1_30default_config_static_selectorELNS0_4arch9wavefront6targetE0EEEvT1_
                                        ; -- End function
	.section	.AMDGPU.csdata,"",@progbits
; Kernel info:
; codeLenInByte = 0
; NumSgprs: 0
; NumVgprs: 0
; ScratchSize: 0
; MemoryBound: 0
; FloatMode: 240
; IeeeMode: 1
; LDSByteSize: 0 bytes/workgroup (compile time only)
; SGPRBlocks: 0
; VGPRBlocks: 0
; NumSGPRsForWavesPerEU: 1
; NumVGPRsForWavesPerEU: 1
; Occupancy: 16
; WaveLimiterHint : 0
; COMPUTE_PGM_RSRC2:SCRATCH_EN: 0
; COMPUTE_PGM_RSRC2:USER_SGPR: 15
; COMPUTE_PGM_RSRC2:TRAP_HANDLER: 0
; COMPUTE_PGM_RSRC2:TGID_X_EN: 1
; COMPUTE_PGM_RSRC2:TGID_Y_EN: 0
; COMPUTE_PGM_RSRC2:TGID_Z_EN: 0
; COMPUTE_PGM_RSRC2:TIDIG_COMP_CNT: 0
	.section	.text._ZN7rocprim17ROCPRIM_400000_NS6detail17trampoline_kernelINS0_14default_configENS1_25partition_config_selectorILNS1_17partition_subalgoE9EsjbEEZZNS1_14partition_implILS5_9ELb0ES3_jN6thrust23THRUST_200600_302600_NS6detail15normal_iteratorINS9_10device_ptrIsEEEENSB_INSC_IjEEEEPNS0_10empty_typeENS0_5tupleIJNS9_16discard_iteratorINS9_11use_defaultEEESH_EEENSJ_IJSG_SI_EEENS0_18inequality_wrapperINS9_8equal_toIsEEEEPmJSH_EEE10hipError_tPvRmT3_T4_T5_T6_T7_T9_mT8_P12ihipStream_tbDpT10_ENKUlT_T0_E_clISt17integral_constantIbLb1EES1C_IbLb0EEEEDaS18_S19_EUlS18_E_NS1_11comp_targetILNS1_3genE5ELNS1_11target_archE942ELNS1_3gpuE9ELNS1_3repE0EEENS1_30default_config_static_selectorELNS0_4arch9wavefront6targetE0EEEvT1_,"axG",@progbits,_ZN7rocprim17ROCPRIM_400000_NS6detail17trampoline_kernelINS0_14default_configENS1_25partition_config_selectorILNS1_17partition_subalgoE9EsjbEEZZNS1_14partition_implILS5_9ELb0ES3_jN6thrust23THRUST_200600_302600_NS6detail15normal_iteratorINS9_10device_ptrIsEEEENSB_INSC_IjEEEEPNS0_10empty_typeENS0_5tupleIJNS9_16discard_iteratorINS9_11use_defaultEEESH_EEENSJ_IJSG_SI_EEENS0_18inequality_wrapperINS9_8equal_toIsEEEEPmJSH_EEE10hipError_tPvRmT3_T4_T5_T6_T7_T9_mT8_P12ihipStream_tbDpT10_ENKUlT_T0_E_clISt17integral_constantIbLb1EES1C_IbLb0EEEEDaS18_S19_EUlS18_E_NS1_11comp_targetILNS1_3genE5ELNS1_11target_archE942ELNS1_3gpuE9ELNS1_3repE0EEENS1_30default_config_static_selectorELNS0_4arch9wavefront6targetE0EEEvT1_,comdat
	.protected	_ZN7rocprim17ROCPRIM_400000_NS6detail17trampoline_kernelINS0_14default_configENS1_25partition_config_selectorILNS1_17partition_subalgoE9EsjbEEZZNS1_14partition_implILS5_9ELb0ES3_jN6thrust23THRUST_200600_302600_NS6detail15normal_iteratorINS9_10device_ptrIsEEEENSB_INSC_IjEEEEPNS0_10empty_typeENS0_5tupleIJNS9_16discard_iteratorINS9_11use_defaultEEESH_EEENSJ_IJSG_SI_EEENS0_18inequality_wrapperINS9_8equal_toIsEEEEPmJSH_EEE10hipError_tPvRmT3_T4_T5_T6_T7_T9_mT8_P12ihipStream_tbDpT10_ENKUlT_T0_E_clISt17integral_constantIbLb1EES1C_IbLb0EEEEDaS18_S19_EUlS18_E_NS1_11comp_targetILNS1_3genE5ELNS1_11target_archE942ELNS1_3gpuE9ELNS1_3repE0EEENS1_30default_config_static_selectorELNS0_4arch9wavefront6targetE0EEEvT1_ ; -- Begin function _ZN7rocprim17ROCPRIM_400000_NS6detail17trampoline_kernelINS0_14default_configENS1_25partition_config_selectorILNS1_17partition_subalgoE9EsjbEEZZNS1_14partition_implILS5_9ELb0ES3_jN6thrust23THRUST_200600_302600_NS6detail15normal_iteratorINS9_10device_ptrIsEEEENSB_INSC_IjEEEEPNS0_10empty_typeENS0_5tupleIJNS9_16discard_iteratorINS9_11use_defaultEEESH_EEENSJ_IJSG_SI_EEENS0_18inequality_wrapperINS9_8equal_toIsEEEEPmJSH_EEE10hipError_tPvRmT3_T4_T5_T6_T7_T9_mT8_P12ihipStream_tbDpT10_ENKUlT_T0_E_clISt17integral_constantIbLb1EES1C_IbLb0EEEEDaS18_S19_EUlS18_E_NS1_11comp_targetILNS1_3genE5ELNS1_11target_archE942ELNS1_3gpuE9ELNS1_3repE0EEENS1_30default_config_static_selectorELNS0_4arch9wavefront6targetE0EEEvT1_
	.globl	_ZN7rocprim17ROCPRIM_400000_NS6detail17trampoline_kernelINS0_14default_configENS1_25partition_config_selectorILNS1_17partition_subalgoE9EsjbEEZZNS1_14partition_implILS5_9ELb0ES3_jN6thrust23THRUST_200600_302600_NS6detail15normal_iteratorINS9_10device_ptrIsEEEENSB_INSC_IjEEEEPNS0_10empty_typeENS0_5tupleIJNS9_16discard_iteratorINS9_11use_defaultEEESH_EEENSJ_IJSG_SI_EEENS0_18inequality_wrapperINS9_8equal_toIsEEEEPmJSH_EEE10hipError_tPvRmT3_T4_T5_T6_T7_T9_mT8_P12ihipStream_tbDpT10_ENKUlT_T0_E_clISt17integral_constantIbLb1EES1C_IbLb0EEEEDaS18_S19_EUlS18_E_NS1_11comp_targetILNS1_3genE5ELNS1_11target_archE942ELNS1_3gpuE9ELNS1_3repE0EEENS1_30default_config_static_selectorELNS0_4arch9wavefront6targetE0EEEvT1_
	.p2align	8
	.type	_ZN7rocprim17ROCPRIM_400000_NS6detail17trampoline_kernelINS0_14default_configENS1_25partition_config_selectorILNS1_17partition_subalgoE9EsjbEEZZNS1_14partition_implILS5_9ELb0ES3_jN6thrust23THRUST_200600_302600_NS6detail15normal_iteratorINS9_10device_ptrIsEEEENSB_INSC_IjEEEEPNS0_10empty_typeENS0_5tupleIJNS9_16discard_iteratorINS9_11use_defaultEEESH_EEENSJ_IJSG_SI_EEENS0_18inequality_wrapperINS9_8equal_toIsEEEEPmJSH_EEE10hipError_tPvRmT3_T4_T5_T6_T7_T9_mT8_P12ihipStream_tbDpT10_ENKUlT_T0_E_clISt17integral_constantIbLb1EES1C_IbLb0EEEEDaS18_S19_EUlS18_E_NS1_11comp_targetILNS1_3genE5ELNS1_11target_archE942ELNS1_3gpuE9ELNS1_3repE0EEENS1_30default_config_static_selectorELNS0_4arch9wavefront6targetE0EEEvT1_,@function
_ZN7rocprim17ROCPRIM_400000_NS6detail17trampoline_kernelINS0_14default_configENS1_25partition_config_selectorILNS1_17partition_subalgoE9EsjbEEZZNS1_14partition_implILS5_9ELb0ES3_jN6thrust23THRUST_200600_302600_NS6detail15normal_iteratorINS9_10device_ptrIsEEEENSB_INSC_IjEEEEPNS0_10empty_typeENS0_5tupleIJNS9_16discard_iteratorINS9_11use_defaultEEESH_EEENSJ_IJSG_SI_EEENS0_18inequality_wrapperINS9_8equal_toIsEEEEPmJSH_EEE10hipError_tPvRmT3_T4_T5_T6_T7_T9_mT8_P12ihipStream_tbDpT10_ENKUlT_T0_E_clISt17integral_constantIbLb1EES1C_IbLb0EEEEDaS18_S19_EUlS18_E_NS1_11comp_targetILNS1_3genE5ELNS1_11target_archE942ELNS1_3gpuE9ELNS1_3repE0EEENS1_30default_config_static_selectorELNS0_4arch9wavefront6targetE0EEEvT1_: ; @_ZN7rocprim17ROCPRIM_400000_NS6detail17trampoline_kernelINS0_14default_configENS1_25partition_config_selectorILNS1_17partition_subalgoE9EsjbEEZZNS1_14partition_implILS5_9ELb0ES3_jN6thrust23THRUST_200600_302600_NS6detail15normal_iteratorINS9_10device_ptrIsEEEENSB_INSC_IjEEEEPNS0_10empty_typeENS0_5tupleIJNS9_16discard_iteratorINS9_11use_defaultEEESH_EEENSJ_IJSG_SI_EEENS0_18inequality_wrapperINS9_8equal_toIsEEEEPmJSH_EEE10hipError_tPvRmT3_T4_T5_T6_T7_T9_mT8_P12ihipStream_tbDpT10_ENKUlT_T0_E_clISt17integral_constantIbLb1EES1C_IbLb0EEEEDaS18_S19_EUlS18_E_NS1_11comp_targetILNS1_3genE5ELNS1_11target_archE942ELNS1_3gpuE9ELNS1_3repE0EEENS1_30default_config_static_selectorELNS0_4arch9wavefront6targetE0EEEvT1_
; %bb.0:
	.section	.rodata,"a",@progbits
	.p2align	6, 0x0
	.amdhsa_kernel _ZN7rocprim17ROCPRIM_400000_NS6detail17trampoline_kernelINS0_14default_configENS1_25partition_config_selectorILNS1_17partition_subalgoE9EsjbEEZZNS1_14partition_implILS5_9ELb0ES3_jN6thrust23THRUST_200600_302600_NS6detail15normal_iteratorINS9_10device_ptrIsEEEENSB_INSC_IjEEEEPNS0_10empty_typeENS0_5tupleIJNS9_16discard_iteratorINS9_11use_defaultEEESH_EEENSJ_IJSG_SI_EEENS0_18inequality_wrapperINS9_8equal_toIsEEEEPmJSH_EEE10hipError_tPvRmT3_T4_T5_T6_T7_T9_mT8_P12ihipStream_tbDpT10_ENKUlT_T0_E_clISt17integral_constantIbLb1EES1C_IbLb0EEEEDaS18_S19_EUlS18_E_NS1_11comp_targetILNS1_3genE5ELNS1_11target_archE942ELNS1_3gpuE9ELNS1_3repE0EEENS1_30default_config_static_selectorELNS0_4arch9wavefront6targetE0EEEvT1_
		.amdhsa_group_segment_fixed_size 0
		.amdhsa_private_segment_fixed_size 0
		.amdhsa_kernarg_size 120
		.amdhsa_user_sgpr_count 15
		.amdhsa_user_sgpr_dispatch_ptr 0
		.amdhsa_user_sgpr_queue_ptr 0
		.amdhsa_user_sgpr_kernarg_segment_ptr 1
		.amdhsa_user_sgpr_dispatch_id 0
		.amdhsa_user_sgpr_private_segment_size 0
		.amdhsa_wavefront_size32 1
		.amdhsa_uses_dynamic_stack 0
		.amdhsa_enable_private_segment 0
		.amdhsa_system_sgpr_workgroup_id_x 1
		.amdhsa_system_sgpr_workgroup_id_y 0
		.amdhsa_system_sgpr_workgroup_id_z 0
		.amdhsa_system_sgpr_workgroup_info 0
		.amdhsa_system_vgpr_workitem_id 0
		.amdhsa_next_free_vgpr 1
		.amdhsa_next_free_sgpr 1
		.amdhsa_reserve_vcc 0
		.amdhsa_float_round_mode_32 0
		.amdhsa_float_round_mode_16_64 0
		.amdhsa_float_denorm_mode_32 3
		.amdhsa_float_denorm_mode_16_64 3
		.amdhsa_dx10_clamp 1
		.amdhsa_ieee_mode 1
		.amdhsa_fp16_overflow 0
		.amdhsa_workgroup_processor_mode 1
		.amdhsa_memory_ordered 1
		.amdhsa_forward_progress 0
		.amdhsa_shared_vgpr_count 0
		.amdhsa_exception_fp_ieee_invalid_op 0
		.amdhsa_exception_fp_denorm_src 0
		.amdhsa_exception_fp_ieee_div_zero 0
		.amdhsa_exception_fp_ieee_overflow 0
		.amdhsa_exception_fp_ieee_underflow 0
		.amdhsa_exception_fp_ieee_inexact 0
		.amdhsa_exception_int_div_zero 0
	.end_amdhsa_kernel
	.section	.text._ZN7rocprim17ROCPRIM_400000_NS6detail17trampoline_kernelINS0_14default_configENS1_25partition_config_selectorILNS1_17partition_subalgoE9EsjbEEZZNS1_14partition_implILS5_9ELb0ES3_jN6thrust23THRUST_200600_302600_NS6detail15normal_iteratorINS9_10device_ptrIsEEEENSB_INSC_IjEEEEPNS0_10empty_typeENS0_5tupleIJNS9_16discard_iteratorINS9_11use_defaultEEESH_EEENSJ_IJSG_SI_EEENS0_18inequality_wrapperINS9_8equal_toIsEEEEPmJSH_EEE10hipError_tPvRmT3_T4_T5_T6_T7_T9_mT8_P12ihipStream_tbDpT10_ENKUlT_T0_E_clISt17integral_constantIbLb1EES1C_IbLb0EEEEDaS18_S19_EUlS18_E_NS1_11comp_targetILNS1_3genE5ELNS1_11target_archE942ELNS1_3gpuE9ELNS1_3repE0EEENS1_30default_config_static_selectorELNS0_4arch9wavefront6targetE0EEEvT1_,"axG",@progbits,_ZN7rocprim17ROCPRIM_400000_NS6detail17trampoline_kernelINS0_14default_configENS1_25partition_config_selectorILNS1_17partition_subalgoE9EsjbEEZZNS1_14partition_implILS5_9ELb0ES3_jN6thrust23THRUST_200600_302600_NS6detail15normal_iteratorINS9_10device_ptrIsEEEENSB_INSC_IjEEEEPNS0_10empty_typeENS0_5tupleIJNS9_16discard_iteratorINS9_11use_defaultEEESH_EEENSJ_IJSG_SI_EEENS0_18inequality_wrapperINS9_8equal_toIsEEEEPmJSH_EEE10hipError_tPvRmT3_T4_T5_T6_T7_T9_mT8_P12ihipStream_tbDpT10_ENKUlT_T0_E_clISt17integral_constantIbLb1EES1C_IbLb0EEEEDaS18_S19_EUlS18_E_NS1_11comp_targetILNS1_3genE5ELNS1_11target_archE942ELNS1_3gpuE9ELNS1_3repE0EEENS1_30default_config_static_selectorELNS0_4arch9wavefront6targetE0EEEvT1_,comdat
.Lfunc_end1254:
	.size	_ZN7rocprim17ROCPRIM_400000_NS6detail17trampoline_kernelINS0_14default_configENS1_25partition_config_selectorILNS1_17partition_subalgoE9EsjbEEZZNS1_14partition_implILS5_9ELb0ES3_jN6thrust23THRUST_200600_302600_NS6detail15normal_iteratorINS9_10device_ptrIsEEEENSB_INSC_IjEEEEPNS0_10empty_typeENS0_5tupleIJNS9_16discard_iteratorINS9_11use_defaultEEESH_EEENSJ_IJSG_SI_EEENS0_18inequality_wrapperINS9_8equal_toIsEEEEPmJSH_EEE10hipError_tPvRmT3_T4_T5_T6_T7_T9_mT8_P12ihipStream_tbDpT10_ENKUlT_T0_E_clISt17integral_constantIbLb1EES1C_IbLb0EEEEDaS18_S19_EUlS18_E_NS1_11comp_targetILNS1_3genE5ELNS1_11target_archE942ELNS1_3gpuE9ELNS1_3repE0EEENS1_30default_config_static_selectorELNS0_4arch9wavefront6targetE0EEEvT1_, .Lfunc_end1254-_ZN7rocprim17ROCPRIM_400000_NS6detail17trampoline_kernelINS0_14default_configENS1_25partition_config_selectorILNS1_17partition_subalgoE9EsjbEEZZNS1_14partition_implILS5_9ELb0ES3_jN6thrust23THRUST_200600_302600_NS6detail15normal_iteratorINS9_10device_ptrIsEEEENSB_INSC_IjEEEEPNS0_10empty_typeENS0_5tupleIJNS9_16discard_iteratorINS9_11use_defaultEEESH_EEENSJ_IJSG_SI_EEENS0_18inequality_wrapperINS9_8equal_toIsEEEEPmJSH_EEE10hipError_tPvRmT3_T4_T5_T6_T7_T9_mT8_P12ihipStream_tbDpT10_ENKUlT_T0_E_clISt17integral_constantIbLb1EES1C_IbLb0EEEEDaS18_S19_EUlS18_E_NS1_11comp_targetILNS1_3genE5ELNS1_11target_archE942ELNS1_3gpuE9ELNS1_3repE0EEENS1_30default_config_static_selectorELNS0_4arch9wavefront6targetE0EEEvT1_
                                        ; -- End function
	.section	.AMDGPU.csdata,"",@progbits
; Kernel info:
; codeLenInByte = 0
; NumSgprs: 0
; NumVgprs: 0
; ScratchSize: 0
; MemoryBound: 0
; FloatMode: 240
; IeeeMode: 1
; LDSByteSize: 0 bytes/workgroup (compile time only)
; SGPRBlocks: 0
; VGPRBlocks: 0
; NumSGPRsForWavesPerEU: 1
; NumVGPRsForWavesPerEU: 1
; Occupancy: 16
; WaveLimiterHint : 0
; COMPUTE_PGM_RSRC2:SCRATCH_EN: 0
; COMPUTE_PGM_RSRC2:USER_SGPR: 15
; COMPUTE_PGM_RSRC2:TRAP_HANDLER: 0
; COMPUTE_PGM_RSRC2:TGID_X_EN: 1
; COMPUTE_PGM_RSRC2:TGID_Y_EN: 0
; COMPUTE_PGM_RSRC2:TGID_Z_EN: 0
; COMPUTE_PGM_RSRC2:TIDIG_COMP_CNT: 0
	.section	.text._ZN7rocprim17ROCPRIM_400000_NS6detail17trampoline_kernelINS0_14default_configENS1_25partition_config_selectorILNS1_17partition_subalgoE9EsjbEEZZNS1_14partition_implILS5_9ELb0ES3_jN6thrust23THRUST_200600_302600_NS6detail15normal_iteratorINS9_10device_ptrIsEEEENSB_INSC_IjEEEEPNS0_10empty_typeENS0_5tupleIJNS9_16discard_iteratorINS9_11use_defaultEEESH_EEENSJ_IJSG_SI_EEENS0_18inequality_wrapperINS9_8equal_toIsEEEEPmJSH_EEE10hipError_tPvRmT3_T4_T5_T6_T7_T9_mT8_P12ihipStream_tbDpT10_ENKUlT_T0_E_clISt17integral_constantIbLb1EES1C_IbLb0EEEEDaS18_S19_EUlS18_E_NS1_11comp_targetILNS1_3genE4ELNS1_11target_archE910ELNS1_3gpuE8ELNS1_3repE0EEENS1_30default_config_static_selectorELNS0_4arch9wavefront6targetE0EEEvT1_,"axG",@progbits,_ZN7rocprim17ROCPRIM_400000_NS6detail17trampoline_kernelINS0_14default_configENS1_25partition_config_selectorILNS1_17partition_subalgoE9EsjbEEZZNS1_14partition_implILS5_9ELb0ES3_jN6thrust23THRUST_200600_302600_NS6detail15normal_iteratorINS9_10device_ptrIsEEEENSB_INSC_IjEEEEPNS0_10empty_typeENS0_5tupleIJNS9_16discard_iteratorINS9_11use_defaultEEESH_EEENSJ_IJSG_SI_EEENS0_18inequality_wrapperINS9_8equal_toIsEEEEPmJSH_EEE10hipError_tPvRmT3_T4_T5_T6_T7_T9_mT8_P12ihipStream_tbDpT10_ENKUlT_T0_E_clISt17integral_constantIbLb1EES1C_IbLb0EEEEDaS18_S19_EUlS18_E_NS1_11comp_targetILNS1_3genE4ELNS1_11target_archE910ELNS1_3gpuE8ELNS1_3repE0EEENS1_30default_config_static_selectorELNS0_4arch9wavefront6targetE0EEEvT1_,comdat
	.protected	_ZN7rocprim17ROCPRIM_400000_NS6detail17trampoline_kernelINS0_14default_configENS1_25partition_config_selectorILNS1_17partition_subalgoE9EsjbEEZZNS1_14partition_implILS5_9ELb0ES3_jN6thrust23THRUST_200600_302600_NS6detail15normal_iteratorINS9_10device_ptrIsEEEENSB_INSC_IjEEEEPNS0_10empty_typeENS0_5tupleIJNS9_16discard_iteratorINS9_11use_defaultEEESH_EEENSJ_IJSG_SI_EEENS0_18inequality_wrapperINS9_8equal_toIsEEEEPmJSH_EEE10hipError_tPvRmT3_T4_T5_T6_T7_T9_mT8_P12ihipStream_tbDpT10_ENKUlT_T0_E_clISt17integral_constantIbLb1EES1C_IbLb0EEEEDaS18_S19_EUlS18_E_NS1_11comp_targetILNS1_3genE4ELNS1_11target_archE910ELNS1_3gpuE8ELNS1_3repE0EEENS1_30default_config_static_selectorELNS0_4arch9wavefront6targetE0EEEvT1_ ; -- Begin function _ZN7rocprim17ROCPRIM_400000_NS6detail17trampoline_kernelINS0_14default_configENS1_25partition_config_selectorILNS1_17partition_subalgoE9EsjbEEZZNS1_14partition_implILS5_9ELb0ES3_jN6thrust23THRUST_200600_302600_NS6detail15normal_iteratorINS9_10device_ptrIsEEEENSB_INSC_IjEEEEPNS0_10empty_typeENS0_5tupleIJNS9_16discard_iteratorINS9_11use_defaultEEESH_EEENSJ_IJSG_SI_EEENS0_18inequality_wrapperINS9_8equal_toIsEEEEPmJSH_EEE10hipError_tPvRmT3_T4_T5_T6_T7_T9_mT8_P12ihipStream_tbDpT10_ENKUlT_T0_E_clISt17integral_constantIbLb1EES1C_IbLb0EEEEDaS18_S19_EUlS18_E_NS1_11comp_targetILNS1_3genE4ELNS1_11target_archE910ELNS1_3gpuE8ELNS1_3repE0EEENS1_30default_config_static_selectorELNS0_4arch9wavefront6targetE0EEEvT1_
	.globl	_ZN7rocprim17ROCPRIM_400000_NS6detail17trampoline_kernelINS0_14default_configENS1_25partition_config_selectorILNS1_17partition_subalgoE9EsjbEEZZNS1_14partition_implILS5_9ELb0ES3_jN6thrust23THRUST_200600_302600_NS6detail15normal_iteratorINS9_10device_ptrIsEEEENSB_INSC_IjEEEEPNS0_10empty_typeENS0_5tupleIJNS9_16discard_iteratorINS9_11use_defaultEEESH_EEENSJ_IJSG_SI_EEENS0_18inequality_wrapperINS9_8equal_toIsEEEEPmJSH_EEE10hipError_tPvRmT3_T4_T5_T6_T7_T9_mT8_P12ihipStream_tbDpT10_ENKUlT_T0_E_clISt17integral_constantIbLb1EES1C_IbLb0EEEEDaS18_S19_EUlS18_E_NS1_11comp_targetILNS1_3genE4ELNS1_11target_archE910ELNS1_3gpuE8ELNS1_3repE0EEENS1_30default_config_static_selectorELNS0_4arch9wavefront6targetE0EEEvT1_
	.p2align	8
	.type	_ZN7rocprim17ROCPRIM_400000_NS6detail17trampoline_kernelINS0_14default_configENS1_25partition_config_selectorILNS1_17partition_subalgoE9EsjbEEZZNS1_14partition_implILS5_9ELb0ES3_jN6thrust23THRUST_200600_302600_NS6detail15normal_iteratorINS9_10device_ptrIsEEEENSB_INSC_IjEEEEPNS0_10empty_typeENS0_5tupleIJNS9_16discard_iteratorINS9_11use_defaultEEESH_EEENSJ_IJSG_SI_EEENS0_18inequality_wrapperINS9_8equal_toIsEEEEPmJSH_EEE10hipError_tPvRmT3_T4_T5_T6_T7_T9_mT8_P12ihipStream_tbDpT10_ENKUlT_T0_E_clISt17integral_constantIbLb1EES1C_IbLb0EEEEDaS18_S19_EUlS18_E_NS1_11comp_targetILNS1_3genE4ELNS1_11target_archE910ELNS1_3gpuE8ELNS1_3repE0EEENS1_30default_config_static_selectorELNS0_4arch9wavefront6targetE0EEEvT1_,@function
_ZN7rocprim17ROCPRIM_400000_NS6detail17trampoline_kernelINS0_14default_configENS1_25partition_config_selectorILNS1_17partition_subalgoE9EsjbEEZZNS1_14partition_implILS5_9ELb0ES3_jN6thrust23THRUST_200600_302600_NS6detail15normal_iteratorINS9_10device_ptrIsEEEENSB_INSC_IjEEEEPNS0_10empty_typeENS0_5tupleIJNS9_16discard_iteratorINS9_11use_defaultEEESH_EEENSJ_IJSG_SI_EEENS0_18inequality_wrapperINS9_8equal_toIsEEEEPmJSH_EEE10hipError_tPvRmT3_T4_T5_T6_T7_T9_mT8_P12ihipStream_tbDpT10_ENKUlT_T0_E_clISt17integral_constantIbLb1EES1C_IbLb0EEEEDaS18_S19_EUlS18_E_NS1_11comp_targetILNS1_3genE4ELNS1_11target_archE910ELNS1_3gpuE8ELNS1_3repE0EEENS1_30default_config_static_selectorELNS0_4arch9wavefront6targetE0EEEvT1_: ; @_ZN7rocprim17ROCPRIM_400000_NS6detail17trampoline_kernelINS0_14default_configENS1_25partition_config_selectorILNS1_17partition_subalgoE9EsjbEEZZNS1_14partition_implILS5_9ELb0ES3_jN6thrust23THRUST_200600_302600_NS6detail15normal_iteratorINS9_10device_ptrIsEEEENSB_INSC_IjEEEEPNS0_10empty_typeENS0_5tupleIJNS9_16discard_iteratorINS9_11use_defaultEEESH_EEENSJ_IJSG_SI_EEENS0_18inequality_wrapperINS9_8equal_toIsEEEEPmJSH_EEE10hipError_tPvRmT3_T4_T5_T6_T7_T9_mT8_P12ihipStream_tbDpT10_ENKUlT_T0_E_clISt17integral_constantIbLb1EES1C_IbLb0EEEEDaS18_S19_EUlS18_E_NS1_11comp_targetILNS1_3genE4ELNS1_11target_archE910ELNS1_3gpuE8ELNS1_3repE0EEENS1_30default_config_static_selectorELNS0_4arch9wavefront6targetE0EEEvT1_
; %bb.0:
	.section	.rodata,"a",@progbits
	.p2align	6, 0x0
	.amdhsa_kernel _ZN7rocprim17ROCPRIM_400000_NS6detail17trampoline_kernelINS0_14default_configENS1_25partition_config_selectorILNS1_17partition_subalgoE9EsjbEEZZNS1_14partition_implILS5_9ELb0ES3_jN6thrust23THRUST_200600_302600_NS6detail15normal_iteratorINS9_10device_ptrIsEEEENSB_INSC_IjEEEEPNS0_10empty_typeENS0_5tupleIJNS9_16discard_iteratorINS9_11use_defaultEEESH_EEENSJ_IJSG_SI_EEENS0_18inequality_wrapperINS9_8equal_toIsEEEEPmJSH_EEE10hipError_tPvRmT3_T4_T5_T6_T7_T9_mT8_P12ihipStream_tbDpT10_ENKUlT_T0_E_clISt17integral_constantIbLb1EES1C_IbLb0EEEEDaS18_S19_EUlS18_E_NS1_11comp_targetILNS1_3genE4ELNS1_11target_archE910ELNS1_3gpuE8ELNS1_3repE0EEENS1_30default_config_static_selectorELNS0_4arch9wavefront6targetE0EEEvT1_
		.amdhsa_group_segment_fixed_size 0
		.amdhsa_private_segment_fixed_size 0
		.amdhsa_kernarg_size 120
		.amdhsa_user_sgpr_count 15
		.amdhsa_user_sgpr_dispatch_ptr 0
		.amdhsa_user_sgpr_queue_ptr 0
		.amdhsa_user_sgpr_kernarg_segment_ptr 1
		.amdhsa_user_sgpr_dispatch_id 0
		.amdhsa_user_sgpr_private_segment_size 0
		.amdhsa_wavefront_size32 1
		.amdhsa_uses_dynamic_stack 0
		.amdhsa_enable_private_segment 0
		.amdhsa_system_sgpr_workgroup_id_x 1
		.amdhsa_system_sgpr_workgroup_id_y 0
		.amdhsa_system_sgpr_workgroup_id_z 0
		.amdhsa_system_sgpr_workgroup_info 0
		.amdhsa_system_vgpr_workitem_id 0
		.amdhsa_next_free_vgpr 1
		.amdhsa_next_free_sgpr 1
		.amdhsa_reserve_vcc 0
		.amdhsa_float_round_mode_32 0
		.amdhsa_float_round_mode_16_64 0
		.amdhsa_float_denorm_mode_32 3
		.amdhsa_float_denorm_mode_16_64 3
		.amdhsa_dx10_clamp 1
		.amdhsa_ieee_mode 1
		.amdhsa_fp16_overflow 0
		.amdhsa_workgroup_processor_mode 1
		.amdhsa_memory_ordered 1
		.amdhsa_forward_progress 0
		.amdhsa_shared_vgpr_count 0
		.amdhsa_exception_fp_ieee_invalid_op 0
		.amdhsa_exception_fp_denorm_src 0
		.amdhsa_exception_fp_ieee_div_zero 0
		.amdhsa_exception_fp_ieee_overflow 0
		.amdhsa_exception_fp_ieee_underflow 0
		.amdhsa_exception_fp_ieee_inexact 0
		.amdhsa_exception_int_div_zero 0
	.end_amdhsa_kernel
	.section	.text._ZN7rocprim17ROCPRIM_400000_NS6detail17trampoline_kernelINS0_14default_configENS1_25partition_config_selectorILNS1_17partition_subalgoE9EsjbEEZZNS1_14partition_implILS5_9ELb0ES3_jN6thrust23THRUST_200600_302600_NS6detail15normal_iteratorINS9_10device_ptrIsEEEENSB_INSC_IjEEEEPNS0_10empty_typeENS0_5tupleIJNS9_16discard_iteratorINS9_11use_defaultEEESH_EEENSJ_IJSG_SI_EEENS0_18inequality_wrapperINS9_8equal_toIsEEEEPmJSH_EEE10hipError_tPvRmT3_T4_T5_T6_T7_T9_mT8_P12ihipStream_tbDpT10_ENKUlT_T0_E_clISt17integral_constantIbLb1EES1C_IbLb0EEEEDaS18_S19_EUlS18_E_NS1_11comp_targetILNS1_3genE4ELNS1_11target_archE910ELNS1_3gpuE8ELNS1_3repE0EEENS1_30default_config_static_selectorELNS0_4arch9wavefront6targetE0EEEvT1_,"axG",@progbits,_ZN7rocprim17ROCPRIM_400000_NS6detail17trampoline_kernelINS0_14default_configENS1_25partition_config_selectorILNS1_17partition_subalgoE9EsjbEEZZNS1_14partition_implILS5_9ELb0ES3_jN6thrust23THRUST_200600_302600_NS6detail15normal_iteratorINS9_10device_ptrIsEEEENSB_INSC_IjEEEEPNS0_10empty_typeENS0_5tupleIJNS9_16discard_iteratorINS9_11use_defaultEEESH_EEENSJ_IJSG_SI_EEENS0_18inequality_wrapperINS9_8equal_toIsEEEEPmJSH_EEE10hipError_tPvRmT3_T4_T5_T6_T7_T9_mT8_P12ihipStream_tbDpT10_ENKUlT_T0_E_clISt17integral_constantIbLb1EES1C_IbLb0EEEEDaS18_S19_EUlS18_E_NS1_11comp_targetILNS1_3genE4ELNS1_11target_archE910ELNS1_3gpuE8ELNS1_3repE0EEENS1_30default_config_static_selectorELNS0_4arch9wavefront6targetE0EEEvT1_,comdat
.Lfunc_end1255:
	.size	_ZN7rocprim17ROCPRIM_400000_NS6detail17trampoline_kernelINS0_14default_configENS1_25partition_config_selectorILNS1_17partition_subalgoE9EsjbEEZZNS1_14partition_implILS5_9ELb0ES3_jN6thrust23THRUST_200600_302600_NS6detail15normal_iteratorINS9_10device_ptrIsEEEENSB_INSC_IjEEEEPNS0_10empty_typeENS0_5tupleIJNS9_16discard_iteratorINS9_11use_defaultEEESH_EEENSJ_IJSG_SI_EEENS0_18inequality_wrapperINS9_8equal_toIsEEEEPmJSH_EEE10hipError_tPvRmT3_T4_T5_T6_T7_T9_mT8_P12ihipStream_tbDpT10_ENKUlT_T0_E_clISt17integral_constantIbLb1EES1C_IbLb0EEEEDaS18_S19_EUlS18_E_NS1_11comp_targetILNS1_3genE4ELNS1_11target_archE910ELNS1_3gpuE8ELNS1_3repE0EEENS1_30default_config_static_selectorELNS0_4arch9wavefront6targetE0EEEvT1_, .Lfunc_end1255-_ZN7rocprim17ROCPRIM_400000_NS6detail17trampoline_kernelINS0_14default_configENS1_25partition_config_selectorILNS1_17partition_subalgoE9EsjbEEZZNS1_14partition_implILS5_9ELb0ES3_jN6thrust23THRUST_200600_302600_NS6detail15normal_iteratorINS9_10device_ptrIsEEEENSB_INSC_IjEEEEPNS0_10empty_typeENS0_5tupleIJNS9_16discard_iteratorINS9_11use_defaultEEESH_EEENSJ_IJSG_SI_EEENS0_18inequality_wrapperINS9_8equal_toIsEEEEPmJSH_EEE10hipError_tPvRmT3_T4_T5_T6_T7_T9_mT8_P12ihipStream_tbDpT10_ENKUlT_T0_E_clISt17integral_constantIbLb1EES1C_IbLb0EEEEDaS18_S19_EUlS18_E_NS1_11comp_targetILNS1_3genE4ELNS1_11target_archE910ELNS1_3gpuE8ELNS1_3repE0EEENS1_30default_config_static_selectorELNS0_4arch9wavefront6targetE0EEEvT1_
                                        ; -- End function
	.section	.AMDGPU.csdata,"",@progbits
; Kernel info:
; codeLenInByte = 0
; NumSgprs: 0
; NumVgprs: 0
; ScratchSize: 0
; MemoryBound: 0
; FloatMode: 240
; IeeeMode: 1
; LDSByteSize: 0 bytes/workgroup (compile time only)
; SGPRBlocks: 0
; VGPRBlocks: 0
; NumSGPRsForWavesPerEU: 1
; NumVGPRsForWavesPerEU: 1
; Occupancy: 15
; WaveLimiterHint : 0
; COMPUTE_PGM_RSRC2:SCRATCH_EN: 0
; COMPUTE_PGM_RSRC2:USER_SGPR: 15
; COMPUTE_PGM_RSRC2:TRAP_HANDLER: 0
; COMPUTE_PGM_RSRC2:TGID_X_EN: 1
; COMPUTE_PGM_RSRC2:TGID_Y_EN: 0
; COMPUTE_PGM_RSRC2:TGID_Z_EN: 0
; COMPUTE_PGM_RSRC2:TIDIG_COMP_CNT: 0
	.section	.text._ZN7rocprim17ROCPRIM_400000_NS6detail17trampoline_kernelINS0_14default_configENS1_25partition_config_selectorILNS1_17partition_subalgoE9EsjbEEZZNS1_14partition_implILS5_9ELb0ES3_jN6thrust23THRUST_200600_302600_NS6detail15normal_iteratorINS9_10device_ptrIsEEEENSB_INSC_IjEEEEPNS0_10empty_typeENS0_5tupleIJNS9_16discard_iteratorINS9_11use_defaultEEESH_EEENSJ_IJSG_SI_EEENS0_18inequality_wrapperINS9_8equal_toIsEEEEPmJSH_EEE10hipError_tPvRmT3_T4_T5_T6_T7_T9_mT8_P12ihipStream_tbDpT10_ENKUlT_T0_E_clISt17integral_constantIbLb1EES1C_IbLb0EEEEDaS18_S19_EUlS18_E_NS1_11comp_targetILNS1_3genE3ELNS1_11target_archE908ELNS1_3gpuE7ELNS1_3repE0EEENS1_30default_config_static_selectorELNS0_4arch9wavefront6targetE0EEEvT1_,"axG",@progbits,_ZN7rocprim17ROCPRIM_400000_NS6detail17trampoline_kernelINS0_14default_configENS1_25partition_config_selectorILNS1_17partition_subalgoE9EsjbEEZZNS1_14partition_implILS5_9ELb0ES3_jN6thrust23THRUST_200600_302600_NS6detail15normal_iteratorINS9_10device_ptrIsEEEENSB_INSC_IjEEEEPNS0_10empty_typeENS0_5tupleIJNS9_16discard_iteratorINS9_11use_defaultEEESH_EEENSJ_IJSG_SI_EEENS0_18inequality_wrapperINS9_8equal_toIsEEEEPmJSH_EEE10hipError_tPvRmT3_T4_T5_T6_T7_T9_mT8_P12ihipStream_tbDpT10_ENKUlT_T0_E_clISt17integral_constantIbLb1EES1C_IbLb0EEEEDaS18_S19_EUlS18_E_NS1_11comp_targetILNS1_3genE3ELNS1_11target_archE908ELNS1_3gpuE7ELNS1_3repE0EEENS1_30default_config_static_selectorELNS0_4arch9wavefront6targetE0EEEvT1_,comdat
	.protected	_ZN7rocprim17ROCPRIM_400000_NS6detail17trampoline_kernelINS0_14default_configENS1_25partition_config_selectorILNS1_17partition_subalgoE9EsjbEEZZNS1_14partition_implILS5_9ELb0ES3_jN6thrust23THRUST_200600_302600_NS6detail15normal_iteratorINS9_10device_ptrIsEEEENSB_INSC_IjEEEEPNS0_10empty_typeENS0_5tupleIJNS9_16discard_iteratorINS9_11use_defaultEEESH_EEENSJ_IJSG_SI_EEENS0_18inequality_wrapperINS9_8equal_toIsEEEEPmJSH_EEE10hipError_tPvRmT3_T4_T5_T6_T7_T9_mT8_P12ihipStream_tbDpT10_ENKUlT_T0_E_clISt17integral_constantIbLb1EES1C_IbLb0EEEEDaS18_S19_EUlS18_E_NS1_11comp_targetILNS1_3genE3ELNS1_11target_archE908ELNS1_3gpuE7ELNS1_3repE0EEENS1_30default_config_static_selectorELNS0_4arch9wavefront6targetE0EEEvT1_ ; -- Begin function _ZN7rocprim17ROCPRIM_400000_NS6detail17trampoline_kernelINS0_14default_configENS1_25partition_config_selectorILNS1_17partition_subalgoE9EsjbEEZZNS1_14partition_implILS5_9ELb0ES3_jN6thrust23THRUST_200600_302600_NS6detail15normal_iteratorINS9_10device_ptrIsEEEENSB_INSC_IjEEEEPNS0_10empty_typeENS0_5tupleIJNS9_16discard_iteratorINS9_11use_defaultEEESH_EEENSJ_IJSG_SI_EEENS0_18inequality_wrapperINS9_8equal_toIsEEEEPmJSH_EEE10hipError_tPvRmT3_T4_T5_T6_T7_T9_mT8_P12ihipStream_tbDpT10_ENKUlT_T0_E_clISt17integral_constantIbLb1EES1C_IbLb0EEEEDaS18_S19_EUlS18_E_NS1_11comp_targetILNS1_3genE3ELNS1_11target_archE908ELNS1_3gpuE7ELNS1_3repE0EEENS1_30default_config_static_selectorELNS0_4arch9wavefront6targetE0EEEvT1_
	.globl	_ZN7rocprim17ROCPRIM_400000_NS6detail17trampoline_kernelINS0_14default_configENS1_25partition_config_selectorILNS1_17partition_subalgoE9EsjbEEZZNS1_14partition_implILS5_9ELb0ES3_jN6thrust23THRUST_200600_302600_NS6detail15normal_iteratorINS9_10device_ptrIsEEEENSB_INSC_IjEEEEPNS0_10empty_typeENS0_5tupleIJNS9_16discard_iteratorINS9_11use_defaultEEESH_EEENSJ_IJSG_SI_EEENS0_18inequality_wrapperINS9_8equal_toIsEEEEPmJSH_EEE10hipError_tPvRmT3_T4_T5_T6_T7_T9_mT8_P12ihipStream_tbDpT10_ENKUlT_T0_E_clISt17integral_constantIbLb1EES1C_IbLb0EEEEDaS18_S19_EUlS18_E_NS1_11comp_targetILNS1_3genE3ELNS1_11target_archE908ELNS1_3gpuE7ELNS1_3repE0EEENS1_30default_config_static_selectorELNS0_4arch9wavefront6targetE0EEEvT1_
	.p2align	8
	.type	_ZN7rocprim17ROCPRIM_400000_NS6detail17trampoline_kernelINS0_14default_configENS1_25partition_config_selectorILNS1_17partition_subalgoE9EsjbEEZZNS1_14partition_implILS5_9ELb0ES3_jN6thrust23THRUST_200600_302600_NS6detail15normal_iteratorINS9_10device_ptrIsEEEENSB_INSC_IjEEEEPNS0_10empty_typeENS0_5tupleIJNS9_16discard_iteratorINS9_11use_defaultEEESH_EEENSJ_IJSG_SI_EEENS0_18inequality_wrapperINS9_8equal_toIsEEEEPmJSH_EEE10hipError_tPvRmT3_T4_T5_T6_T7_T9_mT8_P12ihipStream_tbDpT10_ENKUlT_T0_E_clISt17integral_constantIbLb1EES1C_IbLb0EEEEDaS18_S19_EUlS18_E_NS1_11comp_targetILNS1_3genE3ELNS1_11target_archE908ELNS1_3gpuE7ELNS1_3repE0EEENS1_30default_config_static_selectorELNS0_4arch9wavefront6targetE0EEEvT1_,@function
_ZN7rocprim17ROCPRIM_400000_NS6detail17trampoline_kernelINS0_14default_configENS1_25partition_config_selectorILNS1_17partition_subalgoE9EsjbEEZZNS1_14partition_implILS5_9ELb0ES3_jN6thrust23THRUST_200600_302600_NS6detail15normal_iteratorINS9_10device_ptrIsEEEENSB_INSC_IjEEEEPNS0_10empty_typeENS0_5tupleIJNS9_16discard_iteratorINS9_11use_defaultEEESH_EEENSJ_IJSG_SI_EEENS0_18inequality_wrapperINS9_8equal_toIsEEEEPmJSH_EEE10hipError_tPvRmT3_T4_T5_T6_T7_T9_mT8_P12ihipStream_tbDpT10_ENKUlT_T0_E_clISt17integral_constantIbLb1EES1C_IbLb0EEEEDaS18_S19_EUlS18_E_NS1_11comp_targetILNS1_3genE3ELNS1_11target_archE908ELNS1_3gpuE7ELNS1_3repE0EEENS1_30default_config_static_selectorELNS0_4arch9wavefront6targetE0EEEvT1_: ; @_ZN7rocprim17ROCPRIM_400000_NS6detail17trampoline_kernelINS0_14default_configENS1_25partition_config_selectorILNS1_17partition_subalgoE9EsjbEEZZNS1_14partition_implILS5_9ELb0ES3_jN6thrust23THRUST_200600_302600_NS6detail15normal_iteratorINS9_10device_ptrIsEEEENSB_INSC_IjEEEEPNS0_10empty_typeENS0_5tupleIJNS9_16discard_iteratorINS9_11use_defaultEEESH_EEENSJ_IJSG_SI_EEENS0_18inequality_wrapperINS9_8equal_toIsEEEEPmJSH_EEE10hipError_tPvRmT3_T4_T5_T6_T7_T9_mT8_P12ihipStream_tbDpT10_ENKUlT_T0_E_clISt17integral_constantIbLb1EES1C_IbLb0EEEEDaS18_S19_EUlS18_E_NS1_11comp_targetILNS1_3genE3ELNS1_11target_archE908ELNS1_3gpuE7ELNS1_3repE0EEENS1_30default_config_static_selectorELNS0_4arch9wavefront6targetE0EEEvT1_
; %bb.0:
	.section	.rodata,"a",@progbits
	.p2align	6, 0x0
	.amdhsa_kernel _ZN7rocprim17ROCPRIM_400000_NS6detail17trampoline_kernelINS0_14default_configENS1_25partition_config_selectorILNS1_17partition_subalgoE9EsjbEEZZNS1_14partition_implILS5_9ELb0ES3_jN6thrust23THRUST_200600_302600_NS6detail15normal_iteratorINS9_10device_ptrIsEEEENSB_INSC_IjEEEEPNS0_10empty_typeENS0_5tupleIJNS9_16discard_iteratorINS9_11use_defaultEEESH_EEENSJ_IJSG_SI_EEENS0_18inequality_wrapperINS9_8equal_toIsEEEEPmJSH_EEE10hipError_tPvRmT3_T4_T5_T6_T7_T9_mT8_P12ihipStream_tbDpT10_ENKUlT_T0_E_clISt17integral_constantIbLb1EES1C_IbLb0EEEEDaS18_S19_EUlS18_E_NS1_11comp_targetILNS1_3genE3ELNS1_11target_archE908ELNS1_3gpuE7ELNS1_3repE0EEENS1_30default_config_static_selectorELNS0_4arch9wavefront6targetE0EEEvT1_
		.amdhsa_group_segment_fixed_size 0
		.amdhsa_private_segment_fixed_size 0
		.amdhsa_kernarg_size 120
		.amdhsa_user_sgpr_count 15
		.amdhsa_user_sgpr_dispatch_ptr 0
		.amdhsa_user_sgpr_queue_ptr 0
		.amdhsa_user_sgpr_kernarg_segment_ptr 1
		.amdhsa_user_sgpr_dispatch_id 0
		.amdhsa_user_sgpr_private_segment_size 0
		.amdhsa_wavefront_size32 1
		.amdhsa_uses_dynamic_stack 0
		.amdhsa_enable_private_segment 0
		.amdhsa_system_sgpr_workgroup_id_x 1
		.amdhsa_system_sgpr_workgroup_id_y 0
		.amdhsa_system_sgpr_workgroup_id_z 0
		.amdhsa_system_sgpr_workgroup_info 0
		.amdhsa_system_vgpr_workitem_id 0
		.amdhsa_next_free_vgpr 1
		.amdhsa_next_free_sgpr 1
		.amdhsa_reserve_vcc 0
		.amdhsa_float_round_mode_32 0
		.amdhsa_float_round_mode_16_64 0
		.amdhsa_float_denorm_mode_32 3
		.amdhsa_float_denorm_mode_16_64 3
		.amdhsa_dx10_clamp 1
		.amdhsa_ieee_mode 1
		.amdhsa_fp16_overflow 0
		.amdhsa_workgroup_processor_mode 1
		.amdhsa_memory_ordered 1
		.amdhsa_forward_progress 0
		.amdhsa_shared_vgpr_count 0
		.amdhsa_exception_fp_ieee_invalid_op 0
		.amdhsa_exception_fp_denorm_src 0
		.amdhsa_exception_fp_ieee_div_zero 0
		.amdhsa_exception_fp_ieee_overflow 0
		.amdhsa_exception_fp_ieee_underflow 0
		.amdhsa_exception_fp_ieee_inexact 0
		.amdhsa_exception_int_div_zero 0
	.end_amdhsa_kernel
	.section	.text._ZN7rocprim17ROCPRIM_400000_NS6detail17trampoline_kernelINS0_14default_configENS1_25partition_config_selectorILNS1_17partition_subalgoE9EsjbEEZZNS1_14partition_implILS5_9ELb0ES3_jN6thrust23THRUST_200600_302600_NS6detail15normal_iteratorINS9_10device_ptrIsEEEENSB_INSC_IjEEEEPNS0_10empty_typeENS0_5tupleIJNS9_16discard_iteratorINS9_11use_defaultEEESH_EEENSJ_IJSG_SI_EEENS0_18inequality_wrapperINS9_8equal_toIsEEEEPmJSH_EEE10hipError_tPvRmT3_T4_T5_T6_T7_T9_mT8_P12ihipStream_tbDpT10_ENKUlT_T0_E_clISt17integral_constantIbLb1EES1C_IbLb0EEEEDaS18_S19_EUlS18_E_NS1_11comp_targetILNS1_3genE3ELNS1_11target_archE908ELNS1_3gpuE7ELNS1_3repE0EEENS1_30default_config_static_selectorELNS0_4arch9wavefront6targetE0EEEvT1_,"axG",@progbits,_ZN7rocprim17ROCPRIM_400000_NS6detail17trampoline_kernelINS0_14default_configENS1_25partition_config_selectorILNS1_17partition_subalgoE9EsjbEEZZNS1_14partition_implILS5_9ELb0ES3_jN6thrust23THRUST_200600_302600_NS6detail15normal_iteratorINS9_10device_ptrIsEEEENSB_INSC_IjEEEEPNS0_10empty_typeENS0_5tupleIJNS9_16discard_iteratorINS9_11use_defaultEEESH_EEENSJ_IJSG_SI_EEENS0_18inequality_wrapperINS9_8equal_toIsEEEEPmJSH_EEE10hipError_tPvRmT3_T4_T5_T6_T7_T9_mT8_P12ihipStream_tbDpT10_ENKUlT_T0_E_clISt17integral_constantIbLb1EES1C_IbLb0EEEEDaS18_S19_EUlS18_E_NS1_11comp_targetILNS1_3genE3ELNS1_11target_archE908ELNS1_3gpuE7ELNS1_3repE0EEENS1_30default_config_static_selectorELNS0_4arch9wavefront6targetE0EEEvT1_,comdat
.Lfunc_end1256:
	.size	_ZN7rocprim17ROCPRIM_400000_NS6detail17trampoline_kernelINS0_14default_configENS1_25partition_config_selectorILNS1_17partition_subalgoE9EsjbEEZZNS1_14partition_implILS5_9ELb0ES3_jN6thrust23THRUST_200600_302600_NS6detail15normal_iteratorINS9_10device_ptrIsEEEENSB_INSC_IjEEEEPNS0_10empty_typeENS0_5tupleIJNS9_16discard_iteratorINS9_11use_defaultEEESH_EEENSJ_IJSG_SI_EEENS0_18inequality_wrapperINS9_8equal_toIsEEEEPmJSH_EEE10hipError_tPvRmT3_T4_T5_T6_T7_T9_mT8_P12ihipStream_tbDpT10_ENKUlT_T0_E_clISt17integral_constantIbLb1EES1C_IbLb0EEEEDaS18_S19_EUlS18_E_NS1_11comp_targetILNS1_3genE3ELNS1_11target_archE908ELNS1_3gpuE7ELNS1_3repE0EEENS1_30default_config_static_selectorELNS0_4arch9wavefront6targetE0EEEvT1_, .Lfunc_end1256-_ZN7rocprim17ROCPRIM_400000_NS6detail17trampoline_kernelINS0_14default_configENS1_25partition_config_selectorILNS1_17partition_subalgoE9EsjbEEZZNS1_14partition_implILS5_9ELb0ES3_jN6thrust23THRUST_200600_302600_NS6detail15normal_iteratorINS9_10device_ptrIsEEEENSB_INSC_IjEEEEPNS0_10empty_typeENS0_5tupleIJNS9_16discard_iteratorINS9_11use_defaultEEESH_EEENSJ_IJSG_SI_EEENS0_18inequality_wrapperINS9_8equal_toIsEEEEPmJSH_EEE10hipError_tPvRmT3_T4_T5_T6_T7_T9_mT8_P12ihipStream_tbDpT10_ENKUlT_T0_E_clISt17integral_constantIbLb1EES1C_IbLb0EEEEDaS18_S19_EUlS18_E_NS1_11comp_targetILNS1_3genE3ELNS1_11target_archE908ELNS1_3gpuE7ELNS1_3repE0EEENS1_30default_config_static_selectorELNS0_4arch9wavefront6targetE0EEEvT1_
                                        ; -- End function
	.section	.AMDGPU.csdata,"",@progbits
; Kernel info:
; codeLenInByte = 0
; NumSgprs: 0
; NumVgprs: 0
; ScratchSize: 0
; MemoryBound: 0
; FloatMode: 240
; IeeeMode: 1
; LDSByteSize: 0 bytes/workgroup (compile time only)
; SGPRBlocks: 0
; VGPRBlocks: 0
; NumSGPRsForWavesPerEU: 1
; NumVGPRsForWavesPerEU: 1
; Occupancy: 16
; WaveLimiterHint : 0
; COMPUTE_PGM_RSRC2:SCRATCH_EN: 0
; COMPUTE_PGM_RSRC2:USER_SGPR: 15
; COMPUTE_PGM_RSRC2:TRAP_HANDLER: 0
; COMPUTE_PGM_RSRC2:TGID_X_EN: 1
; COMPUTE_PGM_RSRC2:TGID_Y_EN: 0
; COMPUTE_PGM_RSRC2:TGID_Z_EN: 0
; COMPUTE_PGM_RSRC2:TIDIG_COMP_CNT: 0
	.section	.text._ZN7rocprim17ROCPRIM_400000_NS6detail17trampoline_kernelINS0_14default_configENS1_25partition_config_selectorILNS1_17partition_subalgoE9EsjbEEZZNS1_14partition_implILS5_9ELb0ES3_jN6thrust23THRUST_200600_302600_NS6detail15normal_iteratorINS9_10device_ptrIsEEEENSB_INSC_IjEEEEPNS0_10empty_typeENS0_5tupleIJNS9_16discard_iteratorINS9_11use_defaultEEESH_EEENSJ_IJSG_SI_EEENS0_18inequality_wrapperINS9_8equal_toIsEEEEPmJSH_EEE10hipError_tPvRmT3_T4_T5_T6_T7_T9_mT8_P12ihipStream_tbDpT10_ENKUlT_T0_E_clISt17integral_constantIbLb1EES1C_IbLb0EEEEDaS18_S19_EUlS18_E_NS1_11comp_targetILNS1_3genE2ELNS1_11target_archE906ELNS1_3gpuE6ELNS1_3repE0EEENS1_30default_config_static_selectorELNS0_4arch9wavefront6targetE0EEEvT1_,"axG",@progbits,_ZN7rocprim17ROCPRIM_400000_NS6detail17trampoline_kernelINS0_14default_configENS1_25partition_config_selectorILNS1_17partition_subalgoE9EsjbEEZZNS1_14partition_implILS5_9ELb0ES3_jN6thrust23THRUST_200600_302600_NS6detail15normal_iteratorINS9_10device_ptrIsEEEENSB_INSC_IjEEEEPNS0_10empty_typeENS0_5tupleIJNS9_16discard_iteratorINS9_11use_defaultEEESH_EEENSJ_IJSG_SI_EEENS0_18inequality_wrapperINS9_8equal_toIsEEEEPmJSH_EEE10hipError_tPvRmT3_T4_T5_T6_T7_T9_mT8_P12ihipStream_tbDpT10_ENKUlT_T0_E_clISt17integral_constantIbLb1EES1C_IbLb0EEEEDaS18_S19_EUlS18_E_NS1_11comp_targetILNS1_3genE2ELNS1_11target_archE906ELNS1_3gpuE6ELNS1_3repE0EEENS1_30default_config_static_selectorELNS0_4arch9wavefront6targetE0EEEvT1_,comdat
	.protected	_ZN7rocprim17ROCPRIM_400000_NS6detail17trampoline_kernelINS0_14default_configENS1_25partition_config_selectorILNS1_17partition_subalgoE9EsjbEEZZNS1_14partition_implILS5_9ELb0ES3_jN6thrust23THRUST_200600_302600_NS6detail15normal_iteratorINS9_10device_ptrIsEEEENSB_INSC_IjEEEEPNS0_10empty_typeENS0_5tupleIJNS9_16discard_iteratorINS9_11use_defaultEEESH_EEENSJ_IJSG_SI_EEENS0_18inequality_wrapperINS9_8equal_toIsEEEEPmJSH_EEE10hipError_tPvRmT3_T4_T5_T6_T7_T9_mT8_P12ihipStream_tbDpT10_ENKUlT_T0_E_clISt17integral_constantIbLb1EES1C_IbLb0EEEEDaS18_S19_EUlS18_E_NS1_11comp_targetILNS1_3genE2ELNS1_11target_archE906ELNS1_3gpuE6ELNS1_3repE0EEENS1_30default_config_static_selectorELNS0_4arch9wavefront6targetE0EEEvT1_ ; -- Begin function _ZN7rocprim17ROCPRIM_400000_NS6detail17trampoline_kernelINS0_14default_configENS1_25partition_config_selectorILNS1_17partition_subalgoE9EsjbEEZZNS1_14partition_implILS5_9ELb0ES3_jN6thrust23THRUST_200600_302600_NS6detail15normal_iteratorINS9_10device_ptrIsEEEENSB_INSC_IjEEEEPNS0_10empty_typeENS0_5tupleIJNS9_16discard_iteratorINS9_11use_defaultEEESH_EEENSJ_IJSG_SI_EEENS0_18inequality_wrapperINS9_8equal_toIsEEEEPmJSH_EEE10hipError_tPvRmT3_T4_T5_T6_T7_T9_mT8_P12ihipStream_tbDpT10_ENKUlT_T0_E_clISt17integral_constantIbLb1EES1C_IbLb0EEEEDaS18_S19_EUlS18_E_NS1_11comp_targetILNS1_3genE2ELNS1_11target_archE906ELNS1_3gpuE6ELNS1_3repE0EEENS1_30default_config_static_selectorELNS0_4arch9wavefront6targetE0EEEvT1_
	.globl	_ZN7rocprim17ROCPRIM_400000_NS6detail17trampoline_kernelINS0_14default_configENS1_25partition_config_selectorILNS1_17partition_subalgoE9EsjbEEZZNS1_14partition_implILS5_9ELb0ES3_jN6thrust23THRUST_200600_302600_NS6detail15normal_iteratorINS9_10device_ptrIsEEEENSB_INSC_IjEEEEPNS0_10empty_typeENS0_5tupleIJNS9_16discard_iteratorINS9_11use_defaultEEESH_EEENSJ_IJSG_SI_EEENS0_18inequality_wrapperINS9_8equal_toIsEEEEPmJSH_EEE10hipError_tPvRmT3_T4_T5_T6_T7_T9_mT8_P12ihipStream_tbDpT10_ENKUlT_T0_E_clISt17integral_constantIbLb1EES1C_IbLb0EEEEDaS18_S19_EUlS18_E_NS1_11comp_targetILNS1_3genE2ELNS1_11target_archE906ELNS1_3gpuE6ELNS1_3repE0EEENS1_30default_config_static_selectorELNS0_4arch9wavefront6targetE0EEEvT1_
	.p2align	8
	.type	_ZN7rocprim17ROCPRIM_400000_NS6detail17trampoline_kernelINS0_14default_configENS1_25partition_config_selectorILNS1_17partition_subalgoE9EsjbEEZZNS1_14partition_implILS5_9ELb0ES3_jN6thrust23THRUST_200600_302600_NS6detail15normal_iteratorINS9_10device_ptrIsEEEENSB_INSC_IjEEEEPNS0_10empty_typeENS0_5tupleIJNS9_16discard_iteratorINS9_11use_defaultEEESH_EEENSJ_IJSG_SI_EEENS0_18inequality_wrapperINS9_8equal_toIsEEEEPmJSH_EEE10hipError_tPvRmT3_T4_T5_T6_T7_T9_mT8_P12ihipStream_tbDpT10_ENKUlT_T0_E_clISt17integral_constantIbLb1EES1C_IbLb0EEEEDaS18_S19_EUlS18_E_NS1_11comp_targetILNS1_3genE2ELNS1_11target_archE906ELNS1_3gpuE6ELNS1_3repE0EEENS1_30default_config_static_selectorELNS0_4arch9wavefront6targetE0EEEvT1_,@function
_ZN7rocprim17ROCPRIM_400000_NS6detail17trampoline_kernelINS0_14default_configENS1_25partition_config_selectorILNS1_17partition_subalgoE9EsjbEEZZNS1_14partition_implILS5_9ELb0ES3_jN6thrust23THRUST_200600_302600_NS6detail15normal_iteratorINS9_10device_ptrIsEEEENSB_INSC_IjEEEEPNS0_10empty_typeENS0_5tupleIJNS9_16discard_iteratorINS9_11use_defaultEEESH_EEENSJ_IJSG_SI_EEENS0_18inequality_wrapperINS9_8equal_toIsEEEEPmJSH_EEE10hipError_tPvRmT3_T4_T5_T6_T7_T9_mT8_P12ihipStream_tbDpT10_ENKUlT_T0_E_clISt17integral_constantIbLb1EES1C_IbLb0EEEEDaS18_S19_EUlS18_E_NS1_11comp_targetILNS1_3genE2ELNS1_11target_archE906ELNS1_3gpuE6ELNS1_3repE0EEENS1_30default_config_static_selectorELNS0_4arch9wavefront6targetE0EEEvT1_: ; @_ZN7rocprim17ROCPRIM_400000_NS6detail17trampoline_kernelINS0_14default_configENS1_25partition_config_selectorILNS1_17partition_subalgoE9EsjbEEZZNS1_14partition_implILS5_9ELb0ES3_jN6thrust23THRUST_200600_302600_NS6detail15normal_iteratorINS9_10device_ptrIsEEEENSB_INSC_IjEEEEPNS0_10empty_typeENS0_5tupleIJNS9_16discard_iteratorINS9_11use_defaultEEESH_EEENSJ_IJSG_SI_EEENS0_18inequality_wrapperINS9_8equal_toIsEEEEPmJSH_EEE10hipError_tPvRmT3_T4_T5_T6_T7_T9_mT8_P12ihipStream_tbDpT10_ENKUlT_T0_E_clISt17integral_constantIbLb1EES1C_IbLb0EEEEDaS18_S19_EUlS18_E_NS1_11comp_targetILNS1_3genE2ELNS1_11target_archE906ELNS1_3gpuE6ELNS1_3repE0EEENS1_30default_config_static_selectorELNS0_4arch9wavefront6targetE0EEEvT1_
; %bb.0:
	.section	.rodata,"a",@progbits
	.p2align	6, 0x0
	.amdhsa_kernel _ZN7rocprim17ROCPRIM_400000_NS6detail17trampoline_kernelINS0_14default_configENS1_25partition_config_selectorILNS1_17partition_subalgoE9EsjbEEZZNS1_14partition_implILS5_9ELb0ES3_jN6thrust23THRUST_200600_302600_NS6detail15normal_iteratorINS9_10device_ptrIsEEEENSB_INSC_IjEEEEPNS0_10empty_typeENS0_5tupleIJNS9_16discard_iteratorINS9_11use_defaultEEESH_EEENSJ_IJSG_SI_EEENS0_18inequality_wrapperINS9_8equal_toIsEEEEPmJSH_EEE10hipError_tPvRmT3_T4_T5_T6_T7_T9_mT8_P12ihipStream_tbDpT10_ENKUlT_T0_E_clISt17integral_constantIbLb1EES1C_IbLb0EEEEDaS18_S19_EUlS18_E_NS1_11comp_targetILNS1_3genE2ELNS1_11target_archE906ELNS1_3gpuE6ELNS1_3repE0EEENS1_30default_config_static_selectorELNS0_4arch9wavefront6targetE0EEEvT1_
		.amdhsa_group_segment_fixed_size 0
		.amdhsa_private_segment_fixed_size 0
		.amdhsa_kernarg_size 120
		.amdhsa_user_sgpr_count 15
		.amdhsa_user_sgpr_dispatch_ptr 0
		.amdhsa_user_sgpr_queue_ptr 0
		.amdhsa_user_sgpr_kernarg_segment_ptr 1
		.amdhsa_user_sgpr_dispatch_id 0
		.amdhsa_user_sgpr_private_segment_size 0
		.amdhsa_wavefront_size32 1
		.amdhsa_uses_dynamic_stack 0
		.amdhsa_enable_private_segment 0
		.amdhsa_system_sgpr_workgroup_id_x 1
		.amdhsa_system_sgpr_workgroup_id_y 0
		.amdhsa_system_sgpr_workgroup_id_z 0
		.amdhsa_system_sgpr_workgroup_info 0
		.amdhsa_system_vgpr_workitem_id 0
		.amdhsa_next_free_vgpr 1
		.amdhsa_next_free_sgpr 1
		.amdhsa_reserve_vcc 0
		.amdhsa_float_round_mode_32 0
		.amdhsa_float_round_mode_16_64 0
		.amdhsa_float_denorm_mode_32 3
		.amdhsa_float_denorm_mode_16_64 3
		.amdhsa_dx10_clamp 1
		.amdhsa_ieee_mode 1
		.amdhsa_fp16_overflow 0
		.amdhsa_workgroup_processor_mode 1
		.amdhsa_memory_ordered 1
		.amdhsa_forward_progress 0
		.amdhsa_shared_vgpr_count 0
		.amdhsa_exception_fp_ieee_invalid_op 0
		.amdhsa_exception_fp_denorm_src 0
		.amdhsa_exception_fp_ieee_div_zero 0
		.amdhsa_exception_fp_ieee_overflow 0
		.amdhsa_exception_fp_ieee_underflow 0
		.amdhsa_exception_fp_ieee_inexact 0
		.amdhsa_exception_int_div_zero 0
	.end_amdhsa_kernel
	.section	.text._ZN7rocprim17ROCPRIM_400000_NS6detail17trampoline_kernelINS0_14default_configENS1_25partition_config_selectorILNS1_17partition_subalgoE9EsjbEEZZNS1_14partition_implILS5_9ELb0ES3_jN6thrust23THRUST_200600_302600_NS6detail15normal_iteratorINS9_10device_ptrIsEEEENSB_INSC_IjEEEEPNS0_10empty_typeENS0_5tupleIJNS9_16discard_iteratorINS9_11use_defaultEEESH_EEENSJ_IJSG_SI_EEENS0_18inequality_wrapperINS9_8equal_toIsEEEEPmJSH_EEE10hipError_tPvRmT3_T4_T5_T6_T7_T9_mT8_P12ihipStream_tbDpT10_ENKUlT_T0_E_clISt17integral_constantIbLb1EES1C_IbLb0EEEEDaS18_S19_EUlS18_E_NS1_11comp_targetILNS1_3genE2ELNS1_11target_archE906ELNS1_3gpuE6ELNS1_3repE0EEENS1_30default_config_static_selectorELNS0_4arch9wavefront6targetE0EEEvT1_,"axG",@progbits,_ZN7rocprim17ROCPRIM_400000_NS6detail17trampoline_kernelINS0_14default_configENS1_25partition_config_selectorILNS1_17partition_subalgoE9EsjbEEZZNS1_14partition_implILS5_9ELb0ES3_jN6thrust23THRUST_200600_302600_NS6detail15normal_iteratorINS9_10device_ptrIsEEEENSB_INSC_IjEEEEPNS0_10empty_typeENS0_5tupleIJNS9_16discard_iteratorINS9_11use_defaultEEESH_EEENSJ_IJSG_SI_EEENS0_18inequality_wrapperINS9_8equal_toIsEEEEPmJSH_EEE10hipError_tPvRmT3_T4_T5_T6_T7_T9_mT8_P12ihipStream_tbDpT10_ENKUlT_T0_E_clISt17integral_constantIbLb1EES1C_IbLb0EEEEDaS18_S19_EUlS18_E_NS1_11comp_targetILNS1_3genE2ELNS1_11target_archE906ELNS1_3gpuE6ELNS1_3repE0EEENS1_30default_config_static_selectorELNS0_4arch9wavefront6targetE0EEEvT1_,comdat
.Lfunc_end1257:
	.size	_ZN7rocprim17ROCPRIM_400000_NS6detail17trampoline_kernelINS0_14default_configENS1_25partition_config_selectorILNS1_17partition_subalgoE9EsjbEEZZNS1_14partition_implILS5_9ELb0ES3_jN6thrust23THRUST_200600_302600_NS6detail15normal_iteratorINS9_10device_ptrIsEEEENSB_INSC_IjEEEEPNS0_10empty_typeENS0_5tupleIJNS9_16discard_iteratorINS9_11use_defaultEEESH_EEENSJ_IJSG_SI_EEENS0_18inequality_wrapperINS9_8equal_toIsEEEEPmJSH_EEE10hipError_tPvRmT3_T4_T5_T6_T7_T9_mT8_P12ihipStream_tbDpT10_ENKUlT_T0_E_clISt17integral_constantIbLb1EES1C_IbLb0EEEEDaS18_S19_EUlS18_E_NS1_11comp_targetILNS1_3genE2ELNS1_11target_archE906ELNS1_3gpuE6ELNS1_3repE0EEENS1_30default_config_static_selectorELNS0_4arch9wavefront6targetE0EEEvT1_, .Lfunc_end1257-_ZN7rocprim17ROCPRIM_400000_NS6detail17trampoline_kernelINS0_14default_configENS1_25partition_config_selectorILNS1_17partition_subalgoE9EsjbEEZZNS1_14partition_implILS5_9ELb0ES3_jN6thrust23THRUST_200600_302600_NS6detail15normal_iteratorINS9_10device_ptrIsEEEENSB_INSC_IjEEEEPNS0_10empty_typeENS0_5tupleIJNS9_16discard_iteratorINS9_11use_defaultEEESH_EEENSJ_IJSG_SI_EEENS0_18inequality_wrapperINS9_8equal_toIsEEEEPmJSH_EEE10hipError_tPvRmT3_T4_T5_T6_T7_T9_mT8_P12ihipStream_tbDpT10_ENKUlT_T0_E_clISt17integral_constantIbLb1EES1C_IbLb0EEEEDaS18_S19_EUlS18_E_NS1_11comp_targetILNS1_3genE2ELNS1_11target_archE906ELNS1_3gpuE6ELNS1_3repE0EEENS1_30default_config_static_selectorELNS0_4arch9wavefront6targetE0EEEvT1_
                                        ; -- End function
	.section	.AMDGPU.csdata,"",@progbits
; Kernel info:
; codeLenInByte = 0
; NumSgprs: 0
; NumVgprs: 0
; ScratchSize: 0
; MemoryBound: 0
; FloatMode: 240
; IeeeMode: 1
; LDSByteSize: 0 bytes/workgroup (compile time only)
; SGPRBlocks: 0
; VGPRBlocks: 0
; NumSGPRsForWavesPerEU: 1
; NumVGPRsForWavesPerEU: 1
; Occupancy: 16
; WaveLimiterHint : 0
; COMPUTE_PGM_RSRC2:SCRATCH_EN: 0
; COMPUTE_PGM_RSRC2:USER_SGPR: 15
; COMPUTE_PGM_RSRC2:TRAP_HANDLER: 0
; COMPUTE_PGM_RSRC2:TGID_X_EN: 1
; COMPUTE_PGM_RSRC2:TGID_Y_EN: 0
; COMPUTE_PGM_RSRC2:TGID_Z_EN: 0
; COMPUTE_PGM_RSRC2:TIDIG_COMP_CNT: 0
	.section	.text._ZN7rocprim17ROCPRIM_400000_NS6detail17trampoline_kernelINS0_14default_configENS1_25partition_config_selectorILNS1_17partition_subalgoE9EsjbEEZZNS1_14partition_implILS5_9ELb0ES3_jN6thrust23THRUST_200600_302600_NS6detail15normal_iteratorINS9_10device_ptrIsEEEENSB_INSC_IjEEEEPNS0_10empty_typeENS0_5tupleIJNS9_16discard_iteratorINS9_11use_defaultEEESH_EEENSJ_IJSG_SI_EEENS0_18inequality_wrapperINS9_8equal_toIsEEEEPmJSH_EEE10hipError_tPvRmT3_T4_T5_T6_T7_T9_mT8_P12ihipStream_tbDpT10_ENKUlT_T0_E_clISt17integral_constantIbLb1EES1C_IbLb0EEEEDaS18_S19_EUlS18_E_NS1_11comp_targetILNS1_3genE10ELNS1_11target_archE1200ELNS1_3gpuE4ELNS1_3repE0EEENS1_30default_config_static_selectorELNS0_4arch9wavefront6targetE0EEEvT1_,"axG",@progbits,_ZN7rocprim17ROCPRIM_400000_NS6detail17trampoline_kernelINS0_14default_configENS1_25partition_config_selectorILNS1_17partition_subalgoE9EsjbEEZZNS1_14partition_implILS5_9ELb0ES3_jN6thrust23THRUST_200600_302600_NS6detail15normal_iteratorINS9_10device_ptrIsEEEENSB_INSC_IjEEEEPNS0_10empty_typeENS0_5tupleIJNS9_16discard_iteratorINS9_11use_defaultEEESH_EEENSJ_IJSG_SI_EEENS0_18inequality_wrapperINS9_8equal_toIsEEEEPmJSH_EEE10hipError_tPvRmT3_T4_T5_T6_T7_T9_mT8_P12ihipStream_tbDpT10_ENKUlT_T0_E_clISt17integral_constantIbLb1EES1C_IbLb0EEEEDaS18_S19_EUlS18_E_NS1_11comp_targetILNS1_3genE10ELNS1_11target_archE1200ELNS1_3gpuE4ELNS1_3repE0EEENS1_30default_config_static_selectorELNS0_4arch9wavefront6targetE0EEEvT1_,comdat
	.protected	_ZN7rocprim17ROCPRIM_400000_NS6detail17trampoline_kernelINS0_14default_configENS1_25partition_config_selectorILNS1_17partition_subalgoE9EsjbEEZZNS1_14partition_implILS5_9ELb0ES3_jN6thrust23THRUST_200600_302600_NS6detail15normal_iteratorINS9_10device_ptrIsEEEENSB_INSC_IjEEEEPNS0_10empty_typeENS0_5tupleIJNS9_16discard_iteratorINS9_11use_defaultEEESH_EEENSJ_IJSG_SI_EEENS0_18inequality_wrapperINS9_8equal_toIsEEEEPmJSH_EEE10hipError_tPvRmT3_T4_T5_T6_T7_T9_mT8_P12ihipStream_tbDpT10_ENKUlT_T0_E_clISt17integral_constantIbLb1EES1C_IbLb0EEEEDaS18_S19_EUlS18_E_NS1_11comp_targetILNS1_3genE10ELNS1_11target_archE1200ELNS1_3gpuE4ELNS1_3repE0EEENS1_30default_config_static_selectorELNS0_4arch9wavefront6targetE0EEEvT1_ ; -- Begin function _ZN7rocprim17ROCPRIM_400000_NS6detail17trampoline_kernelINS0_14default_configENS1_25partition_config_selectorILNS1_17partition_subalgoE9EsjbEEZZNS1_14partition_implILS5_9ELb0ES3_jN6thrust23THRUST_200600_302600_NS6detail15normal_iteratorINS9_10device_ptrIsEEEENSB_INSC_IjEEEEPNS0_10empty_typeENS0_5tupleIJNS9_16discard_iteratorINS9_11use_defaultEEESH_EEENSJ_IJSG_SI_EEENS0_18inequality_wrapperINS9_8equal_toIsEEEEPmJSH_EEE10hipError_tPvRmT3_T4_T5_T6_T7_T9_mT8_P12ihipStream_tbDpT10_ENKUlT_T0_E_clISt17integral_constantIbLb1EES1C_IbLb0EEEEDaS18_S19_EUlS18_E_NS1_11comp_targetILNS1_3genE10ELNS1_11target_archE1200ELNS1_3gpuE4ELNS1_3repE0EEENS1_30default_config_static_selectorELNS0_4arch9wavefront6targetE0EEEvT1_
	.globl	_ZN7rocprim17ROCPRIM_400000_NS6detail17trampoline_kernelINS0_14default_configENS1_25partition_config_selectorILNS1_17partition_subalgoE9EsjbEEZZNS1_14partition_implILS5_9ELb0ES3_jN6thrust23THRUST_200600_302600_NS6detail15normal_iteratorINS9_10device_ptrIsEEEENSB_INSC_IjEEEEPNS0_10empty_typeENS0_5tupleIJNS9_16discard_iteratorINS9_11use_defaultEEESH_EEENSJ_IJSG_SI_EEENS0_18inequality_wrapperINS9_8equal_toIsEEEEPmJSH_EEE10hipError_tPvRmT3_T4_T5_T6_T7_T9_mT8_P12ihipStream_tbDpT10_ENKUlT_T0_E_clISt17integral_constantIbLb1EES1C_IbLb0EEEEDaS18_S19_EUlS18_E_NS1_11comp_targetILNS1_3genE10ELNS1_11target_archE1200ELNS1_3gpuE4ELNS1_3repE0EEENS1_30default_config_static_selectorELNS0_4arch9wavefront6targetE0EEEvT1_
	.p2align	8
	.type	_ZN7rocprim17ROCPRIM_400000_NS6detail17trampoline_kernelINS0_14default_configENS1_25partition_config_selectorILNS1_17partition_subalgoE9EsjbEEZZNS1_14partition_implILS5_9ELb0ES3_jN6thrust23THRUST_200600_302600_NS6detail15normal_iteratorINS9_10device_ptrIsEEEENSB_INSC_IjEEEEPNS0_10empty_typeENS0_5tupleIJNS9_16discard_iteratorINS9_11use_defaultEEESH_EEENSJ_IJSG_SI_EEENS0_18inequality_wrapperINS9_8equal_toIsEEEEPmJSH_EEE10hipError_tPvRmT3_T4_T5_T6_T7_T9_mT8_P12ihipStream_tbDpT10_ENKUlT_T0_E_clISt17integral_constantIbLb1EES1C_IbLb0EEEEDaS18_S19_EUlS18_E_NS1_11comp_targetILNS1_3genE10ELNS1_11target_archE1200ELNS1_3gpuE4ELNS1_3repE0EEENS1_30default_config_static_selectorELNS0_4arch9wavefront6targetE0EEEvT1_,@function
_ZN7rocprim17ROCPRIM_400000_NS6detail17trampoline_kernelINS0_14default_configENS1_25partition_config_selectorILNS1_17partition_subalgoE9EsjbEEZZNS1_14partition_implILS5_9ELb0ES3_jN6thrust23THRUST_200600_302600_NS6detail15normal_iteratorINS9_10device_ptrIsEEEENSB_INSC_IjEEEEPNS0_10empty_typeENS0_5tupleIJNS9_16discard_iteratorINS9_11use_defaultEEESH_EEENSJ_IJSG_SI_EEENS0_18inequality_wrapperINS9_8equal_toIsEEEEPmJSH_EEE10hipError_tPvRmT3_T4_T5_T6_T7_T9_mT8_P12ihipStream_tbDpT10_ENKUlT_T0_E_clISt17integral_constantIbLb1EES1C_IbLb0EEEEDaS18_S19_EUlS18_E_NS1_11comp_targetILNS1_3genE10ELNS1_11target_archE1200ELNS1_3gpuE4ELNS1_3repE0EEENS1_30default_config_static_selectorELNS0_4arch9wavefront6targetE0EEEvT1_: ; @_ZN7rocprim17ROCPRIM_400000_NS6detail17trampoline_kernelINS0_14default_configENS1_25partition_config_selectorILNS1_17partition_subalgoE9EsjbEEZZNS1_14partition_implILS5_9ELb0ES3_jN6thrust23THRUST_200600_302600_NS6detail15normal_iteratorINS9_10device_ptrIsEEEENSB_INSC_IjEEEEPNS0_10empty_typeENS0_5tupleIJNS9_16discard_iteratorINS9_11use_defaultEEESH_EEENSJ_IJSG_SI_EEENS0_18inequality_wrapperINS9_8equal_toIsEEEEPmJSH_EEE10hipError_tPvRmT3_T4_T5_T6_T7_T9_mT8_P12ihipStream_tbDpT10_ENKUlT_T0_E_clISt17integral_constantIbLb1EES1C_IbLb0EEEEDaS18_S19_EUlS18_E_NS1_11comp_targetILNS1_3genE10ELNS1_11target_archE1200ELNS1_3gpuE4ELNS1_3repE0EEENS1_30default_config_static_selectorELNS0_4arch9wavefront6targetE0EEEvT1_
; %bb.0:
	.section	.rodata,"a",@progbits
	.p2align	6, 0x0
	.amdhsa_kernel _ZN7rocprim17ROCPRIM_400000_NS6detail17trampoline_kernelINS0_14default_configENS1_25partition_config_selectorILNS1_17partition_subalgoE9EsjbEEZZNS1_14partition_implILS5_9ELb0ES3_jN6thrust23THRUST_200600_302600_NS6detail15normal_iteratorINS9_10device_ptrIsEEEENSB_INSC_IjEEEEPNS0_10empty_typeENS0_5tupleIJNS9_16discard_iteratorINS9_11use_defaultEEESH_EEENSJ_IJSG_SI_EEENS0_18inequality_wrapperINS9_8equal_toIsEEEEPmJSH_EEE10hipError_tPvRmT3_T4_T5_T6_T7_T9_mT8_P12ihipStream_tbDpT10_ENKUlT_T0_E_clISt17integral_constantIbLb1EES1C_IbLb0EEEEDaS18_S19_EUlS18_E_NS1_11comp_targetILNS1_3genE10ELNS1_11target_archE1200ELNS1_3gpuE4ELNS1_3repE0EEENS1_30default_config_static_selectorELNS0_4arch9wavefront6targetE0EEEvT1_
		.amdhsa_group_segment_fixed_size 0
		.amdhsa_private_segment_fixed_size 0
		.amdhsa_kernarg_size 120
		.amdhsa_user_sgpr_count 15
		.amdhsa_user_sgpr_dispatch_ptr 0
		.amdhsa_user_sgpr_queue_ptr 0
		.amdhsa_user_sgpr_kernarg_segment_ptr 1
		.amdhsa_user_sgpr_dispatch_id 0
		.amdhsa_user_sgpr_private_segment_size 0
		.amdhsa_wavefront_size32 1
		.amdhsa_uses_dynamic_stack 0
		.amdhsa_enable_private_segment 0
		.amdhsa_system_sgpr_workgroup_id_x 1
		.amdhsa_system_sgpr_workgroup_id_y 0
		.amdhsa_system_sgpr_workgroup_id_z 0
		.amdhsa_system_sgpr_workgroup_info 0
		.amdhsa_system_vgpr_workitem_id 0
		.amdhsa_next_free_vgpr 1
		.amdhsa_next_free_sgpr 1
		.amdhsa_reserve_vcc 0
		.amdhsa_float_round_mode_32 0
		.amdhsa_float_round_mode_16_64 0
		.amdhsa_float_denorm_mode_32 3
		.amdhsa_float_denorm_mode_16_64 3
		.amdhsa_dx10_clamp 1
		.amdhsa_ieee_mode 1
		.amdhsa_fp16_overflow 0
		.amdhsa_workgroup_processor_mode 1
		.amdhsa_memory_ordered 1
		.amdhsa_forward_progress 0
		.amdhsa_shared_vgpr_count 0
		.amdhsa_exception_fp_ieee_invalid_op 0
		.amdhsa_exception_fp_denorm_src 0
		.amdhsa_exception_fp_ieee_div_zero 0
		.amdhsa_exception_fp_ieee_overflow 0
		.amdhsa_exception_fp_ieee_underflow 0
		.amdhsa_exception_fp_ieee_inexact 0
		.amdhsa_exception_int_div_zero 0
	.end_amdhsa_kernel
	.section	.text._ZN7rocprim17ROCPRIM_400000_NS6detail17trampoline_kernelINS0_14default_configENS1_25partition_config_selectorILNS1_17partition_subalgoE9EsjbEEZZNS1_14partition_implILS5_9ELb0ES3_jN6thrust23THRUST_200600_302600_NS6detail15normal_iteratorINS9_10device_ptrIsEEEENSB_INSC_IjEEEEPNS0_10empty_typeENS0_5tupleIJNS9_16discard_iteratorINS9_11use_defaultEEESH_EEENSJ_IJSG_SI_EEENS0_18inequality_wrapperINS9_8equal_toIsEEEEPmJSH_EEE10hipError_tPvRmT3_T4_T5_T6_T7_T9_mT8_P12ihipStream_tbDpT10_ENKUlT_T0_E_clISt17integral_constantIbLb1EES1C_IbLb0EEEEDaS18_S19_EUlS18_E_NS1_11comp_targetILNS1_3genE10ELNS1_11target_archE1200ELNS1_3gpuE4ELNS1_3repE0EEENS1_30default_config_static_selectorELNS0_4arch9wavefront6targetE0EEEvT1_,"axG",@progbits,_ZN7rocprim17ROCPRIM_400000_NS6detail17trampoline_kernelINS0_14default_configENS1_25partition_config_selectorILNS1_17partition_subalgoE9EsjbEEZZNS1_14partition_implILS5_9ELb0ES3_jN6thrust23THRUST_200600_302600_NS6detail15normal_iteratorINS9_10device_ptrIsEEEENSB_INSC_IjEEEEPNS0_10empty_typeENS0_5tupleIJNS9_16discard_iteratorINS9_11use_defaultEEESH_EEENSJ_IJSG_SI_EEENS0_18inequality_wrapperINS9_8equal_toIsEEEEPmJSH_EEE10hipError_tPvRmT3_T4_T5_T6_T7_T9_mT8_P12ihipStream_tbDpT10_ENKUlT_T0_E_clISt17integral_constantIbLb1EES1C_IbLb0EEEEDaS18_S19_EUlS18_E_NS1_11comp_targetILNS1_3genE10ELNS1_11target_archE1200ELNS1_3gpuE4ELNS1_3repE0EEENS1_30default_config_static_selectorELNS0_4arch9wavefront6targetE0EEEvT1_,comdat
.Lfunc_end1258:
	.size	_ZN7rocprim17ROCPRIM_400000_NS6detail17trampoline_kernelINS0_14default_configENS1_25partition_config_selectorILNS1_17partition_subalgoE9EsjbEEZZNS1_14partition_implILS5_9ELb0ES3_jN6thrust23THRUST_200600_302600_NS6detail15normal_iteratorINS9_10device_ptrIsEEEENSB_INSC_IjEEEEPNS0_10empty_typeENS0_5tupleIJNS9_16discard_iteratorINS9_11use_defaultEEESH_EEENSJ_IJSG_SI_EEENS0_18inequality_wrapperINS9_8equal_toIsEEEEPmJSH_EEE10hipError_tPvRmT3_T4_T5_T6_T7_T9_mT8_P12ihipStream_tbDpT10_ENKUlT_T0_E_clISt17integral_constantIbLb1EES1C_IbLb0EEEEDaS18_S19_EUlS18_E_NS1_11comp_targetILNS1_3genE10ELNS1_11target_archE1200ELNS1_3gpuE4ELNS1_3repE0EEENS1_30default_config_static_selectorELNS0_4arch9wavefront6targetE0EEEvT1_, .Lfunc_end1258-_ZN7rocprim17ROCPRIM_400000_NS6detail17trampoline_kernelINS0_14default_configENS1_25partition_config_selectorILNS1_17partition_subalgoE9EsjbEEZZNS1_14partition_implILS5_9ELb0ES3_jN6thrust23THRUST_200600_302600_NS6detail15normal_iteratorINS9_10device_ptrIsEEEENSB_INSC_IjEEEEPNS0_10empty_typeENS0_5tupleIJNS9_16discard_iteratorINS9_11use_defaultEEESH_EEENSJ_IJSG_SI_EEENS0_18inequality_wrapperINS9_8equal_toIsEEEEPmJSH_EEE10hipError_tPvRmT3_T4_T5_T6_T7_T9_mT8_P12ihipStream_tbDpT10_ENKUlT_T0_E_clISt17integral_constantIbLb1EES1C_IbLb0EEEEDaS18_S19_EUlS18_E_NS1_11comp_targetILNS1_3genE10ELNS1_11target_archE1200ELNS1_3gpuE4ELNS1_3repE0EEENS1_30default_config_static_selectorELNS0_4arch9wavefront6targetE0EEEvT1_
                                        ; -- End function
	.section	.AMDGPU.csdata,"",@progbits
; Kernel info:
; codeLenInByte = 0
; NumSgprs: 0
; NumVgprs: 0
; ScratchSize: 0
; MemoryBound: 0
; FloatMode: 240
; IeeeMode: 1
; LDSByteSize: 0 bytes/workgroup (compile time only)
; SGPRBlocks: 0
; VGPRBlocks: 0
; NumSGPRsForWavesPerEU: 1
; NumVGPRsForWavesPerEU: 1
; Occupancy: 16
; WaveLimiterHint : 0
; COMPUTE_PGM_RSRC2:SCRATCH_EN: 0
; COMPUTE_PGM_RSRC2:USER_SGPR: 15
; COMPUTE_PGM_RSRC2:TRAP_HANDLER: 0
; COMPUTE_PGM_RSRC2:TGID_X_EN: 1
; COMPUTE_PGM_RSRC2:TGID_Y_EN: 0
; COMPUTE_PGM_RSRC2:TGID_Z_EN: 0
; COMPUTE_PGM_RSRC2:TIDIG_COMP_CNT: 0
	.section	.text._ZN7rocprim17ROCPRIM_400000_NS6detail17trampoline_kernelINS0_14default_configENS1_25partition_config_selectorILNS1_17partition_subalgoE9EsjbEEZZNS1_14partition_implILS5_9ELb0ES3_jN6thrust23THRUST_200600_302600_NS6detail15normal_iteratorINS9_10device_ptrIsEEEENSB_INSC_IjEEEEPNS0_10empty_typeENS0_5tupleIJNS9_16discard_iteratorINS9_11use_defaultEEESH_EEENSJ_IJSG_SI_EEENS0_18inequality_wrapperINS9_8equal_toIsEEEEPmJSH_EEE10hipError_tPvRmT3_T4_T5_T6_T7_T9_mT8_P12ihipStream_tbDpT10_ENKUlT_T0_E_clISt17integral_constantIbLb1EES1C_IbLb0EEEEDaS18_S19_EUlS18_E_NS1_11comp_targetILNS1_3genE9ELNS1_11target_archE1100ELNS1_3gpuE3ELNS1_3repE0EEENS1_30default_config_static_selectorELNS0_4arch9wavefront6targetE0EEEvT1_,"axG",@progbits,_ZN7rocprim17ROCPRIM_400000_NS6detail17trampoline_kernelINS0_14default_configENS1_25partition_config_selectorILNS1_17partition_subalgoE9EsjbEEZZNS1_14partition_implILS5_9ELb0ES3_jN6thrust23THRUST_200600_302600_NS6detail15normal_iteratorINS9_10device_ptrIsEEEENSB_INSC_IjEEEEPNS0_10empty_typeENS0_5tupleIJNS9_16discard_iteratorINS9_11use_defaultEEESH_EEENSJ_IJSG_SI_EEENS0_18inequality_wrapperINS9_8equal_toIsEEEEPmJSH_EEE10hipError_tPvRmT3_T4_T5_T6_T7_T9_mT8_P12ihipStream_tbDpT10_ENKUlT_T0_E_clISt17integral_constantIbLb1EES1C_IbLb0EEEEDaS18_S19_EUlS18_E_NS1_11comp_targetILNS1_3genE9ELNS1_11target_archE1100ELNS1_3gpuE3ELNS1_3repE0EEENS1_30default_config_static_selectorELNS0_4arch9wavefront6targetE0EEEvT1_,comdat
	.protected	_ZN7rocprim17ROCPRIM_400000_NS6detail17trampoline_kernelINS0_14default_configENS1_25partition_config_selectorILNS1_17partition_subalgoE9EsjbEEZZNS1_14partition_implILS5_9ELb0ES3_jN6thrust23THRUST_200600_302600_NS6detail15normal_iteratorINS9_10device_ptrIsEEEENSB_INSC_IjEEEEPNS0_10empty_typeENS0_5tupleIJNS9_16discard_iteratorINS9_11use_defaultEEESH_EEENSJ_IJSG_SI_EEENS0_18inequality_wrapperINS9_8equal_toIsEEEEPmJSH_EEE10hipError_tPvRmT3_T4_T5_T6_T7_T9_mT8_P12ihipStream_tbDpT10_ENKUlT_T0_E_clISt17integral_constantIbLb1EES1C_IbLb0EEEEDaS18_S19_EUlS18_E_NS1_11comp_targetILNS1_3genE9ELNS1_11target_archE1100ELNS1_3gpuE3ELNS1_3repE0EEENS1_30default_config_static_selectorELNS0_4arch9wavefront6targetE0EEEvT1_ ; -- Begin function _ZN7rocprim17ROCPRIM_400000_NS6detail17trampoline_kernelINS0_14default_configENS1_25partition_config_selectorILNS1_17partition_subalgoE9EsjbEEZZNS1_14partition_implILS5_9ELb0ES3_jN6thrust23THRUST_200600_302600_NS6detail15normal_iteratorINS9_10device_ptrIsEEEENSB_INSC_IjEEEEPNS0_10empty_typeENS0_5tupleIJNS9_16discard_iteratorINS9_11use_defaultEEESH_EEENSJ_IJSG_SI_EEENS0_18inequality_wrapperINS9_8equal_toIsEEEEPmJSH_EEE10hipError_tPvRmT3_T4_T5_T6_T7_T9_mT8_P12ihipStream_tbDpT10_ENKUlT_T0_E_clISt17integral_constantIbLb1EES1C_IbLb0EEEEDaS18_S19_EUlS18_E_NS1_11comp_targetILNS1_3genE9ELNS1_11target_archE1100ELNS1_3gpuE3ELNS1_3repE0EEENS1_30default_config_static_selectorELNS0_4arch9wavefront6targetE0EEEvT1_
	.globl	_ZN7rocprim17ROCPRIM_400000_NS6detail17trampoline_kernelINS0_14default_configENS1_25partition_config_selectorILNS1_17partition_subalgoE9EsjbEEZZNS1_14partition_implILS5_9ELb0ES3_jN6thrust23THRUST_200600_302600_NS6detail15normal_iteratorINS9_10device_ptrIsEEEENSB_INSC_IjEEEEPNS0_10empty_typeENS0_5tupleIJNS9_16discard_iteratorINS9_11use_defaultEEESH_EEENSJ_IJSG_SI_EEENS0_18inequality_wrapperINS9_8equal_toIsEEEEPmJSH_EEE10hipError_tPvRmT3_T4_T5_T6_T7_T9_mT8_P12ihipStream_tbDpT10_ENKUlT_T0_E_clISt17integral_constantIbLb1EES1C_IbLb0EEEEDaS18_S19_EUlS18_E_NS1_11comp_targetILNS1_3genE9ELNS1_11target_archE1100ELNS1_3gpuE3ELNS1_3repE0EEENS1_30default_config_static_selectorELNS0_4arch9wavefront6targetE0EEEvT1_
	.p2align	8
	.type	_ZN7rocprim17ROCPRIM_400000_NS6detail17trampoline_kernelINS0_14default_configENS1_25partition_config_selectorILNS1_17partition_subalgoE9EsjbEEZZNS1_14partition_implILS5_9ELb0ES3_jN6thrust23THRUST_200600_302600_NS6detail15normal_iteratorINS9_10device_ptrIsEEEENSB_INSC_IjEEEEPNS0_10empty_typeENS0_5tupleIJNS9_16discard_iteratorINS9_11use_defaultEEESH_EEENSJ_IJSG_SI_EEENS0_18inequality_wrapperINS9_8equal_toIsEEEEPmJSH_EEE10hipError_tPvRmT3_T4_T5_T6_T7_T9_mT8_P12ihipStream_tbDpT10_ENKUlT_T0_E_clISt17integral_constantIbLb1EES1C_IbLb0EEEEDaS18_S19_EUlS18_E_NS1_11comp_targetILNS1_3genE9ELNS1_11target_archE1100ELNS1_3gpuE3ELNS1_3repE0EEENS1_30default_config_static_selectorELNS0_4arch9wavefront6targetE0EEEvT1_,@function
_ZN7rocprim17ROCPRIM_400000_NS6detail17trampoline_kernelINS0_14default_configENS1_25partition_config_selectorILNS1_17partition_subalgoE9EsjbEEZZNS1_14partition_implILS5_9ELb0ES3_jN6thrust23THRUST_200600_302600_NS6detail15normal_iteratorINS9_10device_ptrIsEEEENSB_INSC_IjEEEEPNS0_10empty_typeENS0_5tupleIJNS9_16discard_iteratorINS9_11use_defaultEEESH_EEENSJ_IJSG_SI_EEENS0_18inequality_wrapperINS9_8equal_toIsEEEEPmJSH_EEE10hipError_tPvRmT3_T4_T5_T6_T7_T9_mT8_P12ihipStream_tbDpT10_ENKUlT_T0_E_clISt17integral_constantIbLb1EES1C_IbLb0EEEEDaS18_S19_EUlS18_E_NS1_11comp_targetILNS1_3genE9ELNS1_11target_archE1100ELNS1_3gpuE3ELNS1_3repE0EEENS1_30default_config_static_selectorELNS0_4arch9wavefront6targetE0EEEvT1_: ; @_ZN7rocprim17ROCPRIM_400000_NS6detail17trampoline_kernelINS0_14default_configENS1_25partition_config_selectorILNS1_17partition_subalgoE9EsjbEEZZNS1_14partition_implILS5_9ELb0ES3_jN6thrust23THRUST_200600_302600_NS6detail15normal_iteratorINS9_10device_ptrIsEEEENSB_INSC_IjEEEEPNS0_10empty_typeENS0_5tupleIJNS9_16discard_iteratorINS9_11use_defaultEEESH_EEENSJ_IJSG_SI_EEENS0_18inequality_wrapperINS9_8equal_toIsEEEEPmJSH_EEE10hipError_tPvRmT3_T4_T5_T6_T7_T9_mT8_P12ihipStream_tbDpT10_ENKUlT_T0_E_clISt17integral_constantIbLb1EES1C_IbLb0EEEEDaS18_S19_EUlS18_E_NS1_11comp_targetILNS1_3genE9ELNS1_11target_archE1100ELNS1_3gpuE3ELNS1_3repE0EEENS1_30default_config_static_selectorELNS0_4arch9wavefront6targetE0EEEvT1_
; %bb.0:
	s_clause 0x4
	s_load_b128 s[4:7], s[0:1], 0x8
	s_load_b32 s14, s[0:1], 0x70
	s_load_b128 s[16:19], s[0:1], 0x48
	s_load_b64 s[2:3], s[0:1], 0x58
	s_load_b64 s[8:9], s[0:1], 0x18
	v_lshlrev_b32_e32 v9, 1, v0
	s_waitcnt lgkmcnt(0)
	s_lshl_b64 s[10:11], s[6:7], 1
	s_mul_i32 s20, s14, 0x580
	s_add_u32 s10, s4, s10
	s_addc_u32 s11, s5, s11
	s_add_i32 s4, s20, s6
	s_load_b64 s[12:13], s[18:19], 0x0
	s_sub_i32 s19, s2, s4
	s_add_i32 s14, s14, -1
	s_addk_i32 s19, 0x580
	s_add_u32 s4, s6, s20
	s_addc_u32 s5, s7, 0
	s_cmp_eq_u32 s15, s14
	v_cmp_ge_u64_e64 s2, s[4:5], s[2:3]
	s_cselect_b32 s14, -1, 0
	s_mov_b32 s5, 0
	s_mul_i32 s4, s15, 0x580
	s_delay_alu instid0(VALU_DEP_1)
	s_and_b32 s20, s14, s2
	s_lshl_b64 s[2:3], s[4:5], 1
	s_xor_b32 s18, s20, -1
	s_add_u32 s10, s10, s2
	s_addc_u32 s3, s11, s3
	s_and_b32 vcc_lo, exec_lo, s18
	s_mov_b32 s11, -1
	s_cbranch_vccz .LBB1259_2
; %bb.1:
	v_add_co_u32 v1, s2, s10, v9
	s_delay_alu instid0(VALU_DEP_1)
	v_add_co_ci_u32_e64 v2, null, s3, 0, s2
	s_mov_b32 s11, s5
	s_clause 0xa
	flat_load_u16 v3, v[1:2]
	flat_load_u16 v4, v[1:2] offset:256
	flat_load_u16 v5, v[1:2] offset:512
	flat_load_u16 v6, v[1:2] offset:768
	flat_load_u16 v7, v[1:2] offset:1024
	flat_load_u16 v8, v[1:2] offset:1280
	flat_load_u16 v10, v[1:2] offset:1536
	flat_load_u16 v11, v[1:2] offset:1792
	flat_load_u16 v12, v[1:2] offset:2048
	flat_load_u16 v13, v[1:2] offset:2304
	flat_load_u16 v1, v[1:2] offset:2560
	s_waitcnt vmcnt(10) lgkmcnt(0)
	ds_store_b16 v9, v3
	s_waitcnt vmcnt(9)
	ds_store_b16 v9, v4 offset:256
	s_waitcnt vmcnt(8)
	ds_store_b16 v9, v5 offset:512
	;; [unrolled: 2-line block ×10, first 2 shown]
	s_waitcnt lgkmcnt(0)
	s_barrier
.LBB1259_2:
	v_cmp_gt_u32_e64 s2, s19, v0
	s_and_not1_b32 vcc_lo, exec_lo, s11
	s_cbranch_vccnz .LBB1259_26
; %bb.3:
                                        ; implicit-def: $vgpr1_vgpr2_vgpr3_vgpr4_vgpr5_vgpr6_vgpr7_vgpr8
	s_delay_alu instid0(VALU_DEP_1)
	s_and_saveexec_b32 s11, s2
	s_cbranch_execz .LBB1259_5
; %bb.4:
	v_add_co_u32 v1, s2, s10, v9
	s_delay_alu instid0(VALU_DEP_1)
	v_add_co_ci_u32_e64 v2, null, s3, 0, s2
	flat_load_d16_b16 v1, v[1:2]
.LBB1259_5:
	s_or_b32 exec_lo, exec_lo, s11
	v_or_b32_e32 v7, 0x80, v0
	s_mov_b32 s2, exec_lo
	s_delay_alu instid0(VALU_DEP_1)
	v_cmpx_gt_u32_e64 s19, v7
	s_cbranch_execz .LBB1259_7
; %bb.6:
	v_add_co_u32 v7, s11, s10, v9
	s_delay_alu instid0(VALU_DEP_1)
	v_add_co_ci_u32_e64 v8, null, s3, 0, s11
	s_waitcnt vmcnt(0) lgkmcnt(0)
	flat_load_d16_hi_b16 v1, v[7:8] offset:256
.LBB1259_7:
	s_or_b32 exec_lo, exec_lo, s2
	v_or_b32_e32 v7, 0x100, v0
	s_mov_b32 s2, exec_lo
	s_delay_alu instid0(VALU_DEP_1)
	v_cmpx_gt_u32_e64 s19, v7
	s_cbranch_execz .LBB1259_9
; %bb.8:
	v_add_co_u32 v7, s11, s10, v9
	s_delay_alu instid0(VALU_DEP_1)
	v_add_co_ci_u32_e64 v8, null, s3, 0, s11
	flat_load_d16_b16 v2, v[7:8] offset:512
.LBB1259_9:
	s_or_b32 exec_lo, exec_lo, s2
	v_or_b32_e32 v7, 0x180, v0
	s_mov_b32 s2, exec_lo
	s_delay_alu instid0(VALU_DEP_1)
	v_cmpx_gt_u32_e64 s19, v7
	s_cbranch_execz .LBB1259_11
; %bb.10:
	v_add_co_u32 v7, s11, s10, v9
	s_delay_alu instid0(VALU_DEP_1)
	v_add_co_ci_u32_e64 v8, null, s3, 0, s11
	s_waitcnt vmcnt(0) lgkmcnt(0)
	flat_load_d16_hi_b16 v2, v[7:8] offset:768
.LBB1259_11:
	s_or_b32 exec_lo, exec_lo, s2
	v_or_b32_e32 v7, 0x200, v0
	s_mov_b32 s2, exec_lo
	s_delay_alu instid0(VALU_DEP_1)
	v_cmpx_gt_u32_e64 s19, v7
	s_cbranch_execz .LBB1259_13
; %bb.12:
	v_add_co_u32 v7, s11, s10, v9
	s_delay_alu instid0(VALU_DEP_1)
	v_add_co_ci_u32_e64 v8, null, s3, 0, s11
	flat_load_d16_b16 v3, v[7:8] offset:1024
.LBB1259_13:
	;; [unrolled: 25-line block ×5, first 2 shown]
	s_or_b32 exec_lo, exec_lo, s2
	s_waitcnt vmcnt(0) lgkmcnt(0)
	ds_store_b16 v9, v1
	ds_store_b16_d16_hi v9, v1 offset:256
	ds_store_b16 v9, v2 offset:512
	ds_store_b16_d16_hi v9, v2 offset:768
	ds_store_b16 v9, v3 offset:1024
	;; [unrolled: 2-line block ×5, first 2 shown]
	s_waitcnt lgkmcnt(0)
	s_barrier
.LBB1259_26:
	v_mul_u32_u24_e32 v1, 11, v0
	s_waitcnt lgkmcnt(0)
	buffer_gl0_inv
	s_lshl_b64 s[22:23], s[6:7], 2
	s_delay_alu instid0(SALU_CYCLE_1)
	s_add_u32 s2, s8, s22
	v_lshlrev_b32_e32 v2, 1, v1
	s_addc_u32 s8, s9, s23
	s_lshl_b64 s[4:5], s[4:5], 2
	ds_load_b128 v[12:15], v2
	ds_load_u16 v36, v2 offset:16
	ds_load_u16 v35, v2 offset:18
	;; [unrolled: 1-line block ×3, first 2 shown]
	s_add_u32 s2, s2, s4
	s_addc_u32 s4, s8, s5
	s_and_b32 vcc_lo, exec_lo, s18
	s_mov_b32 s5, -1
	s_waitcnt lgkmcnt(0)
	s_barrier
	buffer_gl0_inv
	s_cbranch_vccz .LBB1259_28
; %bb.27:
	v_lshlrev_b32_e32 v7, 2, v0
	s_delay_alu instid0(VALU_DEP_1) | instskip(NEXT) | instid1(VALU_DEP_1)
	v_add_co_u32 v3, s5, s2, v7
	v_add_co_ci_u32_e64 v4, null, s4, 0, s5
	s_mov_b32 s5, 0
	s_delay_alu instid0(VALU_DEP_2) | instskip(NEXT) | instid1(VALU_DEP_2)
	v_add_co_u32 v5, vcc_lo, 0x1000, v3
	v_add_co_ci_u32_e32 v6, vcc_lo, 0, v4, vcc_lo
	s_clause 0xa
	flat_load_b32 v8, v[3:4]
	flat_load_b32 v10, v[3:4] offset:512
	flat_load_b32 v11, v[3:4] offset:1024
	;; [unrolled: 1-line block ×7, first 2 shown]
	flat_load_b32 v4, v[5:6]
	flat_load_b32 v20, v[5:6] offset:512
	flat_load_b32 v5, v[5:6] offset:1024
	s_waitcnt vmcnt(9) lgkmcnt(9)
	ds_store_2addr_stride64_b32 v7, v8, v10 offset1:2
	s_waitcnt vmcnt(7) lgkmcnt(8)
	ds_store_2addr_stride64_b32 v7, v11, v16 offset0:4 offset1:6
	s_waitcnt vmcnt(5) lgkmcnt(7)
	ds_store_2addr_stride64_b32 v7, v17, v18 offset0:8 offset1:10
	;; [unrolled: 2-line block ×4, first 2 shown]
	s_waitcnt vmcnt(0) lgkmcnt(5)
	ds_store_b32 v7, v5 offset:5120
	s_waitcnt lgkmcnt(0)
	s_barrier
.LBB1259_28:
	s_and_not1_b32 vcc_lo, exec_lo, s5
	s_cbranch_vccnz .LBB1259_52
; %bb.29:
	s_mov_b32 s5, exec_lo
                                        ; implicit-def: $vgpr3
	v_cmpx_gt_u32_e64 s19, v0
	s_cbranch_execz .LBB1259_31
; %bb.30:
	v_lshlrev_b32_e32 v3, 2, v0
	s_delay_alu instid0(VALU_DEP_1) | instskip(NEXT) | instid1(VALU_DEP_1)
	v_add_co_u32 v3, s8, s2, v3
	v_add_co_ci_u32_e64 v4, null, s4, 0, s8
	flat_load_b32 v3, v[3:4]
.LBB1259_31:
	s_or_b32 exec_lo, exec_lo, s5
	v_or_b32_e32 v4, 0x80, v0
	s_delay_alu instid0(VALU_DEP_1)
	v_cmp_gt_u32_e32 vcc_lo, s19, v4
                                        ; implicit-def: $vgpr4
	s_and_saveexec_b32 s5, vcc_lo
	s_cbranch_execz .LBB1259_33
; %bb.32:
	v_lshlrev_b32_e32 v4, 2, v0
	s_delay_alu instid0(VALU_DEP_1) | instskip(NEXT) | instid1(VALU_DEP_1)
	v_add_co_u32 v4, s8, s2, v4
	v_add_co_ci_u32_e64 v5, null, s4, 0, s8
	flat_load_b32 v4, v[4:5] offset:512
.LBB1259_33:
	s_or_b32 exec_lo, exec_lo, s5
	v_or_b32_e32 v5, 0x100, v0
	s_delay_alu instid0(VALU_DEP_1)
	v_cmp_gt_u32_e32 vcc_lo, s19, v5
                                        ; implicit-def: $vgpr5
	s_and_saveexec_b32 s5, vcc_lo
	s_cbranch_execz .LBB1259_35
; %bb.34:
	v_lshlrev_b32_e32 v5, 2, v0
	s_delay_alu instid0(VALU_DEP_1) | instskip(NEXT) | instid1(VALU_DEP_1)
	v_add_co_u32 v5, s8, s2, v5
	v_add_co_ci_u32_e64 v6, null, s4, 0, s8
	flat_load_b32 v5, v[5:6] offset:1024
.LBB1259_35:
	s_or_b32 exec_lo, exec_lo, s5
	v_or_b32_e32 v6, 0x180, v0
	s_delay_alu instid0(VALU_DEP_1)
	v_cmp_gt_u32_e32 vcc_lo, s19, v6
                                        ; implicit-def: $vgpr6
	s_and_saveexec_b32 s5, vcc_lo
	s_cbranch_execz .LBB1259_37
; %bb.36:
	v_lshlrev_b32_e32 v6, 2, v0
	s_delay_alu instid0(VALU_DEP_1) | instskip(NEXT) | instid1(VALU_DEP_1)
	v_add_co_u32 v6, s8, s2, v6
	v_add_co_ci_u32_e64 v7, null, s4, 0, s8
	flat_load_b32 v6, v[6:7] offset:1536
.LBB1259_37:
	s_or_b32 exec_lo, exec_lo, s5
	v_or_b32_e32 v7, 0x200, v0
	s_delay_alu instid0(VALU_DEP_1)
	v_cmp_gt_u32_e32 vcc_lo, s19, v7
                                        ; implicit-def: $vgpr7
	s_and_saveexec_b32 s5, vcc_lo
	s_cbranch_execz .LBB1259_39
; %bb.38:
	v_lshlrev_b32_e32 v7, 2, v0
	s_delay_alu instid0(VALU_DEP_1) | instskip(NEXT) | instid1(VALU_DEP_1)
	v_add_co_u32 v7, s8, s2, v7
	v_add_co_ci_u32_e64 v8, null, s4, 0, s8
	flat_load_b32 v7, v[7:8] offset:2048
.LBB1259_39:
	s_or_b32 exec_lo, exec_lo, s5
	v_or_b32_e32 v8, 0x280, v0
	s_delay_alu instid0(VALU_DEP_1)
	v_cmp_gt_u32_e32 vcc_lo, s19, v8
                                        ; implicit-def: $vgpr8
	s_and_saveexec_b32 s5, vcc_lo
	s_cbranch_execz .LBB1259_41
; %bb.40:
	v_lshlrev_b32_e32 v8, 2, v0
	s_delay_alu instid0(VALU_DEP_1) | instskip(NEXT) | instid1(VALU_DEP_1)
	v_add_co_u32 v10, s8, s2, v8
	v_add_co_ci_u32_e64 v11, null, s4, 0, s8
	flat_load_b32 v8, v[10:11] offset:2560
.LBB1259_41:
	s_or_b32 exec_lo, exec_lo, s5
	v_or_b32_e32 v10, 0x300, v0
	s_delay_alu instid0(VALU_DEP_1)
	v_cmp_gt_u32_e32 vcc_lo, s19, v10
                                        ; implicit-def: $vgpr10
	s_and_saveexec_b32 s5, vcc_lo
	s_cbranch_execz .LBB1259_43
; %bb.42:
	v_lshlrev_b32_e32 v10, 2, v0
	s_delay_alu instid0(VALU_DEP_1) | instskip(NEXT) | instid1(VALU_DEP_1)
	v_add_co_u32 v10, s8, s2, v10
	v_add_co_ci_u32_e64 v11, null, s4, 0, s8
	flat_load_b32 v10, v[10:11] offset:3072
.LBB1259_43:
	s_or_b32 exec_lo, exec_lo, s5
	v_or_b32_e32 v11, 0x380, v0
	s_delay_alu instid0(VALU_DEP_1)
	v_cmp_gt_u32_e32 vcc_lo, s19, v11
                                        ; implicit-def: $vgpr11
	s_and_saveexec_b32 s5, vcc_lo
	s_cbranch_execz .LBB1259_45
; %bb.44:
	v_lshlrev_b32_e32 v11, 2, v0
	s_delay_alu instid0(VALU_DEP_1) | instskip(NEXT) | instid1(VALU_DEP_1)
	v_add_co_u32 v16, s8, s2, v11
	v_add_co_ci_u32_e64 v17, null, s4, 0, s8
	flat_load_b32 v11, v[16:17] offset:3584
.LBB1259_45:
	s_or_b32 exec_lo, exec_lo, s5
	v_or_b32_e32 v17, 0x400, v0
	s_mov_b32 s5, exec_lo
                                        ; implicit-def: $vgpr16
	s_delay_alu instid0(VALU_DEP_1)
	v_cmpx_gt_u32_e64 s19, v17
	s_cbranch_execz .LBB1259_47
; %bb.46:
	v_lshlrev_b32_e32 v16, 2, v17
	s_delay_alu instid0(VALU_DEP_1) | instskip(NEXT) | instid1(VALU_DEP_1)
	v_add_co_u32 v16, s8, s2, v16
	v_add_co_ci_u32_e64 v17, null, s4, 0, s8
	flat_load_b32 v16, v[16:17]
.LBB1259_47:
	s_or_b32 exec_lo, exec_lo, s5
	v_or_b32_e32 v18, 0x480, v0
	s_mov_b32 s5, exec_lo
                                        ; implicit-def: $vgpr17
	s_delay_alu instid0(VALU_DEP_1)
	v_cmpx_gt_u32_e64 s19, v18
	s_cbranch_execz .LBB1259_49
; %bb.48:
	v_lshlrev_b32_e32 v17, 2, v18
	s_delay_alu instid0(VALU_DEP_1) | instskip(NEXT) | instid1(VALU_DEP_1)
	v_add_co_u32 v17, s8, s2, v17
	v_add_co_ci_u32_e64 v18, null, s4, 0, s8
	flat_load_b32 v17, v[17:18]
.LBB1259_49:
	s_or_b32 exec_lo, exec_lo, s5
	v_or_b32_e32 v19, 0x500, v0
	s_mov_b32 s5, exec_lo
                                        ; implicit-def: $vgpr18
	s_delay_alu instid0(VALU_DEP_1)
	v_cmpx_gt_u32_e64 s19, v19
	s_cbranch_execz .LBB1259_51
; %bb.50:
	v_lshlrev_b32_e32 v18, 2, v19
	s_delay_alu instid0(VALU_DEP_1) | instskip(NEXT) | instid1(VALU_DEP_1)
	v_add_co_u32 v18, s2, s2, v18
	v_add_co_ci_u32_e64 v19, null, s4, 0, s2
	flat_load_b32 v18, v[18:19]
.LBB1259_51:
	s_or_b32 exec_lo, exec_lo, s5
	v_mad_i32_i24 v2, 0xffffffee, v0, v2
	s_waitcnt vmcnt(0) lgkmcnt(0)
	ds_store_2addr_stride64_b32 v2, v3, v4 offset1:2
	ds_store_2addr_stride64_b32 v2, v5, v6 offset0:4 offset1:6
	ds_store_2addr_stride64_b32 v2, v7, v8 offset0:8 offset1:10
	;; [unrolled: 1-line block ×4, first 2 shown]
	ds_store_b32 v2, v18 offset:5120
	s_waitcnt lgkmcnt(0)
	s_barrier
.LBB1259_52:
	v_lshlrev_b32_e32 v41, 2, v1
	buffer_gl0_inv
	s_cmp_lg_u32 s15, 0
	v_lshrrev_b32_e32 v40, 16, v12
	s_cselect_b32 s21, -1, 0
	ds_load_2addr_b32 v[27:28], v41 offset1:1
	ds_load_2addr_b32 v[25:26], v41 offset0:2 offset1:3
	ds_load_2addr_b32 v[23:24], v41 offset0:4 offset1:5
	;; [unrolled: 1-line block ×4, first 2 shown]
	ds_load_b32 v33, v41 offset:40
	s_cmp_lg_u64 s[6:7], 0
	v_lshrrev_b32_e32 v39, 16, v13
	s_cselect_b32 s2, -1, 0
	v_lshrrev_b32_e32 v38, 16, v14
	v_lshrrev_b32_e32 v37, 16, v15
	v_add_nc_u32_e32 v5, 1, v1
	v_add_nc_u32_e32 v6, 2, v1
	;; [unrolled: 1-line block ×10, first 2 shown]
	s_or_b32 s2, s21, s2
	s_mov_b32 s22, 0
	s_and_b32 vcc_lo, exec_lo, s2
	s_waitcnt lgkmcnt(0)
	s_barrier
	buffer_gl0_inv
	s_cbranch_vccz .LBB1259_57
; %bb.53:
	v_add_co_u32 v16, s2, -2, s10
	s_delay_alu instid0(VALU_DEP_1)
	v_add_co_ci_u32_e64 v17, null, -1, s3, s2
	s_mov_b32 s3, -1
	s_and_b32 vcc_lo, exec_lo, s18
	flat_load_u16 v16, v[16:17]
	ds_store_b16 v9, v34
	s_cbranch_vccz .LBB1259_59
; %bb.54:
	s_waitcnt vmcnt(0) lgkmcnt(1)
	v_mov_b32_e32 v17, v16
	s_mov_b32 s3, 0
	s_mov_b32 s2, exec_lo
	s_waitcnt lgkmcnt(0)
	s_barrier
	buffer_gl0_inv
	v_cmpx_ne_u32_e32 0, v0
	s_cbranch_execz .LBB1259_56
; %bb.55:
	v_add_nc_u32_e32 v17, -2, v9
	ds_load_u16 v17, v17
.LBB1259_56:
	s_or_b32 exec_lo, exec_lo, s2
	v_cmp_ne_u16_e32 vcc_lo, v15, v37
	s_waitcnt lgkmcnt(0)
	v_cmp_ne_u16_e64 s2, v17, v12
	v_cndmask_b32_e64 v18, 0, 1, vcc_lo
	v_cmp_ne_u16_e32 vcc_lo, v38, v15
	s_delay_alu instid0(VALU_DEP_2) | instskip(SKIP_2) | instid1(VALU_DEP_2)
	v_lshlrev_b16 v18, 8, v18
	v_cndmask_b32_e64 v29, 0, 1, vcc_lo
	v_cmp_ne_u16_e32 vcc_lo, v14, v38
	v_or_b32_e32 v18, v29, v18
	v_cndmask_b32_e64 v30, 0, 1, vcc_lo
	v_cmp_ne_u16_e32 vcc_lo, v39, v14
	s_delay_alu instid0(VALU_DEP_3) | instskip(NEXT) | instid1(VALU_DEP_3)
	v_lshlrev_b32_e32 v18, 16, v18
	v_lshlrev_b16 v30, 8, v30
	v_cndmask_b32_e64 v32, 0, 1, vcc_lo
	v_cmp_ne_u16_e32 vcc_lo, v13, v39
	s_delay_alu instid0(VALU_DEP_2) | instskip(SKIP_2) | instid1(VALU_DEP_3)
	v_or_b32_e32 v30, v32, v30
	v_cndmask_b32_e64 v42, 0, 1, vcc_lo
	v_cmp_ne_u16_e32 vcc_lo, v40, v13
	v_and_b32_e32 v30, 0xffff, v30
	s_delay_alu instid0(VALU_DEP_3) | instskip(SKIP_2) | instid1(VALU_DEP_4)
	v_lshlrev_b16 v42, 8, v42
	v_cndmask_b32_e64 v44, 0, 1, vcc_lo
	v_cmp_ne_u16_e32 vcc_lo, v12, v40
	v_or_b32_e32 v30, v30, v18
	s_delay_alu instid0(VALU_DEP_3) | instskip(SKIP_2) | instid1(VALU_DEP_3)
	v_or_b32_e32 v42, v44, v42
	v_cndmask_b32_e64 v45, 0, 1, vcc_lo
	v_cmp_ne_u16_e32 vcc_lo, v35, v34
	v_lshlrev_b32_e32 v29, 16, v42
	s_delay_alu instid0(VALU_DEP_3) | instskip(SKIP_2) | instid1(VALU_DEP_3)
	v_lshlrev_b16 v44, 8, v45
	v_cndmask_b32_e64 v43, 0, 1, vcc_lo
	v_cmp_ne_u16_e32 vcc_lo, v36, v35
	v_and_b32_e32 v44, 0xffff, v44
	v_cndmask_b32_e64 v32, 0, 1, vcc_lo
	v_cmp_ne_u16_e32 vcc_lo, v37, v36
	s_delay_alu instid0(VALU_DEP_3)
	v_or_b32_e32 v29, v44, v29
	v_cndmask_b32_e64 v42, 0, 1, vcc_lo
	s_and_b32 vcc_lo, exec_lo, s3
	s_cbranch_vccnz .LBB1259_60
	s_branch .LBB1259_63
.LBB1259_57:
                                        ; implicit-def: $sgpr2
                                        ; implicit-def: $vgpr43
                                        ; implicit-def: $vgpr32
                                        ; implicit-def: $vgpr42
                                        ; implicit-def: $vgpr30
	s_branch .LBB1259_64
.LBB1259_58:
                                        ; implicit-def: $vgpr16_vgpr17_vgpr18
	s_and_saveexec_b32 s3, s22
	s_cbranch_execnz .LBB1259_72
	s_branch .LBB1259_73
.LBB1259_59:
                                        ; implicit-def: $sgpr2
                                        ; implicit-def: $vgpr43
                                        ; implicit-def: $vgpr32
                                        ; implicit-def: $vgpr42
                                        ; implicit-def: $vgpr30
	s_and_b32 vcc_lo, exec_lo, s3
	s_cbranch_vccz .LBB1259_63
.LBB1259_60:
	s_mov_b32 s2, exec_lo
	s_waitcnt vmcnt(0) lgkmcnt(0)
	s_barrier
	buffer_gl0_inv
	v_cmpx_ne_u32_e32 0, v0
	s_cbranch_execz .LBB1259_62
; %bb.61:
	v_add_nc_u32_e32 v9, -2, v9
	ds_load_u16 v16, v9
.LBB1259_62:
	s_or_b32 exec_lo, exec_lo, s2
	v_cmp_gt_u32_e32 vcc_lo, s19, v10
	v_cmp_ne_u16_e64 s2, v35, v34
	v_cmp_gt_u32_e64 s3, s19, v11
	v_cmp_ne_u16_e64 s4, v36, v35
	v_cmp_gt_u32_e64 s5, s19, v5
	v_cmp_ne_u16_e64 s6, v12, v40
	s_and_b32 s2, vcc_lo, s2
	v_cmp_gt_u32_e32 vcc_lo, s19, v2
	v_cndmask_b32_e64 v43, 0, 1, s2
	v_cmp_ne_u16_e64 s2, v15, v37
	s_and_b32 s3, s3, s4
	v_cmp_ne_u16_e64 s4, v38, v15
	v_cndmask_b32_e64 v32, 0, 1, s3
	v_cmp_gt_u32_e64 s3, s19, v4
	s_and_b32 s2, vcc_lo, s2
	v_cmp_gt_u32_e32 vcc_lo, s19, v7
	v_cndmask_b32_e64 v9, 0, 1, s2
	v_cmp_ne_u16_e64 s2, v14, v38
	s_and_b32 s3, s3, s4
	v_cmp_ne_u16_e64 s4, v13, v39
	v_cndmask_b32_e64 v17, 0, 1, s3
	v_cmp_gt_u32_e64 s3, s19, v3
	s_and_b32 s2, vcc_lo, s2
	v_cmp_gt_u32_e32 vcc_lo, s19, v8
	v_cndmask_b32_e64 v18, 0, 1, s2
	v_cmp_ne_u16_e64 s2, v39, v14
	s_and_b32 s3, s3, s4
	v_cmp_ne_u16_e64 s4, v40, v13
	v_cndmask_b32_e64 v29, 0, 1, s3
	v_cmp_gt_u32_e64 s3, s19, v6
	s_and_b32 s2, vcc_lo, s2
	v_lshlrev_b16 v18, 8, v18
	v_cndmask_b32_e64 v30, 0, 1, s2
	v_lshlrev_b16 v29, 8, v29
	s_and_b32 s2, s3, s4
	v_lshlrev_b16 v9, 8, v9
	v_cndmask_b32_e64 v42, 0, 1, s2
	s_and_b32 s2, s5, s6
	v_or_b32_e32 v18, v30, v18
	v_cndmask_b32_e64 v44, 0, 1, s2
	v_or_b32_e32 v9, v17, v9
	v_or_b32_e32 v29, v42, v29
	v_cmp_gt_u32_e32 vcc_lo, s19, v31
	v_cmp_ne_u16_e64 s2, v37, v36
	v_lshlrev_b16 v42, 8, v44
	v_and_b32_e32 v18, 0xffff, v18
	v_lshlrev_b32_e32 v17, 16, v29
	v_lshlrev_b32_e32 v9, 16, v9
	s_and_b32 s2, vcc_lo, s2
	v_and_b32_e32 v29, 0xffff, v42
	v_cndmask_b32_e64 v42, 0, 1, s2
	v_cmp_gt_u32_e32 vcc_lo, s19, v1
	s_waitcnt lgkmcnt(0)
	v_cmp_ne_u16_e64 s2, v16, v12
	v_or_b32_e32 v30, v18, v9
	v_or_b32_e32 v29, v29, v17
	s_delay_alu instid0(VALU_DEP_3)
	s_and_b32 s2, vcc_lo, s2
.LBB1259_63:
	s_mov_b32 s22, -1
	s_cbranch_execnz .LBB1259_58
.LBB1259_64:
	v_mad_i32_i24 v9, 0xffffffd6, v0, v41
	v_cmp_ne_u16_e64 s2, v35, v34
	v_cmp_ne_u16_e64 s9, v36, v35
	;; [unrolled: 1-line block ×10, first 2 shown]
	s_and_b32 vcc_lo, exec_lo, s18
	ds_store_b16 v9, v34
	s_cbranch_vccz .LBB1259_68
; %bb.65:
	s_waitcnt vmcnt(0) lgkmcnt(2)
	v_cndmask_b32_e64 v16, 0, 1, s11
	v_cndmask_b32_e64 v32, 0, 1, s9
	;; [unrolled: 1-line block ×5, first 2 shown]
	v_lshlrev_b16 v16, 8, v16
	v_cndmask_b32_e64 v44, 0, 1, s4
	v_cndmask_b32_e64 v42, 0, 1, s10
	;; [unrolled: 1-line block ×4, first 2 shown]
	v_lshlrev_b16 v17, 8, v17
	v_lshlrev_b16 v45, 8, v32
	v_or_b32_e32 v16, v29, v16
	v_lshlrev_b16 v29, 8, v30
	v_lshlrev_b16 v30, 8, v44
	v_or_b32_e32 v17, v18, v17
	v_or_b32_e32 v18, v42, v45
	v_and_b32_e32 v16, 0xffff, v16
	v_or_b32_e32 v29, v43, v29
	v_or_b32_e32 v30, 1, v30
	v_lshlrev_b32_e32 v17, 16, v17
	v_and_b32_e32 v18, 0xffff, v18
	v_cndmask_b32_e64 v43, 0, 1, s2
	v_lshlrev_b32_e32 v29, 16, v29
	v_and_b32_e32 v44, 0xffff, v30
	v_or_b32_e32 v30, v16, v17
	s_mov_b32 s3, 0
	v_lshl_or_b32 v18, v43, 16, v18
	s_mov_b32 s4, exec_lo
	v_or_b32_e32 v29, v44, v29
	s_waitcnt lgkmcnt(0)
	s_barrier
	buffer_gl0_inv
                                        ; implicit-def: $sgpr2
	v_cmpx_ne_u32_e32 0, v0
	s_xor_b32 s4, exec_lo, s4
	s_cbranch_execz .LBB1259_67
; %bb.66:
	v_add_nc_u32_e32 v16, -2, v9
	s_or_b32 s22, s22, exec_lo
	ds_load_u16 v16, v16
	s_waitcnt lgkmcnt(0)
	v_cmp_ne_u16_e32 vcc_lo, v16, v12
                                        ; implicit-def: $vgpr16_vgpr17_vgpr18
	s_and_b32 s2, vcc_lo, exec_lo
.LBB1259_67:
	s_or_b32 exec_lo, exec_lo, s4
	s_delay_alu instid0(SALU_CYCLE_1)
	s_and_b32 vcc_lo, exec_lo, s3
	s_cbranch_vccnz .LBB1259_69
	s_branch .LBB1259_71
.LBB1259_68:
                                        ; implicit-def: $sgpr2
                                        ; implicit-def: $vgpr43
                                        ; implicit-def: $vgpr32
                                        ; implicit-def: $vgpr42
                                        ; implicit-def: $vgpr30
                                        ; implicit-def: $vgpr16_vgpr17_vgpr18
	s_cbranch_execz .LBB1259_71
.LBB1259_69:
	v_cmp_gt_u32_e32 vcc_lo, s19, v11
	v_cmp_ne_u16_e64 s2, v36, v35
	v_cmp_gt_u32_e64 s5, s19, v31
	v_cmp_ne_u16_e64 s6, v37, v36
	v_cmp_gt_u32_e64 s3, s19, v10
	v_cmp_ne_u16_e64 s4, v35, v34
	s_and_b32 s2, vcc_lo, s2
	v_cmp_gt_u32_e32 vcc_lo, s19, v2
	v_cndmask_b32_e64 v32, 0, 1, s2
	v_cmp_ne_u16_e64 s2, v15, v37
	s_and_b32 s5, s5, s6
	v_cmp_ne_u16_e64 s6, v38, v15
	v_cndmask_b32_e64 v42, 0, 1, s5
	v_cmp_gt_u32_e64 s5, s19, v4
	s_and_b32 s2, vcc_lo, s2
	v_cmp_gt_u32_e32 vcc_lo, s19, v7
	s_waitcnt vmcnt(0) lgkmcnt(2)
	v_cndmask_b32_e64 v16, 0, 1, s2
	v_cmp_ne_u16_e64 s2, v14, v38
	s_and_b32 s5, s5, s6
	v_cmp_ne_u16_e64 s6, v39, v14
	v_cndmask_b32_e64 v17, 0, 1, s5
	v_cmp_gt_u32_e64 s5, s19, v8
	s_and_b32 s2, vcc_lo, s2
	v_cmp_gt_u32_e32 vcc_lo, s19, v3
	v_cndmask_b32_e64 v18, 0, 1, s2
	v_cmp_ne_u16_e64 s2, v13, v39
	s_and_b32 s5, s5, s6
	v_cmp_ne_u16_e64 s6, v40, v13
	v_cndmask_b32_e64 v29, 0, 1, s5
	v_cmp_gt_u32_e64 s5, s19, v6
	s_and_b32 s2, vcc_lo, s2
	v_cmp_gt_u32_e32 vcc_lo, s19, v5
	v_cndmask_b32_e64 v30, 0, 1, s2
	v_cmp_ne_u16_e64 s2, v12, v40
	v_lshlrev_b16 v18, 8, v18
	v_lshlrev_b16 v16, 8, v16
	s_and_b32 s5, s5, s6
	v_lshlrev_b16 v45, 8, v32
	s_and_b32 s2, vcc_lo, s2
	v_cndmask_b32_e64 v43, 0, 1, s5
	v_cndmask_b32_e64 v44, 0, 1, s2
	v_or_b32_e32 v18, v29, v18
	v_or_b32_e32 v16, v17, v16
	v_lshlrev_b16 v17, 8, v30
	v_or_b32_e32 v30, v42, v45
	v_lshlrev_b16 v29, 8, v44
	s_and_b32 s2, s3, s4
	v_and_b32_e32 v18, 0xffff, v18
	v_or_b32_e32 v17, v43, v17
	v_lshlrev_b32_e32 v16, 16, v16
	v_or_b32_e32 v29, 1, v29
	v_and_b32_e32 v44, 0xffff, v30
	v_cndmask_b32_e64 v43, 0, 1, s2
	v_lshlrev_b32_e32 v17, 16, v17
	v_or_b32_e32 v30, v18, v16
	v_and_b32_e32 v29, 0xffff, v29
	s_mov_b32 s3, exec_lo
	v_lshl_or_b32 v18, v43, 16, v44
	s_waitcnt lgkmcnt(0)
	s_barrier
	v_or_b32_e32 v29, v29, v17
	buffer_gl0_inv
                                        ; implicit-def: $sgpr2
	v_cmpx_ne_u32_e32 0, v0
	s_cbranch_execz .LBB1259_205
; %bb.70:
	v_add_nc_u32_e32 v9, -2, v9
	v_cmp_gt_u32_e32 vcc_lo, s19, v1
	s_or_b32 s22, s22, exec_lo
                                        ; implicit-def: $vgpr16_vgpr17_vgpr18
	ds_load_u16 v9, v9
	s_waitcnt lgkmcnt(0)
	v_cmp_ne_u16_e64 s2, v9, v12
	s_delay_alu instid0(VALU_DEP_1) | instskip(NEXT) | instid1(SALU_CYCLE_1)
	s_and_b32 s2, vcc_lo, s2
	s_and_b32 s2, s2, exec_lo
	s_or_b32 exec_lo, exec_lo, s3
.LBB1259_71:
	s_and_saveexec_b32 s3, s22
	s_cbranch_execz .LBB1259_73
.LBB1259_72:
	s_waitcnt vmcnt(0) lgkmcnt(1)
	v_lshrrev_b32_e32 v16, 24, v29
	v_lshrrev_b32_e32 v17, 16, v29
	;; [unrolled: 1-line block ×3, first 2 shown]
	v_cndmask_b32_e64 v9, 0, 1, s2
	v_lshlrev_b16 v29, 8, v32
	v_and_b32_e32 v32, 0xff, v42
	v_lshlrev_b16 v16, 8, v16
	v_and_b32_e32 v17, 0xff, v17
	;; [unrolled: 2-line block ×3, first 2 shown]
	v_or_b32_e32 v29, v32, v29
	s_delay_alu instid0(VALU_DEP_4) | instskip(NEXT) | instid1(VALU_DEP_4)
	v_or_b32_e32 v16, v17, v16
	v_or_b32_e32 v9, v9, v18
	s_delay_alu instid0(VALU_DEP_4) | instskip(NEXT) | instid1(VALU_DEP_4)
	v_lshlrev_b32_e32 v17, 16, v42
	v_and_b32_e32 v18, 0xffff, v29
	s_delay_alu instid0(VALU_DEP_4) | instskip(NEXT) | instid1(VALU_DEP_4)
	v_lshlrev_b32_e32 v16, 16, v16
	v_and_b32_e32 v9, 0xffff, v9
	s_delay_alu instid0(VALU_DEP_3) | instskip(NEXT) | instid1(VALU_DEP_2)
	v_or_b32_e32 v18, v18, v17
	v_or_b32_e32 v29, v9, v16
.LBB1259_73:
	s_or_b32 exec_lo, exec_lo, s3
	s_load_b64 s[10:11], s[0:1], 0x68
	s_and_not1_b32 vcc_lo, exec_lo, s20
	s_cbranch_vccnz .LBB1259_75
; %bb.74:
	v_cmp_gt_u32_e32 vcc_lo, s19, v1
	v_cmp_gt_u32_e64 s2, s19, v5
	v_and_b32_e32 v5, 0xffffff00, v30
	v_cmp_gt_u32_e64 s4, s19, v6
	v_cmp_gt_u32_e64 s6, s19, v3
	v_cndmask_b32_e32 v1, 0, v29, vcc_lo
	v_and_b32_e32 v9, 0xff000000, v18
	v_cmp_gt_u32_e32 vcc_lo, s19, v31
	v_cmp_gt_u32_e64 s3, s19, v11
	v_cmp_gt_u32_e64 s5, s19, v10
	v_and_b32_e32 v1, 0xff, v1
	s_delay_alu instid0(VALU_DEP_1) | instskip(SKIP_1) | instid1(VALU_DEP_2)
	v_cndmask_b32_e64 v1, v1, v29, s2
	v_cmp_gt_u32_e64 s2, s19, v8
	v_and_b32_e32 v1, 0xffff, v1
	s_delay_alu instid0(VALU_DEP_2) | instskip(NEXT) | instid1(VALU_DEP_2)
	v_cndmask_b32_e64 v5, v5, v30, s2
	v_cndmask_b32_e64 v1, v1, v29, s4
	s_delay_alu instid0(VALU_DEP_2) | instskip(SKIP_1) | instid1(VALU_DEP_3)
	v_and_b32_e32 v5, 0xffff00ff, v5
	v_cmp_gt_u32_e64 s4, s19, v7
	v_and_b32_e32 v1, 0xffffff, v1
	s_delay_alu instid0(VALU_DEP_2) | instskip(NEXT) | instid1(VALU_DEP_2)
	v_cndmask_b32_e64 v5, v5, v30, s4
	v_cndmask_b32_e64 v1, v1, v29, s6
	s_delay_alu instid0(VALU_DEP_2) | instskip(NEXT) | instid1(VALU_DEP_2)
	v_and_b32_e32 v3, 0xff00ffff, v5
	v_cndmask_b32_e64 v1, v1, v29, s2
	v_cmp_gt_u32_e64 s2, s19, v4
	s_delay_alu instid0(VALU_DEP_2) | instskip(NEXT) | instid1(VALU_DEP_2)
	v_cndmask_b32_e64 v1, v1, v29, s4
	v_cndmask_b32_e64 v3, v3, v30, s2
	v_cndmask_b32_e32 v9, v9, v18, vcc_lo
	v_cmp_gt_u32_e64 s4, s19, v2
	s_delay_alu instid0(VALU_DEP_4) | instskip(NEXT) | instid1(VALU_DEP_4)
	v_cndmask_b32_e64 v1, v1, v29, s2
	v_and_b32_e32 v2, 0xffffff, v3
	s_delay_alu instid0(VALU_DEP_4) | instskip(NEXT) | instid1(VALU_DEP_1)
	v_and_b32_e32 v9, 0xff0000ff, v9
	v_cndmask_b32_e64 v8, v9, v18, s3
	s_or_b32 s3, s5, s3
	s_delay_alu instid0(SALU_CYCLE_1) | instskip(NEXT) | instid1(VALU_DEP_1)
	s_or_b32 s2, s3, vcc_lo
	v_and_b32_e32 v6, 0xff00ffff, v8
	s_or_b32 vcc_lo, s2, s4
	v_dual_cndmask_b32 v30, v2, v30 :: v_dual_cndmask_b32 v1, v1, v29
	s_delay_alu instid0(VALU_DEP_2) | instskip(NEXT) | instid1(VALU_DEP_2)
	v_cndmask_b32_e64 v6, v6, v18, s5
	v_perm_b32 v29, v1, v1, 0x3020104
	s_delay_alu instid0(VALU_DEP_2) | instskip(SKIP_1) | instid1(VALU_DEP_2)
	v_lshrrev_b32_e32 v5, 8, v6
	v_and_b32_e32 v4, 0xff, v6
	v_lshlrev_b16 v5, 8, v5
	s_delay_alu instid0(VALU_DEP_1) | instskip(NEXT) | instid1(VALU_DEP_1)
	v_or_b32_e32 v3, v4, v5
	v_and_b32_e32 v2, 0xffff, v3
	s_delay_alu instid0(VALU_DEP_1)
	v_and_or_b32 v18, 0xff0000, v6, v2
.LBB1259_75:
	v_and_b32_e32 v43, 0xff, v29
	v_bfe_u32 v44, v29, 8, 8
	v_alignbit_b32 v1, v30, v29, 24
	v_bfe_u32 v45, v29, 16, 8
	v_and_b32_e32 v46, 0xff, v30
	v_bfe_u32 v48, v30, 8, 8
	v_bfe_u32 v49, v30, 16, 8
	v_and_b32_e32 v47, 0xff, v1
	v_add3_u32 v1, v44, v43, v45
	v_lshrrev_b32_e32 v42, 24, v30
	v_mbcnt_lo_u32_b32 v52, -1, 0
	v_and_b32_e32 v50, 0xff, v18
	v_bfe_u32 v51, v18, 8, 8
	v_add3_u32 v1, v1, v47, v46
	v_bfe_u32 v3, v18, 16, 8
	v_and_b32_e32 v2, 15, v52
	v_or_b32_e32 v4, 31, v0
	v_and_b32_e32 v5, 16, v52
	v_add3_u32 v1, v1, v48, v49
	v_lshrrev_b32_e32 v53, 5, v0
	v_cmp_eq_u32_e64 s7, 0, v2
	v_cmp_lt_u32_e64 s6, 1, v2
	v_cmp_lt_u32_e64 s5, 3, v2
	v_add3_u32 v1, v1, v42, v50
	v_cmp_lt_u32_e64 s4, 7, v2
	v_cmp_eq_u32_e64 s3, 0, v5
	v_cmp_eq_u32_e64 s2, v4, v0
	s_and_b32 vcc_lo, exec_lo, s21
	v_add3_u32 v54, v1, v51, v3
	s_mov_b32 s19, -1
	s_waitcnt vmcnt(0) lgkmcnt(0)
	s_barrier
	buffer_gl0_inv
	s_cbranch_vccz .LBB1259_106
; %bb.76:
	v_mov_b32_dpp v1, v54 row_shr:1 row_mask:0xf bank_mask:0xf
	s_delay_alu instid0(VALU_DEP_1) | instskip(NEXT) | instid1(VALU_DEP_1)
	v_cndmask_b32_e64 v1, v1, 0, s7
	v_add_nc_u32_e32 v1, v1, v54
	s_delay_alu instid0(VALU_DEP_1) | instskip(NEXT) | instid1(VALU_DEP_1)
	v_mov_b32_dpp v2, v1 row_shr:2 row_mask:0xf bank_mask:0xf
	v_cndmask_b32_e64 v2, 0, v2, s6
	s_delay_alu instid0(VALU_DEP_1) | instskip(NEXT) | instid1(VALU_DEP_1)
	v_add_nc_u32_e32 v1, v1, v2
	v_mov_b32_dpp v2, v1 row_shr:4 row_mask:0xf bank_mask:0xf
	s_delay_alu instid0(VALU_DEP_1) | instskip(NEXT) | instid1(VALU_DEP_1)
	v_cndmask_b32_e64 v2, 0, v2, s5
	v_add_nc_u32_e32 v1, v1, v2
	s_delay_alu instid0(VALU_DEP_1) | instskip(NEXT) | instid1(VALU_DEP_1)
	v_mov_b32_dpp v2, v1 row_shr:8 row_mask:0xf bank_mask:0xf
	v_cndmask_b32_e64 v2, 0, v2, s4
	s_delay_alu instid0(VALU_DEP_1) | instskip(SKIP_3) | instid1(VALU_DEP_1)
	v_add_nc_u32_e32 v1, v1, v2
	ds_swizzle_b32 v2, v1 offset:swizzle(BROADCAST,32,15)
	s_waitcnt lgkmcnt(0)
	v_cndmask_b32_e64 v2, v2, 0, s3
	v_add_nc_u32_e32 v1, v1, v2
	s_and_saveexec_b32 s8, s2
	s_cbranch_execz .LBB1259_78
; %bb.77:
	v_lshlrev_b32_e32 v2, 2, v53
	ds_store_b32 v2, v1
.LBB1259_78:
	s_or_b32 exec_lo, exec_lo, s8
	s_delay_alu instid0(SALU_CYCLE_1)
	s_mov_b32 s8, exec_lo
	s_waitcnt lgkmcnt(0)
	s_barrier
	buffer_gl0_inv
	v_cmpx_gt_u32_e32 4, v0
	s_cbranch_execz .LBB1259_80
; %bb.79:
	v_and_b32_e32 v4, 3, v52
	s_delay_alu instid0(VALU_DEP_1) | instskip(SKIP_4) | instid1(VALU_DEP_1)
	v_cmp_ne_u32_e32 vcc_lo, 0, v4
	v_lshlrev_b32_e32 v2, 2, v0
	ds_load_b32 v3, v2
	s_waitcnt lgkmcnt(0)
	v_mov_b32_dpp v5, v3 row_shr:1 row_mask:0xf bank_mask:0xf
	v_cndmask_b32_e32 v5, 0, v5, vcc_lo
	v_cmp_lt_u32_e32 vcc_lo, 1, v4
	s_delay_alu instid0(VALU_DEP_2) | instskip(NEXT) | instid1(VALU_DEP_1)
	v_add_nc_u32_e32 v3, v5, v3
	v_mov_b32_dpp v5, v3 row_shr:2 row_mask:0xf bank_mask:0xf
	s_delay_alu instid0(VALU_DEP_1) | instskip(NEXT) | instid1(VALU_DEP_1)
	v_cndmask_b32_e32 v4, 0, v5, vcc_lo
	v_add_nc_u32_e32 v3, v3, v4
	ds_store_b32 v2, v3
.LBB1259_80:
	s_or_b32 exec_lo, exec_lo, s8
	v_cmp_gt_u32_e32 vcc_lo, 32, v0
	s_mov_b32 s9, exec_lo
	s_waitcnt lgkmcnt(0)
	s_barrier
	buffer_gl0_inv
                                        ; implicit-def: $vgpr9
	v_cmpx_lt_u32_e32 31, v0
	s_cbranch_execz .LBB1259_82
; %bb.81:
	v_lshl_add_u32 v2, v53, 2, -4
	ds_load_b32 v9, v2
	s_waitcnt lgkmcnt(0)
	v_add_nc_u32_e32 v1, v9, v1
.LBB1259_82:
	s_or_b32 exec_lo, exec_lo, s9
	v_add_nc_u32_e32 v2, -1, v52
	s_delay_alu instid0(VALU_DEP_1) | instskip(NEXT) | instid1(VALU_DEP_1)
	v_cmp_gt_i32_e64 s8, 0, v2
	v_cndmask_b32_e64 v2, v2, v52, s8
	v_cmp_eq_u32_e64 s8, 0, v52
	s_delay_alu instid0(VALU_DEP_2)
	v_lshlrev_b32_e32 v2, 2, v2
	ds_bpermute_b32 v10, v2, v1
	s_and_saveexec_b32 s9, vcc_lo
	s_cbranch_execz .LBB1259_105
; %bb.83:
	v_mov_b32_e32 v5, 0
	ds_load_b32 v1, v5 offset:12
	s_and_saveexec_b32 s19, s8
	s_cbranch_execz .LBB1259_85
; %bb.84:
	s_add_i32 s20, s15, 32
	s_mov_b32 s21, 0
	v_mov_b32_e32 v2, 1
	s_lshl_b64 s[20:21], s[20:21], 3
	s_delay_alu instid0(SALU_CYCLE_1)
	s_add_u32 s20, s10, s20
	s_addc_u32 s21, s11, s21
	s_waitcnt lgkmcnt(0)
	global_store_b64 v5, v[1:2], s[20:21]
.LBB1259_85:
	s_or_b32 exec_lo, exec_lo, s19
	v_xad_u32 v3, v52, -1, s15
	s_mov_b32 s20, 0
	s_mov_b32 s19, exec_lo
	s_delay_alu instid0(VALU_DEP_1) | instskip(NEXT) | instid1(VALU_DEP_1)
	v_add_nc_u32_e32 v4, 32, v3
	v_lshlrev_b64 v[4:5], 3, v[4:5]
	s_delay_alu instid0(VALU_DEP_1) | instskip(NEXT) | instid1(VALU_DEP_2)
	v_add_co_u32 v7, vcc_lo, s10, v4
	v_add_co_ci_u32_e32 v8, vcc_lo, s11, v5, vcc_lo
	global_load_b64 v[5:6], v[7:8], off glc
	s_waitcnt vmcnt(0)
	v_and_b32_e32 v2, 0xff, v6
	s_delay_alu instid0(VALU_DEP_1)
	v_cmpx_eq_u16_e32 0, v2
	s_cbranch_execz .LBB1259_91
; %bb.86:
	s_mov_b32 s21, 1
	.p2align	6
.LBB1259_87:                            ; =>This Loop Header: Depth=1
                                        ;     Child Loop BB1259_88 Depth 2
	s_delay_alu instid0(SALU_CYCLE_1)
	s_max_u32 s22, s21, 1
.LBB1259_88:                            ;   Parent Loop BB1259_87 Depth=1
                                        ; =>  This Inner Loop Header: Depth=2
	s_delay_alu instid0(SALU_CYCLE_1)
	s_add_i32 s22, s22, -1
	s_sleep 1
	s_cmp_eq_u32 s22, 0
	s_cbranch_scc0 .LBB1259_88
; %bb.89:                               ;   in Loop: Header=BB1259_87 Depth=1
	global_load_b64 v[5:6], v[7:8], off glc
	s_cmp_lt_u32 s21, 32
	s_cselect_b32 s22, -1, 0
	s_delay_alu instid0(SALU_CYCLE_1) | instskip(SKIP_3) | instid1(VALU_DEP_1)
	s_cmp_lg_u32 s22, 0
	s_addc_u32 s21, s21, 0
	s_waitcnt vmcnt(0)
	v_and_b32_e32 v2, 0xff, v6
	v_cmp_ne_u16_e32 vcc_lo, 0, v2
	s_or_b32 s20, vcc_lo, s20
	s_delay_alu instid0(SALU_CYCLE_1)
	s_and_not1_b32 exec_lo, exec_lo, s20
	s_cbranch_execnz .LBB1259_87
; %bb.90:
	s_or_b32 exec_lo, exec_lo, s20
.LBB1259_91:
	s_delay_alu instid0(SALU_CYCLE_1)
	s_or_b32 exec_lo, exec_lo, s19
	v_cmp_ne_u32_e32 vcc_lo, 31, v52
	v_lshlrev_b32_e64 v16, v52, -1
	v_add_nc_u32_e32 v31, 2, v52
	v_add_nc_u32_e32 v55, 4, v52
	;; [unrolled: 1-line block ×3, first 2 shown]
	v_add_co_ci_u32_e32 v2, vcc_lo, 0, v52, vcc_lo
	v_add_nc_u32_e32 v59, 16, v52
	s_delay_alu instid0(VALU_DEP_2)
	v_lshlrev_b32_e32 v11, 2, v2
	v_and_b32_e32 v2, 0xff, v6
	ds_bpermute_b32 v4, v11, v5
	v_cmp_eq_u16_e32 vcc_lo, 2, v2
	v_and_or_b32 v2, vcc_lo, v16, 0x80000000
	v_cmp_gt_u32_e32 vcc_lo, 30, v52
	s_delay_alu instid0(VALU_DEP_2) | instskip(SKIP_1) | instid1(VALU_DEP_2)
	v_ctz_i32_b32_e32 v2, v2
	v_cndmask_b32_e64 v7, 0, 1, vcc_lo
	v_cmp_lt_u32_e32 vcc_lo, v52, v2
	s_waitcnt lgkmcnt(0)
	s_delay_alu instid0(VALU_DEP_2) | instskip(NEXT) | instid1(VALU_DEP_1)
	v_dual_cndmask_b32 v4, 0, v4 :: v_dual_lshlrev_b32 v7, 1, v7
	v_add_lshl_u32 v17, v7, v52, 2
	v_cmp_gt_u32_e32 vcc_lo, 28, v52
	s_delay_alu instid0(VALU_DEP_3) | instskip(SKIP_4) | instid1(VALU_DEP_1)
	v_add_nc_u32_e32 v4, v4, v5
	v_cndmask_b32_e64 v7, 0, 1, vcc_lo
	v_cmp_le_u32_e32 vcc_lo, v31, v2
	ds_bpermute_b32 v5, v17, v4
	v_lshlrev_b32_e32 v7, 2, v7
	v_add_lshl_u32 v32, v7, v52, 2
	s_waitcnt lgkmcnt(0)
	v_cndmask_b32_e32 v5, 0, v5, vcc_lo
	v_cmp_gt_u32_e32 vcc_lo, 24, v52
	s_delay_alu instid0(VALU_DEP_2) | instskip(SKIP_4) | instid1(VALU_DEP_1)
	v_add_nc_u32_e32 v4, v4, v5
	v_cndmask_b32_e64 v7, 0, 1, vcc_lo
	v_cmp_le_u32_e32 vcc_lo, v55, v2
	ds_bpermute_b32 v5, v32, v4
	v_lshlrev_b32_e32 v7, 3, v7
	v_add_lshl_u32 v56, v7, v52, 2
	s_waitcnt lgkmcnt(0)
	v_cndmask_b32_e32 v5, 0, v5, vcc_lo
	v_cmp_gt_u32_e32 vcc_lo, 16, v52
	s_delay_alu instid0(VALU_DEP_2) | instskip(SKIP_4) | instid1(VALU_DEP_1)
	v_add_nc_u32_e32 v4, v4, v5
	v_cndmask_b32_e64 v7, 0, 1, vcc_lo
	v_cmp_le_u32_e32 vcc_lo, v57, v2
	ds_bpermute_b32 v5, v56, v4
	v_lshlrev_b32_e32 v7, 4, v7
	v_add_lshl_u32 v58, v7, v52, 2
	s_waitcnt lgkmcnt(0)
	v_cndmask_b32_e32 v5, 0, v5, vcc_lo
	v_cmp_le_u32_e32 vcc_lo, v59, v2
	s_delay_alu instid0(VALU_DEP_2) | instskip(SKIP_3) | instid1(VALU_DEP_1)
	v_add_nc_u32_e32 v4, v4, v5
	ds_bpermute_b32 v5, v58, v4
	s_waitcnt lgkmcnt(0)
	v_cndmask_b32_e32 v2, 0, v5, vcc_lo
	v_dual_mov_b32 v4, 0 :: v_dual_add_nc_u32 v5, v4, v2
	s_branch .LBB1259_93
.LBB1259_92:                            ;   in Loop: Header=BB1259_93 Depth=1
	s_or_b32 exec_lo, exec_lo, s19
	ds_bpermute_b32 v8, v11, v5
	v_and_b32_e32 v7, 0xff, v6
	v_subrev_nc_u32_e32 v3, 32, v3
	s_delay_alu instid0(VALU_DEP_2) | instskip(SKIP_1) | instid1(VALU_DEP_1)
	v_cmp_eq_u16_e32 vcc_lo, 2, v7
	v_and_or_b32 v7, vcc_lo, v16, 0x80000000
	v_ctz_i32_b32_e32 v7, v7
	s_delay_alu instid0(VALU_DEP_1) | instskip(SKIP_3) | instid1(VALU_DEP_2)
	v_cmp_lt_u32_e32 vcc_lo, v52, v7
	s_waitcnt lgkmcnt(0)
	v_cndmask_b32_e32 v8, 0, v8, vcc_lo
	v_cmp_le_u32_e32 vcc_lo, v31, v7
	v_add_nc_u32_e32 v5, v8, v5
	ds_bpermute_b32 v8, v17, v5
	s_waitcnt lgkmcnt(0)
	v_cndmask_b32_e32 v8, 0, v8, vcc_lo
	v_cmp_le_u32_e32 vcc_lo, v55, v7
	s_delay_alu instid0(VALU_DEP_2) | instskip(SKIP_4) | instid1(VALU_DEP_2)
	v_add_nc_u32_e32 v5, v5, v8
	ds_bpermute_b32 v8, v32, v5
	s_waitcnt lgkmcnt(0)
	v_cndmask_b32_e32 v8, 0, v8, vcc_lo
	v_cmp_le_u32_e32 vcc_lo, v57, v7
	v_add_nc_u32_e32 v5, v5, v8
	ds_bpermute_b32 v8, v56, v5
	s_waitcnt lgkmcnt(0)
	v_cndmask_b32_e32 v8, 0, v8, vcc_lo
	v_cmp_le_u32_e32 vcc_lo, v59, v7
	s_delay_alu instid0(VALU_DEP_2) | instskip(SKIP_3) | instid1(VALU_DEP_1)
	v_add_nc_u32_e32 v5, v5, v8
	ds_bpermute_b32 v8, v58, v5
	s_waitcnt lgkmcnt(0)
	v_cndmask_b32_e32 v7, 0, v8, vcc_lo
	v_add3_u32 v5, v7, v2, v5
.LBB1259_93:                            ; =>This Loop Header: Depth=1
                                        ;     Child Loop BB1259_96 Depth 2
                                        ;       Child Loop BB1259_97 Depth 3
	v_and_b32_e32 v2, 0xff, v6
	s_delay_alu instid0(VALU_DEP_1) | instskip(SKIP_2) | instid1(VALU_DEP_1)
	v_cmp_ne_u16_e32 vcc_lo, 2, v2
	v_cndmask_b32_e64 v2, 0, 1, vcc_lo
	;;#ASMSTART
	;;#ASMEND
	v_cmp_ne_u32_e32 vcc_lo, 0, v2
	v_mov_b32_e32 v2, v5
	s_cmp_lg_u32 vcc_lo, exec_lo
	s_cbranch_scc1 .LBB1259_100
; %bb.94:                               ;   in Loop: Header=BB1259_93 Depth=1
	v_lshlrev_b64 v[5:6], 3, v[3:4]
	s_mov_b32 s19, exec_lo
	s_delay_alu instid0(VALU_DEP_1) | instskip(NEXT) | instid1(VALU_DEP_2)
	v_add_co_u32 v7, vcc_lo, s10, v5
	v_add_co_ci_u32_e32 v8, vcc_lo, s11, v6, vcc_lo
	global_load_b64 v[5:6], v[7:8], off glc
	s_waitcnt vmcnt(0)
	v_and_b32_e32 v60, 0xff, v6
	s_delay_alu instid0(VALU_DEP_1)
	v_cmpx_eq_u16_e32 0, v60
	s_cbranch_execz .LBB1259_92
; %bb.95:                               ;   in Loop: Header=BB1259_93 Depth=1
	s_mov_b32 s21, 1
	s_mov_b32 s20, 0
	.p2align	6
.LBB1259_96:                            ;   Parent Loop BB1259_93 Depth=1
                                        ; =>  This Loop Header: Depth=2
                                        ;       Child Loop BB1259_97 Depth 3
	s_max_u32 s22, s21, 1
.LBB1259_97:                            ;   Parent Loop BB1259_93 Depth=1
                                        ;     Parent Loop BB1259_96 Depth=2
                                        ; =>    This Inner Loop Header: Depth=3
	s_delay_alu instid0(SALU_CYCLE_1)
	s_add_i32 s22, s22, -1
	s_sleep 1
	s_cmp_eq_u32 s22, 0
	s_cbranch_scc0 .LBB1259_97
; %bb.98:                               ;   in Loop: Header=BB1259_96 Depth=2
	global_load_b64 v[5:6], v[7:8], off glc
	s_cmp_lt_u32 s21, 32
	s_cselect_b32 s22, -1, 0
	s_delay_alu instid0(SALU_CYCLE_1) | instskip(SKIP_3) | instid1(VALU_DEP_1)
	s_cmp_lg_u32 s22, 0
	s_addc_u32 s21, s21, 0
	s_waitcnt vmcnt(0)
	v_and_b32_e32 v60, 0xff, v6
	v_cmp_ne_u16_e32 vcc_lo, 0, v60
	s_or_b32 s20, vcc_lo, s20
	s_delay_alu instid0(SALU_CYCLE_1)
	s_and_not1_b32 exec_lo, exec_lo, s20
	s_cbranch_execnz .LBB1259_96
; %bb.99:                               ;   in Loop: Header=BB1259_93 Depth=1
	s_or_b32 exec_lo, exec_lo, s20
	s_branch .LBB1259_92
.LBB1259_100:                           ;   in Loop: Header=BB1259_93 Depth=1
                                        ; implicit-def: $vgpr5
                                        ; implicit-def: $vgpr6
	s_cbranch_execz .LBB1259_93
; %bb.101:
	s_and_saveexec_b32 s19, s8
	s_cbranch_execz .LBB1259_103
; %bb.102:
	s_add_i32 s20, s15, 32
	s_mov_b32 s21, 0
	v_dual_mov_b32 v4, 2 :: v_dual_add_nc_u32 v3, v2, v1
	s_lshl_b64 s[20:21], s[20:21], 3
	v_mov_b32_e32 v5, 0
	s_add_u32 s20, s10, s20
	s_addc_u32 s21, s11, s21
	global_store_b64 v5, v[3:4], s[20:21]
	ds_store_b64 v5, v[1:2] offset:5632
.LBB1259_103:
	s_or_b32 exec_lo, exec_lo, s19
	v_cmp_eq_u32_e32 vcc_lo, 0, v0
	s_and_b32 exec_lo, exec_lo, vcc_lo
	s_cbranch_execz .LBB1259_105
; %bb.104:
	v_mov_b32_e32 v1, 0
	ds_store_b32 v1, v2 offset:12
.LBB1259_105:
	s_or_b32 exec_lo, exec_lo, s9
	s_waitcnt lgkmcnt(0)
	v_cndmask_b32_e64 v2, v10, v9, s8
	v_cmp_ne_u32_e32 vcc_lo, 0, v0
	v_mov_b32_e32 v11, 0
	s_waitcnt_vscnt null, 0x0
	s_barrier
	buffer_gl0_inv
	v_cndmask_b32_e32 v2, 0, v2, vcc_lo
	ds_load_b32 v1, v11 offset:12
	s_waitcnt lgkmcnt(0)
	s_barrier
	buffer_gl0_inv
	ds_load_b64 v[16:17], v11 offset:5632
	v_add_nc_u32_e32 v1, v1, v2
	s_delay_alu instid0(VALU_DEP_1) | instskip(NEXT) | instid1(VALU_DEP_1)
	v_add_nc_u32_e32 v2, v1, v43
	v_add_nc_u32_e32 v3, v2, v44
	s_delay_alu instid0(VALU_DEP_1) | instskip(NEXT) | instid1(VALU_DEP_1)
	v_add_nc_u32_e32 v4, v3, v45
	;; [unrolled: 3-line block ×5, first 2 shown]
	v_add_nc_u32_e32 v11, v10, v51
	s_load_b64 s[8:9], s[0:1], 0x38
	v_lshrrev_b64 v[31:32], 24, v[29:30]
	s_branch .LBB1259_116
.LBB1259_106:
                                        ; implicit-def: $vgpr17
                                        ; implicit-def: $vgpr1_vgpr2_vgpr3_vgpr4_vgpr5_vgpr6_vgpr7_vgpr8_vgpr9_vgpr10_vgpr11
	s_load_b64 s[8:9], s[0:1], 0x38
	v_lshrrev_b64 v[31:32], 24, v[29:30]
	s_and_b32 vcc_lo, exec_lo, s19
	s_cbranch_vccz .LBB1259_116
; %bb.107:
	v_mov_b32_dpp v1, v54 row_shr:1 row_mask:0xf bank_mask:0xf
	s_delay_alu instid0(VALU_DEP_1) | instskip(NEXT) | instid1(VALU_DEP_1)
	v_cndmask_b32_e64 v1, v1, 0, s7
	v_add_nc_u32_e32 v1, v1, v54
	s_delay_alu instid0(VALU_DEP_1) | instskip(NEXT) | instid1(VALU_DEP_1)
	v_mov_b32_dpp v2, v1 row_shr:2 row_mask:0xf bank_mask:0xf
	v_cndmask_b32_e64 v2, 0, v2, s6
	s_delay_alu instid0(VALU_DEP_1) | instskip(NEXT) | instid1(VALU_DEP_1)
	v_add_nc_u32_e32 v1, v1, v2
	v_mov_b32_dpp v2, v1 row_shr:4 row_mask:0xf bank_mask:0xf
	s_delay_alu instid0(VALU_DEP_1) | instskip(NEXT) | instid1(VALU_DEP_1)
	v_cndmask_b32_e64 v2, 0, v2, s5
	v_add_nc_u32_e32 v1, v1, v2
	s_delay_alu instid0(VALU_DEP_1) | instskip(NEXT) | instid1(VALU_DEP_1)
	v_mov_b32_dpp v2, v1 row_shr:8 row_mask:0xf bank_mask:0xf
	v_cndmask_b32_e64 v2, 0, v2, s4
	s_delay_alu instid0(VALU_DEP_1) | instskip(SKIP_3) | instid1(VALU_DEP_1)
	v_add_nc_u32_e32 v1, v1, v2
	ds_swizzle_b32 v2, v1 offset:swizzle(BROADCAST,32,15)
	s_waitcnt lgkmcnt(0)
	v_cndmask_b32_e64 v2, v2, 0, s3
	v_add_nc_u32_e32 v1, v1, v2
	s_and_saveexec_b32 s0, s2
	s_cbranch_execz .LBB1259_109
; %bb.108:
	v_lshlrev_b32_e32 v2, 2, v53
	ds_store_b32 v2, v1
.LBB1259_109:
	s_or_b32 exec_lo, exec_lo, s0
	s_delay_alu instid0(SALU_CYCLE_1)
	s_mov_b32 s0, exec_lo
	s_waitcnt lgkmcnt(0)
	s_barrier
	buffer_gl0_inv
	v_cmpx_gt_u32_e32 4, v0
	s_cbranch_execz .LBB1259_111
; %bb.110:
	v_mad_i32_i24 v2, 0xffffffd8, v0, v41
	ds_load_b32 v3, v2
	s_waitcnt lgkmcnt(0)
	v_mov_b32_dpp v5, v3 row_shr:1 row_mask:0xf bank_mask:0xf
	v_and_b32_e32 v4, 3, v52
	s_delay_alu instid0(VALU_DEP_1) | instskip(NEXT) | instid1(VALU_DEP_3)
	v_cmp_ne_u32_e32 vcc_lo, 0, v4
	v_cndmask_b32_e32 v5, 0, v5, vcc_lo
	v_cmp_lt_u32_e32 vcc_lo, 1, v4
	s_delay_alu instid0(VALU_DEP_2) | instskip(NEXT) | instid1(VALU_DEP_1)
	v_add_nc_u32_e32 v3, v5, v3
	v_mov_b32_dpp v5, v3 row_shr:2 row_mask:0xf bank_mask:0xf
	s_delay_alu instid0(VALU_DEP_1) | instskip(NEXT) | instid1(VALU_DEP_1)
	v_cndmask_b32_e32 v4, 0, v5, vcc_lo
	v_add_nc_u32_e32 v3, v3, v4
	ds_store_b32 v2, v3
.LBB1259_111:
	s_or_b32 exec_lo, exec_lo, s0
	v_dual_mov_b32 v3, 0 :: v_dual_mov_b32 v2, 0
	s_mov_b32 s0, exec_lo
	s_waitcnt lgkmcnt(0)
	s_barrier
	buffer_gl0_inv
	v_cmpx_lt_u32_e32 31, v0
	s_cbranch_execz .LBB1259_113
; %bb.112:
	v_lshl_add_u32 v2, v53, 2, -4
	ds_load_b32 v2, v2
.LBB1259_113:
	s_or_b32 exec_lo, exec_lo, s0
	v_add_nc_u32_e32 v4, -1, v52
	ds_load_b32 v16, v3 offset:12
	s_waitcnt lgkmcnt(1)
	v_add_nc_u32_e32 v1, v2, v1
	v_cmp_gt_i32_e32 vcc_lo, 0, v4
	v_cndmask_b32_e32 v4, v4, v52, vcc_lo
	v_cmp_eq_u32_e32 vcc_lo, 0, v0
	s_delay_alu instid0(VALU_DEP_2)
	v_lshlrev_b32_e32 v4, 2, v4
	ds_bpermute_b32 v1, v4, v1
	s_and_saveexec_b32 s0, vcc_lo
	s_cbranch_execz .LBB1259_115
; %bb.114:
	v_mov_b32_e32 v3, 0
	v_mov_b32_e32 v17, 2
	s_waitcnt lgkmcnt(1)
	global_store_b64 v3, v[16:17], s[10:11] offset:256
.LBB1259_115:
	s_or_b32 exec_lo, exec_lo, s0
	v_cmp_eq_u32_e64 s0, 0, v52
	s_waitcnt lgkmcnt(0)
	s_waitcnt_vscnt null, 0x0
	s_barrier
	buffer_gl0_inv
	v_mov_b32_e32 v17, 0
	v_cndmask_b32_e64 v1, v1, v2, s0
	s_delay_alu instid0(VALU_DEP_1) | instskip(NEXT) | instid1(VALU_DEP_1)
	v_cndmask_b32_e64 v1, v1, 0, vcc_lo
	v_add_nc_u32_e32 v2, v1, v43
	s_delay_alu instid0(VALU_DEP_1) | instskip(NEXT) | instid1(VALU_DEP_1)
	v_add_nc_u32_e32 v3, v2, v44
	v_add_nc_u32_e32 v4, v3, v45
	s_delay_alu instid0(VALU_DEP_1) | instskip(NEXT) | instid1(VALU_DEP_1)
	v_add_nc_u32_e32 v5, v4, v47
	;; [unrolled: 3-line block ×4, first 2 shown]
	v_add_nc_u32_e32 v10, v9, v50
	s_delay_alu instid0(VALU_DEP_1)
	v_add_nc_u32_e32 v11, v10, v51
.LBB1259_116:
	v_lshrrev_b32_e32 v45, 16, v29
	v_lshrrev_b32_e32 v46, 8, v29
	v_and_b32_e32 v29, 1, v29
	s_waitcnt lgkmcnt(0)
	v_cmp_gt_u32_e64 s0, 0x81, v16
	v_lshrrev_b32_e32 v32, 16, v18
	v_lshrrev_b32_e32 v44, 8, v30
	;; [unrolled: 1-line block ×4, first 2 shown]
	v_cmp_eq_u32_e64 s1, 1, v29
	s_and_b32 vcc_lo, exec_lo, s0
	s_cbranch_vccnz .LBB1259_140
; %bb.117:
	s_delay_alu instid0(VALU_DEP_1)
	s_and_saveexec_b32 s2, s1
	s_cbranch_execz .LBB1259_119
; %bb.118:
	v_sub_nc_u32_e32 v47, v1, v17
	s_delay_alu instid0(VALU_DEP_1)
	v_lshlrev_b32_e32 v47, 1, v47
	ds_store_b16 v47, v12
.LBB1259_119:
	s_or_b32 exec_lo, exec_lo, s2
	v_and_b32_e32 v12, 1, v46
	s_mov_b32 s1, exec_lo
	s_delay_alu instid0(VALU_DEP_1)
	v_cmpx_eq_u32_e32 1, v12
	s_cbranch_execz .LBB1259_121
; %bb.120:
	v_sub_nc_u32_e32 v12, v2, v17
	s_delay_alu instid0(VALU_DEP_1)
	v_lshlrev_b32_e32 v12, 1, v12
	ds_store_b16 v12, v40
.LBB1259_121:
	s_or_b32 exec_lo, exec_lo, s1
	v_and_b32_e32 v12, 1, v45
	s_mov_b32 s1, exec_lo
	s_delay_alu instid0(VALU_DEP_1)
	v_cmpx_eq_u32_e32 1, v12
	;; [unrolled: 12-line block ×10, first 2 shown]
	s_cbranch_execz .LBB1259_139
; %bb.138:
	v_sub_nc_u32_e32 v12, v11, v17
	s_delay_alu instid0(VALU_DEP_1)
	v_lshlrev_b32_e32 v12, 1, v12
	ds_store_b16 v12, v34
.LBB1259_139:
	s_or_b32 exec_lo, exec_lo, s1
	s_waitcnt lgkmcnt(0)
	s_barrier
	buffer_gl0_inv
.LBB1259_140:
	s_and_b32 vcc_lo, exec_lo, s0
	s_mov_b32 s0, -1
	s_barrier
	buffer_gl0_inv
	s_cbranch_vccnz .LBB1259_144
; %bb.141:
	s_and_b32 vcc_lo, exec_lo, s0
	s_cbranch_vccnz .LBB1259_178
.LBB1259_142:
	v_cmp_eq_u32_e32 vcc_lo, 0, v0
	s_and_b32 s0, vcc_lo, s14
	s_delay_alu instid0(SALU_CYCLE_1)
	s_and_saveexec_b32 s1, s0
	s_cbranch_execnz .LBB1259_204
.LBB1259_143:
	s_nop 0
	s_sendmsg sendmsg(MSG_DEALLOC_VGPRS)
	s_endpgm
.LBB1259_144:
	v_add_nc_u32_e32 v12, v17, v16
	s_lshl_b64 s[0:1], s[12:13], 2
	s_delay_alu instid0(SALU_CYCLE_1) | instskip(SKIP_1) | instid1(VALU_DEP_1)
	s_add_u32 s0, s8, s0
	s_addc_u32 s1, s9, s1
	v_cmp_lt_u32_e32 vcc_lo, v1, v12
	s_or_b32 s3, s18, vcc_lo
	s_delay_alu instid0(SALU_CYCLE_1)
	s_and_saveexec_b32 s2, s3
	s_cbranch_execz .LBB1259_147
; %bb.145:
	v_cmp_eq_u32_e32 vcc_lo, 1, v29
	s_and_b32 exec_lo, exec_lo, vcc_lo
	s_cbranch_execz .LBB1259_147
; %bb.146:
	v_dual_mov_b32 v14, 0 :: v_dual_mov_b32 v13, v1
	s_delay_alu instid0(VALU_DEP_1) | instskip(NEXT) | instid1(VALU_DEP_1)
	v_lshlrev_b64 v[13:14], 2, v[13:14]
	v_add_co_u32 v13, vcc_lo, s0, v13
	s_delay_alu instid0(VALU_DEP_2)
	v_add_co_ci_u32_e32 v14, vcc_lo, s1, v14, vcc_lo
	global_store_b32 v[13:14], v27, off
.LBB1259_147:
	s_or_b32 exec_lo, exec_lo, s2
	v_cmp_lt_u32_e32 vcc_lo, v2, v12
	s_or_b32 s3, s18, vcc_lo
	s_delay_alu instid0(SALU_CYCLE_1)
	s_and_saveexec_b32 s2, s3
	s_cbranch_execz .LBB1259_150
; %bb.148:
	v_and_b32_e32 v13, 1, v46
	s_delay_alu instid0(VALU_DEP_1)
	v_cmp_eq_u32_e32 vcc_lo, 1, v13
	s_and_b32 exec_lo, exec_lo, vcc_lo
	s_cbranch_execz .LBB1259_150
; %bb.149:
	v_dual_mov_b32 v14, 0 :: v_dual_mov_b32 v13, v2
	s_delay_alu instid0(VALU_DEP_1) | instskip(NEXT) | instid1(VALU_DEP_1)
	v_lshlrev_b64 v[13:14], 2, v[13:14]
	v_add_co_u32 v13, vcc_lo, s0, v13
	s_delay_alu instid0(VALU_DEP_2)
	v_add_co_ci_u32_e32 v14, vcc_lo, s1, v14, vcc_lo
	global_store_b32 v[13:14], v28, off
.LBB1259_150:
	s_or_b32 exec_lo, exec_lo, s2
	v_cmp_lt_u32_e32 vcc_lo, v3, v12
	s_or_b32 s3, s18, vcc_lo
	s_delay_alu instid0(SALU_CYCLE_1)
	s_and_saveexec_b32 s2, s3
	s_cbranch_execz .LBB1259_153
; %bb.151:
	v_and_b32_e32 v13, 1, v45
	s_delay_alu instid0(VALU_DEP_1)
	v_cmp_eq_u32_e32 vcc_lo, 1, v13
	s_and_b32 exec_lo, exec_lo, vcc_lo
	s_cbranch_execz .LBB1259_153
; %bb.152:
	v_dual_mov_b32 v14, 0 :: v_dual_mov_b32 v13, v3
	s_delay_alu instid0(VALU_DEP_1) | instskip(NEXT) | instid1(VALU_DEP_1)
	v_lshlrev_b64 v[13:14], 2, v[13:14]
	v_add_co_u32 v13, vcc_lo, s0, v13
	s_delay_alu instid0(VALU_DEP_2)
	v_add_co_ci_u32_e32 v14, vcc_lo, s1, v14, vcc_lo
	global_store_b32 v[13:14], v25, off
.LBB1259_153:
	;; [unrolled: 21-line block ×10, first 2 shown]
	s_or_b32 exec_lo, exec_lo, s2
	s_branch .LBB1259_142
.LBB1259_178:
	s_mov_b32 s0, exec_lo
	v_cmpx_eq_u32_e32 1, v29
	s_cbranch_execz .LBB1259_180
; %bb.179:
	v_sub_nc_u32_e32 v1, v1, v17
	s_delay_alu instid0(VALU_DEP_1)
	v_lshlrev_b32_e32 v1, 2, v1
	ds_store_b32 v1, v27
.LBB1259_180:
	s_or_b32 exec_lo, exec_lo, s0
	v_and_b32_e32 v1, 1, v46
	s_mov_b32 s0, exec_lo
	s_delay_alu instid0(VALU_DEP_1)
	v_cmpx_eq_u32_e32 1, v1
	s_cbranch_execz .LBB1259_182
; %bb.181:
	v_sub_nc_u32_e32 v1, v2, v17
	s_delay_alu instid0(VALU_DEP_1)
	v_lshlrev_b32_e32 v1, 2, v1
	ds_store_b32 v1, v28
.LBB1259_182:
	s_or_b32 exec_lo, exec_lo, s0
	v_and_b32_e32 v1, 1, v45
	s_mov_b32 s0, exec_lo
	s_delay_alu instid0(VALU_DEP_1)
	v_cmpx_eq_u32_e32 1, v1
	s_cbranch_execz .LBB1259_184
; %bb.183:
	v_sub_nc_u32_e32 v1, v3, v17
	s_delay_alu instid0(VALU_DEP_1)
	v_lshlrev_b32_e32 v1, 2, v1
	ds_store_b32 v1, v25
.LBB1259_184:
	s_or_b32 exec_lo, exec_lo, s0
	v_and_b32_e32 v1, 1, v31
	s_mov_b32 s0, exec_lo
	s_delay_alu instid0(VALU_DEP_1)
	v_cmpx_eq_u32_e32 1, v1
	s_cbranch_execz .LBB1259_186
; %bb.185:
	v_sub_nc_u32_e32 v1, v4, v17
	s_delay_alu instid0(VALU_DEP_1)
	v_lshlrev_b32_e32 v1, 2, v1
	ds_store_b32 v1, v26
.LBB1259_186:
	s_or_b32 exec_lo, exec_lo, s0
	v_and_b32_e32 v1, 1, v30
	s_mov_b32 s0, exec_lo
	s_delay_alu instid0(VALU_DEP_1)
	v_cmpx_eq_u32_e32 1, v1
	s_cbranch_execz .LBB1259_188
; %bb.187:
	v_sub_nc_u32_e32 v1, v5, v17
	s_delay_alu instid0(VALU_DEP_1)
	v_lshlrev_b32_e32 v1, 2, v1
	ds_store_b32 v1, v23
.LBB1259_188:
	s_or_b32 exec_lo, exec_lo, s0
	v_and_b32_e32 v1, 1, v44
	s_mov_b32 s0, exec_lo
	s_delay_alu instid0(VALU_DEP_1)
	v_cmpx_eq_u32_e32 1, v1
	s_cbranch_execz .LBB1259_190
; %bb.189:
	v_sub_nc_u32_e32 v1, v6, v17
	s_delay_alu instid0(VALU_DEP_1)
	v_lshlrev_b32_e32 v1, 2, v1
	ds_store_b32 v1, v24
.LBB1259_190:
	s_or_b32 exec_lo, exec_lo, s0
	v_and_b32_e32 v1, 1, v43
	s_mov_b32 s0, exec_lo
	s_delay_alu instid0(VALU_DEP_1)
	v_cmpx_eq_u32_e32 1, v1
	s_cbranch_execz .LBB1259_192
; %bb.191:
	v_sub_nc_u32_e32 v1, v7, v17
	s_delay_alu instid0(VALU_DEP_1)
	v_lshlrev_b32_e32 v1, 2, v1
	ds_store_b32 v1, v21
.LBB1259_192:
	s_or_b32 exec_lo, exec_lo, s0
	v_and_b32_e32 v1, 1, v42
	s_mov_b32 s0, exec_lo
	s_delay_alu instid0(VALU_DEP_1)
	v_cmpx_eq_u32_e32 1, v1
	s_cbranch_execz .LBB1259_194
; %bb.193:
	v_sub_nc_u32_e32 v1, v8, v17
	s_delay_alu instid0(VALU_DEP_1)
	v_lshlrev_b32_e32 v1, 2, v1
	ds_store_b32 v1, v22
.LBB1259_194:
	s_or_b32 exec_lo, exec_lo, s0
	v_and_b32_e32 v1, 1, v18
	s_mov_b32 s0, exec_lo
	s_delay_alu instid0(VALU_DEP_1)
	v_cmpx_eq_u32_e32 1, v1
	s_cbranch_execz .LBB1259_196
; %bb.195:
	v_sub_nc_u32_e32 v1, v9, v17
	s_delay_alu instid0(VALU_DEP_1)
	v_lshlrev_b32_e32 v1, 2, v1
	ds_store_b32 v1, v19
.LBB1259_196:
	s_or_b32 exec_lo, exec_lo, s0
	v_and_b32_e32 v1, 1, v41
	s_mov_b32 s0, exec_lo
	s_delay_alu instid0(VALU_DEP_1)
	v_cmpx_eq_u32_e32 1, v1
	s_cbranch_execz .LBB1259_198
; %bb.197:
	v_sub_nc_u32_e32 v1, v10, v17
	s_delay_alu instid0(VALU_DEP_1)
	v_lshlrev_b32_e32 v1, 2, v1
	ds_store_b32 v1, v20
.LBB1259_198:
	s_or_b32 exec_lo, exec_lo, s0
	v_and_b32_e32 v1, 1, v32
	s_mov_b32 s0, exec_lo
	s_delay_alu instid0(VALU_DEP_1)
	v_cmpx_eq_u32_e32 1, v1
	s_cbranch_execz .LBB1259_200
; %bb.199:
	v_sub_nc_u32_e32 v1, v11, v17
	s_delay_alu instid0(VALU_DEP_1)
	v_lshlrev_b32_e32 v1, 2, v1
	ds_store_b32 v1, v33
.LBB1259_200:
	s_or_b32 exec_lo, exec_lo, s0
	s_delay_alu instid0(SALU_CYCLE_1)
	s_mov_b32 s1, exec_lo
	s_waitcnt lgkmcnt(0)
	s_waitcnt_vscnt null, 0x0
	s_barrier
	buffer_gl0_inv
	v_cmpx_lt_u32_e64 v0, v16
	s_cbranch_execz .LBB1259_203
; %bb.201:
	v_dual_mov_b32 v2, 0 :: v_dual_mov_b32 v1, v17
	s_lshl_b64 s[2:3], s[12:13], 2
	v_lshlrev_b32_e32 v3, 2, v0
	s_add_u32 s0, s8, s2
	s_addc_u32 s2, s9, s3
	v_lshlrev_b64 v[4:5], 2, v[1:2]
	v_mov_b32_e32 v1, v0
	s_delay_alu instid0(VALU_DEP_2) | instskip(NEXT) | instid1(VALU_DEP_3)
	v_add_co_u32 v4, vcc_lo, s0, v4
	v_add_co_ci_u32_e32 v5, vcc_lo, s2, v5, vcc_lo
	s_mov_b32 s2, 0
	.p2align	6
.LBB1259_202:                           ; =>This Inner Loop Header: Depth=1
	ds_load_b32 v8, v3
	v_lshlrev_b64 v[6:7], 2, v[1:2]
	v_add_nc_u32_e32 v1, 0x80, v1
	v_add_nc_u32_e32 v3, 0x200, v3
	s_delay_alu instid0(VALU_DEP_2) | instskip(NEXT) | instid1(VALU_DEP_4)
	v_cmp_ge_u32_e32 vcc_lo, v1, v16
	v_add_co_u32 v6, s0, v4, v6
	s_delay_alu instid0(VALU_DEP_1)
	v_add_co_ci_u32_e64 v7, s0, v5, v7, s0
	s_or_b32 s2, vcc_lo, s2
	s_waitcnt lgkmcnt(0)
	global_store_b32 v[6:7], v8, off
	s_and_not1_b32 exec_lo, exec_lo, s2
	s_cbranch_execnz .LBB1259_202
.LBB1259_203:
	s_or_b32 exec_lo, exec_lo, s1
	v_cmp_eq_u32_e32 vcc_lo, 0, v0
	s_and_b32 s0, vcc_lo, s14
	s_delay_alu instid0(SALU_CYCLE_1)
	s_and_saveexec_b32 s1, s0
	s_cbranch_execz .LBB1259_143
.LBB1259_204:
	v_add_co_u32 v0, s0, s12, v16
	s_delay_alu instid0(VALU_DEP_1) | instskip(SKIP_1) | instid1(VALU_DEP_3)
	v_add_co_ci_u32_e64 v1, null, s13, 0, s0
	v_mov_b32_e32 v2, 0
	v_add_co_u32 v0, vcc_lo, v0, v17
	s_delay_alu instid0(VALU_DEP_3)
	v_add_co_ci_u32_e32 v1, vcc_lo, 0, v1, vcc_lo
	global_store_b64 v2, v[0:1], s[16:17]
	s_nop 0
	s_sendmsg sendmsg(MSG_DEALLOC_VGPRS)
	s_endpgm
.LBB1259_205:
	s_or_b32 exec_lo, exec_lo, s3
	s_and_saveexec_b32 s3, s22
	s_cbranch_execnz .LBB1259_72
	s_branch .LBB1259_73
	.section	.rodata,"a",@progbits
	.p2align	6, 0x0
	.amdhsa_kernel _ZN7rocprim17ROCPRIM_400000_NS6detail17trampoline_kernelINS0_14default_configENS1_25partition_config_selectorILNS1_17partition_subalgoE9EsjbEEZZNS1_14partition_implILS5_9ELb0ES3_jN6thrust23THRUST_200600_302600_NS6detail15normal_iteratorINS9_10device_ptrIsEEEENSB_INSC_IjEEEEPNS0_10empty_typeENS0_5tupleIJNS9_16discard_iteratorINS9_11use_defaultEEESH_EEENSJ_IJSG_SI_EEENS0_18inequality_wrapperINS9_8equal_toIsEEEEPmJSH_EEE10hipError_tPvRmT3_T4_T5_T6_T7_T9_mT8_P12ihipStream_tbDpT10_ENKUlT_T0_E_clISt17integral_constantIbLb1EES1C_IbLb0EEEEDaS18_S19_EUlS18_E_NS1_11comp_targetILNS1_3genE9ELNS1_11target_archE1100ELNS1_3gpuE3ELNS1_3repE0EEENS1_30default_config_static_selectorELNS0_4arch9wavefront6targetE0EEEvT1_
		.amdhsa_group_segment_fixed_size 5640
		.amdhsa_private_segment_fixed_size 0
		.amdhsa_kernarg_size 120
		.amdhsa_user_sgpr_count 15
		.amdhsa_user_sgpr_dispatch_ptr 0
		.amdhsa_user_sgpr_queue_ptr 0
		.amdhsa_user_sgpr_kernarg_segment_ptr 1
		.amdhsa_user_sgpr_dispatch_id 0
		.amdhsa_user_sgpr_private_segment_size 0
		.amdhsa_wavefront_size32 1
		.amdhsa_uses_dynamic_stack 0
		.amdhsa_enable_private_segment 0
		.amdhsa_system_sgpr_workgroup_id_x 1
		.amdhsa_system_sgpr_workgroup_id_y 0
		.amdhsa_system_sgpr_workgroup_id_z 0
		.amdhsa_system_sgpr_workgroup_info 0
		.amdhsa_system_vgpr_workitem_id 0
		.amdhsa_next_free_vgpr 61
		.amdhsa_next_free_sgpr 24
		.amdhsa_reserve_vcc 1
		.amdhsa_float_round_mode_32 0
		.amdhsa_float_round_mode_16_64 0
		.amdhsa_float_denorm_mode_32 3
		.amdhsa_float_denorm_mode_16_64 3
		.amdhsa_dx10_clamp 1
		.amdhsa_ieee_mode 1
		.amdhsa_fp16_overflow 0
		.amdhsa_workgroup_processor_mode 1
		.amdhsa_memory_ordered 1
		.amdhsa_forward_progress 0
		.amdhsa_shared_vgpr_count 0
		.amdhsa_exception_fp_ieee_invalid_op 0
		.amdhsa_exception_fp_denorm_src 0
		.amdhsa_exception_fp_ieee_div_zero 0
		.amdhsa_exception_fp_ieee_overflow 0
		.amdhsa_exception_fp_ieee_underflow 0
		.amdhsa_exception_fp_ieee_inexact 0
		.amdhsa_exception_int_div_zero 0
	.end_amdhsa_kernel
	.section	.text._ZN7rocprim17ROCPRIM_400000_NS6detail17trampoline_kernelINS0_14default_configENS1_25partition_config_selectorILNS1_17partition_subalgoE9EsjbEEZZNS1_14partition_implILS5_9ELb0ES3_jN6thrust23THRUST_200600_302600_NS6detail15normal_iteratorINS9_10device_ptrIsEEEENSB_INSC_IjEEEEPNS0_10empty_typeENS0_5tupleIJNS9_16discard_iteratorINS9_11use_defaultEEESH_EEENSJ_IJSG_SI_EEENS0_18inequality_wrapperINS9_8equal_toIsEEEEPmJSH_EEE10hipError_tPvRmT3_T4_T5_T6_T7_T9_mT8_P12ihipStream_tbDpT10_ENKUlT_T0_E_clISt17integral_constantIbLb1EES1C_IbLb0EEEEDaS18_S19_EUlS18_E_NS1_11comp_targetILNS1_3genE9ELNS1_11target_archE1100ELNS1_3gpuE3ELNS1_3repE0EEENS1_30default_config_static_selectorELNS0_4arch9wavefront6targetE0EEEvT1_,"axG",@progbits,_ZN7rocprim17ROCPRIM_400000_NS6detail17trampoline_kernelINS0_14default_configENS1_25partition_config_selectorILNS1_17partition_subalgoE9EsjbEEZZNS1_14partition_implILS5_9ELb0ES3_jN6thrust23THRUST_200600_302600_NS6detail15normal_iteratorINS9_10device_ptrIsEEEENSB_INSC_IjEEEEPNS0_10empty_typeENS0_5tupleIJNS9_16discard_iteratorINS9_11use_defaultEEESH_EEENSJ_IJSG_SI_EEENS0_18inequality_wrapperINS9_8equal_toIsEEEEPmJSH_EEE10hipError_tPvRmT3_T4_T5_T6_T7_T9_mT8_P12ihipStream_tbDpT10_ENKUlT_T0_E_clISt17integral_constantIbLb1EES1C_IbLb0EEEEDaS18_S19_EUlS18_E_NS1_11comp_targetILNS1_3genE9ELNS1_11target_archE1100ELNS1_3gpuE3ELNS1_3repE0EEENS1_30default_config_static_selectorELNS0_4arch9wavefront6targetE0EEEvT1_,comdat
.Lfunc_end1259:
	.size	_ZN7rocprim17ROCPRIM_400000_NS6detail17trampoline_kernelINS0_14default_configENS1_25partition_config_selectorILNS1_17partition_subalgoE9EsjbEEZZNS1_14partition_implILS5_9ELb0ES3_jN6thrust23THRUST_200600_302600_NS6detail15normal_iteratorINS9_10device_ptrIsEEEENSB_INSC_IjEEEEPNS0_10empty_typeENS0_5tupleIJNS9_16discard_iteratorINS9_11use_defaultEEESH_EEENSJ_IJSG_SI_EEENS0_18inequality_wrapperINS9_8equal_toIsEEEEPmJSH_EEE10hipError_tPvRmT3_T4_T5_T6_T7_T9_mT8_P12ihipStream_tbDpT10_ENKUlT_T0_E_clISt17integral_constantIbLb1EES1C_IbLb0EEEEDaS18_S19_EUlS18_E_NS1_11comp_targetILNS1_3genE9ELNS1_11target_archE1100ELNS1_3gpuE3ELNS1_3repE0EEENS1_30default_config_static_selectorELNS0_4arch9wavefront6targetE0EEEvT1_, .Lfunc_end1259-_ZN7rocprim17ROCPRIM_400000_NS6detail17trampoline_kernelINS0_14default_configENS1_25partition_config_selectorILNS1_17partition_subalgoE9EsjbEEZZNS1_14partition_implILS5_9ELb0ES3_jN6thrust23THRUST_200600_302600_NS6detail15normal_iteratorINS9_10device_ptrIsEEEENSB_INSC_IjEEEEPNS0_10empty_typeENS0_5tupleIJNS9_16discard_iteratorINS9_11use_defaultEEESH_EEENSJ_IJSG_SI_EEENS0_18inequality_wrapperINS9_8equal_toIsEEEEPmJSH_EEE10hipError_tPvRmT3_T4_T5_T6_T7_T9_mT8_P12ihipStream_tbDpT10_ENKUlT_T0_E_clISt17integral_constantIbLb1EES1C_IbLb0EEEEDaS18_S19_EUlS18_E_NS1_11comp_targetILNS1_3genE9ELNS1_11target_archE1100ELNS1_3gpuE3ELNS1_3repE0EEENS1_30default_config_static_selectorELNS0_4arch9wavefront6targetE0EEEvT1_
                                        ; -- End function
	.section	.AMDGPU.csdata,"",@progbits
; Kernel info:
; codeLenInByte = 9316
; NumSgprs: 26
; NumVgprs: 61
; ScratchSize: 0
; MemoryBound: 0
; FloatMode: 240
; IeeeMode: 1
; LDSByteSize: 5640 bytes/workgroup (compile time only)
; SGPRBlocks: 3
; VGPRBlocks: 7
; NumSGPRsForWavesPerEU: 26
; NumVGPRsForWavesPerEU: 61
; Occupancy: 16
; WaveLimiterHint : 1
; COMPUTE_PGM_RSRC2:SCRATCH_EN: 0
; COMPUTE_PGM_RSRC2:USER_SGPR: 15
; COMPUTE_PGM_RSRC2:TRAP_HANDLER: 0
; COMPUTE_PGM_RSRC2:TGID_X_EN: 1
; COMPUTE_PGM_RSRC2:TGID_Y_EN: 0
; COMPUTE_PGM_RSRC2:TGID_Z_EN: 0
; COMPUTE_PGM_RSRC2:TIDIG_COMP_CNT: 0
	.section	.text._ZN7rocprim17ROCPRIM_400000_NS6detail17trampoline_kernelINS0_14default_configENS1_25partition_config_selectorILNS1_17partition_subalgoE9EsjbEEZZNS1_14partition_implILS5_9ELb0ES3_jN6thrust23THRUST_200600_302600_NS6detail15normal_iteratorINS9_10device_ptrIsEEEENSB_INSC_IjEEEEPNS0_10empty_typeENS0_5tupleIJNS9_16discard_iteratorINS9_11use_defaultEEESH_EEENSJ_IJSG_SI_EEENS0_18inequality_wrapperINS9_8equal_toIsEEEEPmJSH_EEE10hipError_tPvRmT3_T4_T5_T6_T7_T9_mT8_P12ihipStream_tbDpT10_ENKUlT_T0_E_clISt17integral_constantIbLb1EES1C_IbLb0EEEEDaS18_S19_EUlS18_E_NS1_11comp_targetILNS1_3genE8ELNS1_11target_archE1030ELNS1_3gpuE2ELNS1_3repE0EEENS1_30default_config_static_selectorELNS0_4arch9wavefront6targetE0EEEvT1_,"axG",@progbits,_ZN7rocprim17ROCPRIM_400000_NS6detail17trampoline_kernelINS0_14default_configENS1_25partition_config_selectorILNS1_17partition_subalgoE9EsjbEEZZNS1_14partition_implILS5_9ELb0ES3_jN6thrust23THRUST_200600_302600_NS6detail15normal_iteratorINS9_10device_ptrIsEEEENSB_INSC_IjEEEEPNS0_10empty_typeENS0_5tupleIJNS9_16discard_iteratorINS9_11use_defaultEEESH_EEENSJ_IJSG_SI_EEENS0_18inequality_wrapperINS9_8equal_toIsEEEEPmJSH_EEE10hipError_tPvRmT3_T4_T5_T6_T7_T9_mT8_P12ihipStream_tbDpT10_ENKUlT_T0_E_clISt17integral_constantIbLb1EES1C_IbLb0EEEEDaS18_S19_EUlS18_E_NS1_11comp_targetILNS1_3genE8ELNS1_11target_archE1030ELNS1_3gpuE2ELNS1_3repE0EEENS1_30default_config_static_selectorELNS0_4arch9wavefront6targetE0EEEvT1_,comdat
	.protected	_ZN7rocprim17ROCPRIM_400000_NS6detail17trampoline_kernelINS0_14default_configENS1_25partition_config_selectorILNS1_17partition_subalgoE9EsjbEEZZNS1_14partition_implILS5_9ELb0ES3_jN6thrust23THRUST_200600_302600_NS6detail15normal_iteratorINS9_10device_ptrIsEEEENSB_INSC_IjEEEEPNS0_10empty_typeENS0_5tupleIJNS9_16discard_iteratorINS9_11use_defaultEEESH_EEENSJ_IJSG_SI_EEENS0_18inequality_wrapperINS9_8equal_toIsEEEEPmJSH_EEE10hipError_tPvRmT3_T4_T5_T6_T7_T9_mT8_P12ihipStream_tbDpT10_ENKUlT_T0_E_clISt17integral_constantIbLb1EES1C_IbLb0EEEEDaS18_S19_EUlS18_E_NS1_11comp_targetILNS1_3genE8ELNS1_11target_archE1030ELNS1_3gpuE2ELNS1_3repE0EEENS1_30default_config_static_selectorELNS0_4arch9wavefront6targetE0EEEvT1_ ; -- Begin function _ZN7rocprim17ROCPRIM_400000_NS6detail17trampoline_kernelINS0_14default_configENS1_25partition_config_selectorILNS1_17partition_subalgoE9EsjbEEZZNS1_14partition_implILS5_9ELb0ES3_jN6thrust23THRUST_200600_302600_NS6detail15normal_iteratorINS9_10device_ptrIsEEEENSB_INSC_IjEEEEPNS0_10empty_typeENS0_5tupleIJNS9_16discard_iteratorINS9_11use_defaultEEESH_EEENSJ_IJSG_SI_EEENS0_18inequality_wrapperINS9_8equal_toIsEEEEPmJSH_EEE10hipError_tPvRmT3_T4_T5_T6_T7_T9_mT8_P12ihipStream_tbDpT10_ENKUlT_T0_E_clISt17integral_constantIbLb1EES1C_IbLb0EEEEDaS18_S19_EUlS18_E_NS1_11comp_targetILNS1_3genE8ELNS1_11target_archE1030ELNS1_3gpuE2ELNS1_3repE0EEENS1_30default_config_static_selectorELNS0_4arch9wavefront6targetE0EEEvT1_
	.globl	_ZN7rocprim17ROCPRIM_400000_NS6detail17trampoline_kernelINS0_14default_configENS1_25partition_config_selectorILNS1_17partition_subalgoE9EsjbEEZZNS1_14partition_implILS5_9ELb0ES3_jN6thrust23THRUST_200600_302600_NS6detail15normal_iteratorINS9_10device_ptrIsEEEENSB_INSC_IjEEEEPNS0_10empty_typeENS0_5tupleIJNS9_16discard_iteratorINS9_11use_defaultEEESH_EEENSJ_IJSG_SI_EEENS0_18inequality_wrapperINS9_8equal_toIsEEEEPmJSH_EEE10hipError_tPvRmT3_T4_T5_T6_T7_T9_mT8_P12ihipStream_tbDpT10_ENKUlT_T0_E_clISt17integral_constantIbLb1EES1C_IbLb0EEEEDaS18_S19_EUlS18_E_NS1_11comp_targetILNS1_3genE8ELNS1_11target_archE1030ELNS1_3gpuE2ELNS1_3repE0EEENS1_30default_config_static_selectorELNS0_4arch9wavefront6targetE0EEEvT1_
	.p2align	8
	.type	_ZN7rocprim17ROCPRIM_400000_NS6detail17trampoline_kernelINS0_14default_configENS1_25partition_config_selectorILNS1_17partition_subalgoE9EsjbEEZZNS1_14partition_implILS5_9ELb0ES3_jN6thrust23THRUST_200600_302600_NS6detail15normal_iteratorINS9_10device_ptrIsEEEENSB_INSC_IjEEEEPNS0_10empty_typeENS0_5tupleIJNS9_16discard_iteratorINS9_11use_defaultEEESH_EEENSJ_IJSG_SI_EEENS0_18inequality_wrapperINS9_8equal_toIsEEEEPmJSH_EEE10hipError_tPvRmT3_T4_T5_T6_T7_T9_mT8_P12ihipStream_tbDpT10_ENKUlT_T0_E_clISt17integral_constantIbLb1EES1C_IbLb0EEEEDaS18_S19_EUlS18_E_NS1_11comp_targetILNS1_3genE8ELNS1_11target_archE1030ELNS1_3gpuE2ELNS1_3repE0EEENS1_30default_config_static_selectorELNS0_4arch9wavefront6targetE0EEEvT1_,@function
_ZN7rocprim17ROCPRIM_400000_NS6detail17trampoline_kernelINS0_14default_configENS1_25partition_config_selectorILNS1_17partition_subalgoE9EsjbEEZZNS1_14partition_implILS5_9ELb0ES3_jN6thrust23THRUST_200600_302600_NS6detail15normal_iteratorINS9_10device_ptrIsEEEENSB_INSC_IjEEEEPNS0_10empty_typeENS0_5tupleIJNS9_16discard_iteratorINS9_11use_defaultEEESH_EEENSJ_IJSG_SI_EEENS0_18inequality_wrapperINS9_8equal_toIsEEEEPmJSH_EEE10hipError_tPvRmT3_T4_T5_T6_T7_T9_mT8_P12ihipStream_tbDpT10_ENKUlT_T0_E_clISt17integral_constantIbLb1EES1C_IbLb0EEEEDaS18_S19_EUlS18_E_NS1_11comp_targetILNS1_3genE8ELNS1_11target_archE1030ELNS1_3gpuE2ELNS1_3repE0EEENS1_30default_config_static_selectorELNS0_4arch9wavefront6targetE0EEEvT1_: ; @_ZN7rocprim17ROCPRIM_400000_NS6detail17trampoline_kernelINS0_14default_configENS1_25partition_config_selectorILNS1_17partition_subalgoE9EsjbEEZZNS1_14partition_implILS5_9ELb0ES3_jN6thrust23THRUST_200600_302600_NS6detail15normal_iteratorINS9_10device_ptrIsEEEENSB_INSC_IjEEEEPNS0_10empty_typeENS0_5tupleIJNS9_16discard_iteratorINS9_11use_defaultEEESH_EEENSJ_IJSG_SI_EEENS0_18inequality_wrapperINS9_8equal_toIsEEEEPmJSH_EEE10hipError_tPvRmT3_T4_T5_T6_T7_T9_mT8_P12ihipStream_tbDpT10_ENKUlT_T0_E_clISt17integral_constantIbLb1EES1C_IbLb0EEEEDaS18_S19_EUlS18_E_NS1_11comp_targetILNS1_3genE8ELNS1_11target_archE1030ELNS1_3gpuE2ELNS1_3repE0EEENS1_30default_config_static_selectorELNS0_4arch9wavefront6targetE0EEEvT1_
; %bb.0:
	.section	.rodata,"a",@progbits
	.p2align	6, 0x0
	.amdhsa_kernel _ZN7rocprim17ROCPRIM_400000_NS6detail17trampoline_kernelINS0_14default_configENS1_25partition_config_selectorILNS1_17partition_subalgoE9EsjbEEZZNS1_14partition_implILS5_9ELb0ES3_jN6thrust23THRUST_200600_302600_NS6detail15normal_iteratorINS9_10device_ptrIsEEEENSB_INSC_IjEEEEPNS0_10empty_typeENS0_5tupleIJNS9_16discard_iteratorINS9_11use_defaultEEESH_EEENSJ_IJSG_SI_EEENS0_18inequality_wrapperINS9_8equal_toIsEEEEPmJSH_EEE10hipError_tPvRmT3_T4_T5_T6_T7_T9_mT8_P12ihipStream_tbDpT10_ENKUlT_T0_E_clISt17integral_constantIbLb1EES1C_IbLb0EEEEDaS18_S19_EUlS18_E_NS1_11comp_targetILNS1_3genE8ELNS1_11target_archE1030ELNS1_3gpuE2ELNS1_3repE0EEENS1_30default_config_static_selectorELNS0_4arch9wavefront6targetE0EEEvT1_
		.amdhsa_group_segment_fixed_size 0
		.amdhsa_private_segment_fixed_size 0
		.amdhsa_kernarg_size 120
		.amdhsa_user_sgpr_count 15
		.amdhsa_user_sgpr_dispatch_ptr 0
		.amdhsa_user_sgpr_queue_ptr 0
		.amdhsa_user_sgpr_kernarg_segment_ptr 1
		.amdhsa_user_sgpr_dispatch_id 0
		.amdhsa_user_sgpr_private_segment_size 0
		.amdhsa_wavefront_size32 1
		.amdhsa_uses_dynamic_stack 0
		.amdhsa_enable_private_segment 0
		.amdhsa_system_sgpr_workgroup_id_x 1
		.amdhsa_system_sgpr_workgroup_id_y 0
		.amdhsa_system_sgpr_workgroup_id_z 0
		.amdhsa_system_sgpr_workgroup_info 0
		.amdhsa_system_vgpr_workitem_id 0
		.amdhsa_next_free_vgpr 1
		.amdhsa_next_free_sgpr 1
		.amdhsa_reserve_vcc 0
		.amdhsa_float_round_mode_32 0
		.amdhsa_float_round_mode_16_64 0
		.amdhsa_float_denorm_mode_32 3
		.amdhsa_float_denorm_mode_16_64 3
		.amdhsa_dx10_clamp 1
		.amdhsa_ieee_mode 1
		.amdhsa_fp16_overflow 0
		.amdhsa_workgroup_processor_mode 1
		.amdhsa_memory_ordered 1
		.amdhsa_forward_progress 0
		.amdhsa_shared_vgpr_count 0
		.amdhsa_exception_fp_ieee_invalid_op 0
		.amdhsa_exception_fp_denorm_src 0
		.amdhsa_exception_fp_ieee_div_zero 0
		.amdhsa_exception_fp_ieee_overflow 0
		.amdhsa_exception_fp_ieee_underflow 0
		.amdhsa_exception_fp_ieee_inexact 0
		.amdhsa_exception_int_div_zero 0
	.end_amdhsa_kernel
	.section	.text._ZN7rocprim17ROCPRIM_400000_NS6detail17trampoline_kernelINS0_14default_configENS1_25partition_config_selectorILNS1_17partition_subalgoE9EsjbEEZZNS1_14partition_implILS5_9ELb0ES3_jN6thrust23THRUST_200600_302600_NS6detail15normal_iteratorINS9_10device_ptrIsEEEENSB_INSC_IjEEEEPNS0_10empty_typeENS0_5tupleIJNS9_16discard_iteratorINS9_11use_defaultEEESH_EEENSJ_IJSG_SI_EEENS0_18inequality_wrapperINS9_8equal_toIsEEEEPmJSH_EEE10hipError_tPvRmT3_T4_T5_T6_T7_T9_mT8_P12ihipStream_tbDpT10_ENKUlT_T0_E_clISt17integral_constantIbLb1EES1C_IbLb0EEEEDaS18_S19_EUlS18_E_NS1_11comp_targetILNS1_3genE8ELNS1_11target_archE1030ELNS1_3gpuE2ELNS1_3repE0EEENS1_30default_config_static_selectorELNS0_4arch9wavefront6targetE0EEEvT1_,"axG",@progbits,_ZN7rocprim17ROCPRIM_400000_NS6detail17trampoline_kernelINS0_14default_configENS1_25partition_config_selectorILNS1_17partition_subalgoE9EsjbEEZZNS1_14partition_implILS5_9ELb0ES3_jN6thrust23THRUST_200600_302600_NS6detail15normal_iteratorINS9_10device_ptrIsEEEENSB_INSC_IjEEEEPNS0_10empty_typeENS0_5tupleIJNS9_16discard_iteratorINS9_11use_defaultEEESH_EEENSJ_IJSG_SI_EEENS0_18inequality_wrapperINS9_8equal_toIsEEEEPmJSH_EEE10hipError_tPvRmT3_T4_T5_T6_T7_T9_mT8_P12ihipStream_tbDpT10_ENKUlT_T0_E_clISt17integral_constantIbLb1EES1C_IbLb0EEEEDaS18_S19_EUlS18_E_NS1_11comp_targetILNS1_3genE8ELNS1_11target_archE1030ELNS1_3gpuE2ELNS1_3repE0EEENS1_30default_config_static_selectorELNS0_4arch9wavefront6targetE0EEEvT1_,comdat
.Lfunc_end1260:
	.size	_ZN7rocprim17ROCPRIM_400000_NS6detail17trampoline_kernelINS0_14default_configENS1_25partition_config_selectorILNS1_17partition_subalgoE9EsjbEEZZNS1_14partition_implILS5_9ELb0ES3_jN6thrust23THRUST_200600_302600_NS6detail15normal_iteratorINS9_10device_ptrIsEEEENSB_INSC_IjEEEEPNS0_10empty_typeENS0_5tupleIJNS9_16discard_iteratorINS9_11use_defaultEEESH_EEENSJ_IJSG_SI_EEENS0_18inequality_wrapperINS9_8equal_toIsEEEEPmJSH_EEE10hipError_tPvRmT3_T4_T5_T6_T7_T9_mT8_P12ihipStream_tbDpT10_ENKUlT_T0_E_clISt17integral_constantIbLb1EES1C_IbLb0EEEEDaS18_S19_EUlS18_E_NS1_11comp_targetILNS1_3genE8ELNS1_11target_archE1030ELNS1_3gpuE2ELNS1_3repE0EEENS1_30default_config_static_selectorELNS0_4arch9wavefront6targetE0EEEvT1_, .Lfunc_end1260-_ZN7rocprim17ROCPRIM_400000_NS6detail17trampoline_kernelINS0_14default_configENS1_25partition_config_selectorILNS1_17partition_subalgoE9EsjbEEZZNS1_14partition_implILS5_9ELb0ES3_jN6thrust23THRUST_200600_302600_NS6detail15normal_iteratorINS9_10device_ptrIsEEEENSB_INSC_IjEEEEPNS0_10empty_typeENS0_5tupleIJNS9_16discard_iteratorINS9_11use_defaultEEESH_EEENSJ_IJSG_SI_EEENS0_18inequality_wrapperINS9_8equal_toIsEEEEPmJSH_EEE10hipError_tPvRmT3_T4_T5_T6_T7_T9_mT8_P12ihipStream_tbDpT10_ENKUlT_T0_E_clISt17integral_constantIbLb1EES1C_IbLb0EEEEDaS18_S19_EUlS18_E_NS1_11comp_targetILNS1_3genE8ELNS1_11target_archE1030ELNS1_3gpuE2ELNS1_3repE0EEENS1_30default_config_static_selectorELNS0_4arch9wavefront6targetE0EEEvT1_
                                        ; -- End function
	.section	.AMDGPU.csdata,"",@progbits
; Kernel info:
; codeLenInByte = 0
; NumSgprs: 0
; NumVgprs: 0
; ScratchSize: 0
; MemoryBound: 0
; FloatMode: 240
; IeeeMode: 1
; LDSByteSize: 0 bytes/workgroup (compile time only)
; SGPRBlocks: 0
; VGPRBlocks: 0
; NumSGPRsForWavesPerEU: 1
; NumVGPRsForWavesPerEU: 1
; Occupancy: 16
; WaveLimiterHint : 0
; COMPUTE_PGM_RSRC2:SCRATCH_EN: 0
; COMPUTE_PGM_RSRC2:USER_SGPR: 15
; COMPUTE_PGM_RSRC2:TRAP_HANDLER: 0
; COMPUTE_PGM_RSRC2:TGID_X_EN: 1
; COMPUTE_PGM_RSRC2:TGID_Y_EN: 0
; COMPUTE_PGM_RSRC2:TGID_Z_EN: 0
; COMPUTE_PGM_RSRC2:TIDIG_COMP_CNT: 0
	.section	.text._ZN7rocprim17ROCPRIM_400000_NS6detail17trampoline_kernelINS0_14default_configENS1_25partition_config_selectorILNS1_17partition_subalgoE9EsjbEEZZNS1_14partition_implILS5_9ELb0ES3_jN6thrust23THRUST_200600_302600_NS6detail15normal_iteratorINS9_10device_ptrIsEEEENSB_INSC_IjEEEEPNS0_10empty_typeENS0_5tupleIJNS9_16discard_iteratorINS9_11use_defaultEEESH_EEENSJ_IJSG_SI_EEENS0_18inequality_wrapperINS9_8equal_toIsEEEEPmJSH_EEE10hipError_tPvRmT3_T4_T5_T6_T7_T9_mT8_P12ihipStream_tbDpT10_ENKUlT_T0_E_clISt17integral_constantIbLb0EES1C_IbLb1EEEEDaS18_S19_EUlS18_E_NS1_11comp_targetILNS1_3genE0ELNS1_11target_archE4294967295ELNS1_3gpuE0ELNS1_3repE0EEENS1_30default_config_static_selectorELNS0_4arch9wavefront6targetE0EEEvT1_,"axG",@progbits,_ZN7rocprim17ROCPRIM_400000_NS6detail17trampoline_kernelINS0_14default_configENS1_25partition_config_selectorILNS1_17partition_subalgoE9EsjbEEZZNS1_14partition_implILS5_9ELb0ES3_jN6thrust23THRUST_200600_302600_NS6detail15normal_iteratorINS9_10device_ptrIsEEEENSB_INSC_IjEEEEPNS0_10empty_typeENS0_5tupleIJNS9_16discard_iteratorINS9_11use_defaultEEESH_EEENSJ_IJSG_SI_EEENS0_18inequality_wrapperINS9_8equal_toIsEEEEPmJSH_EEE10hipError_tPvRmT3_T4_T5_T6_T7_T9_mT8_P12ihipStream_tbDpT10_ENKUlT_T0_E_clISt17integral_constantIbLb0EES1C_IbLb1EEEEDaS18_S19_EUlS18_E_NS1_11comp_targetILNS1_3genE0ELNS1_11target_archE4294967295ELNS1_3gpuE0ELNS1_3repE0EEENS1_30default_config_static_selectorELNS0_4arch9wavefront6targetE0EEEvT1_,comdat
	.protected	_ZN7rocprim17ROCPRIM_400000_NS6detail17trampoline_kernelINS0_14default_configENS1_25partition_config_selectorILNS1_17partition_subalgoE9EsjbEEZZNS1_14partition_implILS5_9ELb0ES3_jN6thrust23THRUST_200600_302600_NS6detail15normal_iteratorINS9_10device_ptrIsEEEENSB_INSC_IjEEEEPNS0_10empty_typeENS0_5tupleIJNS9_16discard_iteratorINS9_11use_defaultEEESH_EEENSJ_IJSG_SI_EEENS0_18inequality_wrapperINS9_8equal_toIsEEEEPmJSH_EEE10hipError_tPvRmT3_T4_T5_T6_T7_T9_mT8_P12ihipStream_tbDpT10_ENKUlT_T0_E_clISt17integral_constantIbLb0EES1C_IbLb1EEEEDaS18_S19_EUlS18_E_NS1_11comp_targetILNS1_3genE0ELNS1_11target_archE4294967295ELNS1_3gpuE0ELNS1_3repE0EEENS1_30default_config_static_selectorELNS0_4arch9wavefront6targetE0EEEvT1_ ; -- Begin function _ZN7rocprim17ROCPRIM_400000_NS6detail17trampoline_kernelINS0_14default_configENS1_25partition_config_selectorILNS1_17partition_subalgoE9EsjbEEZZNS1_14partition_implILS5_9ELb0ES3_jN6thrust23THRUST_200600_302600_NS6detail15normal_iteratorINS9_10device_ptrIsEEEENSB_INSC_IjEEEEPNS0_10empty_typeENS0_5tupleIJNS9_16discard_iteratorINS9_11use_defaultEEESH_EEENSJ_IJSG_SI_EEENS0_18inequality_wrapperINS9_8equal_toIsEEEEPmJSH_EEE10hipError_tPvRmT3_T4_T5_T6_T7_T9_mT8_P12ihipStream_tbDpT10_ENKUlT_T0_E_clISt17integral_constantIbLb0EES1C_IbLb1EEEEDaS18_S19_EUlS18_E_NS1_11comp_targetILNS1_3genE0ELNS1_11target_archE4294967295ELNS1_3gpuE0ELNS1_3repE0EEENS1_30default_config_static_selectorELNS0_4arch9wavefront6targetE0EEEvT1_
	.globl	_ZN7rocprim17ROCPRIM_400000_NS6detail17trampoline_kernelINS0_14default_configENS1_25partition_config_selectorILNS1_17partition_subalgoE9EsjbEEZZNS1_14partition_implILS5_9ELb0ES3_jN6thrust23THRUST_200600_302600_NS6detail15normal_iteratorINS9_10device_ptrIsEEEENSB_INSC_IjEEEEPNS0_10empty_typeENS0_5tupleIJNS9_16discard_iteratorINS9_11use_defaultEEESH_EEENSJ_IJSG_SI_EEENS0_18inequality_wrapperINS9_8equal_toIsEEEEPmJSH_EEE10hipError_tPvRmT3_T4_T5_T6_T7_T9_mT8_P12ihipStream_tbDpT10_ENKUlT_T0_E_clISt17integral_constantIbLb0EES1C_IbLb1EEEEDaS18_S19_EUlS18_E_NS1_11comp_targetILNS1_3genE0ELNS1_11target_archE4294967295ELNS1_3gpuE0ELNS1_3repE0EEENS1_30default_config_static_selectorELNS0_4arch9wavefront6targetE0EEEvT1_
	.p2align	8
	.type	_ZN7rocprim17ROCPRIM_400000_NS6detail17trampoline_kernelINS0_14default_configENS1_25partition_config_selectorILNS1_17partition_subalgoE9EsjbEEZZNS1_14partition_implILS5_9ELb0ES3_jN6thrust23THRUST_200600_302600_NS6detail15normal_iteratorINS9_10device_ptrIsEEEENSB_INSC_IjEEEEPNS0_10empty_typeENS0_5tupleIJNS9_16discard_iteratorINS9_11use_defaultEEESH_EEENSJ_IJSG_SI_EEENS0_18inequality_wrapperINS9_8equal_toIsEEEEPmJSH_EEE10hipError_tPvRmT3_T4_T5_T6_T7_T9_mT8_P12ihipStream_tbDpT10_ENKUlT_T0_E_clISt17integral_constantIbLb0EES1C_IbLb1EEEEDaS18_S19_EUlS18_E_NS1_11comp_targetILNS1_3genE0ELNS1_11target_archE4294967295ELNS1_3gpuE0ELNS1_3repE0EEENS1_30default_config_static_selectorELNS0_4arch9wavefront6targetE0EEEvT1_,@function
_ZN7rocprim17ROCPRIM_400000_NS6detail17trampoline_kernelINS0_14default_configENS1_25partition_config_selectorILNS1_17partition_subalgoE9EsjbEEZZNS1_14partition_implILS5_9ELb0ES3_jN6thrust23THRUST_200600_302600_NS6detail15normal_iteratorINS9_10device_ptrIsEEEENSB_INSC_IjEEEEPNS0_10empty_typeENS0_5tupleIJNS9_16discard_iteratorINS9_11use_defaultEEESH_EEENSJ_IJSG_SI_EEENS0_18inequality_wrapperINS9_8equal_toIsEEEEPmJSH_EEE10hipError_tPvRmT3_T4_T5_T6_T7_T9_mT8_P12ihipStream_tbDpT10_ENKUlT_T0_E_clISt17integral_constantIbLb0EES1C_IbLb1EEEEDaS18_S19_EUlS18_E_NS1_11comp_targetILNS1_3genE0ELNS1_11target_archE4294967295ELNS1_3gpuE0ELNS1_3repE0EEENS1_30default_config_static_selectorELNS0_4arch9wavefront6targetE0EEEvT1_: ; @_ZN7rocprim17ROCPRIM_400000_NS6detail17trampoline_kernelINS0_14default_configENS1_25partition_config_selectorILNS1_17partition_subalgoE9EsjbEEZZNS1_14partition_implILS5_9ELb0ES3_jN6thrust23THRUST_200600_302600_NS6detail15normal_iteratorINS9_10device_ptrIsEEEENSB_INSC_IjEEEEPNS0_10empty_typeENS0_5tupleIJNS9_16discard_iteratorINS9_11use_defaultEEESH_EEENSJ_IJSG_SI_EEENS0_18inequality_wrapperINS9_8equal_toIsEEEEPmJSH_EEE10hipError_tPvRmT3_T4_T5_T6_T7_T9_mT8_P12ihipStream_tbDpT10_ENKUlT_T0_E_clISt17integral_constantIbLb0EES1C_IbLb1EEEEDaS18_S19_EUlS18_E_NS1_11comp_targetILNS1_3genE0ELNS1_11target_archE4294967295ELNS1_3gpuE0ELNS1_3repE0EEENS1_30default_config_static_selectorELNS0_4arch9wavefront6targetE0EEEvT1_
; %bb.0:
	.section	.rodata,"a",@progbits
	.p2align	6, 0x0
	.amdhsa_kernel _ZN7rocprim17ROCPRIM_400000_NS6detail17trampoline_kernelINS0_14default_configENS1_25partition_config_selectorILNS1_17partition_subalgoE9EsjbEEZZNS1_14partition_implILS5_9ELb0ES3_jN6thrust23THRUST_200600_302600_NS6detail15normal_iteratorINS9_10device_ptrIsEEEENSB_INSC_IjEEEEPNS0_10empty_typeENS0_5tupleIJNS9_16discard_iteratorINS9_11use_defaultEEESH_EEENSJ_IJSG_SI_EEENS0_18inequality_wrapperINS9_8equal_toIsEEEEPmJSH_EEE10hipError_tPvRmT3_T4_T5_T6_T7_T9_mT8_P12ihipStream_tbDpT10_ENKUlT_T0_E_clISt17integral_constantIbLb0EES1C_IbLb1EEEEDaS18_S19_EUlS18_E_NS1_11comp_targetILNS1_3genE0ELNS1_11target_archE4294967295ELNS1_3gpuE0ELNS1_3repE0EEENS1_30default_config_static_selectorELNS0_4arch9wavefront6targetE0EEEvT1_
		.amdhsa_group_segment_fixed_size 0
		.amdhsa_private_segment_fixed_size 0
		.amdhsa_kernarg_size 136
		.amdhsa_user_sgpr_count 15
		.amdhsa_user_sgpr_dispatch_ptr 0
		.amdhsa_user_sgpr_queue_ptr 0
		.amdhsa_user_sgpr_kernarg_segment_ptr 1
		.amdhsa_user_sgpr_dispatch_id 0
		.amdhsa_user_sgpr_private_segment_size 0
		.amdhsa_wavefront_size32 1
		.amdhsa_uses_dynamic_stack 0
		.amdhsa_enable_private_segment 0
		.amdhsa_system_sgpr_workgroup_id_x 1
		.amdhsa_system_sgpr_workgroup_id_y 0
		.amdhsa_system_sgpr_workgroup_id_z 0
		.amdhsa_system_sgpr_workgroup_info 0
		.amdhsa_system_vgpr_workitem_id 0
		.amdhsa_next_free_vgpr 1
		.amdhsa_next_free_sgpr 1
		.amdhsa_reserve_vcc 0
		.amdhsa_float_round_mode_32 0
		.amdhsa_float_round_mode_16_64 0
		.amdhsa_float_denorm_mode_32 3
		.amdhsa_float_denorm_mode_16_64 3
		.amdhsa_dx10_clamp 1
		.amdhsa_ieee_mode 1
		.amdhsa_fp16_overflow 0
		.amdhsa_workgroup_processor_mode 1
		.amdhsa_memory_ordered 1
		.amdhsa_forward_progress 0
		.amdhsa_shared_vgpr_count 0
		.amdhsa_exception_fp_ieee_invalid_op 0
		.amdhsa_exception_fp_denorm_src 0
		.amdhsa_exception_fp_ieee_div_zero 0
		.amdhsa_exception_fp_ieee_overflow 0
		.amdhsa_exception_fp_ieee_underflow 0
		.amdhsa_exception_fp_ieee_inexact 0
		.amdhsa_exception_int_div_zero 0
	.end_amdhsa_kernel
	.section	.text._ZN7rocprim17ROCPRIM_400000_NS6detail17trampoline_kernelINS0_14default_configENS1_25partition_config_selectorILNS1_17partition_subalgoE9EsjbEEZZNS1_14partition_implILS5_9ELb0ES3_jN6thrust23THRUST_200600_302600_NS6detail15normal_iteratorINS9_10device_ptrIsEEEENSB_INSC_IjEEEEPNS0_10empty_typeENS0_5tupleIJNS9_16discard_iteratorINS9_11use_defaultEEESH_EEENSJ_IJSG_SI_EEENS0_18inequality_wrapperINS9_8equal_toIsEEEEPmJSH_EEE10hipError_tPvRmT3_T4_T5_T6_T7_T9_mT8_P12ihipStream_tbDpT10_ENKUlT_T0_E_clISt17integral_constantIbLb0EES1C_IbLb1EEEEDaS18_S19_EUlS18_E_NS1_11comp_targetILNS1_3genE0ELNS1_11target_archE4294967295ELNS1_3gpuE0ELNS1_3repE0EEENS1_30default_config_static_selectorELNS0_4arch9wavefront6targetE0EEEvT1_,"axG",@progbits,_ZN7rocprim17ROCPRIM_400000_NS6detail17trampoline_kernelINS0_14default_configENS1_25partition_config_selectorILNS1_17partition_subalgoE9EsjbEEZZNS1_14partition_implILS5_9ELb0ES3_jN6thrust23THRUST_200600_302600_NS6detail15normal_iteratorINS9_10device_ptrIsEEEENSB_INSC_IjEEEEPNS0_10empty_typeENS0_5tupleIJNS9_16discard_iteratorINS9_11use_defaultEEESH_EEENSJ_IJSG_SI_EEENS0_18inequality_wrapperINS9_8equal_toIsEEEEPmJSH_EEE10hipError_tPvRmT3_T4_T5_T6_T7_T9_mT8_P12ihipStream_tbDpT10_ENKUlT_T0_E_clISt17integral_constantIbLb0EES1C_IbLb1EEEEDaS18_S19_EUlS18_E_NS1_11comp_targetILNS1_3genE0ELNS1_11target_archE4294967295ELNS1_3gpuE0ELNS1_3repE0EEENS1_30default_config_static_selectorELNS0_4arch9wavefront6targetE0EEEvT1_,comdat
.Lfunc_end1261:
	.size	_ZN7rocprim17ROCPRIM_400000_NS6detail17trampoline_kernelINS0_14default_configENS1_25partition_config_selectorILNS1_17partition_subalgoE9EsjbEEZZNS1_14partition_implILS5_9ELb0ES3_jN6thrust23THRUST_200600_302600_NS6detail15normal_iteratorINS9_10device_ptrIsEEEENSB_INSC_IjEEEEPNS0_10empty_typeENS0_5tupleIJNS9_16discard_iteratorINS9_11use_defaultEEESH_EEENSJ_IJSG_SI_EEENS0_18inequality_wrapperINS9_8equal_toIsEEEEPmJSH_EEE10hipError_tPvRmT3_T4_T5_T6_T7_T9_mT8_P12ihipStream_tbDpT10_ENKUlT_T0_E_clISt17integral_constantIbLb0EES1C_IbLb1EEEEDaS18_S19_EUlS18_E_NS1_11comp_targetILNS1_3genE0ELNS1_11target_archE4294967295ELNS1_3gpuE0ELNS1_3repE0EEENS1_30default_config_static_selectorELNS0_4arch9wavefront6targetE0EEEvT1_, .Lfunc_end1261-_ZN7rocprim17ROCPRIM_400000_NS6detail17trampoline_kernelINS0_14default_configENS1_25partition_config_selectorILNS1_17partition_subalgoE9EsjbEEZZNS1_14partition_implILS5_9ELb0ES3_jN6thrust23THRUST_200600_302600_NS6detail15normal_iteratorINS9_10device_ptrIsEEEENSB_INSC_IjEEEEPNS0_10empty_typeENS0_5tupleIJNS9_16discard_iteratorINS9_11use_defaultEEESH_EEENSJ_IJSG_SI_EEENS0_18inequality_wrapperINS9_8equal_toIsEEEEPmJSH_EEE10hipError_tPvRmT3_T4_T5_T6_T7_T9_mT8_P12ihipStream_tbDpT10_ENKUlT_T0_E_clISt17integral_constantIbLb0EES1C_IbLb1EEEEDaS18_S19_EUlS18_E_NS1_11comp_targetILNS1_3genE0ELNS1_11target_archE4294967295ELNS1_3gpuE0ELNS1_3repE0EEENS1_30default_config_static_selectorELNS0_4arch9wavefront6targetE0EEEvT1_
                                        ; -- End function
	.section	.AMDGPU.csdata,"",@progbits
; Kernel info:
; codeLenInByte = 0
; NumSgprs: 0
; NumVgprs: 0
; ScratchSize: 0
; MemoryBound: 0
; FloatMode: 240
; IeeeMode: 1
; LDSByteSize: 0 bytes/workgroup (compile time only)
; SGPRBlocks: 0
; VGPRBlocks: 0
; NumSGPRsForWavesPerEU: 1
; NumVGPRsForWavesPerEU: 1
; Occupancy: 16
; WaveLimiterHint : 0
; COMPUTE_PGM_RSRC2:SCRATCH_EN: 0
; COMPUTE_PGM_RSRC2:USER_SGPR: 15
; COMPUTE_PGM_RSRC2:TRAP_HANDLER: 0
; COMPUTE_PGM_RSRC2:TGID_X_EN: 1
; COMPUTE_PGM_RSRC2:TGID_Y_EN: 0
; COMPUTE_PGM_RSRC2:TGID_Z_EN: 0
; COMPUTE_PGM_RSRC2:TIDIG_COMP_CNT: 0
	.section	.text._ZN7rocprim17ROCPRIM_400000_NS6detail17trampoline_kernelINS0_14default_configENS1_25partition_config_selectorILNS1_17partition_subalgoE9EsjbEEZZNS1_14partition_implILS5_9ELb0ES3_jN6thrust23THRUST_200600_302600_NS6detail15normal_iteratorINS9_10device_ptrIsEEEENSB_INSC_IjEEEEPNS0_10empty_typeENS0_5tupleIJNS9_16discard_iteratorINS9_11use_defaultEEESH_EEENSJ_IJSG_SI_EEENS0_18inequality_wrapperINS9_8equal_toIsEEEEPmJSH_EEE10hipError_tPvRmT3_T4_T5_T6_T7_T9_mT8_P12ihipStream_tbDpT10_ENKUlT_T0_E_clISt17integral_constantIbLb0EES1C_IbLb1EEEEDaS18_S19_EUlS18_E_NS1_11comp_targetILNS1_3genE5ELNS1_11target_archE942ELNS1_3gpuE9ELNS1_3repE0EEENS1_30default_config_static_selectorELNS0_4arch9wavefront6targetE0EEEvT1_,"axG",@progbits,_ZN7rocprim17ROCPRIM_400000_NS6detail17trampoline_kernelINS0_14default_configENS1_25partition_config_selectorILNS1_17partition_subalgoE9EsjbEEZZNS1_14partition_implILS5_9ELb0ES3_jN6thrust23THRUST_200600_302600_NS6detail15normal_iteratorINS9_10device_ptrIsEEEENSB_INSC_IjEEEEPNS0_10empty_typeENS0_5tupleIJNS9_16discard_iteratorINS9_11use_defaultEEESH_EEENSJ_IJSG_SI_EEENS0_18inequality_wrapperINS9_8equal_toIsEEEEPmJSH_EEE10hipError_tPvRmT3_T4_T5_T6_T7_T9_mT8_P12ihipStream_tbDpT10_ENKUlT_T0_E_clISt17integral_constantIbLb0EES1C_IbLb1EEEEDaS18_S19_EUlS18_E_NS1_11comp_targetILNS1_3genE5ELNS1_11target_archE942ELNS1_3gpuE9ELNS1_3repE0EEENS1_30default_config_static_selectorELNS0_4arch9wavefront6targetE0EEEvT1_,comdat
	.protected	_ZN7rocprim17ROCPRIM_400000_NS6detail17trampoline_kernelINS0_14default_configENS1_25partition_config_selectorILNS1_17partition_subalgoE9EsjbEEZZNS1_14partition_implILS5_9ELb0ES3_jN6thrust23THRUST_200600_302600_NS6detail15normal_iteratorINS9_10device_ptrIsEEEENSB_INSC_IjEEEEPNS0_10empty_typeENS0_5tupleIJNS9_16discard_iteratorINS9_11use_defaultEEESH_EEENSJ_IJSG_SI_EEENS0_18inequality_wrapperINS9_8equal_toIsEEEEPmJSH_EEE10hipError_tPvRmT3_T4_T5_T6_T7_T9_mT8_P12ihipStream_tbDpT10_ENKUlT_T0_E_clISt17integral_constantIbLb0EES1C_IbLb1EEEEDaS18_S19_EUlS18_E_NS1_11comp_targetILNS1_3genE5ELNS1_11target_archE942ELNS1_3gpuE9ELNS1_3repE0EEENS1_30default_config_static_selectorELNS0_4arch9wavefront6targetE0EEEvT1_ ; -- Begin function _ZN7rocprim17ROCPRIM_400000_NS6detail17trampoline_kernelINS0_14default_configENS1_25partition_config_selectorILNS1_17partition_subalgoE9EsjbEEZZNS1_14partition_implILS5_9ELb0ES3_jN6thrust23THRUST_200600_302600_NS6detail15normal_iteratorINS9_10device_ptrIsEEEENSB_INSC_IjEEEEPNS0_10empty_typeENS0_5tupleIJNS9_16discard_iteratorINS9_11use_defaultEEESH_EEENSJ_IJSG_SI_EEENS0_18inequality_wrapperINS9_8equal_toIsEEEEPmJSH_EEE10hipError_tPvRmT3_T4_T5_T6_T7_T9_mT8_P12ihipStream_tbDpT10_ENKUlT_T0_E_clISt17integral_constantIbLb0EES1C_IbLb1EEEEDaS18_S19_EUlS18_E_NS1_11comp_targetILNS1_3genE5ELNS1_11target_archE942ELNS1_3gpuE9ELNS1_3repE0EEENS1_30default_config_static_selectorELNS0_4arch9wavefront6targetE0EEEvT1_
	.globl	_ZN7rocprim17ROCPRIM_400000_NS6detail17trampoline_kernelINS0_14default_configENS1_25partition_config_selectorILNS1_17partition_subalgoE9EsjbEEZZNS1_14partition_implILS5_9ELb0ES3_jN6thrust23THRUST_200600_302600_NS6detail15normal_iteratorINS9_10device_ptrIsEEEENSB_INSC_IjEEEEPNS0_10empty_typeENS0_5tupleIJNS9_16discard_iteratorINS9_11use_defaultEEESH_EEENSJ_IJSG_SI_EEENS0_18inequality_wrapperINS9_8equal_toIsEEEEPmJSH_EEE10hipError_tPvRmT3_T4_T5_T6_T7_T9_mT8_P12ihipStream_tbDpT10_ENKUlT_T0_E_clISt17integral_constantIbLb0EES1C_IbLb1EEEEDaS18_S19_EUlS18_E_NS1_11comp_targetILNS1_3genE5ELNS1_11target_archE942ELNS1_3gpuE9ELNS1_3repE0EEENS1_30default_config_static_selectorELNS0_4arch9wavefront6targetE0EEEvT1_
	.p2align	8
	.type	_ZN7rocprim17ROCPRIM_400000_NS6detail17trampoline_kernelINS0_14default_configENS1_25partition_config_selectorILNS1_17partition_subalgoE9EsjbEEZZNS1_14partition_implILS5_9ELb0ES3_jN6thrust23THRUST_200600_302600_NS6detail15normal_iteratorINS9_10device_ptrIsEEEENSB_INSC_IjEEEEPNS0_10empty_typeENS0_5tupleIJNS9_16discard_iteratorINS9_11use_defaultEEESH_EEENSJ_IJSG_SI_EEENS0_18inequality_wrapperINS9_8equal_toIsEEEEPmJSH_EEE10hipError_tPvRmT3_T4_T5_T6_T7_T9_mT8_P12ihipStream_tbDpT10_ENKUlT_T0_E_clISt17integral_constantIbLb0EES1C_IbLb1EEEEDaS18_S19_EUlS18_E_NS1_11comp_targetILNS1_3genE5ELNS1_11target_archE942ELNS1_3gpuE9ELNS1_3repE0EEENS1_30default_config_static_selectorELNS0_4arch9wavefront6targetE0EEEvT1_,@function
_ZN7rocprim17ROCPRIM_400000_NS6detail17trampoline_kernelINS0_14default_configENS1_25partition_config_selectorILNS1_17partition_subalgoE9EsjbEEZZNS1_14partition_implILS5_9ELb0ES3_jN6thrust23THRUST_200600_302600_NS6detail15normal_iteratorINS9_10device_ptrIsEEEENSB_INSC_IjEEEEPNS0_10empty_typeENS0_5tupleIJNS9_16discard_iteratorINS9_11use_defaultEEESH_EEENSJ_IJSG_SI_EEENS0_18inequality_wrapperINS9_8equal_toIsEEEEPmJSH_EEE10hipError_tPvRmT3_T4_T5_T6_T7_T9_mT8_P12ihipStream_tbDpT10_ENKUlT_T0_E_clISt17integral_constantIbLb0EES1C_IbLb1EEEEDaS18_S19_EUlS18_E_NS1_11comp_targetILNS1_3genE5ELNS1_11target_archE942ELNS1_3gpuE9ELNS1_3repE0EEENS1_30default_config_static_selectorELNS0_4arch9wavefront6targetE0EEEvT1_: ; @_ZN7rocprim17ROCPRIM_400000_NS6detail17trampoline_kernelINS0_14default_configENS1_25partition_config_selectorILNS1_17partition_subalgoE9EsjbEEZZNS1_14partition_implILS5_9ELb0ES3_jN6thrust23THRUST_200600_302600_NS6detail15normal_iteratorINS9_10device_ptrIsEEEENSB_INSC_IjEEEEPNS0_10empty_typeENS0_5tupleIJNS9_16discard_iteratorINS9_11use_defaultEEESH_EEENSJ_IJSG_SI_EEENS0_18inequality_wrapperINS9_8equal_toIsEEEEPmJSH_EEE10hipError_tPvRmT3_T4_T5_T6_T7_T9_mT8_P12ihipStream_tbDpT10_ENKUlT_T0_E_clISt17integral_constantIbLb0EES1C_IbLb1EEEEDaS18_S19_EUlS18_E_NS1_11comp_targetILNS1_3genE5ELNS1_11target_archE942ELNS1_3gpuE9ELNS1_3repE0EEENS1_30default_config_static_selectorELNS0_4arch9wavefront6targetE0EEEvT1_
; %bb.0:
	.section	.rodata,"a",@progbits
	.p2align	6, 0x0
	.amdhsa_kernel _ZN7rocprim17ROCPRIM_400000_NS6detail17trampoline_kernelINS0_14default_configENS1_25partition_config_selectorILNS1_17partition_subalgoE9EsjbEEZZNS1_14partition_implILS5_9ELb0ES3_jN6thrust23THRUST_200600_302600_NS6detail15normal_iteratorINS9_10device_ptrIsEEEENSB_INSC_IjEEEEPNS0_10empty_typeENS0_5tupleIJNS9_16discard_iteratorINS9_11use_defaultEEESH_EEENSJ_IJSG_SI_EEENS0_18inequality_wrapperINS9_8equal_toIsEEEEPmJSH_EEE10hipError_tPvRmT3_T4_T5_T6_T7_T9_mT8_P12ihipStream_tbDpT10_ENKUlT_T0_E_clISt17integral_constantIbLb0EES1C_IbLb1EEEEDaS18_S19_EUlS18_E_NS1_11comp_targetILNS1_3genE5ELNS1_11target_archE942ELNS1_3gpuE9ELNS1_3repE0EEENS1_30default_config_static_selectorELNS0_4arch9wavefront6targetE0EEEvT1_
		.amdhsa_group_segment_fixed_size 0
		.amdhsa_private_segment_fixed_size 0
		.amdhsa_kernarg_size 136
		.amdhsa_user_sgpr_count 15
		.amdhsa_user_sgpr_dispatch_ptr 0
		.amdhsa_user_sgpr_queue_ptr 0
		.amdhsa_user_sgpr_kernarg_segment_ptr 1
		.amdhsa_user_sgpr_dispatch_id 0
		.amdhsa_user_sgpr_private_segment_size 0
		.amdhsa_wavefront_size32 1
		.amdhsa_uses_dynamic_stack 0
		.amdhsa_enable_private_segment 0
		.amdhsa_system_sgpr_workgroup_id_x 1
		.amdhsa_system_sgpr_workgroup_id_y 0
		.amdhsa_system_sgpr_workgroup_id_z 0
		.amdhsa_system_sgpr_workgroup_info 0
		.amdhsa_system_vgpr_workitem_id 0
		.amdhsa_next_free_vgpr 1
		.amdhsa_next_free_sgpr 1
		.amdhsa_reserve_vcc 0
		.amdhsa_float_round_mode_32 0
		.amdhsa_float_round_mode_16_64 0
		.amdhsa_float_denorm_mode_32 3
		.amdhsa_float_denorm_mode_16_64 3
		.amdhsa_dx10_clamp 1
		.amdhsa_ieee_mode 1
		.amdhsa_fp16_overflow 0
		.amdhsa_workgroup_processor_mode 1
		.amdhsa_memory_ordered 1
		.amdhsa_forward_progress 0
		.amdhsa_shared_vgpr_count 0
		.amdhsa_exception_fp_ieee_invalid_op 0
		.amdhsa_exception_fp_denorm_src 0
		.amdhsa_exception_fp_ieee_div_zero 0
		.amdhsa_exception_fp_ieee_overflow 0
		.amdhsa_exception_fp_ieee_underflow 0
		.amdhsa_exception_fp_ieee_inexact 0
		.amdhsa_exception_int_div_zero 0
	.end_amdhsa_kernel
	.section	.text._ZN7rocprim17ROCPRIM_400000_NS6detail17trampoline_kernelINS0_14default_configENS1_25partition_config_selectorILNS1_17partition_subalgoE9EsjbEEZZNS1_14partition_implILS5_9ELb0ES3_jN6thrust23THRUST_200600_302600_NS6detail15normal_iteratorINS9_10device_ptrIsEEEENSB_INSC_IjEEEEPNS0_10empty_typeENS0_5tupleIJNS9_16discard_iteratorINS9_11use_defaultEEESH_EEENSJ_IJSG_SI_EEENS0_18inequality_wrapperINS9_8equal_toIsEEEEPmJSH_EEE10hipError_tPvRmT3_T4_T5_T6_T7_T9_mT8_P12ihipStream_tbDpT10_ENKUlT_T0_E_clISt17integral_constantIbLb0EES1C_IbLb1EEEEDaS18_S19_EUlS18_E_NS1_11comp_targetILNS1_3genE5ELNS1_11target_archE942ELNS1_3gpuE9ELNS1_3repE0EEENS1_30default_config_static_selectorELNS0_4arch9wavefront6targetE0EEEvT1_,"axG",@progbits,_ZN7rocprim17ROCPRIM_400000_NS6detail17trampoline_kernelINS0_14default_configENS1_25partition_config_selectorILNS1_17partition_subalgoE9EsjbEEZZNS1_14partition_implILS5_9ELb0ES3_jN6thrust23THRUST_200600_302600_NS6detail15normal_iteratorINS9_10device_ptrIsEEEENSB_INSC_IjEEEEPNS0_10empty_typeENS0_5tupleIJNS9_16discard_iteratorINS9_11use_defaultEEESH_EEENSJ_IJSG_SI_EEENS0_18inequality_wrapperINS9_8equal_toIsEEEEPmJSH_EEE10hipError_tPvRmT3_T4_T5_T6_T7_T9_mT8_P12ihipStream_tbDpT10_ENKUlT_T0_E_clISt17integral_constantIbLb0EES1C_IbLb1EEEEDaS18_S19_EUlS18_E_NS1_11comp_targetILNS1_3genE5ELNS1_11target_archE942ELNS1_3gpuE9ELNS1_3repE0EEENS1_30default_config_static_selectorELNS0_4arch9wavefront6targetE0EEEvT1_,comdat
.Lfunc_end1262:
	.size	_ZN7rocprim17ROCPRIM_400000_NS6detail17trampoline_kernelINS0_14default_configENS1_25partition_config_selectorILNS1_17partition_subalgoE9EsjbEEZZNS1_14partition_implILS5_9ELb0ES3_jN6thrust23THRUST_200600_302600_NS6detail15normal_iteratorINS9_10device_ptrIsEEEENSB_INSC_IjEEEEPNS0_10empty_typeENS0_5tupleIJNS9_16discard_iteratorINS9_11use_defaultEEESH_EEENSJ_IJSG_SI_EEENS0_18inequality_wrapperINS9_8equal_toIsEEEEPmJSH_EEE10hipError_tPvRmT3_T4_T5_T6_T7_T9_mT8_P12ihipStream_tbDpT10_ENKUlT_T0_E_clISt17integral_constantIbLb0EES1C_IbLb1EEEEDaS18_S19_EUlS18_E_NS1_11comp_targetILNS1_3genE5ELNS1_11target_archE942ELNS1_3gpuE9ELNS1_3repE0EEENS1_30default_config_static_selectorELNS0_4arch9wavefront6targetE0EEEvT1_, .Lfunc_end1262-_ZN7rocprim17ROCPRIM_400000_NS6detail17trampoline_kernelINS0_14default_configENS1_25partition_config_selectorILNS1_17partition_subalgoE9EsjbEEZZNS1_14partition_implILS5_9ELb0ES3_jN6thrust23THRUST_200600_302600_NS6detail15normal_iteratorINS9_10device_ptrIsEEEENSB_INSC_IjEEEEPNS0_10empty_typeENS0_5tupleIJNS9_16discard_iteratorINS9_11use_defaultEEESH_EEENSJ_IJSG_SI_EEENS0_18inequality_wrapperINS9_8equal_toIsEEEEPmJSH_EEE10hipError_tPvRmT3_T4_T5_T6_T7_T9_mT8_P12ihipStream_tbDpT10_ENKUlT_T0_E_clISt17integral_constantIbLb0EES1C_IbLb1EEEEDaS18_S19_EUlS18_E_NS1_11comp_targetILNS1_3genE5ELNS1_11target_archE942ELNS1_3gpuE9ELNS1_3repE0EEENS1_30default_config_static_selectorELNS0_4arch9wavefront6targetE0EEEvT1_
                                        ; -- End function
	.section	.AMDGPU.csdata,"",@progbits
; Kernel info:
; codeLenInByte = 0
; NumSgprs: 0
; NumVgprs: 0
; ScratchSize: 0
; MemoryBound: 0
; FloatMode: 240
; IeeeMode: 1
; LDSByteSize: 0 bytes/workgroup (compile time only)
; SGPRBlocks: 0
; VGPRBlocks: 0
; NumSGPRsForWavesPerEU: 1
; NumVGPRsForWavesPerEU: 1
; Occupancy: 16
; WaveLimiterHint : 0
; COMPUTE_PGM_RSRC2:SCRATCH_EN: 0
; COMPUTE_PGM_RSRC2:USER_SGPR: 15
; COMPUTE_PGM_RSRC2:TRAP_HANDLER: 0
; COMPUTE_PGM_RSRC2:TGID_X_EN: 1
; COMPUTE_PGM_RSRC2:TGID_Y_EN: 0
; COMPUTE_PGM_RSRC2:TGID_Z_EN: 0
; COMPUTE_PGM_RSRC2:TIDIG_COMP_CNT: 0
	.section	.text._ZN7rocprim17ROCPRIM_400000_NS6detail17trampoline_kernelINS0_14default_configENS1_25partition_config_selectorILNS1_17partition_subalgoE9EsjbEEZZNS1_14partition_implILS5_9ELb0ES3_jN6thrust23THRUST_200600_302600_NS6detail15normal_iteratorINS9_10device_ptrIsEEEENSB_INSC_IjEEEEPNS0_10empty_typeENS0_5tupleIJNS9_16discard_iteratorINS9_11use_defaultEEESH_EEENSJ_IJSG_SI_EEENS0_18inequality_wrapperINS9_8equal_toIsEEEEPmJSH_EEE10hipError_tPvRmT3_T4_T5_T6_T7_T9_mT8_P12ihipStream_tbDpT10_ENKUlT_T0_E_clISt17integral_constantIbLb0EES1C_IbLb1EEEEDaS18_S19_EUlS18_E_NS1_11comp_targetILNS1_3genE4ELNS1_11target_archE910ELNS1_3gpuE8ELNS1_3repE0EEENS1_30default_config_static_selectorELNS0_4arch9wavefront6targetE0EEEvT1_,"axG",@progbits,_ZN7rocprim17ROCPRIM_400000_NS6detail17trampoline_kernelINS0_14default_configENS1_25partition_config_selectorILNS1_17partition_subalgoE9EsjbEEZZNS1_14partition_implILS5_9ELb0ES3_jN6thrust23THRUST_200600_302600_NS6detail15normal_iteratorINS9_10device_ptrIsEEEENSB_INSC_IjEEEEPNS0_10empty_typeENS0_5tupleIJNS9_16discard_iteratorINS9_11use_defaultEEESH_EEENSJ_IJSG_SI_EEENS0_18inequality_wrapperINS9_8equal_toIsEEEEPmJSH_EEE10hipError_tPvRmT3_T4_T5_T6_T7_T9_mT8_P12ihipStream_tbDpT10_ENKUlT_T0_E_clISt17integral_constantIbLb0EES1C_IbLb1EEEEDaS18_S19_EUlS18_E_NS1_11comp_targetILNS1_3genE4ELNS1_11target_archE910ELNS1_3gpuE8ELNS1_3repE0EEENS1_30default_config_static_selectorELNS0_4arch9wavefront6targetE0EEEvT1_,comdat
	.protected	_ZN7rocprim17ROCPRIM_400000_NS6detail17trampoline_kernelINS0_14default_configENS1_25partition_config_selectorILNS1_17partition_subalgoE9EsjbEEZZNS1_14partition_implILS5_9ELb0ES3_jN6thrust23THRUST_200600_302600_NS6detail15normal_iteratorINS9_10device_ptrIsEEEENSB_INSC_IjEEEEPNS0_10empty_typeENS0_5tupleIJNS9_16discard_iteratorINS9_11use_defaultEEESH_EEENSJ_IJSG_SI_EEENS0_18inequality_wrapperINS9_8equal_toIsEEEEPmJSH_EEE10hipError_tPvRmT3_T4_T5_T6_T7_T9_mT8_P12ihipStream_tbDpT10_ENKUlT_T0_E_clISt17integral_constantIbLb0EES1C_IbLb1EEEEDaS18_S19_EUlS18_E_NS1_11comp_targetILNS1_3genE4ELNS1_11target_archE910ELNS1_3gpuE8ELNS1_3repE0EEENS1_30default_config_static_selectorELNS0_4arch9wavefront6targetE0EEEvT1_ ; -- Begin function _ZN7rocprim17ROCPRIM_400000_NS6detail17trampoline_kernelINS0_14default_configENS1_25partition_config_selectorILNS1_17partition_subalgoE9EsjbEEZZNS1_14partition_implILS5_9ELb0ES3_jN6thrust23THRUST_200600_302600_NS6detail15normal_iteratorINS9_10device_ptrIsEEEENSB_INSC_IjEEEEPNS0_10empty_typeENS0_5tupleIJNS9_16discard_iteratorINS9_11use_defaultEEESH_EEENSJ_IJSG_SI_EEENS0_18inequality_wrapperINS9_8equal_toIsEEEEPmJSH_EEE10hipError_tPvRmT3_T4_T5_T6_T7_T9_mT8_P12ihipStream_tbDpT10_ENKUlT_T0_E_clISt17integral_constantIbLb0EES1C_IbLb1EEEEDaS18_S19_EUlS18_E_NS1_11comp_targetILNS1_3genE4ELNS1_11target_archE910ELNS1_3gpuE8ELNS1_3repE0EEENS1_30default_config_static_selectorELNS0_4arch9wavefront6targetE0EEEvT1_
	.globl	_ZN7rocprim17ROCPRIM_400000_NS6detail17trampoline_kernelINS0_14default_configENS1_25partition_config_selectorILNS1_17partition_subalgoE9EsjbEEZZNS1_14partition_implILS5_9ELb0ES3_jN6thrust23THRUST_200600_302600_NS6detail15normal_iteratorINS9_10device_ptrIsEEEENSB_INSC_IjEEEEPNS0_10empty_typeENS0_5tupleIJNS9_16discard_iteratorINS9_11use_defaultEEESH_EEENSJ_IJSG_SI_EEENS0_18inequality_wrapperINS9_8equal_toIsEEEEPmJSH_EEE10hipError_tPvRmT3_T4_T5_T6_T7_T9_mT8_P12ihipStream_tbDpT10_ENKUlT_T0_E_clISt17integral_constantIbLb0EES1C_IbLb1EEEEDaS18_S19_EUlS18_E_NS1_11comp_targetILNS1_3genE4ELNS1_11target_archE910ELNS1_3gpuE8ELNS1_3repE0EEENS1_30default_config_static_selectorELNS0_4arch9wavefront6targetE0EEEvT1_
	.p2align	8
	.type	_ZN7rocprim17ROCPRIM_400000_NS6detail17trampoline_kernelINS0_14default_configENS1_25partition_config_selectorILNS1_17partition_subalgoE9EsjbEEZZNS1_14partition_implILS5_9ELb0ES3_jN6thrust23THRUST_200600_302600_NS6detail15normal_iteratorINS9_10device_ptrIsEEEENSB_INSC_IjEEEEPNS0_10empty_typeENS0_5tupleIJNS9_16discard_iteratorINS9_11use_defaultEEESH_EEENSJ_IJSG_SI_EEENS0_18inequality_wrapperINS9_8equal_toIsEEEEPmJSH_EEE10hipError_tPvRmT3_T4_T5_T6_T7_T9_mT8_P12ihipStream_tbDpT10_ENKUlT_T0_E_clISt17integral_constantIbLb0EES1C_IbLb1EEEEDaS18_S19_EUlS18_E_NS1_11comp_targetILNS1_3genE4ELNS1_11target_archE910ELNS1_3gpuE8ELNS1_3repE0EEENS1_30default_config_static_selectorELNS0_4arch9wavefront6targetE0EEEvT1_,@function
_ZN7rocprim17ROCPRIM_400000_NS6detail17trampoline_kernelINS0_14default_configENS1_25partition_config_selectorILNS1_17partition_subalgoE9EsjbEEZZNS1_14partition_implILS5_9ELb0ES3_jN6thrust23THRUST_200600_302600_NS6detail15normal_iteratorINS9_10device_ptrIsEEEENSB_INSC_IjEEEEPNS0_10empty_typeENS0_5tupleIJNS9_16discard_iteratorINS9_11use_defaultEEESH_EEENSJ_IJSG_SI_EEENS0_18inequality_wrapperINS9_8equal_toIsEEEEPmJSH_EEE10hipError_tPvRmT3_T4_T5_T6_T7_T9_mT8_P12ihipStream_tbDpT10_ENKUlT_T0_E_clISt17integral_constantIbLb0EES1C_IbLb1EEEEDaS18_S19_EUlS18_E_NS1_11comp_targetILNS1_3genE4ELNS1_11target_archE910ELNS1_3gpuE8ELNS1_3repE0EEENS1_30default_config_static_selectorELNS0_4arch9wavefront6targetE0EEEvT1_: ; @_ZN7rocprim17ROCPRIM_400000_NS6detail17trampoline_kernelINS0_14default_configENS1_25partition_config_selectorILNS1_17partition_subalgoE9EsjbEEZZNS1_14partition_implILS5_9ELb0ES3_jN6thrust23THRUST_200600_302600_NS6detail15normal_iteratorINS9_10device_ptrIsEEEENSB_INSC_IjEEEEPNS0_10empty_typeENS0_5tupleIJNS9_16discard_iteratorINS9_11use_defaultEEESH_EEENSJ_IJSG_SI_EEENS0_18inequality_wrapperINS9_8equal_toIsEEEEPmJSH_EEE10hipError_tPvRmT3_T4_T5_T6_T7_T9_mT8_P12ihipStream_tbDpT10_ENKUlT_T0_E_clISt17integral_constantIbLb0EES1C_IbLb1EEEEDaS18_S19_EUlS18_E_NS1_11comp_targetILNS1_3genE4ELNS1_11target_archE910ELNS1_3gpuE8ELNS1_3repE0EEENS1_30default_config_static_selectorELNS0_4arch9wavefront6targetE0EEEvT1_
; %bb.0:
	.section	.rodata,"a",@progbits
	.p2align	6, 0x0
	.amdhsa_kernel _ZN7rocprim17ROCPRIM_400000_NS6detail17trampoline_kernelINS0_14default_configENS1_25partition_config_selectorILNS1_17partition_subalgoE9EsjbEEZZNS1_14partition_implILS5_9ELb0ES3_jN6thrust23THRUST_200600_302600_NS6detail15normal_iteratorINS9_10device_ptrIsEEEENSB_INSC_IjEEEEPNS0_10empty_typeENS0_5tupleIJNS9_16discard_iteratorINS9_11use_defaultEEESH_EEENSJ_IJSG_SI_EEENS0_18inequality_wrapperINS9_8equal_toIsEEEEPmJSH_EEE10hipError_tPvRmT3_T4_T5_T6_T7_T9_mT8_P12ihipStream_tbDpT10_ENKUlT_T0_E_clISt17integral_constantIbLb0EES1C_IbLb1EEEEDaS18_S19_EUlS18_E_NS1_11comp_targetILNS1_3genE4ELNS1_11target_archE910ELNS1_3gpuE8ELNS1_3repE0EEENS1_30default_config_static_selectorELNS0_4arch9wavefront6targetE0EEEvT1_
		.amdhsa_group_segment_fixed_size 0
		.amdhsa_private_segment_fixed_size 0
		.amdhsa_kernarg_size 136
		.amdhsa_user_sgpr_count 15
		.amdhsa_user_sgpr_dispatch_ptr 0
		.amdhsa_user_sgpr_queue_ptr 0
		.amdhsa_user_sgpr_kernarg_segment_ptr 1
		.amdhsa_user_sgpr_dispatch_id 0
		.amdhsa_user_sgpr_private_segment_size 0
		.amdhsa_wavefront_size32 1
		.amdhsa_uses_dynamic_stack 0
		.amdhsa_enable_private_segment 0
		.amdhsa_system_sgpr_workgroup_id_x 1
		.amdhsa_system_sgpr_workgroup_id_y 0
		.amdhsa_system_sgpr_workgroup_id_z 0
		.amdhsa_system_sgpr_workgroup_info 0
		.amdhsa_system_vgpr_workitem_id 0
		.amdhsa_next_free_vgpr 1
		.amdhsa_next_free_sgpr 1
		.amdhsa_reserve_vcc 0
		.amdhsa_float_round_mode_32 0
		.amdhsa_float_round_mode_16_64 0
		.amdhsa_float_denorm_mode_32 3
		.amdhsa_float_denorm_mode_16_64 3
		.amdhsa_dx10_clamp 1
		.amdhsa_ieee_mode 1
		.amdhsa_fp16_overflow 0
		.amdhsa_workgroup_processor_mode 1
		.amdhsa_memory_ordered 1
		.amdhsa_forward_progress 0
		.amdhsa_shared_vgpr_count 0
		.amdhsa_exception_fp_ieee_invalid_op 0
		.amdhsa_exception_fp_denorm_src 0
		.amdhsa_exception_fp_ieee_div_zero 0
		.amdhsa_exception_fp_ieee_overflow 0
		.amdhsa_exception_fp_ieee_underflow 0
		.amdhsa_exception_fp_ieee_inexact 0
		.amdhsa_exception_int_div_zero 0
	.end_amdhsa_kernel
	.section	.text._ZN7rocprim17ROCPRIM_400000_NS6detail17trampoline_kernelINS0_14default_configENS1_25partition_config_selectorILNS1_17partition_subalgoE9EsjbEEZZNS1_14partition_implILS5_9ELb0ES3_jN6thrust23THRUST_200600_302600_NS6detail15normal_iteratorINS9_10device_ptrIsEEEENSB_INSC_IjEEEEPNS0_10empty_typeENS0_5tupleIJNS9_16discard_iteratorINS9_11use_defaultEEESH_EEENSJ_IJSG_SI_EEENS0_18inequality_wrapperINS9_8equal_toIsEEEEPmJSH_EEE10hipError_tPvRmT3_T4_T5_T6_T7_T9_mT8_P12ihipStream_tbDpT10_ENKUlT_T0_E_clISt17integral_constantIbLb0EES1C_IbLb1EEEEDaS18_S19_EUlS18_E_NS1_11comp_targetILNS1_3genE4ELNS1_11target_archE910ELNS1_3gpuE8ELNS1_3repE0EEENS1_30default_config_static_selectorELNS0_4arch9wavefront6targetE0EEEvT1_,"axG",@progbits,_ZN7rocprim17ROCPRIM_400000_NS6detail17trampoline_kernelINS0_14default_configENS1_25partition_config_selectorILNS1_17partition_subalgoE9EsjbEEZZNS1_14partition_implILS5_9ELb0ES3_jN6thrust23THRUST_200600_302600_NS6detail15normal_iteratorINS9_10device_ptrIsEEEENSB_INSC_IjEEEEPNS0_10empty_typeENS0_5tupleIJNS9_16discard_iteratorINS9_11use_defaultEEESH_EEENSJ_IJSG_SI_EEENS0_18inequality_wrapperINS9_8equal_toIsEEEEPmJSH_EEE10hipError_tPvRmT3_T4_T5_T6_T7_T9_mT8_P12ihipStream_tbDpT10_ENKUlT_T0_E_clISt17integral_constantIbLb0EES1C_IbLb1EEEEDaS18_S19_EUlS18_E_NS1_11comp_targetILNS1_3genE4ELNS1_11target_archE910ELNS1_3gpuE8ELNS1_3repE0EEENS1_30default_config_static_selectorELNS0_4arch9wavefront6targetE0EEEvT1_,comdat
.Lfunc_end1263:
	.size	_ZN7rocprim17ROCPRIM_400000_NS6detail17trampoline_kernelINS0_14default_configENS1_25partition_config_selectorILNS1_17partition_subalgoE9EsjbEEZZNS1_14partition_implILS5_9ELb0ES3_jN6thrust23THRUST_200600_302600_NS6detail15normal_iteratorINS9_10device_ptrIsEEEENSB_INSC_IjEEEEPNS0_10empty_typeENS0_5tupleIJNS9_16discard_iteratorINS9_11use_defaultEEESH_EEENSJ_IJSG_SI_EEENS0_18inequality_wrapperINS9_8equal_toIsEEEEPmJSH_EEE10hipError_tPvRmT3_T4_T5_T6_T7_T9_mT8_P12ihipStream_tbDpT10_ENKUlT_T0_E_clISt17integral_constantIbLb0EES1C_IbLb1EEEEDaS18_S19_EUlS18_E_NS1_11comp_targetILNS1_3genE4ELNS1_11target_archE910ELNS1_3gpuE8ELNS1_3repE0EEENS1_30default_config_static_selectorELNS0_4arch9wavefront6targetE0EEEvT1_, .Lfunc_end1263-_ZN7rocprim17ROCPRIM_400000_NS6detail17trampoline_kernelINS0_14default_configENS1_25partition_config_selectorILNS1_17partition_subalgoE9EsjbEEZZNS1_14partition_implILS5_9ELb0ES3_jN6thrust23THRUST_200600_302600_NS6detail15normal_iteratorINS9_10device_ptrIsEEEENSB_INSC_IjEEEEPNS0_10empty_typeENS0_5tupleIJNS9_16discard_iteratorINS9_11use_defaultEEESH_EEENSJ_IJSG_SI_EEENS0_18inequality_wrapperINS9_8equal_toIsEEEEPmJSH_EEE10hipError_tPvRmT3_T4_T5_T6_T7_T9_mT8_P12ihipStream_tbDpT10_ENKUlT_T0_E_clISt17integral_constantIbLb0EES1C_IbLb1EEEEDaS18_S19_EUlS18_E_NS1_11comp_targetILNS1_3genE4ELNS1_11target_archE910ELNS1_3gpuE8ELNS1_3repE0EEENS1_30default_config_static_selectorELNS0_4arch9wavefront6targetE0EEEvT1_
                                        ; -- End function
	.section	.AMDGPU.csdata,"",@progbits
; Kernel info:
; codeLenInByte = 0
; NumSgprs: 0
; NumVgprs: 0
; ScratchSize: 0
; MemoryBound: 0
; FloatMode: 240
; IeeeMode: 1
; LDSByteSize: 0 bytes/workgroup (compile time only)
; SGPRBlocks: 0
; VGPRBlocks: 0
; NumSGPRsForWavesPerEU: 1
; NumVGPRsForWavesPerEU: 1
; Occupancy: 15
; WaveLimiterHint : 0
; COMPUTE_PGM_RSRC2:SCRATCH_EN: 0
; COMPUTE_PGM_RSRC2:USER_SGPR: 15
; COMPUTE_PGM_RSRC2:TRAP_HANDLER: 0
; COMPUTE_PGM_RSRC2:TGID_X_EN: 1
; COMPUTE_PGM_RSRC2:TGID_Y_EN: 0
; COMPUTE_PGM_RSRC2:TGID_Z_EN: 0
; COMPUTE_PGM_RSRC2:TIDIG_COMP_CNT: 0
	.section	.text._ZN7rocprim17ROCPRIM_400000_NS6detail17trampoline_kernelINS0_14default_configENS1_25partition_config_selectorILNS1_17partition_subalgoE9EsjbEEZZNS1_14partition_implILS5_9ELb0ES3_jN6thrust23THRUST_200600_302600_NS6detail15normal_iteratorINS9_10device_ptrIsEEEENSB_INSC_IjEEEEPNS0_10empty_typeENS0_5tupleIJNS9_16discard_iteratorINS9_11use_defaultEEESH_EEENSJ_IJSG_SI_EEENS0_18inequality_wrapperINS9_8equal_toIsEEEEPmJSH_EEE10hipError_tPvRmT3_T4_T5_T6_T7_T9_mT8_P12ihipStream_tbDpT10_ENKUlT_T0_E_clISt17integral_constantIbLb0EES1C_IbLb1EEEEDaS18_S19_EUlS18_E_NS1_11comp_targetILNS1_3genE3ELNS1_11target_archE908ELNS1_3gpuE7ELNS1_3repE0EEENS1_30default_config_static_selectorELNS0_4arch9wavefront6targetE0EEEvT1_,"axG",@progbits,_ZN7rocprim17ROCPRIM_400000_NS6detail17trampoline_kernelINS0_14default_configENS1_25partition_config_selectorILNS1_17partition_subalgoE9EsjbEEZZNS1_14partition_implILS5_9ELb0ES3_jN6thrust23THRUST_200600_302600_NS6detail15normal_iteratorINS9_10device_ptrIsEEEENSB_INSC_IjEEEEPNS0_10empty_typeENS0_5tupleIJNS9_16discard_iteratorINS9_11use_defaultEEESH_EEENSJ_IJSG_SI_EEENS0_18inequality_wrapperINS9_8equal_toIsEEEEPmJSH_EEE10hipError_tPvRmT3_T4_T5_T6_T7_T9_mT8_P12ihipStream_tbDpT10_ENKUlT_T0_E_clISt17integral_constantIbLb0EES1C_IbLb1EEEEDaS18_S19_EUlS18_E_NS1_11comp_targetILNS1_3genE3ELNS1_11target_archE908ELNS1_3gpuE7ELNS1_3repE0EEENS1_30default_config_static_selectorELNS0_4arch9wavefront6targetE0EEEvT1_,comdat
	.protected	_ZN7rocprim17ROCPRIM_400000_NS6detail17trampoline_kernelINS0_14default_configENS1_25partition_config_selectorILNS1_17partition_subalgoE9EsjbEEZZNS1_14partition_implILS5_9ELb0ES3_jN6thrust23THRUST_200600_302600_NS6detail15normal_iteratorINS9_10device_ptrIsEEEENSB_INSC_IjEEEEPNS0_10empty_typeENS0_5tupleIJNS9_16discard_iteratorINS9_11use_defaultEEESH_EEENSJ_IJSG_SI_EEENS0_18inequality_wrapperINS9_8equal_toIsEEEEPmJSH_EEE10hipError_tPvRmT3_T4_T5_T6_T7_T9_mT8_P12ihipStream_tbDpT10_ENKUlT_T0_E_clISt17integral_constantIbLb0EES1C_IbLb1EEEEDaS18_S19_EUlS18_E_NS1_11comp_targetILNS1_3genE3ELNS1_11target_archE908ELNS1_3gpuE7ELNS1_3repE0EEENS1_30default_config_static_selectorELNS0_4arch9wavefront6targetE0EEEvT1_ ; -- Begin function _ZN7rocprim17ROCPRIM_400000_NS6detail17trampoline_kernelINS0_14default_configENS1_25partition_config_selectorILNS1_17partition_subalgoE9EsjbEEZZNS1_14partition_implILS5_9ELb0ES3_jN6thrust23THRUST_200600_302600_NS6detail15normal_iteratorINS9_10device_ptrIsEEEENSB_INSC_IjEEEEPNS0_10empty_typeENS0_5tupleIJNS9_16discard_iteratorINS9_11use_defaultEEESH_EEENSJ_IJSG_SI_EEENS0_18inequality_wrapperINS9_8equal_toIsEEEEPmJSH_EEE10hipError_tPvRmT3_T4_T5_T6_T7_T9_mT8_P12ihipStream_tbDpT10_ENKUlT_T0_E_clISt17integral_constantIbLb0EES1C_IbLb1EEEEDaS18_S19_EUlS18_E_NS1_11comp_targetILNS1_3genE3ELNS1_11target_archE908ELNS1_3gpuE7ELNS1_3repE0EEENS1_30default_config_static_selectorELNS0_4arch9wavefront6targetE0EEEvT1_
	.globl	_ZN7rocprim17ROCPRIM_400000_NS6detail17trampoline_kernelINS0_14default_configENS1_25partition_config_selectorILNS1_17partition_subalgoE9EsjbEEZZNS1_14partition_implILS5_9ELb0ES3_jN6thrust23THRUST_200600_302600_NS6detail15normal_iteratorINS9_10device_ptrIsEEEENSB_INSC_IjEEEEPNS0_10empty_typeENS0_5tupleIJNS9_16discard_iteratorINS9_11use_defaultEEESH_EEENSJ_IJSG_SI_EEENS0_18inequality_wrapperINS9_8equal_toIsEEEEPmJSH_EEE10hipError_tPvRmT3_T4_T5_T6_T7_T9_mT8_P12ihipStream_tbDpT10_ENKUlT_T0_E_clISt17integral_constantIbLb0EES1C_IbLb1EEEEDaS18_S19_EUlS18_E_NS1_11comp_targetILNS1_3genE3ELNS1_11target_archE908ELNS1_3gpuE7ELNS1_3repE0EEENS1_30default_config_static_selectorELNS0_4arch9wavefront6targetE0EEEvT1_
	.p2align	8
	.type	_ZN7rocprim17ROCPRIM_400000_NS6detail17trampoline_kernelINS0_14default_configENS1_25partition_config_selectorILNS1_17partition_subalgoE9EsjbEEZZNS1_14partition_implILS5_9ELb0ES3_jN6thrust23THRUST_200600_302600_NS6detail15normal_iteratorINS9_10device_ptrIsEEEENSB_INSC_IjEEEEPNS0_10empty_typeENS0_5tupleIJNS9_16discard_iteratorINS9_11use_defaultEEESH_EEENSJ_IJSG_SI_EEENS0_18inequality_wrapperINS9_8equal_toIsEEEEPmJSH_EEE10hipError_tPvRmT3_T4_T5_T6_T7_T9_mT8_P12ihipStream_tbDpT10_ENKUlT_T0_E_clISt17integral_constantIbLb0EES1C_IbLb1EEEEDaS18_S19_EUlS18_E_NS1_11comp_targetILNS1_3genE3ELNS1_11target_archE908ELNS1_3gpuE7ELNS1_3repE0EEENS1_30default_config_static_selectorELNS0_4arch9wavefront6targetE0EEEvT1_,@function
_ZN7rocprim17ROCPRIM_400000_NS6detail17trampoline_kernelINS0_14default_configENS1_25partition_config_selectorILNS1_17partition_subalgoE9EsjbEEZZNS1_14partition_implILS5_9ELb0ES3_jN6thrust23THRUST_200600_302600_NS6detail15normal_iteratorINS9_10device_ptrIsEEEENSB_INSC_IjEEEEPNS0_10empty_typeENS0_5tupleIJNS9_16discard_iteratorINS9_11use_defaultEEESH_EEENSJ_IJSG_SI_EEENS0_18inequality_wrapperINS9_8equal_toIsEEEEPmJSH_EEE10hipError_tPvRmT3_T4_T5_T6_T7_T9_mT8_P12ihipStream_tbDpT10_ENKUlT_T0_E_clISt17integral_constantIbLb0EES1C_IbLb1EEEEDaS18_S19_EUlS18_E_NS1_11comp_targetILNS1_3genE3ELNS1_11target_archE908ELNS1_3gpuE7ELNS1_3repE0EEENS1_30default_config_static_selectorELNS0_4arch9wavefront6targetE0EEEvT1_: ; @_ZN7rocprim17ROCPRIM_400000_NS6detail17trampoline_kernelINS0_14default_configENS1_25partition_config_selectorILNS1_17partition_subalgoE9EsjbEEZZNS1_14partition_implILS5_9ELb0ES3_jN6thrust23THRUST_200600_302600_NS6detail15normal_iteratorINS9_10device_ptrIsEEEENSB_INSC_IjEEEEPNS0_10empty_typeENS0_5tupleIJNS9_16discard_iteratorINS9_11use_defaultEEESH_EEENSJ_IJSG_SI_EEENS0_18inequality_wrapperINS9_8equal_toIsEEEEPmJSH_EEE10hipError_tPvRmT3_T4_T5_T6_T7_T9_mT8_P12ihipStream_tbDpT10_ENKUlT_T0_E_clISt17integral_constantIbLb0EES1C_IbLb1EEEEDaS18_S19_EUlS18_E_NS1_11comp_targetILNS1_3genE3ELNS1_11target_archE908ELNS1_3gpuE7ELNS1_3repE0EEENS1_30default_config_static_selectorELNS0_4arch9wavefront6targetE0EEEvT1_
; %bb.0:
	.section	.rodata,"a",@progbits
	.p2align	6, 0x0
	.amdhsa_kernel _ZN7rocprim17ROCPRIM_400000_NS6detail17trampoline_kernelINS0_14default_configENS1_25partition_config_selectorILNS1_17partition_subalgoE9EsjbEEZZNS1_14partition_implILS5_9ELb0ES3_jN6thrust23THRUST_200600_302600_NS6detail15normal_iteratorINS9_10device_ptrIsEEEENSB_INSC_IjEEEEPNS0_10empty_typeENS0_5tupleIJNS9_16discard_iteratorINS9_11use_defaultEEESH_EEENSJ_IJSG_SI_EEENS0_18inequality_wrapperINS9_8equal_toIsEEEEPmJSH_EEE10hipError_tPvRmT3_T4_T5_T6_T7_T9_mT8_P12ihipStream_tbDpT10_ENKUlT_T0_E_clISt17integral_constantIbLb0EES1C_IbLb1EEEEDaS18_S19_EUlS18_E_NS1_11comp_targetILNS1_3genE3ELNS1_11target_archE908ELNS1_3gpuE7ELNS1_3repE0EEENS1_30default_config_static_selectorELNS0_4arch9wavefront6targetE0EEEvT1_
		.amdhsa_group_segment_fixed_size 0
		.amdhsa_private_segment_fixed_size 0
		.amdhsa_kernarg_size 136
		.amdhsa_user_sgpr_count 15
		.amdhsa_user_sgpr_dispatch_ptr 0
		.amdhsa_user_sgpr_queue_ptr 0
		.amdhsa_user_sgpr_kernarg_segment_ptr 1
		.amdhsa_user_sgpr_dispatch_id 0
		.amdhsa_user_sgpr_private_segment_size 0
		.amdhsa_wavefront_size32 1
		.amdhsa_uses_dynamic_stack 0
		.amdhsa_enable_private_segment 0
		.amdhsa_system_sgpr_workgroup_id_x 1
		.amdhsa_system_sgpr_workgroup_id_y 0
		.amdhsa_system_sgpr_workgroup_id_z 0
		.amdhsa_system_sgpr_workgroup_info 0
		.amdhsa_system_vgpr_workitem_id 0
		.amdhsa_next_free_vgpr 1
		.amdhsa_next_free_sgpr 1
		.amdhsa_reserve_vcc 0
		.amdhsa_float_round_mode_32 0
		.amdhsa_float_round_mode_16_64 0
		.amdhsa_float_denorm_mode_32 3
		.amdhsa_float_denorm_mode_16_64 3
		.amdhsa_dx10_clamp 1
		.amdhsa_ieee_mode 1
		.amdhsa_fp16_overflow 0
		.amdhsa_workgroup_processor_mode 1
		.amdhsa_memory_ordered 1
		.amdhsa_forward_progress 0
		.amdhsa_shared_vgpr_count 0
		.amdhsa_exception_fp_ieee_invalid_op 0
		.amdhsa_exception_fp_denorm_src 0
		.amdhsa_exception_fp_ieee_div_zero 0
		.amdhsa_exception_fp_ieee_overflow 0
		.amdhsa_exception_fp_ieee_underflow 0
		.amdhsa_exception_fp_ieee_inexact 0
		.amdhsa_exception_int_div_zero 0
	.end_amdhsa_kernel
	.section	.text._ZN7rocprim17ROCPRIM_400000_NS6detail17trampoline_kernelINS0_14default_configENS1_25partition_config_selectorILNS1_17partition_subalgoE9EsjbEEZZNS1_14partition_implILS5_9ELb0ES3_jN6thrust23THRUST_200600_302600_NS6detail15normal_iteratorINS9_10device_ptrIsEEEENSB_INSC_IjEEEEPNS0_10empty_typeENS0_5tupleIJNS9_16discard_iteratorINS9_11use_defaultEEESH_EEENSJ_IJSG_SI_EEENS0_18inequality_wrapperINS9_8equal_toIsEEEEPmJSH_EEE10hipError_tPvRmT3_T4_T5_T6_T7_T9_mT8_P12ihipStream_tbDpT10_ENKUlT_T0_E_clISt17integral_constantIbLb0EES1C_IbLb1EEEEDaS18_S19_EUlS18_E_NS1_11comp_targetILNS1_3genE3ELNS1_11target_archE908ELNS1_3gpuE7ELNS1_3repE0EEENS1_30default_config_static_selectorELNS0_4arch9wavefront6targetE0EEEvT1_,"axG",@progbits,_ZN7rocprim17ROCPRIM_400000_NS6detail17trampoline_kernelINS0_14default_configENS1_25partition_config_selectorILNS1_17partition_subalgoE9EsjbEEZZNS1_14partition_implILS5_9ELb0ES3_jN6thrust23THRUST_200600_302600_NS6detail15normal_iteratorINS9_10device_ptrIsEEEENSB_INSC_IjEEEEPNS0_10empty_typeENS0_5tupleIJNS9_16discard_iteratorINS9_11use_defaultEEESH_EEENSJ_IJSG_SI_EEENS0_18inequality_wrapperINS9_8equal_toIsEEEEPmJSH_EEE10hipError_tPvRmT3_T4_T5_T6_T7_T9_mT8_P12ihipStream_tbDpT10_ENKUlT_T0_E_clISt17integral_constantIbLb0EES1C_IbLb1EEEEDaS18_S19_EUlS18_E_NS1_11comp_targetILNS1_3genE3ELNS1_11target_archE908ELNS1_3gpuE7ELNS1_3repE0EEENS1_30default_config_static_selectorELNS0_4arch9wavefront6targetE0EEEvT1_,comdat
.Lfunc_end1264:
	.size	_ZN7rocprim17ROCPRIM_400000_NS6detail17trampoline_kernelINS0_14default_configENS1_25partition_config_selectorILNS1_17partition_subalgoE9EsjbEEZZNS1_14partition_implILS5_9ELb0ES3_jN6thrust23THRUST_200600_302600_NS6detail15normal_iteratorINS9_10device_ptrIsEEEENSB_INSC_IjEEEEPNS0_10empty_typeENS0_5tupleIJNS9_16discard_iteratorINS9_11use_defaultEEESH_EEENSJ_IJSG_SI_EEENS0_18inequality_wrapperINS9_8equal_toIsEEEEPmJSH_EEE10hipError_tPvRmT3_T4_T5_T6_T7_T9_mT8_P12ihipStream_tbDpT10_ENKUlT_T0_E_clISt17integral_constantIbLb0EES1C_IbLb1EEEEDaS18_S19_EUlS18_E_NS1_11comp_targetILNS1_3genE3ELNS1_11target_archE908ELNS1_3gpuE7ELNS1_3repE0EEENS1_30default_config_static_selectorELNS0_4arch9wavefront6targetE0EEEvT1_, .Lfunc_end1264-_ZN7rocprim17ROCPRIM_400000_NS6detail17trampoline_kernelINS0_14default_configENS1_25partition_config_selectorILNS1_17partition_subalgoE9EsjbEEZZNS1_14partition_implILS5_9ELb0ES3_jN6thrust23THRUST_200600_302600_NS6detail15normal_iteratorINS9_10device_ptrIsEEEENSB_INSC_IjEEEEPNS0_10empty_typeENS0_5tupleIJNS9_16discard_iteratorINS9_11use_defaultEEESH_EEENSJ_IJSG_SI_EEENS0_18inequality_wrapperINS9_8equal_toIsEEEEPmJSH_EEE10hipError_tPvRmT3_T4_T5_T6_T7_T9_mT8_P12ihipStream_tbDpT10_ENKUlT_T0_E_clISt17integral_constantIbLb0EES1C_IbLb1EEEEDaS18_S19_EUlS18_E_NS1_11comp_targetILNS1_3genE3ELNS1_11target_archE908ELNS1_3gpuE7ELNS1_3repE0EEENS1_30default_config_static_selectorELNS0_4arch9wavefront6targetE0EEEvT1_
                                        ; -- End function
	.section	.AMDGPU.csdata,"",@progbits
; Kernel info:
; codeLenInByte = 0
; NumSgprs: 0
; NumVgprs: 0
; ScratchSize: 0
; MemoryBound: 0
; FloatMode: 240
; IeeeMode: 1
; LDSByteSize: 0 bytes/workgroup (compile time only)
; SGPRBlocks: 0
; VGPRBlocks: 0
; NumSGPRsForWavesPerEU: 1
; NumVGPRsForWavesPerEU: 1
; Occupancy: 16
; WaveLimiterHint : 0
; COMPUTE_PGM_RSRC2:SCRATCH_EN: 0
; COMPUTE_PGM_RSRC2:USER_SGPR: 15
; COMPUTE_PGM_RSRC2:TRAP_HANDLER: 0
; COMPUTE_PGM_RSRC2:TGID_X_EN: 1
; COMPUTE_PGM_RSRC2:TGID_Y_EN: 0
; COMPUTE_PGM_RSRC2:TGID_Z_EN: 0
; COMPUTE_PGM_RSRC2:TIDIG_COMP_CNT: 0
	.section	.text._ZN7rocprim17ROCPRIM_400000_NS6detail17trampoline_kernelINS0_14default_configENS1_25partition_config_selectorILNS1_17partition_subalgoE9EsjbEEZZNS1_14partition_implILS5_9ELb0ES3_jN6thrust23THRUST_200600_302600_NS6detail15normal_iteratorINS9_10device_ptrIsEEEENSB_INSC_IjEEEEPNS0_10empty_typeENS0_5tupleIJNS9_16discard_iteratorINS9_11use_defaultEEESH_EEENSJ_IJSG_SI_EEENS0_18inequality_wrapperINS9_8equal_toIsEEEEPmJSH_EEE10hipError_tPvRmT3_T4_T5_T6_T7_T9_mT8_P12ihipStream_tbDpT10_ENKUlT_T0_E_clISt17integral_constantIbLb0EES1C_IbLb1EEEEDaS18_S19_EUlS18_E_NS1_11comp_targetILNS1_3genE2ELNS1_11target_archE906ELNS1_3gpuE6ELNS1_3repE0EEENS1_30default_config_static_selectorELNS0_4arch9wavefront6targetE0EEEvT1_,"axG",@progbits,_ZN7rocprim17ROCPRIM_400000_NS6detail17trampoline_kernelINS0_14default_configENS1_25partition_config_selectorILNS1_17partition_subalgoE9EsjbEEZZNS1_14partition_implILS5_9ELb0ES3_jN6thrust23THRUST_200600_302600_NS6detail15normal_iteratorINS9_10device_ptrIsEEEENSB_INSC_IjEEEEPNS0_10empty_typeENS0_5tupleIJNS9_16discard_iteratorINS9_11use_defaultEEESH_EEENSJ_IJSG_SI_EEENS0_18inequality_wrapperINS9_8equal_toIsEEEEPmJSH_EEE10hipError_tPvRmT3_T4_T5_T6_T7_T9_mT8_P12ihipStream_tbDpT10_ENKUlT_T0_E_clISt17integral_constantIbLb0EES1C_IbLb1EEEEDaS18_S19_EUlS18_E_NS1_11comp_targetILNS1_3genE2ELNS1_11target_archE906ELNS1_3gpuE6ELNS1_3repE0EEENS1_30default_config_static_selectorELNS0_4arch9wavefront6targetE0EEEvT1_,comdat
	.protected	_ZN7rocprim17ROCPRIM_400000_NS6detail17trampoline_kernelINS0_14default_configENS1_25partition_config_selectorILNS1_17partition_subalgoE9EsjbEEZZNS1_14partition_implILS5_9ELb0ES3_jN6thrust23THRUST_200600_302600_NS6detail15normal_iteratorINS9_10device_ptrIsEEEENSB_INSC_IjEEEEPNS0_10empty_typeENS0_5tupleIJNS9_16discard_iteratorINS9_11use_defaultEEESH_EEENSJ_IJSG_SI_EEENS0_18inequality_wrapperINS9_8equal_toIsEEEEPmJSH_EEE10hipError_tPvRmT3_T4_T5_T6_T7_T9_mT8_P12ihipStream_tbDpT10_ENKUlT_T0_E_clISt17integral_constantIbLb0EES1C_IbLb1EEEEDaS18_S19_EUlS18_E_NS1_11comp_targetILNS1_3genE2ELNS1_11target_archE906ELNS1_3gpuE6ELNS1_3repE0EEENS1_30default_config_static_selectorELNS0_4arch9wavefront6targetE0EEEvT1_ ; -- Begin function _ZN7rocprim17ROCPRIM_400000_NS6detail17trampoline_kernelINS0_14default_configENS1_25partition_config_selectorILNS1_17partition_subalgoE9EsjbEEZZNS1_14partition_implILS5_9ELb0ES3_jN6thrust23THRUST_200600_302600_NS6detail15normal_iteratorINS9_10device_ptrIsEEEENSB_INSC_IjEEEEPNS0_10empty_typeENS0_5tupleIJNS9_16discard_iteratorINS9_11use_defaultEEESH_EEENSJ_IJSG_SI_EEENS0_18inequality_wrapperINS9_8equal_toIsEEEEPmJSH_EEE10hipError_tPvRmT3_T4_T5_T6_T7_T9_mT8_P12ihipStream_tbDpT10_ENKUlT_T0_E_clISt17integral_constantIbLb0EES1C_IbLb1EEEEDaS18_S19_EUlS18_E_NS1_11comp_targetILNS1_3genE2ELNS1_11target_archE906ELNS1_3gpuE6ELNS1_3repE0EEENS1_30default_config_static_selectorELNS0_4arch9wavefront6targetE0EEEvT1_
	.globl	_ZN7rocprim17ROCPRIM_400000_NS6detail17trampoline_kernelINS0_14default_configENS1_25partition_config_selectorILNS1_17partition_subalgoE9EsjbEEZZNS1_14partition_implILS5_9ELb0ES3_jN6thrust23THRUST_200600_302600_NS6detail15normal_iteratorINS9_10device_ptrIsEEEENSB_INSC_IjEEEEPNS0_10empty_typeENS0_5tupleIJNS9_16discard_iteratorINS9_11use_defaultEEESH_EEENSJ_IJSG_SI_EEENS0_18inequality_wrapperINS9_8equal_toIsEEEEPmJSH_EEE10hipError_tPvRmT3_T4_T5_T6_T7_T9_mT8_P12ihipStream_tbDpT10_ENKUlT_T0_E_clISt17integral_constantIbLb0EES1C_IbLb1EEEEDaS18_S19_EUlS18_E_NS1_11comp_targetILNS1_3genE2ELNS1_11target_archE906ELNS1_3gpuE6ELNS1_3repE0EEENS1_30default_config_static_selectorELNS0_4arch9wavefront6targetE0EEEvT1_
	.p2align	8
	.type	_ZN7rocprim17ROCPRIM_400000_NS6detail17trampoline_kernelINS0_14default_configENS1_25partition_config_selectorILNS1_17partition_subalgoE9EsjbEEZZNS1_14partition_implILS5_9ELb0ES3_jN6thrust23THRUST_200600_302600_NS6detail15normal_iteratorINS9_10device_ptrIsEEEENSB_INSC_IjEEEEPNS0_10empty_typeENS0_5tupleIJNS9_16discard_iteratorINS9_11use_defaultEEESH_EEENSJ_IJSG_SI_EEENS0_18inequality_wrapperINS9_8equal_toIsEEEEPmJSH_EEE10hipError_tPvRmT3_T4_T5_T6_T7_T9_mT8_P12ihipStream_tbDpT10_ENKUlT_T0_E_clISt17integral_constantIbLb0EES1C_IbLb1EEEEDaS18_S19_EUlS18_E_NS1_11comp_targetILNS1_3genE2ELNS1_11target_archE906ELNS1_3gpuE6ELNS1_3repE0EEENS1_30default_config_static_selectorELNS0_4arch9wavefront6targetE0EEEvT1_,@function
_ZN7rocprim17ROCPRIM_400000_NS6detail17trampoline_kernelINS0_14default_configENS1_25partition_config_selectorILNS1_17partition_subalgoE9EsjbEEZZNS1_14partition_implILS5_9ELb0ES3_jN6thrust23THRUST_200600_302600_NS6detail15normal_iteratorINS9_10device_ptrIsEEEENSB_INSC_IjEEEEPNS0_10empty_typeENS0_5tupleIJNS9_16discard_iteratorINS9_11use_defaultEEESH_EEENSJ_IJSG_SI_EEENS0_18inequality_wrapperINS9_8equal_toIsEEEEPmJSH_EEE10hipError_tPvRmT3_T4_T5_T6_T7_T9_mT8_P12ihipStream_tbDpT10_ENKUlT_T0_E_clISt17integral_constantIbLb0EES1C_IbLb1EEEEDaS18_S19_EUlS18_E_NS1_11comp_targetILNS1_3genE2ELNS1_11target_archE906ELNS1_3gpuE6ELNS1_3repE0EEENS1_30default_config_static_selectorELNS0_4arch9wavefront6targetE0EEEvT1_: ; @_ZN7rocprim17ROCPRIM_400000_NS6detail17trampoline_kernelINS0_14default_configENS1_25partition_config_selectorILNS1_17partition_subalgoE9EsjbEEZZNS1_14partition_implILS5_9ELb0ES3_jN6thrust23THRUST_200600_302600_NS6detail15normal_iteratorINS9_10device_ptrIsEEEENSB_INSC_IjEEEEPNS0_10empty_typeENS0_5tupleIJNS9_16discard_iteratorINS9_11use_defaultEEESH_EEENSJ_IJSG_SI_EEENS0_18inequality_wrapperINS9_8equal_toIsEEEEPmJSH_EEE10hipError_tPvRmT3_T4_T5_T6_T7_T9_mT8_P12ihipStream_tbDpT10_ENKUlT_T0_E_clISt17integral_constantIbLb0EES1C_IbLb1EEEEDaS18_S19_EUlS18_E_NS1_11comp_targetILNS1_3genE2ELNS1_11target_archE906ELNS1_3gpuE6ELNS1_3repE0EEENS1_30default_config_static_selectorELNS0_4arch9wavefront6targetE0EEEvT1_
; %bb.0:
	.section	.rodata,"a",@progbits
	.p2align	6, 0x0
	.amdhsa_kernel _ZN7rocprim17ROCPRIM_400000_NS6detail17trampoline_kernelINS0_14default_configENS1_25partition_config_selectorILNS1_17partition_subalgoE9EsjbEEZZNS1_14partition_implILS5_9ELb0ES3_jN6thrust23THRUST_200600_302600_NS6detail15normal_iteratorINS9_10device_ptrIsEEEENSB_INSC_IjEEEEPNS0_10empty_typeENS0_5tupleIJNS9_16discard_iteratorINS9_11use_defaultEEESH_EEENSJ_IJSG_SI_EEENS0_18inequality_wrapperINS9_8equal_toIsEEEEPmJSH_EEE10hipError_tPvRmT3_T4_T5_T6_T7_T9_mT8_P12ihipStream_tbDpT10_ENKUlT_T0_E_clISt17integral_constantIbLb0EES1C_IbLb1EEEEDaS18_S19_EUlS18_E_NS1_11comp_targetILNS1_3genE2ELNS1_11target_archE906ELNS1_3gpuE6ELNS1_3repE0EEENS1_30default_config_static_selectorELNS0_4arch9wavefront6targetE0EEEvT1_
		.amdhsa_group_segment_fixed_size 0
		.amdhsa_private_segment_fixed_size 0
		.amdhsa_kernarg_size 136
		.amdhsa_user_sgpr_count 15
		.amdhsa_user_sgpr_dispatch_ptr 0
		.amdhsa_user_sgpr_queue_ptr 0
		.amdhsa_user_sgpr_kernarg_segment_ptr 1
		.amdhsa_user_sgpr_dispatch_id 0
		.amdhsa_user_sgpr_private_segment_size 0
		.amdhsa_wavefront_size32 1
		.amdhsa_uses_dynamic_stack 0
		.amdhsa_enable_private_segment 0
		.amdhsa_system_sgpr_workgroup_id_x 1
		.amdhsa_system_sgpr_workgroup_id_y 0
		.amdhsa_system_sgpr_workgroup_id_z 0
		.amdhsa_system_sgpr_workgroup_info 0
		.amdhsa_system_vgpr_workitem_id 0
		.amdhsa_next_free_vgpr 1
		.amdhsa_next_free_sgpr 1
		.amdhsa_reserve_vcc 0
		.amdhsa_float_round_mode_32 0
		.amdhsa_float_round_mode_16_64 0
		.amdhsa_float_denorm_mode_32 3
		.amdhsa_float_denorm_mode_16_64 3
		.amdhsa_dx10_clamp 1
		.amdhsa_ieee_mode 1
		.amdhsa_fp16_overflow 0
		.amdhsa_workgroup_processor_mode 1
		.amdhsa_memory_ordered 1
		.amdhsa_forward_progress 0
		.amdhsa_shared_vgpr_count 0
		.amdhsa_exception_fp_ieee_invalid_op 0
		.amdhsa_exception_fp_denorm_src 0
		.amdhsa_exception_fp_ieee_div_zero 0
		.amdhsa_exception_fp_ieee_overflow 0
		.amdhsa_exception_fp_ieee_underflow 0
		.amdhsa_exception_fp_ieee_inexact 0
		.amdhsa_exception_int_div_zero 0
	.end_amdhsa_kernel
	.section	.text._ZN7rocprim17ROCPRIM_400000_NS6detail17trampoline_kernelINS0_14default_configENS1_25partition_config_selectorILNS1_17partition_subalgoE9EsjbEEZZNS1_14partition_implILS5_9ELb0ES3_jN6thrust23THRUST_200600_302600_NS6detail15normal_iteratorINS9_10device_ptrIsEEEENSB_INSC_IjEEEEPNS0_10empty_typeENS0_5tupleIJNS9_16discard_iteratorINS9_11use_defaultEEESH_EEENSJ_IJSG_SI_EEENS0_18inequality_wrapperINS9_8equal_toIsEEEEPmJSH_EEE10hipError_tPvRmT3_T4_T5_T6_T7_T9_mT8_P12ihipStream_tbDpT10_ENKUlT_T0_E_clISt17integral_constantIbLb0EES1C_IbLb1EEEEDaS18_S19_EUlS18_E_NS1_11comp_targetILNS1_3genE2ELNS1_11target_archE906ELNS1_3gpuE6ELNS1_3repE0EEENS1_30default_config_static_selectorELNS0_4arch9wavefront6targetE0EEEvT1_,"axG",@progbits,_ZN7rocprim17ROCPRIM_400000_NS6detail17trampoline_kernelINS0_14default_configENS1_25partition_config_selectorILNS1_17partition_subalgoE9EsjbEEZZNS1_14partition_implILS5_9ELb0ES3_jN6thrust23THRUST_200600_302600_NS6detail15normal_iteratorINS9_10device_ptrIsEEEENSB_INSC_IjEEEEPNS0_10empty_typeENS0_5tupleIJNS9_16discard_iteratorINS9_11use_defaultEEESH_EEENSJ_IJSG_SI_EEENS0_18inequality_wrapperINS9_8equal_toIsEEEEPmJSH_EEE10hipError_tPvRmT3_T4_T5_T6_T7_T9_mT8_P12ihipStream_tbDpT10_ENKUlT_T0_E_clISt17integral_constantIbLb0EES1C_IbLb1EEEEDaS18_S19_EUlS18_E_NS1_11comp_targetILNS1_3genE2ELNS1_11target_archE906ELNS1_3gpuE6ELNS1_3repE0EEENS1_30default_config_static_selectorELNS0_4arch9wavefront6targetE0EEEvT1_,comdat
.Lfunc_end1265:
	.size	_ZN7rocprim17ROCPRIM_400000_NS6detail17trampoline_kernelINS0_14default_configENS1_25partition_config_selectorILNS1_17partition_subalgoE9EsjbEEZZNS1_14partition_implILS5_9ELb0ES3_jN6thrust23THRUST_200600_302600_NS6detail15normal_iteratorINS9_10device_ptrIsEEEENSB_INSC_IjEEEEPNS0_10empty_typeENS0_5tupleIJNS9_16discard_iteratorINS9_11use_defaultEEESH_EEENSJ_IJSG_SI_EEENS0_18inequality_wrapperINS9_8equal_toIsEEEEPmJSH_EEE10hipError_tPvRmT3_T4_T5_T6_T7_T9_mT8_P12ihipStream_tbDpT10_ENKUlT_T0_E_clISt17integral_constantIbLb0EES1C_IbLb1EEEEDaS18_S19_EUlS18_E_NS1_11comp_targetILNS1_3genE2ELNS1_11target_archE906ELNS1_3gpuE6ELNS1_3repE0EEENS1_30default_config_static_selectorELNS0_4arch9wavefront6targetE0EEEvT1_, .Lfunc_end1265-_ZN7rocprim17ROCPRIM_400000_NS6detail17trampoline_kernelINS0_14default_configENS1_25partition_config_selectorILNS1_17partition_subalgoE9EsjbEEZZNS1_14partition_implILS5_9ELb0ES3_jN6thrust23THRUST_200600_302600_NS6detail15normal_iteratorINS9_10device_ptrIsEEEENSB_INSC_IjEEEEPNS0_10empty_typeENS0_5tupleIJNS9_16discard_iteratorINS9_11use_defaultEEESH_EEENSJ_IJSG_SI_EEENS0_18inequality_wrapperINS9_8equal_toIsEEEEPmJSH_EEE10hipError_tPvRmT3_T4_T5_T6_T7_T9_mT8_P12ihipStream_tbDpT10_ENKUlT_T0_E_clISt17integral_constantIbLb0EES1C_IbLb1EEEEDaS18_S19_EUlS18_E_NS1_11comp_targetILNS1_3genE2ELNS1_11target_archE906ELNS1_3gpuE6ELNS1_3repE0EEENS1_30default_config_static_selectorELNS0_4arch9wavefront6targetE0EEEvT1_
                                        ; -- End function
	.section	.AMDGPU.csdata,"",@progbits
; Kernel info:
; codeLenInByte = 0
; NumSgprs: 0
; NumVgprs: 0
; ScratchSize: 0
; MemoryBound: 0
; FloatMode: 240
; IeeeMode: 1
; LDSByteSize: 0 bytes/workgroup (compile time only)
; SGPRBlocks: 0
; VGPRBlocks: 0
; NumSGPRsForWavesPerEU: 1
; NumVGPRsForWavesPerEU: 1
; Occupancy: 16
; WaveLimiterHint : 0
; COMPUTE_PGM_RSRC2:SCRATCH_EN: 0
; COMPUTE_PGM_RSRC2:USER_SGPR: 15
; COMPUTE_PGM_RSRC2:TRAP_HANDLER: 0
; COMPUTE_PGM_RSRC2:TGID_X_EN: 1
; COMPUTE_PGM_RSRC2:TGID_Y_EN: 0
; COMPUTE_PGM_RSRC2:TGID_Z_EN: 0
; COMPUTE_PGM_RSRC2:TIDIG_COMP_CNT: 0
	.section	.text._ZN7rocprim17ROCPRIM_400000_NS6detail17trampoline_kernelINS0_14default_configENS1_25partition_config_selectorILNS1_17partition_subalgoE9EsjbEEZZNS1_14partition_implILS5_9ELb0ES3_jN6thrust23THRUST_200600_302600_NS6detail15normal_iteratorINS9_10device_ptrIsEEEENSB_INSC_IjEEEEPNS0_10empty_typeENS0_5tupleIJNS9_16discard_iteratorINS9_11use_defaultEEESH_EEENSJ_IJSG_SI_EEENS0_18inequality_wrapperINS9_8equal_toIsEEEEPmJSH_EEE10hipError_tPvRmT3_T4_T5_T6_T7_T9_mT8_P12ihipStream_tbDpT10_ENKUlT_T0_E_clISt17integral_constantIbLb0EES1C_IbLb1EEEEDaS18_S19_EUlS18_E_NS1_11comp_targetILNS1_3genE10ELNS1_11target_archE1200ELNS1_3gpuE4ELNS1_3repE0EEENS1_30default_config_static_selectorELNS0_4arch9wavefront6targetE0EEEvT1_,"axG",@progbits,_ZN7rocprim17ROCPRIM_400000_NS6detail17trampoline_kernelINS0_14default_configENS1_25partition_config_selectorILNS1_17partition_subalgoE9EsjbEEZZNS1_14partition_implILS5_9ELb0ES3_jN6thrust23THRUST_200600_302600_NS6detail15normal_iteratorINS9_10device_ptrIsEEEENSB_INSC_IjEEEEPNS0_10empty_typeENS0_5tupleIJNS9_16discard_iteratorINS9_11use_defaultEEESH_EEENSJ_IJSG_SI_EEENS0_18inequality_wrapperINS9_8equal_toIsEEEEPmJSH_EEE10hipError_tPvRmT3_T4_T5_T6_T7_T9_mT8_P12ihipStream_tbDpT10_ENKUlT_T0_E_clISt17integral_constantIbLb0EES1C_IbLb1EEEEDaS18_S19_EUlS18_E_NS1_11comp_targetILNS1_3genE10ELNS1_11target_archE1200ELNS1_3gpuE4ELNS1_3repE0EEENS1_30default_config_static_selectorELNS0_4arch9wavefront6targetE0EEEvT1_,comdat
	.protected	_ZN7rocprim17ROCPRIM_400000_NS6detail17trampoline_kernelINS0_14default_configENS1_25partition_config_selectorILNS1_17partition_subalgoE9EsjbEEZZNS1_14partition_implILS5_9ELb0ES3_jN6thrust23THRUST_200600_302600_NS6detail15normal_iteratorINS9_10device_ptrIsEEEENSB_INSC_IjEEEEPNS0_10empty_typeENS0_5tupleIJNS9_16discard_iteratorINS9_11use_defaultEEESH_EEENSJ_IJSG_SI_EEENS0_18inequality_wrapperINS9_8equal_toIsEEEEPmJSH_EEE10hipError_tPvRmT3_T4_T5_T6_T7_T9_mT8_P12ihipStream_tbDpT10_ENKUlT_T0_E_clISt17integral_constantIbLb0EES1C_IbLb1EEEEDaS18_S19_EUlS18_E_NS1_11comp_targetILNS1_3genE10ELNS1_11target_archE1200ELNS1_3gpuE4ELNS1_3repE0EEENS1_30default_config_static_selectorELNS0_4arch9wavefront6targetE0EEEvT1_ ; -- Begin function _ZN7rocprim17ROCPRIM_400000_NS6detail17trampoline_kernelINS0_14default_configENS1_25partition_config_selectorILNS1_17partition_subalgoE9EsjbEEZZNS1_14partition_implILS5_9ELb0ES3_jN6thrust23THRUST_200600_302600_NS6detail15normal_iteratorINS9_10device_ptrIsEEEENSB_INSC_IjEEEEPNS0_10empty_typeENS0_5tupleIJNS9_16discard_iteratorINS9_11use_defaultEEESH_EEENSJ_IJSG_SI_EEENS0_18inequality_wrapperINS9_8equal_toIsEEEEPmJSH_EEE10hipError_tPvRmT3_T4_T5_T6_T7_T9_mT8_P12ihipStream_tbDpT10_ENKUlT_T0_E_clISt17integral_constantIbLb0EES1C_IbLb1EEEEDaS18_S19_EUlS18_E_NS1_11comp_targetILNS1_3genE10ELNS1_11target_archE1200ELNS1_3gpuE4ELNS1_3repE0EEENS1_30default_config_static_selectorELNS0_4arch9wavefront6targetE0EEEvT1_
	.globl	_ZN7rocprim17ROCPRIM_400000_NS6detail17trampoline_kernelINS0_14default_configENS1_25partition_config_selectorILNS1_17partition_subalgoE9EsjbEEZZNS1_14partition_implILS5_9ELb0ES3_jN6thrust23THRUST_200600_302600_NS6detail15normal_iteratorINS9_10device_ptrIsEEEENSB_INSC_IjEEEEPNS0_10empty_typeENS0_5tupleIJNS9_16discard_iteratorINS9_11use_defaultEEESH_EEENSJ_IJSG_SI_EEENS0_18inequality_wrapperINS9_8equal_toIsEEEEPmJSH_EEE10hipError_tPvRmT3_T4_T5_T6_T7_T9_mT8_P12ihipStream_tbDpT10_ENKUlT_T0_E_clISt17integral_constantIbLb0EES1C_IbLb1EEEEDaS18_S19_EUlS18_E_NS1_11comp_targetILNS1_3genE10ELNS1_11target_archE1200ELNS1_3gpuE4ELNS1_3repE0EEENS1_30default_config_static_selectorELNS0_4arch9wavefront6targetE0EEEvT1_
	.p2align	8
	.type	_ZN7rocprim17ROCPRIM_400000_NS6detail17trampoline_kernelINS0_14default_configENS1_25partition_config_selectorILNS1_17partition_subalgoE9EsjbEEZZNS1_14partition_implILS5_9ELb0ES3_jN6thrust23THRUST_200600_302600_NS6detail15normal_iteratorINS9_10device_ptrIsEEEENSB_INSC_IjEEEEPNS0_10empty_typeENS0_5tupleIJNS9_16discard_iteratorINS9_11use_defaultEEESH_EEENSJ_IJSG_SI_EEENS0_18inequality_wrapperINS9_8equal_toIsEEEEPmJSH_EEE10hipError_tPvRmT3_T4_T5_T6_T7_T9_mT8_P12ihipStream_tbDpT10_ENKUlT_T0_E_clISt17integral_constantIbLb0EES1C_IbLb1EEEEDaS18_S19_EUlS18_E_NS1_11comp_targetILNS1_3genE10ELNS1_11target_archE1200ELNS1_3gpuE4ELNS1_3repE0EEENS1_30default_config_static_selectorELNS0_4arch9wavefront6targetE0EEEvT1_,@function
_ZN7rocprim17ROCPRIM_400000_NS6detail17trampoline_kernelINS0_14default_configENS1_25partition_config_selectorILNS1_17partition_subalgoE9EsjbEEZZNS1_14partition_implILS5_9ELb0ES3_jN6thrust23THRUST_200600_302600_NS6detail15normal_iteratorINS9_10device_ptrIsEEEENSB_INSC_IjEEEEPNS0_10empty_typeENS0_5tupleIJNS9_16discard_iteratorINS9_11use_defaultEEESH_EEENSJ_IJSG_SI_EEENS0_18inequality_wrapperINS9_8equal_toIsEEEEPmJSH_EEE10hipError_tPvRmT3_T4_T5_T6_T7_T9_mT8_P12ihipStream_tbDpT10_ENKUlT_T0_E_clISt17integral_constantIbLb0EES1C_IbLb1EEEEDaS18_S19_EUlS18_E_NS1_11comp_targetILNS1_3genE10ELNS1_11target_archE1200ELNS1_3gpuE4ELNS1_3repE0EEENS1_30default_config_static_selectorELNS0_4arch9wavefront6targetE0EEEvT1_: ; @_ZN7rocprim17ROCPRIM_400000_NS6detail17trampoline_kernelINS0_14default_configENS1_25partition_config_selectorILNS1_17partition_subalgoE9EsjbEEZZNS1_14partition_implILS5_9ELb0ES3_jN6thrust23THRUST_200600_302600_NS6detail15normal_iteratorINS9_10device_ptrIsEEEENSB_INSC_IjEEEEPNS0_10empty_typeENS0_5tupleIJNS9_16discard_iteratorINS9_11use_defaultEEESH_EEENSJ_IJSG_SI_EEENS0_18inequality_wrapperINS9_8equal_toIsEEEEPmJSH_EEE10hipError_tPvRmT3_T4_T5_T6_T7_T9_mT8_P12ihipStream_tbDpT10_ENKUlT_T0_E_clISt17integral_constantIbLb0EES1C_IbLb1EEEEDaS18_S19_EUlS18_E_NS1_11comp_targetILNS1_3genE10ELNS1_11target_archE1200ELNS1_3gpuE4ELNS1_3repE0EEENS1_30default_config_static_selectorELNS0_4arch9wavefront6targetE0EEEvT1_
; %bb.0:
	.section	.rodata,"a",@progbits
	.p2align	6, 0x0
	.amdhsa_kernel _ZN7rocprim17ROCPRIM_400000_NS6detail17trampoline_kernelINS0_14default_configENS1_25partition_config_selectorILNS1_17partition_subalgoE9EsjbEEZZNS1_14partition_implILS5_9ELb0ES3_jN6thrust23THRUST_200600_302600_NS6detail15normal_iteratorINS9_10device_ptrIsEEEENSB_INSC_IjEEEEPNS0_10empty_typeENS0_5tupleIJNS9_16discard_iteratorINS9_11use_defaultEEESH_EEENSJ_IJSG_SI_EEENS0_18inequality_wrapperINS9_8equal_toIsEEEEPmJSH_EEE10hipError_tPvRmT3_T4_T5_T6_T7_T9_mT8_P12ihipStream_tbDpT10_ENKUlT_T0_E_clISt17integral_constantIbLb0EES1C_IbLb1EEEEDaS18_S19_EUlS18_E_NS1_11comp_targetILNS1_3genE10ELNS1_11target_archE1200ELNS1_3gpuE4ELNS1_3repE0EEENS1_30default_config_static_selectorELNS0_4arch9wavefront6targetE0EEEvT1_
		.amdhsa_group_segment_fixed_size 0
		.amdhsa_private_segment_fixed_size 0
		.amdhsa_kernarg_size 136
		.amdhsa_user_sgpr_count 15
		.amdhsa_user_sgpr_dispatch_ptr 0
		.amdhsa_user_sgpr_queue_ptr 0
		.amdhsa_user_sgpr_kernarg_segment_ptr 1
		.amdhsa_user_sgpr_dispatch_id 0
		.amdhsa_user_sgpr_private_segment_size 0
		.amdhsa_wavefront_size32 1
		.amdhsa_uses_dynamic_stack 0
		.amdhsa_enable_private_segment 0
		.amdhsa_system_sgpr_workgroup_id_x 1
		.amdhsa_system_sgpr_workgroup_id_y 0
		.amdhsa_system_sgpr_workgroup_id_z 0
		.amdhsa_system_sgpr_workgroup_info 0
		.amdhsa_system_vgpr_workitem_id 0
		.amdhsa_next_free_vgpr 1
		.amdhsa_next_free_sgpr 1
		.amdhsa_reserve_vcc 0
		.amdhsa_float_round_mode_32 0
		.amdhsa_float_round_mode_16_64 0
		.amdhsa_float_denorm_mode_32 3
		.amdhsa_float_denorm_mode_16_64 3
		.amdhsa_dx10_clamp 1
		.amdhsa_ieee_mode 1
		.amdhsa_fp16_overflow 0
		.amdhsa_workgroup_processor_mode 1
		.amdhsa_memory_ordered 1
		.amdhsa_forward_progress 0
		.amdhsa_shared_vgpr_count 0
		.amdhsa_exception_fp_ieee_invalid_op 0
		.amdhsa_exception_fp_denorm_src 0
		.amdhsa_exception_fp_ieee_div_zero 0
		.amdhsa_exception_fp_ieee_overflow 0
		.amdhsa_exception_fp_ieee_underflow 0
		.amdhsa_exception_fp_ieee_inexact 0
		.amdhsa_exception_int_div_zero 0
	.end_amdhsa_kernel
	.section	.text._ZN7rocprim17ROCPRIM_400000_NS6detail17trampoline_kernelINS0_14default_configENS1_25partition_config_selectorILNS1_17partition_subalgoE9EsjbEEZZNS1_14partition_implILS5_9ELb0ES3_jN6thrust23THRUST_200600_302600_NS6detail15normal_iteratorINS9_10device_ptrIsEEEENSB_INSC_IjEEEEPNS0_10empty_typeENS0_5tupleIJNS9_16discard_iteratorINS9_11use_defaultEEESH_EEENSJ_IJSG_SI_EEENS0_18inequality_wrapperINS9_8equal_toIsEEEEPmJSH_EEE10hipError_tPvRmT3_T4_T5_T6_T7_T9_mT8_P12ihipStream_tbDpT10_ENKUlT_T0_E_clISt17integral_constantIbLb0EES1C_IbLb1EEEEDaS18_S19_EUlS18_E_NS1_11comp_targetILNS1_3genE10ELNS1_11target_archE1200ELNS1_3gpuE4ELNS1_3repE0EEENS1_30default_config_static_selectorELNS0_4arch9wavefront6targetE0EEEvT1_,"axG",@progbits,_ZN7rocprim17ROCPRIM_400000_NS6detail17trampoline_kernelINS0_14default_configENS1_25partition_config_selectorILNS1_17partition_subalgoE9EsjbEEZZNS1_14partition_implILS5_9ELb0ES3_jN6thrust23THRUST_200600_302600_NS6detail15normal_iteratorINS9_10device_ptrIsEEEENSB_INSC_IjEEEEPNS0_10empty_typeENS0_5tupleIJNS9_16discard_iteratorINS9_11use_defaultEEESH_EEENSJ_IJSG_SI_EEENS0_18inequality_wrapperINS9_8equal_toIsEEEEPmJSH_EEE10hipError_tPvRmT3_T4_T5_T6_T7_T9_mT8_P12ihipStream_tbDpT10_ENKUlT_T0_E_clISt17integral_constantIbLb0EES1C_IbLb1EEEEDaS18_S19_EUlS18_E_NS1_11comp_targetILNS1_3genE10ELNS1_11target_archE1200ELNS1_3gpuE4ELNS1_3repE0EEENS1_30default_config_static_selectorELNS0_4arch9wavefront6targetE0EEEvT1_,comdat
.Lfunc_end1266:
	.size	_ZN7rocprim17ROCPRIM_400000_NS6detail17trampoline_kernelINS0_14default_configENS1_25partition_config_selectorILNS1_17partition_subalgoE9EsjbEEZZNS1_14partition_implILS5_9ELb0ES3_jN6thrust23THRUST_200600_302600_NS6detail15normal_iteratorINS9_10device_ptrIsEEEENSB_INSC_IjEEEEPNS0_10empty_typeENS0_5tupleIJNS9_16discard_iteratorINS9_11use_defaultEEESH_EEENSJ_IJSG_SI_EEENS0_18inequality_wrapperINS9_8equal_toIsEEEEPmJSH_EEE10hipError_tPvRmT3_T4_T5_T6_T7_T9_mT8_P12ihipStream_tbDpT10_ENKUlT_T0_E_clISt17integral_constantIbLb0EES1C_IbLb1EEEEDaS18_S19_EUlS18_E_NS1_11comp_targetILNS1_3genE10ELNS1_11target_archE1200ELNS1_3gpuE4ELNS1_3repE0EEENS1_30default_config_static_selectorELNS0_4arch9wavefront6targetE0EEEvT1_, .Lfunc_end1266-_ZN7rocprim17ROCPRIM_400000_NS6detail17trampoline_kernelINS0_14default_configENS1_25partition_config_selectorILNS1_17partition_subalgoE9EsjbEEZZNS1_14partition_implILS5_9ELb0ES3_jN6thrust23THRUST_200600_302600_NS6detail15normal_iteratorINS9_10device_ptrIsEEEENSB_INSC_IjEEEEPNS0_10empty_typeENS0_5tupleIJNS9_16discard_iteratorINS9_11use_defaultEEESH_EEENSJ_IJSG_SI_EEENS0_18inequality_wrapperINS9_8equal_toIsEEEEPmJSH_EEE10hipError_tPvRmT3_T4_T5_T6_T7_T9_mT8_P12ihipStream_tbDpT10_ENKUlT_T0_E_clISt17integral_constantIbLb0EES1C_IbLb1EEEEDaS18_S19_EUlS18_E_NS1_11comp_targetILNS1_3genE10ELNS1_11target_archE1200ELNS1_3gpuE4ELNS1_3repE0EEENS1_30default_config_static_selectorELNS0_4arch9wavefront6targetE0EEEvT1_
                                        ; -- End function
	.section	.AMDGPU.csdata,"",@progbits
; Kernel info:
; codeLenInByte = 0
; NumSgprs: 0
; NumVgprs: 0
; ScratchSize: 0
; MemoryBound: 0
; FloatMode: 240
; IeeeMode: 1
; LDSByteSize: 0 bytes/workgroup (compile time only)
; SGPRBlocks: 0
; VGPRBlocks: 0
; NumSGPRsForWavesPerEU: 1
; NumVGPRsForWavesPerEU: 1
; Occupancy: 16
; WaveLimiterHint : 0
; COMPUTE_PGM_RSRC2:SCRATCH_EN: 0
; COMPUTE_PGM_RSRC2:USER_SGPR: 15
; COMPUTE_PGM_RSRC2:TRAP_HANDLER: 0
; COMPUTE_PGM_RSRC2:TGID_X_EN: 1
; COMPUTE_PGM_RSRC2:TGID_Y_EN: 0
; COMPUTE_PGM_RSRC2:TGID_Z_EN: 0
; COMPUTE_PGM_RSRC2:TIDIG_COMP_CNT: 0
	.section	.text._ZN7rocprim17ROCPRIM_400000_NS6detail17trampoline_kernelINS0_14default_configENS1_25partition_config_selectorILNS1_17partition_subalgoE9EsjbEEZZNS1_14partition_implILS5_9ELb0ES3_jN6thrust23THRUST_200600_302600_NS6detail15normal_iteratorINS9_10device_ptrIsEEEENSB_INSC_IjEEEEPNS0_10empty_typeENS0_5tupleIJNS9_16discard_iteratorINS9_11use_defaultEEESH_EEENSJ_IJSG_SI_EEENS0_18inequality_wrapperINS9_8equal_toIsEEEEPmJSH_EEE10hipError_tPvRmT3_T4_T5_T6_T7_T9_mT8_P12ihipStream_tbDpT10_ENKUlT_T0_E_clISt17integral_constantIbLb0EES1C_IbLb1EEEEDaS18_S19_EUlS18_E_NS1_11comp_targetILNS1_3genE9ELNS1_11target_archE1100ELNS1_3gpuE3ELNS1_3repE0EEENS1_30default_config_static_selectorELNS0_4arch9wavefront6targetE0EEEvT1_,"axG",@progbits,_ZN7rocprim17ROCPRIM_400000_NS6detail17trampoline_kernelINS0_14default_configENS1_25partition_config_selectorILNS1_17partition_subalgoE9EsjbEEZZNS1_14partition_implILS5_9ELb0ES3_jN6thrust23THRUST_200600_302600_NS6detail15normal_iteratorINS9_10device_ptrIsEEEENSB_INSC_IjEEEEPNS0_10empty_typeENS0_5tupleIJNS9_16discard_iteratorINS9_11use_defaultEEESH_EEENSJ_IJSG_SI_EEENS0_18inequality_wrapperINS9_8equal_toIsEEEEPmJSH_EEE10hipError_tPvRmT3_T4_T5_T6_T7_T9_mT8_P12ihipStream_tbDpT10_ENKUlT_T0_E_clISt17integral_constantIbLb0EES1C_IbLb1EEEEDaS18_S19_EUlS18_E_NS1_11comp_targetILNS1_3genE9ELNS1_11target_archE1100ELNS1_3gpuE3ELNS1_3repE0EEENS1_30default_config_static_selectorELNS0_4arch9wavefront6targetE0EEEvT1_,comdat
	.protected	_ZN7rocprim17ROCPRIM_400000_NS6detail17trampoline_kernelINS0_14default_configENS1_25partition_config_selectorILNS1_17partition_subalgoE9EsjbEEZZNS1_14partition_implILS5_9ELb0ES3_jN6thrust23THRUST_200600_302600_NS6detail15normal_iteratorINS9_10device_ptrIsEEEENSB_INSC_IjEEEEPNS0_10empty_typeENS0_5tupleIJNS9_16discard_iteratorINS9_11use_defaultEEESH_EEENSJ_IJSG_SI_EEENS0_18inequality_wrapperINS9_8equal_toIsEEEEPmJSH_EEE10hipError_tPvRmT3_T4_T5_T6_T7_T9_mT8_P12ihipStream_tbDpT10_ENKUlT_T0_E_clISt17integral_constantIbLb0EES1C_IbLb1EEEEDaS18_S19_EUlS18_E_NS1_11comp_targetILNS1_3genE9ELNS1_11target_archE1100ELNS1_3gpuE3ELNS1_3repE0EEENS1_30default_config_static_selectorELNS0_4arch9wavefront6targetE0EEEvT1_ ; -- Begin function _ZN7rocprim17ROCPRIM_400000_NS6detail17trampoline_kernelINS0_14default_configENS1_25partition_config_selectorILNS1_17partition_subalgoE9EsjbEEZZNS1_14partition_implILS5_9ELb0ES3_jN6thrust23THRUST_200600_302600_NS6detail15normal_iteratorINS9_10device_ptrIsEEEENSB_INSC_IjEEEEPNS0_10empty_typeENS0_5tupleIJNS9_16discard_iteratorINS9_11use_defaultEEESH_EEENSJ_IJSG_SI_EEENS0_18inequality_wrapperINS9_8equal_toIsEEEEPmJSH_EEE10hipError_tPvRmT3_T4_T5_T6_T7_T9_mT8_P12ihipStream_tbDpT10_ENKUlT_T0_E_clISt17integral_constantIbLb0EES1C_IbLb1EEEEDaS18_S19_EUlS18_E_NS1_11comp_targetILNS1_3genE9ELNS1_11target_archE1100ELNS1_3gpuE3ELNS1_3repE0EEENS1_30default_config_static_selectorELNS0_4arch9wavefront6targetE0EEEvT1_
	.globl	_ZN7rocprim17ROCPRIM_400000_NS6detail17trampoline_kernelINS0_14default_configENS1_25partition_config_selectorILNS1_17partition_subalgoE9EsjbEEZZNS1_14partition_implILS5_9ELb0ES3_jN6thrust23THRUST_200600_302600_NS6detail15normal_iteratorINS9_10device_ptrIsEEEENSB_INSC_IjEEEEPNS0_10empty_typeENS0_5tupleIJNS9_16discard_iteratorINS9_11use_defaultEEESH_EEENSJ_IJSG_SI_EEENS0_18inequality_wrapperINS9_8equal_toIsEEEEPmJSH_EEE10hipError_tPvRmT3_T4_T5_T6_T7_T9_mT8_P12ihipStream_tbDpT10_ENKUlT_T0_E_clISt17integral_constantIbLb0EES1C_IbLb1EEEEDaS18_S19_EUlS18_E_NS1_11comp_targetILNS1_3genE9ELNS1_11target_archE1100ELNS1_3gpuE3ELNS1_3repE0EEENS1_30default_config_static_selectorELNS0_4arch9wavefront6targetE0EEEvT1_
	.p2align	8
	.type	_ZN7rocprim17ROCPRIM_400000_NS6detail17trampoline_kernelINS0_14default_configENS1_25partition_config_selectorILNS1_17partition_subalgoE9EsjbEEZZNS1_14partition_implILS5_9ELb0ES3_jN6thrust23THRUST_200600_302600_NS6detail15normal_iteratorINS9_10device_ptrIsEEEENSB_INSC_IjEEEEPNS0_10empty_typeENS0_5tupleIJNS9_16discard_iteratorINS9_11use_defaultEEESH_EEENSJ_IJSG_SI_EEENS0_18inequality_wrapperINS9_8equal_toIsEEEEPmJSH_EEE10hipError_tPvRmT3_T4_T5_T6_T7_T9_mT8_P12ihipStream_tbDpT10_ENKUlT_T0_E_clISt17integral_constantIbLb0EES1C_IbLb1EEEEDaS18_S19_EUlS18_E_NS1_11comp_targetILNS1_3genE9ELNS1_11target_archE1100ELNS1_3gpuE3ELNS1_3repE0EEENS1_30default_config_static_selectorELNS0_4arch9wavefront6targetE0EEEvT1_,@function
_ZN7rocprim17ROCPRIM_400000_NS6detail17trampoline_kernelINS0_14default_configENS1_25partition_config_selectorILNS1_17partition_subalgoE9EsjbEEZZNS1_14partition_implILS5_9ELb0ES3_jN6thrust23THRUST_200600_302600_NS6detail15normal_iteratorINS9_10device_ptrIsEEEENSB_INSC_IjEEEEPNS0_10empty_typeENS0_5tupleIJNS9_16discard_iteratorINS9_11use_defaultEEESH_EEENSJ_IJSG_SI_EEENS0_18inequality_wrapperINS9_8equal_toIsEEEEPmJSH_EEE10hipError_tPvRmT3_T4_T5_T6_T7_T9_mT8_P12ihipStream_tbDpT10_ENKUlT_T0_E_clISt17integral_constantIbLb0EES1C_IbLb1EEEEDaS18_S19_EUlS18_E_NS1_11comp_targetILNS1_3genE9ELNS1_11target_archE1100ELNS1_3gpuE3ELNS1_3repE0EEENS1_30default_config_static_selectorELNS0_4arch9wavefront6targetE0EEEvT1_: ; @_ZN7rocprim17ROCPRIM_400000_NS6detail17trampoline_kernelINS0_14default_configENS1_25partition_config_selectorILNS1_17partition_subalgoE9EsjbEEZZNS1_14partition_implILS5_9ELb0ES3_jN6thrust23THRUST_200600_302600_NS6detail15normal_iteratorINS9_10device_ptrIsEEEENSB_INSC_IjEEEEPNS0_10empty_typeENS0_5tupleIJNS9_16discard_iteratorINS9_11use_defaultEEESH_EEENSJ_IJSG_SI_EEENS0_18inequality_wrapperINS9_8equal_toIsEEEEPmJSH_EEE10hipError_tPvRmT3_T4_T5_T6_T7_T9_mT8_P12ihipStream_tbDpT10_ENKUlT_T0_E_clISt17integral_constantIbLb0EES1C_IbLb1EEEEDaS18_S19_EUlS18_E_NS1_11comp_targetILNS1_3genE9ELNS1_11target_archE1100ELNS1_3gpuE3ELNS1_3repE0EEENS1_30default_config_static_selectorELNS0_4arch9wavefront6targetE0EEEvT1_
; %bb.0:
	s_clause 0x5
	s_load_b128 s[4:7], s[0:1], 0x8
	s_load_b64 s[8:9], s[0:1], 0x18
	s_load_b64 s[16:17], s[0:1], 0x38
	s_load_b128 s[12:15], s[0:1], 0x48
	s_load_b64 s[10:11], s[0:1], 0x58
	s_load_b64 s[18:19], s[0:1], 0x68
	v_cmp_ne_u32_e64 s3, 0, v0
	v_cmp_eq_u32_e64 s2, 0, v0
	s_delay_alu instid0(VALU_DEP_1)
	s_and_saveexec_b32 s20, s2
	s_cbranch_execz .LBB1267_4
; %bb.1:
	s_mov_b32 s22, exec_lo
	s_mov_b32 s21, exec_lo
	v_mbcnt_lo_u32_b32 v1, s22, 0
                                        ; implicit-def: $vgpr2
	s_delay_alu instid0(VALU_DEP_1)
	v_cmpx_eq_u32_e32 0, v1
	s_cbranch_execz .LBB1267_3
; %bb.2:
	s_load_b64 s[24:25], s[0:1], 0x78
	s_bcnt1_i32_b32 s22, s22
	s_delay_alu instid0(SALU_CYCLE_1)
	v_dual_mov_b32 v2, 0 :: v_dual_mov_b32 v3, s22
	s_waitcnt lgkmcnt(0)
	global_atomic_add_u32 v2, v2, v3, s[24:25] glc
.LBB1267_3:
	s_or_b32 exec_lo, exec_lo, s21
	s_waitcnt vmcnt(0)
	v_readfirstlane_b32 s21, v2
	s_delay_alu instid0(VALU_DEP_1)
	v_dual_mov_b32 v2, 0 :: v_dual_add_nc_u32 v1, s21, v1
	ds_store_b32 v2, v1
.LBB1267_4:
	s_or_b32 exec_lo, exec_lo, s20
	v_mov_b32_e32 v1, 0
	s_waitcnt lgkmcnt(0)
	s_barrier
	buffer_gl0_inv
	s_load_b32 s0, s[0:1], 0x70
	ds_load_b32 v2, v1
	s_waitcnt lgkmcnt(0)
	s_barrier
	buffer_gl0_inv
	global_load_b64 v[19:20], v1, s[14:15]
	s_lshl_b64 s[14:15], s[6:7], 1
	v_lshlrev_b32_e32 v9, 1, v0
	s_add_u32 s23, s4, s14
	s_addc_u32 s24, s5, s15
	s_mov_b32 s5, 0
	s_mul_i32 s1, s0, 0x580
	v_readfirstlane_b32 s20, v2
	s_add_i32 s4, s1, s6
	s_delay_alu instid0(SALU_CYCLE_1)
	s_sub_i32 s21, s10, s4
	s_add_i32 s4, s0, -1
	s_addk_i32 s21, 0x580
	s_add_u32 s0, s6, s1
	s_addc_u32 s1, s7, 0
	s_cmp_eq_u32 s20, s4
	v_cmp_ge_u64_e64 s0, s[0:1], s[10:11]
	s_cselect_b32 s14, -1, 0
	s_mul_i32 s4, s20, 0x580
	s_mov_b32 s11, -1
	s_delay_alu instid0(VALU_DEP_1)
	s_and_b32 s22, s0, s14
	s_lshl_b64 s[0:1], s[4:5], 1
	s_xor_b32 s15, s22, -1
	s_add_u32 s10, s23, s0
	s_addc_u32 s1, s24, s1
	s_and_b32 vcc_lo, exec_lo, s15
	s_cbranch_vccz .LBB1267_6
; %bb.5:
	v_add_co_u32 v1, s0, s10, v9
	s_delay_alu instid0(VALU_DEP_1)
	v_add_co_ci_u32_e64 v2, null, s1, 0, s0
	s_mov_b32 s11, s5
	s_clause 0xa
	flat_load_u16 v3, v[1:2]
	flat_load_u16 v4, v[1:2] offset:256
	flat_load_u16 v5, v[1:2] offset:512
	;; [unrolled: 1-line block ×10, first 2 shown]
	s_waitcnt vmcnt(10) lgkmcnt(10)
	ds_store_b16 v9, v3
	s_waitcnt vmcnt(9) lgkmcnt(10)
	ds_store_b16 v9, v4 offset:256
	s_waitcnt vmcnt(8) lgkmcnt(10)
	ds_store_b16 v9, v5 offset:512
	;; [unrolled: 2-line block ×10, first 2 shown]
	s_waitcnt lgkmcnt(0)
	s_barrier
.LBB1267_6:
	v_cmp_gt_u32_e64 s0, s21, v0
	s_and_not1_b32 vcc_lo, exec_lo, s11
	s_cbranch_vccnz .LBB1267_30
; %bb.7:
                                        ; implicit-def: $vgpr1_vgpr2_vgpr3_vgpr4_vgpr5_vgpr6_vgpr7_vgpr8
	s_delay_alu instid0(VALU_DEP_1)
	s_and_saveexec_b32 s11, s0
	s_cbranch_execz .LBB1267_9
; %bb.8:
	v_add_co_u32 v1, s0, s10, v9
	s_delay_alu instid0(VALU_DEP_1)
	v_add_co_ci_u32_e64 v2, null, s1, 0, s0
	flat_load_d16_b16 v1, v[1:2]
.LBB1267_9:
	s_or_b32 exec_lo, exec_lo, s11
	v_or_b32_e32 v7, 0x80, v0
	s_mov_b32 s0, exec_lo
	s_delay_alu instid0(VALU_DEP_1)
	v_cmpx_gt_u32_e64 s21, v7
	s_cbranch_execz .LBB1267_11
; %bb.10:
	v_add_co_u32 v7, s11, s10, v9
	s_delay_alu instid0(VALU_DEP_1)
	v_add_co_ci_u32_e64 v8, null, s1, 0, s11
	s_waitcnt vmcnt(0) lgkmcnt(0)
	flat_load_d16_hi_b16 v1, v[7:8] offset:256
.LBB1267_11:
	s_or_b32 exec_lo, exec_lo, s0
	v_or_b32_e32 v7, 0x100, v0
	s_mov_b32 s0, exec_lo
	s_delay_alu instid0(VALU_DEP_1)
	v_cmpx_gt_u32_e64 s21, v7
	s_cbranch_execz .LBB1267_13
; %bb.12:
	v_add_co_u32 v7, s11, s10, v9
	s_delay_alu instid0(VALU_DEP_1)
	v_add_co_ci_u32_e64 v8, null, s1, 0, s11
	flat_load_d16_b16 v2, v[7:8] offset:512
.LBB1267_13:
	s_or_b32 exec_lo, exec_lo, s0
	v_or_b32_e32 v7, 0x180, v0
	s_mov_b32 s0, exec_lo
	s_delay_alu instid0(VALU_DEP_1)
	v_cmpx_gt_u32_e64 s21, v7
	s_cbranch_execz .LBB1267_15
; %bb.14:
	v_add_co_u32 v7, s11, s10, v9
	s_delay_alu instid0(VALU_DEP_1)
	v_add_co_ci_u32_e64 v8, null, s1, 0, s11
	s_waitcnt vmcnt(0) lgkmcnt(0)
	flat_load_d16_hi_b16 v2, v[7:8] offset:768
.LBB1267_15:
	s_or_b32 exec_lo, exec_lo, s0
	v_or_b32_e32 v7, 0x200, v0
	s_mov_b32 s0, exec_lo
	s_delay_alu instid0(VALU_DEP_1)
	v_cmpx_gt_u32_e64 s21, v7
	s_cbranch_execz .LBB1267_17
; %bb.16:
	v_add_co_u32 v7, s11, s10, v9
	s_delay_alu instid0(VALU_DEP_1)
	v_add_co_ci_u32_e64 v8, null, s1, 0, s11
	flat_load_d16_b16 v3, v[7:8] offset:1024
.LBB1267_17:
	;; [unrolled: 25-line block ×5, first 2 shown]
	s_or_b32 exec_lo, exec_lo, s0
	s_waitcnt vmcnt(0) lgkmcnt(0)
	ds_store_b16 v9, v1
	ds_store_b16_d16_hi v9, v1 offset:256
	ds_store_b16 v9, v2 offset:512
	ds_store_b16_d16_hi v9, v2 offset:768
	ds_store_b16 v9, v3 offset:1024
	;; [unrolled: 2-line block ×5, first 2 shown]
	s_waitcnt lgkmcnt(0)
	s_barrier
.LBB1267_30:
	v_mul_u32_u24_e32 v1, 11, v0
	s_waitcnt vmcnt(0)
	buffer_gl0_inv
	s_lshl_b64 s[24:25], s[6:7], 2
	s_delay_alu instid0(SALU_CYCLE_1)
	s_add_u32 s0, s8, s24
	v_lshlrev_b32_e32 v2, 1, v1
	s_addc_u32 s8, s9, s25
	s_lshl_b64 s[4:5], s[4:5], 2
	ds_load_b128 v[12:15], v2
	ds_load_u16 v38, v2 offset:16
	ds_load_u16 v37, v2 offset:18
	;; [unrolled: 1-line block ×3, first 2 shown]
	s_add_u32 s0, s0, s4
	s_addc_u32 s4, s8, s5
	s_and_b32 vcc_lo, exec_lo, s15
	s_mov_b32 s5, -1
	s_waitcnt lgkmcnt(0)
	s_barrier
	buffer_gl0_inv
	s_cbranch_vccz .LBB1267_32
; %bb.31:
	v_lshlrev_b32_e32 v7, 2, v0
	s_delay_alu instid0(VALU_DEP_1) | instskip(NEXT) | instid1(VALU_DEP_1)
	v_add_co_u32 v3, s5, s0, v7
	v_add_co_ci_u32_e64 v4, null, s4, 0, s5
	s_mov_b32 s5, 0
	s_delay_alu instid0(VALU_DEP_2) | instskip(NEXT) | instid1(VALU_DEP_2)
	v_add_co_u32 v5, vcc_lo, 0x1000, v3
	v_add_co_ci_u32_e32 v6, vcc_lo, 0, v4, vcc_lo
	s_clause 0xa
	flat_load_b32 v8, v[3:4]
	flat_load_b32 v10, v[3:4] offset:512
	flat_load_b32 v11, v[3:4] offset:1024
	;; [unrolled: 1-line block ×7, first 2 shown]
	flat_load_b32 v4, v[5:6]
	flat_load_b32 v22, v[5:6] offset:512
	flat_load_b32 v5, v[5:6] offset:1024
	s_waitcnt vmcnt(9) lgkmcnt(9)
	ds_store_2addr_stride64_b32 v7, v8, v10 offset1:2
	s_waitcnt vmcnt(7) lgkmcnt(8)
	ds_store_2addr_stride64_b32 v7, v11, v16 offset0:4 offset1:6
	s_waitcnt vmcnt(5) lgkmcnt(7)
	ds_store_2addr_stride64_b32 v7, v17, v18 offset0:8 offset1:10
	s_waitcnt vmcnt(3) lgkmcnt(6)
	ds_store_2addr_stride64_b32 v7, v21, v3 offset0:12 offset1:14
	s_waitcnt vmcnt(1) lgkmcnt(5)
	ds_store_2addr_stride64_b32 v7, v4, v22 offset0:16 offset1:18
	s_waitcnt vmcnt(0) lgkmcnt(5)
	ds_store_b32 v7, v5 offset:5120
	s_waitcnt lgkmcnt(0)
	s_barrier
.LBB1267_32:
	s_and_not1_b32 vcc_lo, exec_lo, s5
	s_cbranch_vccnz .LBB1267_56
; %bb.33:
	s_mov_b32 s5, exec_lo
                                        ; implicit-def: $vgpr3
	v_cmpx_gt_u32_e64 s21, v0
	s_cbranch_execz .LBB1267_35
; %bb.34:
	v_lshlrev_b32_e32 v3, 2, v0
	s_delay_alu instid0(VALU_DEP_1) | instskip(NEXT) | instid1(VALU_DEP_1)
	v_add_co_u32 v3, s8, s0, v3
	v_add_co_ci_u32_e64 v4, null, s4, 0, s8
	flat_load_b32 v3, v[3:4]
.LBB1267_35:
	s_or_b32 exec_lo, exec_lo, s5
	v_or_b32_e32 v4, 0x80, v0
	s_delay_alu instid0(VALU_DEP_1)
	v_cmp_gt_u32_e32 vcc_lo, s21, v4
                                        ; implicit-def: $vgpr4
	s_and_saveexec_b32 s5, vcc_lo
	s_cbranch_execz .LBB1267_37
; %bb.36:
	v_lshlrev_b32_e32 v4, 2, v0
	s_delay_alu instid0(VALU_DEP_1) | instskip(NEXT) | instid1(VALU_DEP_1)
	v_add_co_u32 v4, s8, s0, v4
	v_add_co_ci_u32_e64 v5, null, s4, 0, s8
	flat_load_b32 v4, v[4:5] offset:512
.LBB1267_37:
	s_or_b32 exec_lo, exec_lo, s5
	v_or_b32_e32 v5, 0x100, v0
	s_delay_alu instid0(VALU_DEP_1)
	v_cmp_gt_u32_e32 vcc_lo, s21, v5
                                        ; implicit-def: $vgpr5
	s_and_saveexec_b32 s5, vcc_lo
	s_cbranch_execz .LBB1267_39
; %bb.38:
	v_lshlrev_b32_e32 v5, 2, v0
	s_delay_alu instid0(VALU_DEP_1) | instskip(NEXT) | instid1(VALU_DEP_1)
	v_add_co_u32 v5, s8, s0, v5
	v_add_co_ci_u32_e64 v6, null, s4, 0, s8
	flat_load_b32 v5, v[5:6] offset:1024
.LBB1267_39:
	s_or_b32 exec_lo, exec_lo, s5
	v_or_b32_e32 v6, 0x180, v0
	s_delay_alu instid0(VALU_DEP_1)
	v_cmp_gt_u32_e32 vcc_lo, s21, v6
                                        ; implicit-def: $vgpr6
	s_and_saveexec_b32 s5, vcc_lo
	s_cbranch_execz .LBB1267_41
; %bb.40:
	v_lshlrev_b32_e32 v6, 2, v0
	s_delay_alu instid0(VALU_DEP_1) | instskip(NEXT) | instid1(VALU_DEP_1)
	v_add_co_u32 v6, s8, s0, v6
	v_add_co_ci_u32_e64 v7, null, s4, 0, s8
	flat_load_b32 v6, v[6:7] offset:1536
.LBB1267_41:
	s_or_b32 exec_lo, exec_lo, s5
	v_or_b32_e32 v7, 0x200, v0
	s_delay_alu instid0(VALU_DEP_1)
	v_cmp_gt_u32_e32 vcc_lo, s21, v7
                                        ; implicit-def: $vgpr7
	s_and_saveexec_b32 s5, vcc_lo
	s_cbranch_execz .LBB1267_43
; %bb.42:
	v_lshlrev_b32_e32 v7, 2, v0
	s_delay_alu instid0(VALU_DEP_1) | instskip(NEXT) | instid1(VALU_DEP_1)
	v_add_co_u32 v7, s8, s0, v7
	v_add_co_ci_u32_e64 v8, null, s4, 0, s8
	flat_load_b32 v7, v[7:8] offset:2048
.LBB1267_43:
	s_or_b32 exec_lo, exec_lo, s5
	v_or_b32_e32 v8, 0x280, v0
	s_delay_alu instid0(VALU_DEP_1)
	v_cmp_gt_u32_e32 vcc_lo, s21, v8
                                        ; implicit-def: $vgpr8
	s_and_saveexec_b32 s5, vcc_lo
	s_cbranch_execz .LBB1267_45
; %bb.44:
	v_lshlrev_b32_e32 v8, 2, v0
	s_delay_alu instid0(VALU_DEP_1) | instskip(NEXT) | instid1(VALU_DEP_1)
	v_add_co_u32 v10, s8, s0, v8
	v_add_co_ci_u32_e64 v11, null, s4, 0, s8
	flat_load_b32 v8, v[10:11] offset:2560
.LBB1267_45:
	s_or_b32 exec_lo, exec_lo, s5
	v_or_b32_e32 v10, 0x300, v0
	s_delay_alu instid0(VALU_DEP_1)
	v_cmp_gt_u32_e32 vcc_lo, s21, v10
                                        ; implicit-def: $vgpr10
	s_and_saveexec_b32 s5, vcc_lo
	s_cbranch_execz .LBB1267_47
; %bb.46:
	v_lshlrev_b32_e32 v10, 2, v0
	s_delay_alu instid0(VALU_DEP_1) | instskip(NEXT) | instid1(VALU_DEP_1)
	v_add_co_u32 v10, s8, s0, v10
	v_add_co_ci_u32_e64 v11, null, s4, 0, s8
	flat_load_b32 v10, v[10:11] offset:3072
.LBB1267_47:
	s_or_b32 exec_lo, exec_lo, s5
	v_or_b32_e32 v11, 0x380, v0
	s_delay_alu instid0(VALU_DEP_1)
	v_cmp_gt_u32_e32 vcc_lo, s21, v11
                                        ; implicit-def: $vgpr11
	s_and_saveexec_b32 s5, vcc_lo
	s_cbranch_execz .LBB1267_49
; %bb.48:
	v_lshlrev_b32_e32 v11, 2, v0
	s_delay_alu instid0(VALU_DEP_1) | instskip(NEXT) | instid1(VALU_DEP_1)
	v_add_co_u32 v16, s8, s0, v11
	v_add_co_ci_u32_e64 v17, null, s4, 0, s8
	flat_load_b32 v11, v[16:17] offset:3584
.LBB1267_49:
	s_or_b32 exec_lo, exec_lo, s5
	v_or_b32_e32 v17, 0x400, v0
	s_mov_b32 s5, exec_lo
                                        ; implicit-def: $vgpr16
	s_delay_alu instid0(VALU_DEP_1)
	v_cmpx_gt_u32_e64 s21, v17
	s_cbranch_execz .LBB1267_51
; %bb.50:
	v_lshlrev_b32_e32 v16, 2, v17
	s_delay_alu instid0(VALU_DEP_1) | instskip(NEXT) | instid1(VALU_DEP_1)
	v_add_co_u32 v16, s8, s0, v16
	v_add_co_ci_u32_e64 v17, null, s4, 0, s8
	flat_load_b32 v16, v[16:17]
.LBB1267_51:
	s_or_b32 exec_lo, exec_lo, s5
	v_or_b32_e32 v18, 0x480, v0
	s_mov_b32 s5, exec_lo
                                        ; implicit-def: $vgpr17
	s_delay_alu instid0(VALU_DEP_1)
	v_cmpx_gt_u32_e64 s21, v18
	s_cbranch_execz .LBB1267_53
; %bb.52:
	v_lshlrev_b32_e32 v17, 2, v18
	s_delay_alu instid0(VALU_DEP_1) | instskip(NEXT) | instid1(VALU_DEP_1)
	v_add_co_u32 v17, s8, s0, v17
	v_add_co_ci_u32_e64 v18, null, s4, 0, s8
	flat_load_b32 v17, v[17:18]
.LBB1267_53:
	s_or_b32 exec_lo, exec_lo, s5
	v_or_b32_e32 v21, 0x500, v0
	s_mov_b32 s5, exec_lo
                                        ; implicit-def: $vgpr18
	s_delay_alu instid0(VALU_DEP_1)
	v_cmpx_gt_u32_e64 s21, v21
	s_cbranch_execz .LBB1267_55
; %bb.54:
	v_lshlrev_b32_e32 v18, 2, v21
	s_delay_alu instid0(VALU_DEP_1) | instskip(NEXT) | instid1(VALU_DEP_1)
	v_add_co_u32 v21, s0, s0, v18
	v_add_co_ci_u32_e64 v22, null, s4, 0, s0
	flat_load_b32 v18, v[21:22]
.LBB1267_55:
	s_or_b32 exec_lo, exec_lo, s5
	v_mad_i32_i24 v2, 0xffffffee, v0, v2
	s_waitcnt vmcnt(0) lgkmcnt(0)
	ds_store_2addr_stride64_b32 v2, v3, v4 offset1:2
	ds_store_2addr_stride64_b32 v2, v5, v6 offset0:4 offset1:6
	ds_store_2addr_stride64_b32 v2, v7, v8 offset0:8 offset1:10
	;; [unrolled: 1-line block ×4, first 2 shown]
	ds_store_b32 v2, v18 offset:5120
	s_waitcnt lgkmcnt(0)
	s_barrier
.LBB1267_56:
	v_lshlrev_b32_e32 v43, 2, v1
	buffer_gl0_inv
	s_cmp_lg_u32 s20, 0
	v_lshrrev_b32_e32 v42, 16, v12
	s_cselect_b32 s23, -1, 0
	ds_load_2addr_b32 v[29:30], v43 offset1:1
	ds_load_2addr_b32 v[27:28], v43 offset0:2 offset1:3
	ds_load_2addr_b32 v[25:26], v43 offset0:4 offset1:5
	;; [unrolled: 1-line block ×4, first 2 shown]
	ds_load_b32 v35, v43 offset:40
	s_cmp_lg_u64 s[6:7], 0
	v_lshrrev_b32_e32 v41, 16, v13
	s_cselect_b32 s0, -1, 0
	v_lshrrev_b32_e32 v40, 16, v14
	v_lshrrev_b32_e32 v39, 16, v15
	v_add_nc_u32_e32 v5, 1, v1
	v_add_nc_u32_e32 v6, 2, v1
	;; [unrolled: 1-line block ×10, first 2 shown]
	s_or_b32 s0, s0, s23
	s_mov_b32 s24, 0
	s_and_b32 vcc_lo, exec_lo, s0
	s_waitcnt lgkmcnt(0)
	s_barrier
	buffer_gl0_inv
	s_cbranch_vccz .LBB1267_61
; %bb.57:
	v_add_co_u32 v16, s0, -2, s10
	s_delay_alu instid0(VALU_DEP_1)
	v_add_co_ci_u32_e64 v17, null, -1, s1, s0
	s_mov_b32 s1, -1
	s_and_b32 vcc_lo, exec_lo, s15
	flat_load_u16 v16, v[16:17]
	ds_store_b16 v9, v36
	s_cbranch_vccz .LBB1267_63
; %bb.58:
	s_waitcnt vmcnt(0) lgkmcnt(1)
	v_mov_b32_e32 v17, v16
	s_waitcnt lgkmcnt(0)
	s_barrier
	buffer_gl0_inv
	s_and_saveexec_b32 s0, s3
	s_cbranch_execz .LBB1267_60
; %bb.59:
	v_add_nc_u32_e32 v17, -2, v9
	ds_load_u16 v17, v17
.LBB1267_60:
	s_or_b32 exec_lo, exec_lo, s0
	v_cmp_ne_u16_e32 vcc_lo, v15, v39
	s_waitcnt lgkmcnt(0)
	v_cmp_ne_u16_e64 s0, v17, v12
	v_cndmask_b32_e64 v18, 0, 1, vcc_lo
	v_cmp_ne_u16_e32 vcc_lo, v40, v15
	s_delay_alu instid0(VALU_DEP_2) | instskip(SKIP_2) | instid1(VALU_DEP_2)
	v_lshlrev_b16 v18, 8, v18
	v_cndmask_b32_e64 v31, 0, 1, vcc_lo
	v_cmp_ne_u16_e32 vcc_lo, v14, v40
	v_or_b32_e32 v18, v31, v18
	v_cndmask_b32_e64 v32, 0, 1, vcc_lo
	v_cmp_ne_u16_e32 vcc_lo, v41, v14
	s_delay_alu instid0(VALU_DEP_3) | instskip(NEXT) | instid1(VALU_DEP_3)
	v_lshlrev_b32_e32 v18, 16, v18
	v_lshlrev_b16 v32, 8, v32
	v_cndmask_b32_e64 v34, 0, 1, vcc_lo
	v_cmp_ne_u16_e32 vcc_lo, v13, v41
	s_delay_alu instid0(VALU_DEP_2) | instskip(SKIP_2) | instid1(VALU_DEP_3)
	v_or_b32_e32 v32, v34, v32
	v_cndmask_b32_e64 v44, 0, 1, vcc_lo
	v_cmp_ne_u16_e32 vcc_lo, v42, v13
	v_and_b32_e32 v32, 0xffff, v32
	s_delay_alu instid0(VALU_DEP_3) | instskip(SKIP_2) | instid1(VALU_DEP_4)
	v_lshlrev_b16 v44, 8, v44
	v_cndmask_b32_e64 v46, 0, 1, vcc_lo
	v_cmp_ne_u16_e32 vcc_lo, v12, v42
	v_or_b32_e32 v32, v32, v18
	s_delay_alu instid0(VALU_DEP_3) | instskip(SKIP_2) | instid1(VALU_DEP_3)
	v_or_b32_e32 v44, v46, v44
	v_cndmask_b32_e64 v47, 0, 1, vcc_lo
	v_cmp_ne_u16_e32 vcc_lo, v37, v36
	v_lshlrev_b32_e32 v31, 16, v44
	s_delay_alu instid0(VALU_DEP_3) | instskip(SKIP_2) | instid1(VALU_DEP_3)
	v_lshlrev_b16 v46, 8, v47
	v_cndmask_b32_e64 v45, 0, 1, vcc_lo
	v_cmp_ne_u16_e32 vcc_lo, v38, v37
	v_and_b32_e32 v46, 0xffff, v46
	v_cndmask_b32_e64 v34, 0, 1, vcc_lo
	v_cmp_ne_u16_e32 vcc_lo, v39, v38
	s_delay_alu instid0(VALU_DEP_3)
	v_or_b32_e32 v31, v46, v31
	v_cndmask_b32_e64 v44, 0, 1, vcc_lo
	s_branch .LBB1267_67
.LBB1267_61:
                                        ; implicit-def: $sgpr0
                                        ; implicit-def: $vgpr45
                                        ; implicit-def: $vgpr34
                                        ; implicit-def: $vgpr44
                                        ; implicit-def: $vgpr32
	s_branch .LBB1267_68
.LBB1267_62:
                                        ; implicit-def: $vgpr16_vgpr17_vgpr18
	s_and_saveexec_b32 s1, s24
	s_cbranch_execnz .LBB1267_76
	s_branch .LBB1267_77
.LBB1267_63:
                                        ; implicit-def: $sgpr0
                                        ; implicit-def: $vgpr45
                                        ; implicit-def: $vgpr34
                                        ; implicit-def: $vgpr44
                                        ; implicit-def: $vgpr32
	s_and_b32 vcc_lo, exec_lo, s1
	s_cbranch_vccz .LBB1267_67
; %bb.64:
	s_waitcnt vmcnt(0) lgkmcnt(0)
	s_barrier
	buffer_gl0_inv
	s_and_saveexec_b32 s0, s3
	s_cbranch_execz .LBB1267_66
; %bb.65:
	v_add_nc_u32_e32 v9, -2, v9
	ds_load_u16 v16, v9
.LBB1267_66:
	s_or_b32 exec_lo, exec_lo, s0
	v_cmp_gt_u32_e32 vcc_lo, s21, v10
	v_cmp_ne_u16_e64 s0, v37, v36
	v_cmp_gt_u32_e64 s1, s21, v11
	v_cmp_ne_u16_e64 s4, v38, v37
	v_cmp_gt_u32_e64 s5, s21, v5
	v_cmp_ne_u16_e64 s6, v12, v42
	s_and_b32 s0, vcc_lo, s0
	v_cmp_gt_u32_e32 vcc_lo, s21, v2
	v_cndmask_b32_e64 v45, 0, 1, s0
	v_cmp_ne_u16_e64 s0, v15, v39
	s_and_b32 s1, s1, s4
	v_cmp_ne_u16_e64 s4, v40, v15
	v_cndmask_b32_e64 v34, 0, 1, s1
	v_cmp_gt_u32_e64 s1, s21, v4
	s_and_b32 s0, vcc_lo, s0
	v_cmp_gt_u32_e32 vcc_lo, s21, v7
	v_cndmask_b32_e64 v9, 0, 1, s0
	v_cmp_ne_u16_e64 s0, v14, v40
	s_and_b32 s1, s1, s4
	v_cmp_ne_u16_e64 s4, v13, v41
	v_cndmask_b32_e64 v17, 0, 1, s1
	v_cmp_gt_u32_e64 s1, s21, v3
	;; [unrolled: 8-line block ×3, first 2 shown]
	s_and_b32 s0, vcc_lo, s0
	v_lshlrev_b16 v18, 8, v18
	v_cndmask_b32_e64 v32, 0, 1, s0
	v_lshlrev_b16 v31, 8, v31
	s_and_b32 s0, s1, s4
	v_lshlrev_b16 v9, 8, v9
	v_cndmask_b32_e64 v44, 0, 1, s0
	s_and_b32 s0, s5, s6
	v_or_b32_e32 v18, v32, v18
	v_cndmask_b32_e64 v46, 0, 1, s0
	v_or_b32_e32 v9, v17, v9
	v_or_b32_e32 v31, v44, v31
	v_cmp_gt_u32_e32 vcc_lo, s21, v33
	v_cmp_ne_u16_e64 s0, v39, v38
	v_lshlrev_b16 v44, 8, v46
	v_and_b32_e32 v18, 0xffff, v18
	v_lshlrev_b32_e32 v17, 16, v31
	v_lshlrev_b32_e32 v9, 16, v9
	s_and_b32 s0, vcc_lo, s0
	v_and_b32_e32 v31, 0xffff, v44
	v_cndmask_b32_e64 v44, 0, 1, s0
	v_cmp_gt_u32_e32 vcc_lo, s21, v1
	s_waitcnt lgkmcnt(0)
	v_cmp_ne_u16_e64 s0, v16, v12
	v_or_b32_e32 v32, v18, v9
	v_or_b32_e32 v31, v31, v17
	s_delay_alu instid0(VALU_DEP_3)
	s_and_b32 s0, vcc_lo, s0
.LBB1267_67:
	s_mov_b32 s24, -1
	s_cbranch_execnz .LBB1267_62
.LBB1267_68:
	v_mad_i32_i24 v9, 0xffffffd6, v0, v43
	v_cmp_ne_u16_e64 s0, v37, v36
	v_cmp_ne_u16_e64 s9, v38, v37
	;; [unrolled: 1-line block ×10, first 2 shown]
	s_and_b32 vcc_lo, exec_lo, s15
	ds_store_b16 v9, v36
	s_cbranch_vccz .LBB1267_72
; %bb.69:
	s_waitcnt vmcnt(0) lgkmcnt(2)
	v_cndmask_b32_e64 v16, 0, 1, s11
	v_cndmask_b32_e64 v34, 0, 1, s9
	;; [unrolled: 1-line block ×5, first 2 shown]
	v_lshlrev_b16 v16, 8, v16
	v_cndmask_b32_e64 v46, 0, 1, s4
	v_cndmask_b32_e64 v44, 0, 1, s10
	;; [unrolled: 1-line block ×4, first 2 shown]
	v_lshlrev_b16 v17, 8, v17
	v_lshlrev_b16 v47, 8, v34
	v_or_b32_e32 v16, v31, v16
	v_lshlrev_b16 v31, 8, v32
	v_lshlrev_b16 v32, 8, v46
	v_or_b32_e32 v17, v18, v17
	v_or_b32_e32 v18, v44, v47
	v_and_b32_e32 v16, 0xffff, v16
	v_or_b32_e32 v31, v45, v31
	v_or_b32_e32 v32, 1, v32
	v_lshlrev_b32_e32 v17, 16, v17
	v_and_b32_e32 v18, 0xffff, v18
	v_cndmask_b32_e64 v45, 0, 1, s0
	v_lshlrev_b32_e32 v31, 16, v31
	v_and_b32_e32 v46, 0xffff, v32
	v_or_b32_e32 v32, v16, v17
	s_waitcnt lgkmcnt(0)
	v_lshl_or_b32 v18, v45, 16, v18
	s_barrier
	v_or_b32_e32 v31, v46, v31
	buffer_gl0_inv
                                        ; implicit-def: $sgpr0
	s_and_saveexec_b32 s1, s3
	s_delay_alu instid0(SALU_CYCLE_1)
	s_xor_b32 s1, exec_lo, s1
	s_cbranch_execz .LBB1267_71
; %bb.70:
	v_add_nc_u32_e32 v16, -2, v9
	s_or_b32 s24, s24, exec_lo
	ds_load_u16 v16, v16
	s_waitcnt lgkmcnt(0)
	v_cmp_ne_u16_e32 vcc_lo, v16, v12
                                        ; implicit-def: $vgpr16_vgpr17_vgpr18
	s_and_b32 s0, vcc_lo, exec_lo
.LBB1267_71:
	s_or_b32 exec_lo, exec_lo, s1
	s_branch .LBB1267_75
.LBB1267_72:
                                        ; implicit-def: $sgpr0
                                        ; implicit-def: $vgpr45
                                        ; implicit-def: $vgpr34
                                        ; implicit-def: $vgpr44
                                        ; implicit-def: $vgpr32
                                        ; implicit-def: $vgpr16_vgpr17_vgpr18
	s_cbranch_execz .LBB1267_75
; %bb.73:
	v_cmp_gt_u32_e32 vcc_lo, s21, v11
	v_cmp_ne_u16_e64 s0, v38, v37
	v_cmp_gt_u32_e64 s5, s21, v33
	v_cmp_ne_u16_e64 s6, v39, v38
	v_cmp_gt_u32_e64 s1, s21, v10
	v_cmp_ne_u16_e64 s4, v37, v36
	s_and_b32 s0, vcc_lo, s0
	v_cmp_gt_u32_e32 vcc_lo, s21, v2
	v_cndmask_b32_e64 v34, 0, 1, s0
	v_cmp_ne_u16_e64 s0, v15, v39
	s_and_b32 s5, s5, s6
	v_cmp_ne_u16_e64 s6, v40, v15
	v_cndmask_b32_e64 v44, 0, 1, s5
	v_cmp_gt_u32_e64 s5, s21, v4
	s_and_b32 s0, vcc_lo, s0
	v_cmp_gt_u32_e32 vcc_lo, s21, v7
	s_waitcnt vmcnt(0) lgkmcnt(2)
	v_cndmask_b32_e64 v16, 0, 1, s0
	v_cmp_ne_u16_e64 s0, v14, v40
	s_and_b32 s5, s5, s6
	v_cmp_ne_u16_e64 s6, v41, v14
	v_cndmask_b32_e64 v17, 0, 1, s5
	v_cmp_gt_u32_e64 s5, s21, v8
	s_and_b32 s0, vcc_lo, s0
	v_cmp_gt_u32_e32 vcc_lo, s21, v3
	v_cndmask_b32_e64 v18, 0, 1, s0
	v_cmp_ne_u16_e64 s0, v13, v41
	s_and_b32 s5, s5, s6
	v_cmp_ne_u16_e64 s6, v42, v13
	v_cndmask_b32_e64 v31, 0, 1, s5
	v_cmp_gt_u32_e64 s5, s21, v6
	s_and_b32 s0, vcc_lo, s0
	v_cmp_gt_u32_e32 vcc_lo, s21, v5
	v_cndmask_b32_e64 v32, 0, 1, s0
	v_cmp_ne_u16_e64 s0, v12, v42
	v_lshlrev_b16 v18, 8, v18
	v_lshlrev_b16 v16, 8, v16
	s_and_b32 s5, s5, s6
	v_lshlrev_b16 v47, 8, v34
	s_and_b32 s0, vcc_lo, s0
	v_cndmask_b32_e64 v45, 0, 1, s5
	v_cndmask_b32_e64 v46, 0, 1, s0
	v_or_b32_e32 v18, v31, v18
	v_or_b32_e32 v16, v17, v16
	v_lshlrev_b16 v17, 8, v32
	v_or_b32_e32 v32, v44, v47
	v_lshlrev_b16 v31, 8, v46
	s_and_b32 s0, s1, s4
	v_and_b32_e32 v18, 0xffff, v18
	v_or_b32_e32 v17, v45, v17
	v_lshlrev_b32_e32 v16, 16, v16
	v_or_b32_e32 v31, 1, v31
	v_and_b32_e32 v46, 0xffff, v32
	v_cndmask_b32_e64 v45, 0, 1, s0
	v_lshlrev_b32_e32 v17, 16, v17
	v_or_b32_e32 v32, v18, v16
	v_and_b32_e32 v31, 0xffff, v31
	s_waitcnt lgkmcnt(0)
	v_lshl_or_b32 v18, v45, 16, v46
	s_barrier
	buffer_gl0_inv
	v_or_b32_e32 v31, v31, v17
                                        ; implicit-def: $sgpr0
	s_and_saveexec_b32 s1, s3
	s_cbranch_execz .LBB1267_204
; %bb.74:
	v_add_nc_u32_e32 v9, -2, v9
	v_cmp_gt_u32_e32 vcc_lo, s21, v1
	s_or_b32 s24, s24, exec_lo
                                        ; implicit-def: $vgpr16_vgpr17_vgpr18
	ds_load_u16 v9, v9
	s_waitcnt lgkmcnt(0)
	v_cmp_ne_u16_e64 s0, v9, v12
	s_delay_alu instid0(VALU_DEP_1) | instskip(NEXT) | instid1(SALU_CYCLE_1)
	s_and_b32 s0, vcc_lo, s0
	s_and_b32 s0, s0, exec_lo
	s_or_b32 exec_lo, exec_lo, s1
.LBB1267_75:
	s_and_saveexec_b32 s1, s24
	s_cbranch_execz .LBB1267_77
.LBB1267_76:
	s_waitcnt vmcnt(0) lgkmcnt(1)
	v_lshrrev_b32_e32 v16, 24, v31
	v_lshrrev_b32_e32 v17, 16, v31
	v_lshrrev_b32_e32 v18, 8, v31
	v_cndmask_b32_e64 v9, 0, 1, s0
	v_lshlrev_b16 v31, 8, v34
	v_and_b32_e32 v34, 0xff, v44
	v_lshlrev_b16 v16, 8, v16
	v_and_b32_e32 v17, 0xff, v17
	;; [unrolled: 2-line block ×3, first 2 shown]
	v_or_b32_e32 v31, v34, v31
	s_delay_alu instid0(VALU_DEP_4) | instskip(NEXT) | instid1(VALU_DEP_4)
	v_or_b32_e32 v16, v17, v16
	v_or_b32_e32 v9, v9, v18
	s_delay_alu instid0(VALU_DEP_4) | instskip(NEXT) | instid1(VALU_DEP_4)
	v_lshlrev_b32_e32 v17, 16, v44
	v_and_b32_e32 v18, 0xffff, v31
	s_delay_alu instid0(VALU_DEP_4) | instskip(NEXT) | instid1(VALU_DEP_4)
	v_lshlrev_b32_e32 v16, 16, v16
	v_and_b32_e32 v9, 0xffff, v9
	s_delay_alu instid0(VALU_DEP_3) | instskip(NEXT) | instid1(VALU_DEP_2)
	v_or_b32_e32 v18, v18, v17
	v_or_b32_e32 v31, v9, v16
.LBB1267_77:
	s_or_b32 exec_lo, exec_lo, s1
	s_delay_alu instid0(SALU_CYCLE_1)
	s_and_not1_b32 vcc_lo, exec_lo, s22
	s_cbranch_vccnz .LBB1267_79
; %bb.78:
	v_cmp_gt_u32_e32 vcc_lo, s21, v1
	v_cmp_gt_u32_e64 s0, s21, v5
	v_and_b32_e32 v5, 0xffffff00, v32
	v_cmp_gt_u32_e64 s3, s21, v6
	v_cmp_gt_u32_e64 s5, s21, v3
	v_cndmask_b32_e32 v1, 0, v31, vcc_lo
	v_cmp_gt_u32_e32 vcc_lo, s21, v33
	v_cmp_gt_u32_e64 s1, s21, v11
	v_cmp_gt_u32_e64 s4, s21, v10
	s_delay_alu instid0(VALU_DEP_4) | instskip(NEXT) | instid1(VALU_DEP_1)
	v_and_b32_e32 v1, 0xff, v1
	v_cndmask_b32_e64 v1, v1, v31, s0
	v_cmp_gt_u32_e64 s0, s21, v8
	s_delay_alu instid0(VALU_DEP_2) | instskip(NEXT) | instid1(VALU_DEP_2)
	v_and_b32_e32 v1, 0xffff, v1
	v_cndmask_b32_e64 v5, v5, v32, s0
	s_delay_alu instid0(VALU_DEP_2) | instskip(NEXT) | instid1(VALU_DEP_2)
	v_cndmask_b32_e64 v1, v1, v31, s3
	v_and_b32_e32 v5, 0xffff00ff, v5
	v_cmp_gt_u32_e64 s3, s21, v7
	s_delay_alu instid0(VALU_DEP_3) | instskip(NEXT) | instid1(VALU_DEP_2)
	v_and_b32_e32 v1, 0xffffff, v1
	v_cndmask_b32_e64 v5, v5, v32, s3
	s_delay_alu instid0(VALU_DEP_2) | instskip(NEXT) | instid1(VALU_DEP_2)
	v_cndmask_b32_e64 v1, v1, v31, s5
	v_and_b32_e32 v3, 0xff00ffff, v5
	s_delay_alu instid0(VALU_DEP_2) | instskip(SKIP_1) | instid1(VALU_DEP_2)
	v_cndmask_b32_e64 v1, v1, v31, s0
	v_cmp_gt_u32_e64 s0, s21, v4
	v_cndmask_b32_e64 v1, v1, v31, s3
	s_delay_alu instid0(VALU_DEP_2) | instskip(SKIP_1) | instid1(VALU_DEP_3)
	v_cndmask_b32_e64 v3, v3, v32, s0
	v_cmp_gt_u32_e64 s3, s21, v2
	v_cndmask_b32_e64 v1, v1, v31, s0
	s_delay_alu instid0(VALU_DEP_3) | instskip(SKIP_1) | instid1(VALU_DEP_1)
	v_and_b32_e32 v2, 0xffffff, v3
	v_and_b32_e32 v9, 0xff000000, v18
	v_cndmask_b32_e32 v9, v9, v18, vcc_lo
	s_delay_alu instid0(VALU_DEP_1) | instskip(NEXT) | instid1(VALU_DEP_1)
	v_and_b32_e32 v9, 0xff0000ff, v9
	v_cndmask_b32_e64 v8, v9, v18, s1
	s_or_b32 s1, s4, s1
	s_delay_alu instid0(SALU_CYCLE_1) | instskip(NEXT) | instid1(VALU_DEP_1)
	s_or_b32 s0, s1, vcc_lo
	v_and_b32_e32 v6, 0xff00ffff, v8
	s_or_b32 vcc_lo, s0, s3
	v_dual_cndmask_b32 v32, v2, v32 :: v_dual_cndmask_b32 v1, v1, v31
	s_delay_alu instid0(VALU_DEP_2) | instskip(NEXT) | instid1(VALU_DEP_2)
	v_cndmask_b32_e64 v6, v6, v18, s4
	v_perm_b32 v31, v1, v1, 0x3020104
	s_delay_alu instid0(VALU_DEP_2) | instskip(SKIP_1) | instid1(VALU_DEP_2)
	v_lshrrev_b32_e32 v5, 8, v6
	v_and_b32_e32 v4, 0xff, v6
	v_lshlrev_b16 v5, 8, v5
	s_delay_alu instid0(VALU_DEP_1) | instskip(NEXT) | instid1(VALU_DEP_1)
	v_or_b32_e32 v3, v4, v5
	v_and_b32_e32 v2, 0xffff, v3
	s_delay_alu instid0(VALU_DEP_1)
	v_and_or_b32 v18, 0xff0000, v6, v2
.LBB1267_79:
	s_delay_alu instid0(VALU_DEP_1)
	v_and_b32_e32 v45, 0xff, v31
	v_bfe_u32 v46, v31, 8, 8
	v_alignbit_b32 v1, v32, v31, 24
	v_bfe_u32 v47, v31, 16, 8
	v_and_b32_e32 v48, 0xff, v32
	v_bfe_u32 v50, v32, 8, 8
	v_bfe_u32 v51, v32, 16, 8
	v_and_b32_e32 v49, 0xff, v1
	v_add3_u32 v1, v46, v45, v47
	v_lshrrev_b32_e32 v44, 24, v32
	v_mbcnt_lo_u32_b32 v54, -1, 0
	v_and_b32_e32 v52, 0xff, v18
	v_bfe_u32 v53, v18, 8, 8
	v_add3_u32 v1, v1, v49, v48
	v_bfe_u32 v3, v18, 16, 8
	v_and_b32_e32 v2, 15, v54
	v_or_b32_e32 v4, 31, v0
	v_and_b32_e32 v5, 16, v54
	v_add3_u32 v1, v1, v50, v51
	v_lshrrev_b32_e32 v55, 5, v0
	v_cmp_eq_u32_e64 s6, 0, v2
	v_cmp_lt_u32_e64 s5, 1, v2
	v_cmp_lt_u32_e64 s4, 3, v2
	v_add3_u32 v1, v1, v44, v52
	v_cmp_lt_u32_e64 s3, 7, v2
	v_cmp_eq_u32_e64 s1, 0, v5
	v_cmp_eq_u32_e64 s0, v4, v0
	s_and_b32 vcc_lo, exec_lo, s23
	v_add3_u32 v56, v1, v53, v3
	s_mov_b32 s7, -1
	s_waitcnt vmcnt(0) lgkmcnt(0)
	s_barrier
	buffer_gl0_inv
	s_cbranch_vccz .LBB1267_105
; %bb.80:
	v_mov_b32_dpp v1, v56 row_shr:1 row_mask:0xf bank_mask:0xf
	s_delay_alu instid0(VALU_DEP_1) | instskip(NEXT) | instid1(VALU_DEP_1)
	v_cndmask_b32_e64 v1, v1, 0, s6
	v_add_nc_u32_e32 v1, v1, v56
	s_delay_alu instid0(VALU_DEP_1) | instskip(NEXT) | instid1(VALU_DEP_1)
	v_mov_b32_dpp v2, v1 row_shr:2 row_mask:0xf bank_mask:0xf
	v_cndmask_b32_e64 v2, 0, v2, s5
	s_delay_alu instid0(VALU_DEP_1) | instskip(NEXT) | instid1(VALU_DEP_1)
	v_add_nc_u32_e32 v1, v1, v2
	v_mov_b32_dpp v2, v1 row_shr:4 row_mask:0xf bank_mask:0xf
	s_delay_alu instid0(VALU_DEP_1) | instskip(NEXT) | instid1(VALU_DEP_1)
	v_cndmask_b32_e64 v2, 0, v2, s4
	v_add_nc_u32_e32 v1, v1, v2
	s_delay_alu instid0(VALU_DEP_1) | instskip(NEXT) | instid1(VALU_DEP_1)
	v_mov_b32_dpp v2, v1 row_shr:8 row_mask:0xf bank_mask:0xf
	v_cndmask_b32_e64 v2, 0, v2, s3
	s_delay_alu instid0(VALU_DEP_1) | instskip(SKIP_3) | instid1(VALU_DEP_1)
	v_add_nc_u32_e32 v1, v1, v2
	ds_swizzle_b32 v2, v1 offset:swizzle(BROADCAST,32,15)
	s_waitcnt lgkmcnt(0)
	v_cndmask_b32_e64 v2, v2, 0, s1
	v_add_nc_u32_e32 v1, v1, v2
	s_and_saveexec_b32 s7, s0
	s_cbranch_execz .LBB1267_82
; %bb.81:
	v_lshlrev_b32_e32 v2, 2, v55
	ds_store_b32 v2, v1
.LBB1267_82:
	s_or_b32 exec_lo, exec_lo, s7
	s_delay_alu instid0(SALU_CYCLE_1)
	s_mov_b32 s7, exec_lo
	s_waitcnt lgkmcnt(0)
	s_barrier
	buffer_gl0_inv
	v_cmpx_gt_u32_e32 4, v0
	s_cbranch_execz .LBB1267_84
; %bb.83:
	v_and_b32_e32 v4, 3, v54
	s_delay_alu instid0(VALU_DEP_1) | instskip(SKIP_4) | instid1(VALU_DEP_1)
	v_cmp_ne_u32_e32 vcc_lo, 0, v4
	v_lshlrev_b32_e32 v2, 2, v0
	ds_load_b32 v3, v2
	s_waitcnt lgkmcnt(0)
	v_mov_b32_dpp v5, v3 row_shr:1 row_mask:0xf bank_mask:0xf
	v_cndmask_b32_e32 v5, 0, v5, vcc_lo
	v_cmp_lt_u32_e32 vcc_lo, 1, v4
	s_delay_alu instid0(VALU_DEP_2) | instskip(NEXT) | instid1(VALU_DEP_1)
	v_add_nc_u32_e32 v3, v5, v3
	v_mov_b32_dpp v5, v3 row_shr:2 row_mask:0xf bank_mask:0xf
	s_delay_alu instid0(VALU_DEP_1) | instskip(NEXT) | instid1(VALU_DEP_1)
	v_cndmask_b32_e32 v4, 0, v5, vcc_lo
	v_add_nc_u32_e32 v3, v3, v4
	ds_store_b32 v2, v3
.LBB1267_84:
	s_or_b32 exec_lo, exec_lo, s7
	v_cmp_gt_u32_e32 vcc_lo, 32, v0
	s_mov_b32 s8, exec_lo
	s_waitcnt lgkmcnt(0)
	s_barrier
	buffer_gl0_inv
                                        ; implicit-def: $vgpr9
	v_cmpx_lt_u32_e32 31, v0
	s_cbranch_execz .LBB1267_86
; %bb.85:
	v_lshl_add_u32 v2, v55, 2, -4
	ds_load_b32 v9, v2
	s_waitcnt lgkmcnt(0)
	v_add_nc_u32_e32 v1, v9, v1
.LBB1267_86:
	s_or_b32 exec_lo, exec_lo, s8
	v_add_nc_u32_e32 v2, -1, v54
	s_delay_alu instid0(VALU_DEP_1) | instskip(NEXT) | instid1(VALU_DEP_1)
	v_cmp_gt_i32_e64 s7, 0, v2
	v_cndmask_b32_e64 v2, v2, v54, s7
	v_cmp_eq_u32_e64 s7, 0, v54
	s_delay_alu instid0(VALU_DEP_2)
	v_lshlrev_b32_e32 v2, 2, v2
	ds_bpermute_b32 v10, v2, v1
	s_and_saveexec_b32 s8, vcc_lo
	s_cbranch_execz .LBB1267_104
; %bb.87:
	v_mov_b32_e32 v5, 0
	ds_load_b32 v1, v5 offset:12
	s_and_saveexec_b32 s9, s7
	s_cbranch_execz .LBB1267_89
; %bb.88:
	s_add_i32 s10, s20, 32
	s_mov_b32 s11, 0
	v_mov_b32_e32 v2, 1
	s_lshl_b64 s[10:11], s[10:11], 3
	s_delay_alu instid0(SALU_CYCLE_1)
	s_add_u32 s10, s18, s10
	s_addc_u32 s11, s19, s11
	s_waitcnt lgkmcnt(0)
	global_store_b64 v5, v[1:2], s[10:11]
.LBB1267_89:
	s_or_b32 exec_lo, exec_lo, s9
	v_xad_u32 v3, v54, -1, s20
	s_mov_b32 s10, 0
	s_mov_b32 s9, exec_lo
	s_delay_alu instid0(VALU_DEP_1) | instskip(NEXT) | instid1(VALU_DEP_1)
	v_add_nc_u32_e32 v4, 32, v3
	v_lshlrev_b64 v[4:5], 3, v[4:5]
	s_delay_alu instid0(VALU_DEP_1) | instskip(NEXT) | instid1(VALU_DEP_2)
	v_add_co_u32 v7, vcc_lo, s18, v4
	v_add_co_ci_u32_e32 v8, vcc_lo, s19, v5, vcc_lo
	global_load_b64 v[5:6], v[7:8], off glc
	s_waitcnt vmcnt(0)
	v_and_b32_e32 v2, 0xff, v6
	s_delay_alu instid0(VALU_DEP_1)
	v_cmpx_eq_u16_e32 0, v2
	s_cbranch_execz .LBB1267_92
.LBB1267_90:                            ; =>This Inner Loop Header: Depth=1
	global_load_b64 v[5:6], v[7:8], off glc
	s_waitcnt vmcnt(0)
	v_and_b32_e32 v2, 0xff, v6
	s_delay_alu instid0(VALU_DEP_1) | instskip(SKIP_1) | instid1(SALU_CYCLE_1)
	v_cmp_ne_u16_e32 vcc_lo, 0, v2
	s_or_b32 s10, vcc_lo, s10
	s_and_not1_b32 exec_lo, exec_lo, s10
	s_cbranch_execnz .LBB1267_90
; %bb.91:
	s_or_b32 exec_lo, exec_lo, s10
.LBB1267_92:
	s_delay_alu instid0(SALU_CYCLE_1)
	s_or_b32 exec_lo, exec_lo, s9
	v_cmp_ne_u32_e32 vcc_lo, 31, v54
	v_lshlrev_b32_e64 v16, v54, -1
	v_add_nc_u32_e32 v33, 2, v54
	v_add_nc_u32_e32 v57, 4, v54
	;; [unrolled: 1-line block ×3, first 2 shown]
	v_add_co_ci_u32_e32 v2, vcc_lo, 0, v54, vcc_lo
	v_add_nc_u32_e32 v61, 16, v54
	s_delay_alu instid0(VALU_DEP_2)
	v_lshlrev_b32_e32 v11, 2, v2
	v_and_b32_e32 v2, 0xff, v6
	ds_bpermute_b32 v4, v11, v5
	v_cmp_eq_u16_e32 vcc_lo, 2, v2
	v_and_or_b32 v2, vcc_lo, v16, 0x80000000
	v_cmp_gt_u32_e32 vcc_lo, 30, v54
	s_delay_alu instid0(VALU_DEP_2) | instskip(SKIP_1) | instid1(VALU_DEP_2)
	v_ctz_i32_b32_e32 v2, v2
	v_cndmask_b32_e64 v7, 0, 1, vcc_lo
	v_cmp_lt_u32_e32 vcc_lo, v54, v2
	s_waitcnt lgkmcnt(0)
	s_delay_alu instid0(VALU_DEP_2) | instskip(NEXT) | instid1(VALU_DEP_1)
	v_dual_cndmask_b32 v4, 0, v4 :: v_dual_lshlrev_b32 v7, 1, v7
	v_add_lshl_u32 v17, v7, v54, 2
	v_cmp_gt_u32_e32 vcc_lo, 28, v54
	s_delay_alu instid0(VALU_DEP_3) | instskip(SKIP_4) | instid1(VALU_DEP_1)
	v_add_nc_u32_e32 v4, v4, v5
	v_cndmask_b32_e64 v7, 0, 1, vcc_lo
	v_cmp_le_u32_e32 vcc_lo, v33, v2
	ds_bpermute_b32 v5, v17, v4
	v_lshlrev_b32_e32 v7, 2, v7
	v_add_lshl_u32 v34, v7, v54, 2
	s_waitcnt lgkmcnt(0)
	v_cndmask_b32_e32 v5, 0, v5, vcc_lo
	v_cmp_gt_u32_e32 vcc_lo, 24, v54
	s_delay_alu instid0(VALU_DEP_2) | instskip(SKIP_4) | instid1(VALU_DEP_1)
	v_add_nc_u32_e32 v4, v4, v5
	v_cndmask_b32_e64 v7, 0, 1, vcc_lo
	v_cmp_le_u32_e32 vcc_lo, v57, v2
	ds_bpermute_b32 v5, v34, v4
	v_lshlrev_b32_e32 v7, 3, v7
	v_add_lshl_u32 v58, v7, v54, 2
	s_waitcnt lgkmcnt(0)
	v_cndmask_b32_e32 v5, 0, v5, vcc_lo
	v_cmp_gt_u32_e32 vcc_lo, 16, v54
	s_delay_alu instid0(VALU_DEP_2) | instskip(SKIP_4) | instid1(VALU_DEP_1)
	v_add_nc_u32_e32 v4, v4, v5
	v_cndmask_b32_e64 v7, 0, 1, vcc_lo
	v_cmp_le_u32_e32 vcc_lo, v59, v2
	ds_bpermute_b32 v5, v58, v4
	v_lshlrev_b32_e32 v7, 4, v7
	v_add_lshl_u32 v60, v7, v54, 2
	s_waitcnt lgkmcnt(0)
	v_cndmask_b32_e32 v5, 0, v5, vcc_lo
	v_cmp_le_u32_e32 vcc_lo, v61, v2
	s_delay_alu instid0(VALU_DEP_2) | instskip(SKIP_3) | instid1(VALU_DEP_1)
	v_add_nc_u32_e32 v4, v4, v5
	ds_bpermute_b32 v5, v60, v4
	s_waitcnt lgkmcnt(0)
	v_cndmask_b32_e32 v2, 0, v5, vcc_lo
	v_dual_mov_b32 v4, 0 :: v_dual_add_nc_u32 v5, v4, v2
	s_branch .LBB1267_94
.LBB1267_93:                            ;   in Loop: Header=BB1267_94 Depth=1
	s_or_b32 exec_lo, exec_lo, s9
	ds_bpermute_b32 v8, v11, v5
	v_and_b32_e32 v7, 0xff, v6
	v_subrev_nc_u32_e32 v3, 32, v3
	s_delay_alu instid0(VALU_DEP_2) | instskip(SKIP_1) | instid1(VALU_DEP_1)
	v_cmp_eq_u16_e32 vcc_lo, 2, v7
	v_and_or_b32 v7, vcc_lo, v16, 0x80000000
	v_ctz_i32_b32_e32 v7, v7
	s_delay_alu instid0(VALU_DEP_1) | instskip(SKIP_3) | instid1(VALU_DEP_2)
	v_cmp_lt_u32_e32 vcc_lo, v54, v7
	s_waitcnt lgkmcnt(0)
	v_cndmask_b32_e32 v8, 0, v8, vcc_lo
	v_cmp_le_u32_e32 vcc_lo, v33, v7
	v_add_nc_u32_e32 v5, v8, v5
	ds_bpermute_b32 v8, v17, v5
	s_waitcnt lgkmcnt(0)
	v_cndmask_b32_e32 v8, 0, v8, vcc_lo
	v_cmp_le_u32_e32 vcc_lo, v57, v7
	s_delay_alu instid0(VALU_DEP_2) | instskip(SKIP_4) | instid1(VALU_DEP_2)
	v_add_nc_u32_e32 v5, v5, v8
	ds_bpermute_b32 v8, v34, v5
	s_waitcnt lgkmcnt(0)
	v_cndmask_b32_e32 v8, 0, v8, vcc_lo
	v_cmp_le_u32_e32 vcc_lo, v59, v7
	v_add_nc_u32_e32 v5, v5, v8
	ds_bpermute_b32 v8, v58, v5
	s_waitcnt lgkmcnt(0)
	v_cndmask_b32_e32 v8, 0, v8, vcc_lo
	v_cmp_le_u32_e32 vcc_lo, v61, v7
	s_delay_alu instid0(VALU_DEP_2) | instskip(SKIP_3) | instid1(VALU_DEP_1)
	v_add_nc_u32_e32 v5, v5, v8
	ds_bpermute_b32 v8, v60, v5
	s_waitcnt lgkmcnt(0)
	v_cndmask_b32_e32 v7, 0, v8, vcc_lo
	v_add3_u32 v5, v7, v2, v5
.LBB1267_94:                            ; =>This Loop Header: Depth=1
                                        ;     Child Loop BB1267_97 Depth 2
	v_and_b32_e32 v2, 0xff, v6
	s_delay_alu instid0(VALU_DEP_1) | instskip(SKIP_2) | instid1(VALU_DEP_1)
	v_cmp_ne_u16_e32 vcc_lo, 2, v2
	v_cndmask_b32_e64 v2, 0, 1, vcc_lo
	;;#ASMSTART
	;;#ASMEND
	v_cmp_ne_u32_e32 vcc_lo, 0, v2
	v_mov_b32_e32 v2, v5
	s_cmp_lg_u32 vcc_lo, exec_lo
	s_cbranch_scc1 .LBB1267_99
; %bb.95:                               ;   in Loop: Header=BB1267_94 Depth=1
	v_lshlrev_b64 v[5:6], 3, v[3:4]
	s_mov_b32 s9, exec_lo
	s_delay_alu instid0(VALU_DEP_1) | instskip(NEXT) | instid1(VALU_DEP_2)
	v_add_co_u32 v7, vcc_lo, s18, v5
	v_add_co_ci_u32_e32 v8, vcc_lo, s19, v6, vcc_lo
	global_load_b64 v[5:6], v[7:8], off glc
	s_waitcnt vmcnt(0)
	v_and_b32_e32 v62, 0xff, v6
	s_delay_alu instid0(VALU_DEP_1)
	v_cmpx_eq_u16_e32 0, v62
	s_cbranch_execz .LBB1267_93
; %bb.96:                               ;   in Loop: Header=BB1267_94 Depth=1
	s_mov_b32 s10, 0
.LBB1267_97:                            ;   Parent Loop BB1267_94 Depth=1
                                        ; =>  This Inner Loop Header: Depth=2
	global_load_b64 v[5:6], v[7:8], off glc
	s_waitcnt vmcnt(0)
	v_and_b32_e32 v62, 0xff, v6
	s_delay_alu instid0(VALU_DEP_1) | instskip(SKIP_1) | instid1(SALU_CYCLE_1)
	v_cmp_ne_u16_e32 vcc_lo, 0, v62
	s_or_b32 s10, vcc_lo, s10
	s_and_not1_b32 exec_lo, exec_lo, s10
	s_cbranch_execnz .LBB1267_97
; %bb.98:                               ;   in Loop: Header=BB1267_94 Depth=1
	s_or_b32 exec_lo, exec_lo, s10
	s_branch .LBB1267_93
.LBB1267_99:                            ;   in Loop: Header=BB1267_94 Depth=1
                                        ; implicit-def: $vgpr5
                                        ; implicit-def: $vgpr6
	s_cbranch_execz .LBB1267_94
; %bb.100:
	s_and_saveexec_b32 s9, s7
	s_cbranch_execz .LBB1267_102
; %bb.101:
	s_add_i32 s10, s20, 32
	s_mov_b32 s11, 0
	v_dual_mov_b32 v4, 2 :: v_dual_add_nc_u32 v3, v2, v1
	s_lshl_b64 s[10:11], s[10:11], 3
	v_mov_b32_e32 v5, 0
	s_add_u32 s10, s18, s10
	s_addc_u32 s11, s19, s11
	global_store_b64 v5, v[3:4], s[10:11]
	ds_store_b64 v5, v[1:2] offset:5632
.LBB1267_102:
	s_or_b32 exec_lo, exec_lo, s9
	s_delay_alu instid0(SALU_CYCLE_1)
	s_and_b32 exec_lo, exec_lo, s2
	s_cbranch_execz .LBB1267_104
; %bb.103:
	v_mov_b32_e32 v1, 0
	ds_store_b32 v1, v2 offset:12
.LBB1267_104:
	s_or_b32 exec_lo, exec_lo, s8
	v_mov_b32_e32 v11, 0
	s_waitcnt lgkmcnt(0)
	s_waitcnt_vscnt null, 0x0
	s_barrier
	buffer_gl0_inv
	v_cndmask_b32_e64 v2, v10, v9, s7
	ds_load_b32 v1, v11 offset:12
	s_waitcnt lgkmcnt(0)
	s_barrier
	buffer_gl0_inv
	v_cndmask_b32_e64 v2, v2, 0, s2
	s_delay_alu instid0(VALU_DEP_1) | instskip(NEXT) | instid1(VALU_DEP_1)
	v_add_nc_u32_e32 v1, v1, v2
	v_add_nc_u32_e32 v2, v1, v45
	ds_load_b64 v[16:17], v11 offset:5632
	v_add_nc_u32_e32 v3, v2, v46
	s_delay_alu instid0(VALU_DEP_1) | instskip(NEXT) | instid1(VALU_DEP_1)
	v_add_nc_u32_e32 v4, v3, v47
	v_add_nc_u32_e32 v5, v4, v49
	s_delay_alu instid0(VALU_DEP_1) | instskip(NEXT) | instid1(VALU_DEP_1)
	v_add_nc_u32_e32 v6, v5, v48
	v_add_nc_u32_e32 v7, v6, v50
	s_delay_alu instid0(VALU_DEP_1) | instskip(NEXT) | instid1(VALU_DEP_1)
	v_add_nc_u32_e32 v8, v7, v51
	v_add_nc_u32_e32 v9, v8, v44
	s_delay_alu instid0(VALU_DEP_1) | instskip(NEXT) | instid1(VALU_DEP_1)
	v_add_nc_u32_e32 v10, v9, v52
	v_add_nc_u32_e32 v11, v10, v53
	v_lshrrev_b64 v[33:34], 24, v[31:32]
	s_branch .LBB1267_115
.LBB1267_105:
                                        ; implicit-def: $vgpr17
                                        ; implicit-def: $vgpr1_vgpr2_vgpr3_vgpr4_vgpr5_vgpr6_vgpr7_vgpr8_vgpr9_vgpr10_vgpr11
	v_lshrrev_b64 v[33:34], 24, v[31:32]
	s_and_b32 vcc_lo, exec_lo, s7
	s_cbranch_vccz .LBB1267_115
; %bb.106:
	v_mov_b32_dpp v1, v56 row_shr:1 row_mask:0xf bank_mask:0xf
	s_delay_alu instid0(VALU_DEP_1) | instskip(NEXT) | instid1(VALU_DEP_1)
	v_cndmask_b32_e64 v1, v1, 0, s6
	v_add_nc_u32_e32 v1, v1, v56
	s_delay_alu instid0(VALU_DEP_1) | instskip(NEXT) | instid1(VALU_DEP_1)
	v_mov_b32_dpp v2, v1 row_shr:2 row_mask:0xf bank_mask:0xf
	v_cndmask_b32_e64 v2, 0, v2, s5
	s_delay_alu instid0(VALU_DEP_1) | instskip(NEXT) | instid1(VALU_DEP_1)
	v_add_nc_u32_e32 v1, v1, v2
	v_mov_b32_dpp v2, v1 row_shr:4 row_mask:0xf bank_mask:0xf
	s_delay_alu instid0(VALU_DEP_1) | instskip(NEXT) | instid1(VALU_DEP_1)
	v_cndmask_b32_e64 v2, 0, v2, s4
	v_add_nc_u32_e32 v1, v1, v2
	s_delay_alu instid0(VALU_DEP_1) | instskip(NEXT) | instid1(VALU_DEP_1)
	v_mov_b32_dpp v2, v1 row_shr:8 row_mask:0xf bank_mask:0xf
	v_cndmask_b32_e64 v2, 0, v2, s3
	s_delay_alu instid0(VALU_DEP_1) | instskip(SKIP_3) | instid1(VALU_DEP_1)
	v_add_nc_u32_e32 v1, v1, v2
	ds_swizzle_b32 v2, v1 offset:swizzle(BROADCAST,32,15)
	s_waitcnt lgkmcnt(0)
	v_cndmask_b32_e64 v2, v2, 0, s1
	v_add_nc_u32_e32 v1, v1, v2
	s_and_saveexec_b32 s1, s0
	s_cbranch_execz .LBB1267_108
; %bb.107:
	v_lshlrev_b32_e32 v2, 2, v55
	ds_store_b32 v2, v1
.LBB1267_108:
	s_or_b32 exec_lo, exec_lo, s1
	s_delay_alu instid0(SALU_CYCLE_1)
	s_mov_b32 s0, exec_lo
	s_waitcnt lgkmcnt(0)
	s_barrier
	buffer_gl0_inv
	v_cmpx_gt_u32_e32 4, v0
	s_cbranch_execz .LBB1267_110
; %bb.109:
	v_mad_i32_i24 v2, 0xffffffd8, v0, v43
	ds_load_b32 v3, v2
	s_waitcnt lgkmcnt(0)
	v_mov_b32_dpp v5, v3 row_shr:1 row_mask:0xf bank_mask:0xf
	v_and_b32_e32 v4, 3, v54
	s_delay_alu instid0(VALU_DEP_1) | instskip(NEXT) | instid1(VALU_DEP_3)
	v_cmp_ne_u32_e32 vcc_lo, 0, v4
	v_cndmask_b32_e32 v5, 0, v5, vcc_lo
	v_cmp_lt_u32_e32 vcc_lo, 1, v4
	s_delay_alu instid0(VALU_DEP_2) | instskip(NEXT) | instid1(VALU_DEP_1)
	v_add_nc_u32_e32 v3, v5, v3
	v_mov_b32_dpp v5, v3 row_shr:2 row_mask:0xf bank_mask:0xf
	s_delay_alu instid0(VALU_DEP_1) | instskip(NEXT) | instid1(VALU_DEP_1)
	v_cndmask_b32_e32 v4, 0, v5, vcc_lo
	v_add_nc_u32_e32 v3, v3, v4
	ds_store_b32 v2, v3
.LBB1267_110:
	s_or_b32 exec_lo, exec_lo, s0
	v_dual_mov_b32 v3, 0 :: v_dual_mov_b32 v2, 0
	s_mov_b32 s0, exec_lo
	s_waitcnt lgkmcnt(0)
	s_barrier
	buffer_gl0_inv
	v_cmpx_lt_u32_e32 31, v0
	s_cbranch_execz .LBB1267_112
; %bb.111:
	v_lshl_add_u32 v2, v55, 2, -4
	ds_load_b32 v2, v2
.LBB1267_112:
	s_or_b32 exec_lo, exec_lo, s0
	v_add_nc_u32_e32 v4, -1, v54
	ds_load_b32 v16, v3 offset:12
	s_waitcnt lgkmcnt(1)
	v_add_nc_u32_e32 v1, v2, v1
	v_cmp_gt_i32_e32 vcc_lo, 0, v4
	v_cndmask_b32_e32 v4, v4, v54, vcc_lo
	s_delay_alu instid0(VALU_DEP_1)
	v_lshlrev_b32_e32 v4, 2, v4
	ds_bpermute_b32 v1, v4, v1
	s_and_saveexec_b32 s0, s2
	s_cbranch_execz .LBB1267_114
; %bb.113:
	v_mov_b32_e32 v3, 0
	v_mov_b32_e32 v17, 2
	s_waitcnt lgkmcnt(1)
	global_store_b64 v3, v[16:17], s[18:19] offset:256
.LBB1267_114:
	s_or_b32 exec_lo, exec_lo, s0
	v_cmp_eq_u32_e32 vcc_lo, 0, v54
	s_waitcnt lgkmcnt(0)
	s_waitcnt_vscnt null, 0x0
	s_barrier
	buffer_gl0_inv
	v_mov_b32_e32 v17, 0
	v_cndmask_b32_e32 v1, v1, v2, vcc_lo
	s_delay_alu instid0(VALU_DEP_1) | instskip(NEXT) | instid1(VALU_DEP_1)
	v_cndmask_b32_e64 v1, v1, 0, s2
	v_add_nc_u32_e32 v2, v1, v45
	s_delay_alu instid0(VALU_DEP_1) | instskip(NEXT) | instid1(VALU_DEP_1)
	v_add_nc_u32_e32 v3, v2, v46
	v_add_nc_u32_e32 v4, v3, v47
	s_delay_alu instid0(VALU_DEP_1) | instskip(NEXT) | instid1(VALU_DEP_1)
	v_add_nc_u32_e32 v5, v4, v49
	;; [unrolled: 3-line block ×4, first 2 shown]
	v_add_nc_u32_e32 v10, v9, v52
	s_delay_alu instid0(VALU_DEP_1)
	v_add_nc_u32_e32 v11, v10, v53
.LBB1267_115:
	v_lshrrev_b32_e32 v47, 16, v31
	v_lshrrev_b32_e32 v48, 8, v31
	v_and_b32_e32 v31, 1, v31
	s_waitcnt lgkmcnt(0)
	v_cmp_gt_u32_e64 s0, 0x81, v16
	v_lshrrev_b32_e32 v34, 16, v18
	v_lshrrev_b32_e32 v46, 8, v32
	;; [unrolled: 1-line block ×4, first 2 shown]
	v_cmp_eq_u32_e64 s1, 1, v31
	s_and_b32 vcc_lo, exec_lo, s0
	s_cbranch_vccnz .LBB1267_139
; %bb.116:
	s_delay_alu instid0(VALU_DEP_1)
	s_and_saveexec_b32 s3, s1
	s_cbranch_execz .LBB1267_118
; %bb.117:
	v_sub_nc_u32_e32 v49, v1, v17
	s_delay_alu instid0(VALU_DEP_1)
	v_lshlrev_b32_e32 v49, 1, v49
	ds_store_b16 v49, v12
.LBB1267_118:
	s_or_b32 exec_lo, exec_lo, s3
	v_and_b32_e32 v12, 1, v48
	s_mov_b32 s1, exec_lo
	s_delay_alu instid0(VALU_DEP_1)
	v_cmpx_eq_u32_e32 1, v12
	s_cbranch_execz .LBB1267_120
; %bb.119:
	v_sub_nc_u32_e32 v12, v2, v17
	s_delay_alu instid0(VALU_DEP_1)
	v_lshlrev_b32_e32 v12, 1, v12
	ds_store_b16 v12, v42
.LBB1267_120:
	s_or_b32 exec_lo, exec_lo, s1
	v_and_b32_e32 v12, 1, v47
	s_mov_b32 s1, exec_lo
	s_delay_alu instid0(VALU_DEP_1)
	v_cmpx_eq_u32_e32 1, v12
	s_cbranch_execz .LBB1267_122
; %bb.121:
	v_sub_nc_u32_e32 v12, v3, v17
	s_delay_alu instid0(VALU_DEP_1)
	v_lshlrev_b32_e32 v12, 1, v12
	ds_store_b16 v12, v13
.LBB1267_122:
	s_or_b32 exec_lo, exec_lo, s1
	v_and_b32_e32 v12, 1, v33
	s_mov_b32 s1, exec_lo
	s_delay_alu instid0(VALU_DEP_1)
	v_cmpx_eq_u32_e32 1, v12
	s_cbranch_execz .LBB1267_124
; %bb.123:
	v_sub_nc_u32_e32 v12, v4, v17
	s_delay_alu instid0(VALU_DEP_1)
	v_lshlrev_b32_e32 v12, 1, v12
	ds_store_b16 v12, v41
.LBB1267_124:
	s_or_b32 exec_lo, exec_lo, s1
	v_and_b32_e32 v12, 1, v32
	s_mov_b32 s1, exec_lo
	s_delay_alu instid0(VALU_DEP_1)
	v_cmpx_eq_u32_e32 1, v12
	s_cbranch_execz .LBB1267_126
; %bb.125:
	v_sub_nc_u32_e32 v12, v5, v17
	s_delay_alu instid0(VALU_DEP_1)
	v_lshlrev_b32_e32 v12, 1, v12
	ds_store_b16 v12, v14
.LBB1267_126:
	s_or_b32 exec_lo, exec_lo, s1
	v_and_b32_e32 v12, 1, v46
	s_mov_b32 s1, exec_lo
	s_delay_alu instid0(VALU_DEP_1)
	v_cmpx_eq_u32_e32 1, v12
	s_cbranch_execz .LBB1267_128
; %bb.127:
	v_sub_nc_u32_e32 v12, v6, v17
	s_delay_alu instid0(VALU_DEP_1)
	v_lshlrev_b32_e32 v12, 1, v12
	ds_store_b16 v12, v40
.LBB1267_128:
	s_or_b32 exec_lo, exec_lo, s1
	v_and_b32_e32 v12, 1, v45
	s_mov_b32 s1, exec_lo
	s_delay_alu instid0(VALU_DEP_1)
	v_cmpx_eq_u32_e32 1, v12
	s_cbranch_execz .LBB1267_130
; %bb.129:
	v_sub_nc_u32_e32 v12, v7, v17
	s_delay_alu instid0(VALU_DEP_1)
	v_lshlrev_b32_e32 v12, 1, v12
	ds_store_b16 v12, v15
.LBB1267_130:
	s_or_b32 exec_lo, exec_lo, s1
	v_and_b32_e32 v12, 1, v44
	s_mov_b32 s1, exec_lo
	s_delay_alu instid0(VALU_DEP_1)
	v_cmpx_eq_u32_e32 1, v12
	s_cbranch_execz .LBB1267_132
; %bb.131:
	v_sub_nc_u32_e32 v12, v8, v17
	s_delay_alu instid0(VALU_DEP_1)
	v_lshlrev_b32_e32 v12, 1, v12
	ds_store_b16 v12, v39
.LBB1267_132:
	s_or_b32 exec_lo, exec_lo, s1
	v_and_b32_e32 v12, 1, v18
	s_mov_b32 s1, exec_lo
	s_delay_alu instid0(VALU_DEP_1)
	v_cmpx_eq_u32_e32 1, v12
	s_cbranch_execz .LBB1267_134
; %bb.133:
	v_sub_nc_u32_e32 v12, v9, v17
	s_delay_alu instid0(VALU_DEP_1)
	v_lshlrev_b32_e32 v12, 1, v12
	ds_store_b16 v12, v38
.LBB1267_134:
	s_or_b32 exec_lo, exec_lo, s1
	v_and_b32_e32 v12, 1, v43
	s_mov_b32 s1, exec_lo
	s_delay_alu instid0(VALU_DEP_1)
	v_cmpx_eq_u32_e32 1, v12
	s_cbranch_execz .LBB1267_136
; %bb.135:
	v_sub_nc_u32_e32 v12, v10, v17
	s_delay_alu instid0(VALU_DEP_1)
	v_lshlrev_b32_e32 v12, 1, v12
	ds_store_b16 v12, v37
.LBB1267_136:
	s_or_b32 exec_lo, exec_lo, s1
	v_and_b32_e32 v12, 1, v34
	s_mov_b32 s1, exec_lo
	s_delay_alu instid0(VALU_DEP_1)
	v_cmpx_eq_u32_e32 1, v12
	s_cbranch_execz .LBB1267_138
; %bb.137:
	v_sub_nc_u32_e32 v12, v11, v17
	s_delay_alu instid0(VALU_DEP_1)
	v_lshlrev_b32_e32 v12, 1, v12
	ds_store_b16 v12, v36
.LBB1267_138:
	s_or_b32 exec_lo, exec_lo, s1
	s_waitcnt lgkmcnt(0)
	s_barrier
	buffer_gl0_inv
.LBB1267_139:
	s_and_b32 vcc_lo, exec_lo, s0
	s_mov_b32 s0, -1
	s_barrier
	buffer_gl0_inv
	s_cbranch_vccnz .LBB1267_143
; %bb.140:
	s_and_b32 vcc_lo, exec_lo, s0
	s_cbranch_vccnz .LBB1267_177
.LBB1267_141:
	s_and_b32 s0, s2, s14
	s_delay_alu instid0(SALU_CYCLE_1)
	s_and_saveexec_b32 s1, s0
	s_cbranch_execnz .LBB1267_203
.LBB1267_142:
	s_nop 0
	s_sendmsg sendmsg(MSG_DEALLOC_VGPRS)
	s_endpgm
.LBB1267_143:
	v_lshlrev_b64 v[12:13], 2, v[19:20]
	v_add_nc_u32_e32 v14, v17, v16
	s_delay_alu instid0(VALU_DEP_1) | instskip(NEXT) | instid1(VALU_DEP_3)
	v_cmp_lt_u32_e32 vcc_lo, v1, v14
	v_add_co_u32 v12, s0, s16, v12
	s_delay_alu instid0(VALU_DEP_1) | instskip(SKIP_1) | instid1(SALU_CYCLE_1)
	v_add_co_ci_u32_e64 v13, s0, s17, v13, s0
	s_or_b32 s1, s15, vcc_lo
	s_and_saveexec_b32 s0, s1
	s_cbranch_execz .LBB1267_146
; %bb.144:
	v_cmp_eq_u32_e32 vcc_lo, 1, v31
	s_and_b32 exec_lo, exec_lo, vcc_lo
	s_cbranch_execz .LBB1267_146
; %bb.145:
	v_dual_mov_b32 v37, 0 :: v_dual_mov_b32 v36, v1
	s_delay_alu instid0(VALU_DEP_1) | instskip(NEXT) | instid1(VALU_DEP_1)
	v_lshlrev_b64 v[36:37], 2, v[36:37]
	v_add_co_u32 v36, vcc_lo, v12, v36
	s_delay_alu instid0(VALU_DEP_2)
	v_add_co_ci_u32_e32 v37, vcc_lo, v13, v37, vcc_lo
	global_store_b32 v[36:37], v29, off
.LBB1267_146:
	s_or_b32 exec_lo, exec_lo, s0
	v_cmp_lt_u32_e32 vcc_lo, v2, v14
	s_or_b32 s1, s15, vcc_lo
	s_delay_alu instid0(SALU_CYCLE_1)
	s_and_saveexec_b32 s0, s1
	s_cbranch_execz .LBB1267_149
; %bb.147:
	v_and_b32_e32 v15, 1, v48
	s_delay_alu instid0(VALU_DEP_1)
	v_cmp_eq_u32_e32 vcc_lo, 1, v15
	s_and_b32 exec_lo, exec_lo, vcc_lo
	s_cbranch_execz .LBB1267_149
; %bb.148:
	v_dual_mov_b32 v37, 0 :: v_dual_mov_b32 v36, v2
	s_delay_alu instid0(VALU_DEP_1) | instskip(NEXT) | instid1(VALU_DEP_1)
	v_lshlrev_b64 v[36:37], 2, v[36:37]
	v_add_co_u32 v36, vcc_lo, v12, v36
	s_delay_alu instid0(VALU_DEP_2)
	v_add_co_ci_u32_e32 v37, vcc_lo, v13, v37, vcc_lo
	global_store_b32 v[36:37], v30, off
.LBB1267_149:
	s_or_b32 exec_lo, exec_lo, s0
	v_cmp_lt_u32_e32 vcc_lo, v3, v14
	s_or_b32 s1, s15, vcc_lo
	s_delay_alu instid0(SALU_CYCLE_1)
	s_and_saveexec_b32 s0, s1
	s_cbranch_execz .LBB1267_152
; %bb.150:
	v_and_b32_e32 v15, 1, v47
	s_delay_alu instid0(VALU_DEP_1)
	v_cmp_eq_u32_e32 vcc_lo, 1, v15
	s_and_b32 exec_lo, exec_lo, vcc_lo
	s_cbranch_execz .LBB1267_152
; %bb.151:
	v_dual_mov_b32 v37, 0 :: v_dual_mov_b32 v36, v3
	s_delay_alu instid0(VALU_DEP_1) | instskip(NEXT) | instid1(VALU_DEP_1)
	v_lshlrev_b64 v[36:37], 2, v[36:37]
	v_add_co_u32 v36, vcc_lo, v12, v36
	s_delay_alu instid0(VALU_DEP_2)
	v_add_co_ci_u32_e32 v37, vcc_lo, v13, v37, vcc_lo
	global_store_b32 v[36:37], v27, off
.LBB1267_152:
	;; [unrolled: 21-line block ×10, first 2 shown]
	s_or_b32 exec_lo, exec_lo, s0
	s_branch .LBB1267_141
.LBB1267_177:
	s_mov_b32 s0, exec_lo
	v_cmpx_eq_u32_e32 1, v31
	s_cbranch_execz .LBB1267_179
; %bb.178:
	v_sub_nc_u32_e32 v1, v1, v17
	s_delay_alu instid0(VALU_DEP_1)
	v_lshlrev_b32_e32 v1, 2, v1
	ds_store_b32 v1, v29
.LBB1267_179:
	s_or_b32 exec_lo, exec_lo, s0
	v_and_b32_e32 v1, 1, v48
	s_mov_b32 s0, exec_lo
	s_delay_alu instid0(VALU_DEP_1)
	v_cmpx_eq_u32_e32 1, v1
	s_cbranch_execz .LBB1267_181
; %bb.180:
	v_sub_nc_u32_e32 v1, v2, v17
	s_delay_alu instid0(VALU_DEP_1)
	v_lshlrev_b32_e32 v1, 2, v1
	ds_store_b32 v1, v30
.LBB1267_181:
	s_or_b32 exec_lo, exec_lo, s0
	v_and_b32_e32 v1, 1, v47
	s_mov_b32 s0, exec_lo
	s_delay_alu instid0(VALU_DEP_1)
	;; [unrolled: 12-line block ×10, first 2 shown]
	v_cmpx_eq_u32_e32 1, v1
	s_cbranch_execz .LBB1267_199
; %bb.198:
	v_sub_nc_u32_e32 v1, v11, v17
	s_delay_alu instid0(VALU_DEP_1)
	v_lshlrev_b32_e32 v1, 2, v1
	ds_store_b32 v1, v35
.LBB1267_199:
	s_or_b32 exec_lo, exec_lo, s0
	s_delay_alu instid0(SALU_CYCLE_1)
	s_mov_b32 s1, exec_lo
	s_waitcnt lgkmcnt(0)
	s_waitcnt_vscnt null, 0x0
	s_barrier
	buffer_gl0_inv
	v_cmpx_lt_u32_e64 v0, v16
	s_cbranch_execz .LBB1267_202
; %bb.200:
	v_dual_mov_b32 v1, 0 :: v_dual_mov_b32 v2, v17
	v_lshlrev_b64 v[4:5], 2, v[19:20]
	s_mov_b32 s3, 0
	s_delay_alu instid0(VALU_DEP_2) | instskip(NEXT) | instid1(VALU_DEP_2)
	v_mov_b32_e32 v3, v1
	v_add_co_u32 v4, vcc_lo, s16, v4
	s_delay_alu instid0(VALU_DEP_2) | instskip(NEXT) | instid1(VALU_DEP_4)
	v_lshlrev_b64 v[2:3], 2, v[2:3]
	v_add_co_ci_u32_e32 v5, vcc_lo, s17, v5, vcc_lo
	s_delay_alu instid0(VALU_DEP_2) | instskip(SKIP_1) | instid1(VALU_DEP_3)
	v_add_co_u32 v2, vcc_lo, v4, v2
	v_lshlrev_b32_e32 v4, 2, v0
	v_add_co_ci_u32_e32 v3, vcc_lo, v5, v3, vcc_lo
	.p2align	6
.LBB1267_201:                           ; =>This Inner Loop Header: Depth=1
	ds_load_b32 v7, v4
	v_lshlrev_b64 v[5:6], 2, v[0:1]
	v_add_nc_u32_e32 v0, 0x80, v0
	v_add_nc_u32_e32 v4, 0x200, v4
	s_delay_alu instid0(VALU_DEP_2) | instskip(NEXT) | instid1(VALU_DEP_4)
	v_cmp_ge_u32_e32 vcc_lo, v0, v16
	v_add_co_u32 v5, s0, v2, v5
	s_delay_alu instid0(VALU_DEP_1)
	v_add_co_ci_u32_e64 v6, s0, v3, v6, s0
	s_or_b32 s3, vcc_lo, s3
	s_waitcnt lgkmcnt(0)
	global_store_b32 v[5:6], v7, off
	s_and_not1_b32 exec_lo, exec_lo, s3
	s_cbranch_execnz .LBB1267_201
.LBB1267_202:
	s_or_b32 exec_lo, exec_lo, s1
	s_and_b32 s0, s2, s14
	s_delay_alu instid0(SALU_CYCLE_1)
	s_and_saveexec_b32 s1, s0
	s_cbranch_execz .LBB1267_142
.LBB1267_203:
	v_add_co_u32 v0, vcc_lo, v19, v16
	v_add_co_ci_u32_e32 v1, vcc_lo, 0, v20, vcc_lo
	v_mov_b32_e32 v2, 0
	s_delay_alu instid0(VALU_DEP_3) | instskip(NEXT) | instid1(VALU_DEP_3)
	v_add_co_u32 v0, vcc_lo, v0, v17
	v_add_co_ci_u32_e32 v1, vcc_lo, 0, v1, vcc_lo
	global_store_b64 v2, v[0:1], s[12:13]
	s_nop 0
	s_sendmsg sendmsg(MSG_DEALLOC_VGPRS)
	s_endpgm
.LBB1267_204:
	s_or_b32 exec_lo, exec_lo, s1
	s_and_saveexec_b32 s1, s24
	s_cbranch_execnz .LBB1267_76
	s_branch .LBB1267_77
	.section	.rodata,"a",@progbits
	.p2align	6, 0x0
	.amdhsa_kernel _ZN7rocprim17ROCPRIM_400000_NS6detail17trampoline_kernelINS0_14default_configENS1_25partition_config_selectorILNS1_17partition_subalgoE9EsjbEEZZNS1_14partition_implILS5_9ELb0ES3_jN6thrust23THRUST_200600_302600_NS6detail15normal_iteratorINS9_10device_ptrIsEEEENSB_INSC_IjEEEEPNS0_10empty_typeENS0_5tupleIJNS9_16discard_iteratorINS9_11use_defaultEEESH_EEENSJ_IJSG_SI_EEENS0_18inequality_wrapperINS9_8equal_toIsEEEEPmJSH_EEE10hipError_tPvRmT3_T4_T5_T6_T7_T9_mT8_P12ihipStream_tbDpT10_ENKUlT_T0_E_clISt17integral_constantIbLb0EES1C_IbLb1EEEEDaS18_S19_EUlS18_E_NS1_11comp_targetILNS1_3genE9ELNS1_11target_archE1100ELNS1_3gpuE3ELNS1_3repE0EEENS1_30default_config_static_selectorELNS0_4arch9wavefront6targetE0EEEvT1_
		.amdhsa_group_segment_fixed_size 5640
		.amdhsa_private_segment_fixed_size 0
		.amdhsa_kernarg_size 136
		.amdhsa_user_sgpr_count 15
		.amdhsa_user_sgpr_dispatch_ptr 0
		.amdhsa_user_sgpr_queue_ptr 0
		.amdhsa_user_sgpr_kernarg_segment_ptr 1
		.amdhsa_user_sgpr_dispatch_id 0
		.amdhsa_user_sgpr_private_segment_size 0
		.amdhsa_wavefront_size32 1
		.amdhsa_uses_dynamic_stack 0
		.amdhsa_enable_private_segment 0
		.amdhsa_system_sgpr_workgroup_id_x 1
		.amdhsa_system_sgpr_workgroup_id_y 0
		.amdhsa_system_sgpr_workgroup_id_z 0
		.amdhsa_system_sgpr_workgroup_info 0
		.amdhsa_system_vgpr_workitem_id 0
		.amdhsa_next_free_vgpr 63
		.amdhsa_next_free_sgpr 26
		.amdhsa_reserve_vcc 1
		.amdhsa_float_round_mode_32 0
		.amdhsa_float_round_mode_16_64 0
		.amdhsa_float_denorm_mode_32 3
		.amdhsa_float_denorm_mode_16_64 3
		.amdhsa_dx10_clamp 1
		.amdhsa_ieee_mode 1
		.amdhsa_fp16_overflow 0
		.amdhsa_workgroup_processor_mode 1
		.amdhsa_memory_ordered 1
		.amdhsa_forward_progress 0
		.amdhsa_shared_vgpr_count 0
		.amdhsa_exception_fp_ieee_invalid_op 0
		.amdhsa_exception_fp_denorm_src 0
		.amdhsa_exception_fp_ieee_div_zero 0
		.amdhsa_exception_fp_ieee_overflow 0
		.amdhsa_exception_fp_ieee_underflow 0
		.amdhsa_exception_fp_ieee_inexact 0
		.amdhsa_exception_int_div_zero 0
	.end_amdhsa_kernel
	.section	.text._ZN7rocprim17ROCPRIM_400000_NS6detail17trampoline_kernelINS0_14default_configENS1_25partition_config_selectorILNS1_17partition_subalgoE9EsjbEEZZNS1_14partition_implILS5_9ELb0ES3_jN6thrust23THRUST_200600_302600_NS6detail15normal_iteratorINS9_10device_ptrIsEEEENSB_INSC_IjEEEEPNS0_10empty_typeENS0_5tupleIJNS9_16discard_iteratorINS9_11use_defaultEEESH_EEENSJ_IJSG_SI_EEENS0_18inequality_wrapperINS9_8equal_toIsEEEEPmJSH_EEE10hipError_tPvRmT3_T4_T5_T6_T7_T9_mT8_P12ihipStream_tbDpT10_ENKUlT_T0_E_clISt17integral_constantIbLb0EES1C_IbLb1EEEEDaS18_S19_EUlS18_E_NS1_11comp_targetILNS1_3genE9ELNS1_11target_archE1100ELNS1_3gpuE3ELNS1_3repE0EEENS1_30default_config_static_selectorELNS0_4arch9wavefront6targetE0EEEvT1_,"axG",@progbits,_ZN7rocprim17ROCPRIM_400000_NS6detail17trampoline_kernelINS0_14default_configENS1_25partition_config_selectorILNS1_17partition_subalgoE9EsjbEEZZNS1_14partition_implILS5_9ELb0ES3_jN6thrust23THRUST_200600_302600_NS6detail15normal_iteratorINS9_10device_ptrIsEEEENSB_INSC_IjEEEEPNS0_10empty_typeENS0_5tupleIJNS9_16discard_iteratorINS9_11use_defaultEEESH_EEENSJ_IJSG_SI_EEENS0_18inequality_wrapperINS9_8equal_toIsEEEEPmJSH_EEE10hipError_tPvRmT3_T4_T5_T6_T7_T9_mT8_P12ihipStream_tbDpT10_ENKUlT_T0_E_clISt17integral_constantIbLb0EES1C_IbLb1EEEEDaS18_S19_EUlS18_E_NS1_11comp_targetILNS1_3genE9ELNS1_11target_archE1100ELNS1_3gpuE3ELNS1_3repE0EEENS1_30default_config_static_selectorELNS0_4arch9wavefront6targetE0EEEvT1_,comdat
.Lfunc_end1267:
	.size	_ZN7rocprim17ROCPRIM_400000_NS6detail17trampoline_kernelINS0_14default_configENS1_25partition_config_selectorILNS1_17partition_subalgoE9EsjbEEZZNS1_14partition_implILS5_9ELb0ES3_jN6thrust23THRUST_200600_302600_NS6detail15normal_iteratorINS9_10device_ptrIsEEEENSB_INSC_IjEEEEPNS0_10empty_typeENS0_5tupleIJNS9_16discard_iteratorINS9_11use_defaultEEESH_EEENSJ_IJSG_SI_EEENS0_18inequality_wrapperINS9_8equal_toIsEEEEPmJSH_EEE10hipError_tPvRmT3_T4_T5_T6_T7_T9_mT8_P12ihipStream_tbDpT10_ENKUlT_T0_E_clISt17integral_constantIbLb0EES1C_IbLb1EEEEDaS18_S19_EUlS18_E_NS1_11comp_targetILNS1_3genE9ELNS1_11target_archE1100ELNS1_3gpuE3ELNS1_3repE0EEENS1_30default_config_static_selectorELNS0_4arch9wavefront6targetE0EEEvT1_, .Lfunc_end1267-_ZN7rocprim17ROCPRIM_400000_NS6detail17trampoline_kernelINS0_14default_configENS1_25partition_config_selectorILNS1_17partition_subalgoE9EsjbEEZZNS1_14partition_implILS5_9ELb0ES3_jN6thrust23THRUST_200600_302600_NS6detail15normal_iteratorINS9_10device_ptrIsEEEENSB_INSC_IjEEEEPNS0_10empty_typeENS0_5tupleIJNS9_16discard_iteratorINS9_11use_defaultEEESH_EEENSJ_IJSG_SI_EEENS0_18inequality_wrapperINS9_8equal_toIsEEEEPmJSH_EEE10hipError_tPvRmT3_T4_T5_T6_T7_T9_mT8_P12ihipStream_tbDpT10_ENKUlT_T0_E_clISt17integral_constantIbLb0EES1C_IbLb1EEEEDaS18_S19_EUlS18_E_NS1_11comp_targetILNS1_3genE9ELNS1_11target_archE1100ELNS1_3gpuE3ELNS1_3repE0EEENS1_30default_config_static_selectorELNS0_4arch9wavefront6targetE0EEEvT1_
                                        ; -- End function
	.section	.AMDGPU.csdata,"",@progbits
; Kernel info:
; codeLenInByte = 9356
; NumSgprs: 28
; NumVgprs: 63
; ScratchSize: 0
; MemoryBound: 0
; FloatMode: 240
; IeeeMode: 1
; LDSByteSize: 5640 bytes/workgroup (compile time only)
; SGPRBlocks: 3
; VGPRBlocks: 7
; NumSGPRsForWavesPerEU: 28
; NumVGPRsForWavesPerEU: 63
; Occupancy: 16
; WaveLimiterHint : 1
; COMPUTE_PGM_RSRC2:SCRATCH_EN: 0
; COMPUTE_PGM_RSRC2:USER_SGPR: 15
; COMPUTE_PGM_RSRC2:TRAP_HANDLER: 0
; COMPUTE_PGM_RSRC2:TGID_X_EN: 1
; COMPUTE_PGM_RSRC2:TGID_Y_EN: 0
; COMPUTE_PGM_RSRC2:TGID_Z_EN: 0
; COMPUTE_PGM_RSRC2:TIDIG_COMP_CNT: 0
	.section	.text._ZN7rocprim17ROCPRIM_400000_NS6detail17trampoline_kernelINS0_14default_configENS1_25partition_config_selectorILNS1_17partition_subalgoE9EsjbEEZZNS1_14partition_implILS5_9ELb0ES3_jN6thrust23THRUST_200600_302600_NS6detail15normal_iteratorINS9_10device_ptrIsEEEENSB_INSC_IjEEEEPNS0_10empty_typeENS0_5tupleIJNS9_16discard_iteratorINS9_11use_defaultEEESH_EEENSJ_IJSG_SI_EEENS0_18inequality_wrapperINS9_8equal_toIsEEEEPmJSH_EEE10hipError_tPvRmT3_T4_T5_T6_T7_T9_mT8_P12ihipStream_tbDpT10_ENKUlT_T0_E_clISt17integral_constantIbLb0EES1C_IbLb1EEEEDaS18_S19_EUlS18_E_NS1_11comp_targetILNS1_3genE8ELNS1_11target_archE1030ELNS1_3gpuE2ELNS1_3repE0EEENS1_30default_config_static_selectorELNS0_4arch9wavefront6targetE0EEEvT1_,"axG",@progbits,_ZN7rocprim17ROCPRIM_400000_NS6detail17trampoline_kernelINS0_14default_configENS1_25partition_config_selectorILNS1_17partition_subalgoE9EsjbEEZZNS1_14partition_implILS5_9ELb0ES3_jN6thrust23THRUST_200600_302600_NS6detail15normal_iteratorINS9_10device_ptrIsEEEENSB_INSC_IjEEEEPNS0_10empty_typeENS0_5tupleIJNS9_16discard_iteratorINS9_11use_defaultEEESH_EEENSJ_IJSG_SI_EEENS0_18inequality_wrapperINS9_8equal_toIsEEEEPmJSH_EEE10hipError_tPvRmT3_T4_T5_T6_T7_T9_mT8_P12ihipStream_tbDpT10_ENKUlT_T0_E_clISt17integral_constantIbLb0EES1C_IbLb1EEEEDaS18_S19_EUlS18_E_NS1_11comp_targetILNS1_3genE8ELNS1_11target_archE1030ELNS1_3gpuE2ELNS1_3repE0EEENS1_30default_config_static_selectorELNS0_4arch9wavefront6targetE0EEEvT1_,comdat
	.protected	_ZN7rocprim17ROCPRIM_400000_NS6detail17trampoline_kernelINS0_14default_configENS1_25partition_config_selectorILNS1_17partition_subalgoE9EsjbEEZZNS1_14partition_implILS5_9ELb0ES3_jN6thrust23THRUST_200600_302600_NS6detail15normal_iteratorINS9_10device_ptrIsEEEENSB_INSC_IjEEEEPNS0_10empty_typeENS0_5tupleIJNS9_16discard_iteratorINS9_11use_defaultEEESH_EEENSJ_IJSG_SI_EEENS0_18inequality_wrapperINS9_8equal_toIsEEEEPmJSH_EEE10hipError_tPvRmT3_T4_T5_T6_T7_T9_mT8_P12ihipStream_tbDpT10_ENKUlT_T0_E_clISt17integral_constantIbLb0EES1C_IbLb1EEEEDaS18_S19_EUlS18_E_NS1_11comp_targetILNS1_3genE8ELNS1_11target_archE1030ELNS1_3gpuE2ELNS1_3repE0EEENS1_30default_config_static_selectorELNS0_4arch9wavefront6targetE0EEEvT1_ ; -- Begin function _ZN7rocprim17ROCPRIM_400000_NS6detail17trampoline_kernelINS0_14default_configENS1_25partition_config_selectorILNS1_17partition_subalgoE9EsjbEEZZNS1_14partition_implILS5_9ELb0ES3_jN6thrust23THRUST_200600_302600_NS6detail15normal_iteratorINS9_10device_ptrIsEEEENSB_INSC_IjEEEEPNS0_10empty_typeENS0_5tupleIJNS9_16discard_iteratorINS9_11use_defaultEEESH_EEENSJ_IJSG_SI_EEENS0_18inequality_wrapperINS9_8equal_toIsEEEEPmJSH_EEE10hipError_tPvRmT3_T4_T5_T6_T7_T9_mT8_P12ihipStream_tbDpT10_ENKUlT_T0_E_clISt17integral_constantIbLb0EES1C_IbLb1EEEEDaS18_S19_EUlS18_E_NS1_11comp_targetILNS1_3genE8ELNS1_11target_archE1030ELNS1_3gpuE2ELNS1_3repE0EEENS1_30default_config_static_selectorELNS0_4arch9wavefront6targetE0EEEvT1_
	.globl	_ZN7rocprim17ROCPRIM_400000_NS6detail17trampoline_kernelINS0_14default_configENS1_25partition_config_selectorILNS1_17partition_subalgoE9EsjbEEZZNS1_14partition_implILS5_9ELb0ES3_jN6thrust23THRUST_200600_302600_NS6detail15normal_iteratorINS9_10device_ptrIsEEEENSB_INSC_IjEEEEPNS0_10empty_typeENS0_5tupleIJNS9_16discard_iteratorINS9_11use_defaultEEESH_EEENSJ_IJSG_SI_EEENS0_18inequality_wrapperINS9_8equal_toIsEEEEPmJSH_EEE10hipError_tPvRmT3_T4_T5_T6_T7_T9_mT8_P12ihipStream_tbDpT10_ENKUlT_T0_E_clISt17integral_constantIbLb0EES1C_IbLb1EEEEDaS18_S19_EUlS18_E_NS1_11comp_targetILNS1_3genE8ELNS1_11target_archE1030ELNS1_3gpuE2ELNS1_3repE0EEENS1_30default_config_static_selectorELNS0_4arch9wavefront6targetE0EEEvT1_
	.p2align	8
	.type	_ZN7rocprim17ROCPRIM_400000_NS6detail17trampoline_kernelINS0_14default_configENS1_25partition_config_selectorILNS1_17partition_subalgoE9EsjbEEZZNS1_14partition_implILS5_9ELb0ES3_jN6thrust23THRUST_200600_302600_NS6detail15normal_iteratorINS9_10device_ptrIsEEEENSB_INSC_IjEEEEPNS0_10empty_typeENS0_5tupleIJNS9_16discard_iteratorINS9_11use_defaultEEESH_EEENSJ_IJSG_SI_EEENS0_18inequality_wrapperINS9_8equal_toIsEEEEPmJSH_EEE10hipError_tPvRmT3_T4_T5_T6_T7_T9_mT8_P12ihipStream_tbDpT10_ENKUlT_T0_E_clISt17integral_constantIbLb0EES1C_IbLb1EEEEDaS18_S19_EUlS18_E_NS1_11comp_targetILNS1_3genE8ELNS1_11target_archE1030ELNS1_3gpuE2ELNS1_3repE0EEENS1_30default_config_static_selectorELNS0_4arch9wavefront6targetE0EEEvT1_,@function
_ZN7rocprim17ROCPRIM_400000_NS6detail17trampoline_kernelINS0_14default_configENS1_25partition_config_selectorILNS1_17partition_subalgoE9EsjbEEZZNS1_14partition_implILS5_9ELb0ES3_jN6thrust23THRUST_200600_302600_NS6detail15normal_iteratorINS9_10device_ptrIsEEEENSB_INSC_IjEEEEPNS0_10empty_typeENS0_5tupleIJNS9_16discard_iteratorINS9_11use_defaultEEESH_EEENSJ_IJSG_SI_EEENS0_18inequality_wrapperINS9_8equal_toIsEEEEPmJSH_EEE10hipError_tPvRmT3_T4_T5_T6_T7_T9_mT8_P12ihipStream_tbDpT10_ENKUlT_T0_E_clISt17integral_constantIbLb0EES1C_IbLb1EEEEDaS18_S19_EUlS18_E_NS1_11comp_targetILNS1_3genE8ELNS1_11target_archE1030ELNS1_3gpuE2ELNS1_3repE0EEENS1_30default_config_static_selectorELNS0_4arch9wavefront6targetE0EEEvT1_: ; @_ZN7rocprim17ROCPRIM_400000_NS6detail17trampoline_kernelINS0_14default_configENS1_25partition_config_selectorILNS1_17partition_subalgoE9EsjbEEZZNS1_14partition_implILS5_9ELb0ES3_jN6thrust23THRUST_200600_302600_NS6detail15normal_iteratorINS9_10device_ptrIsEEEENSB_INSC_IjEEEEPNS0_10empty_typeENS0_5tupleIJNS9_16discard_iteratorINS9_11use_defaultEEESH_EEENSJ_IJSG_SI_EEENS0_18inequality_wrapperINS9_8equal_toIsEEEEPmJSH_EEE10hipError_tPvRmT3_T4_T5_T6_T7_T9_mT8_P12ihipStream_tbDpT10_ENKUlT_T0_E_clISt17integral_constantIbLb0EES1C_IbLb1EEEEDaS18_S19_EUlS18_E_NS1_11comp_targetILNS1_3genE8ELNS1_11target_archE1030ELNS1_3gpuE2ELNS1_3repE0EEENS1_30default_config_static_selectorELNS0_4arch9wavefront6targetE0EEEvT1_
; %bb.0:
	.section	.rodata,"a",@progbits
	.p2align	6, 0x0
	.amdhsa_kernel _ZN7rocprim17ROCPRIM_400000_NS6detail17trampoline_kernelINS0_14default_configENS1_25partition_config_selectorILNS1_17partition_subalgoE9EsjbEEZZNS1_14partition_implILS5_9ELb0ES3_jN6thrust23THRUST_200600_302600_NS6detail15normal_iteratorINS9_10device_ptrIsEEEENSB_INSC_IjEEEEPNS0_10empty_typeENS0_5tupleIJNS9_16discard_iteratorINS9_11use_defaultEEESH_EEENSJ_IJSG_SI_EEENS0_18inequality_wrapperINS9_8equal_toIsEEEEPmJSH_EEE10hipError_tPvRmT3_T4_T5_T6_T7_T9_mT8_P12ihipStream_tbDpT10_ENKUlT_T0_E_clISt17integral_constantIbLb0EES1C_IbLb1EEEEDaS18_S19_EUlS18_E_NS1_11comp_targetILNS1_3genE8ELNS1_11target_archE1030ELNS1_3gpuE2ELNS1_3repE0EEENS1_30default_config_static_selectorELNS0_4arch9wavefront6targetE0EEEvT1_
		.amdhsa_group_segment_fixed_size 0
		.amdhsa_private_segment_fixed_size 0
		.amdhsa_kernarg_size 136
		.amdhsa_user_sgpr_count 15
		.amdhsa_user_sgpr_dispatch_ptr 0
		.amdhsa_user_sgpr_queue_ptr 0
		.amdhsa_user_sgpr_kernarg_segment_ptr 1
		.amdhsa_user_sgpr_dispatch_id 0
		.amdhsa_user_sgpr_private_segment_size 0
		.amdhsa_wavefront_size32 1
		.amdhsa_uses_dynamic_stack 0
		.amdhsa_enable_private_segment 0
		.amdhsa_system_sgpr_workgroup_id_x 1
		.amdhsa_system_sgpr_workgroup_id_y 0
		.amdhsa_system_sgpr_workgroup_id_z 0
		.amdhsa_system_sgpr_workgroup_info 0
		.amdhsa_system_vgpr_workitem_id 0
		.amdhsa_next_free_vgpr 1
		.amdhsa_next_free_sgpr 1
		.amdhsa_reserve_vcc 0
		.amdhsa_float_round_mode_32 0
		.amdhsa_float_round_mode_16_64 0
		.amdhsa_float_denorm_mode_32 3
		.amdhsa_float_denorm_mode_16_64 3
		.amdhsa_dx10_clamp 1
		.amdhsa_ieee_mode 1
		.amdhsa_fp16_overflow 0
		.amdhsa_workgroup_processor_mode 1
		.amdhsa_memory_ordered 1
		.amdhsa_forward_progress 0
		.amdhsa_shared_vgpr_count 0
		.amdhsa_exception_fp_ieee_invalid_op 0
		.amdhsa_exception_fp_denorm_src 0
		.amdhsa_exception_fp_ieee_div_zero 0
		.amdhsa_exception_fp_ieee_overflow 0
		.amdhsa_exception_fp_ieee_underflow 0
		.amdhsa_exception_fp_ieee_inexact 0
		.amdhsa_exception_int_div_zero 0
	.end_amdhsa_kernel
	.section	.text._ZN7rocprim17ROCPRIM_400000_NS6detail17trampoline_kernelINS0_14default_configENS1_25partition_config_selectorILNS1_17partition_subalgoE9EsjbEEZZNS1_14partition_implILS5_9ELb0ES3_jN6thrust23THRUST_200600_302600_NS6detail15normal_iteratorINS9_10device_ptrIsEEEENSB_INSC_IjEEEEPNS0_10empty_typeENS0_5tupleIJNS9_16discard_iteratorINS9_11use_defaultEEESH_EEENSJ_IJSG_SI_EEENS0_18inequality_wrapperINS9_8equal_toIsEEEEPmJSH_EEE10hipError_tPvRmT3_T4_T5_T6_T7_T9_mT8_P12ihipStream_tbDpT10_ENKUlT_T0_E_clISt17integral_constantIbLb0EES1C_IbLb1EEEEDaS18_S19_EUlS18_E_NS1_11comp_targetILNS1_3genE8ELNS1_11target_archE1030ELNS1_3gpuE2ELNS1_3repE0EEENS1_30default_config_static_selectorELNS0_4arch9wavefront6targetE0EEEvT1_,"axG",@progbits,_ZN7rocprim17ROCPRIM_400000_NS6detail17trampoline_kernelINS0_14default_configENS1_25partition_config_selectorILNS1_17partition_subalgoE9EsjbEEZZNS1_14partition_implILS5_9ELb0ES3_jN6thrust23THRUST_200600_302600_NS6detail15normal_iteratorINS9_10device_ptrIsEEEENSB_INSC_IjEEEEPNS0_10empty_typeENS0_5tupleIJNS9_16discard_iteratorINS9_11use_defaultEEESH_EEENSJ_IJSG_SI_EEENS0_18inequality_wrapperINS9_8equal_toIsEEEEPmJSH_EEE10hipError_tPvRmT3_T4_T5_T6_T7_T9_mT8_P12ihipStream_tbDpT10_ENKUlT_T0_E_clISt17integral_constantIbLb0EES1C_IbLb1EEEEDaS18_S19_EUlS18_E_NS1_11comp_targetILNS1_3genE8ELNS1_11target_archE1030ELNS1_3gpuE2ELNS1_3repE0EEENS1_30default_config_static_selectorELNS0_4arch9wavefront6targetE0EEEvT1_,comdat
.Lfunc_end1268:
	.size	_ZN7rocprim17ROCPRIM_400000_NS6detail17trampoline_kernelINS0_14default_configENS1_25partition_config_selectorILNS1_17partition_subalgoE9EsjbEEZZNS1_14partition_implILS5_9ELb0ES3_jN6thrust23THRUST_200600_302600_NS6detail15normal_iteratorINS9_10device_ptrIsEEEENSB_INSC_IjEEEEPNS0_10empty_typeENS0_5tupleIJNS9_16discard_iteratorINS9_11use_defaultEEESH_EEENSJ_IJSG_SI_EEENS0_18inequality_wrapperINS9_8equal_toIsEEEEPmJSH_EEE10hipError_tPvRmT3_T4_T5_T6_T7_T9_mT8_P12ihipStream_tbDpT10_ENKUlT_T0_E_clISt17integral_constantIbLb0EES1C_IbLb1EEEEDaS18_S19_EUlS18_E_NS1_11comp_targetILNS1_3genE8ELNS1_11target_archE1030ELNS1_3gpuE2ELNS1_3repE0EEENS1_30default_config_static_selectorELNS0_4arch9wavefront6targetE0EEEvT1_, .Lfunc_end1268-_ZN7rocprim17ROCPRIM_400000_NS6detail17trampoline_kernelINS0_14default_configENS1_25partition_config_selectorILNS1_17partition_subalgoE9EsjbEEZZNS1_14partition_implILS5_9ELb0ES3_jN6thrust23THRUST_200600_302600_NS6detail15normal_iteratorINS9_10device_ptrIsEEEENSB_INSC_IjEEEEPNS0_10empty_typeENS0_5tupleIJNS9_16discard_iteratorINS9_11use_defaultEEESH_EEENSJ_IJSG_SI_EEENS0_18inequality_wrapperINS9_8equal_toIsEEEEPmJSH_EEE10hipError_tPvRmT3_T4_T5_T6_T7_T9_mT8_P12ihipStream_tbDpT10_ENKUlT_T0_E_clISt17integral_constantIbLb0EES1C_IbLb1EEEEDaS18_S19_EUlS18_E_NS1_11comp_targetILNS1_3genE8ELNS1_11target_archE1030ELNS1_3gpuE2ELNS1_3repE0EEENS1_30default_config_static_selectorELNS0_4arch9wavefront6targetE0EEEvT1_
                                        ; -- End function
	.section	.AMDGPU.csdata,"",@progbits
; Kernel info:
; codeLenInByte = 0
; NumSgprs: 0
; NumVgprs: 0
; ScratchSize: 0
; MemoryBound: 0
; FloatMode: 240
; IeeeMode: 1
; LDSByteSize: 0 bytes/workgroup (compile time only)
; SGPRBlocks: 0
; VGPRBlocks: 0
; NumSGPRsForWavesPerEU: 1
; NumVGPRsForWavesPerEU: 1
; Occupancy: 16
; WaveLimiterHint : 0
; COMPUTE_PGM_RSRC2:SCRATCH_EN: 0
; COMPUTE_PGM_RSRC2:USER_SGPR: 15
; COMPUTE_PGM_RSRC2:TRAP_HANDLER: 0
; COMPUTE_PGM_RSRC2:TGID_X_EN: 1
; COMPUTE_PGM_RSRC2:TGID_Y_EN: 0
; COMPUTE_PGM_RSRC2:TGID_Z_EN: 0
; COMPUTE_PGM_RSRC2:TIDIG_COMP_CNT: 0
	.section	.text._ZN7rocprim17ROCPRIM_400000_NS6detail17trampoline_kernelINS0_14default_configENS1_25partition_config_selectorILNS1_17partition_subalgoE9EiibEEZZNS1_14partition_implILS5_9ELb0ES3_jN6thrust23THRUST_200600_302600_NS10device_ptrIiEESB_PNS0_10empty_typeENS0_5tupleIJSB_SC_EEENSE_IJSB_SD_EEENS0_18inequality_wrapperINS9_8equal_toIiEEEEPmJSC_EEE10hipError_tPvRmT3_T4_T5_T6_T7_T9_mT8_P12ihipStream_tbDpT10_ENKUlT_T0_E_clISt17integral_constantIbLb0EES15_EEDaS10_S11_EUlS10_E_NS1_11comp_targetILNS1_3genE0ELNS1_11target_archE4294967295ELNS1_3gpuE0ELNS1_3repE0EEENS1_30default_config_static_selectorELNS0_4arch9wavefront6targetE0EEEvT1_,"axG",@progbits,_ZN7rocprim17ROCPRIM_400000_NS6detail17trampoline_kernelINS0_14default_configENS1_25partition_config_selectorILNS1_17partition_subalgoE9EiibEEZZNS1_14partition_implILS5_9ELb0ES3_jN6thrust23THRUST_200600_302600_NS10device_ptrIiEESB_PNS0_10empty_typeENS0_5tupleIJSB_SC_EEENSE_IJSB_SD_EEENS0_18inequality_wrapperINS9_8equal_toIiEEEEPmJSC_EEE10hipError_tPvRmT3_T4_T5_T6_T7_T9_mT8_P12ihipStream_tbDpT10_ENKUlT_T0_E_clISt17integral_constantIbLb0EES15_EEDaS10_S11_EUlS10_E_NS1_11comp_targetILNS1_3genE0ELNS1_11target_archE4294967295ELNS1_3gpuE0ELNS1_3repE0EEENS1_30default_config_static_selectorELNS0_4arch9wavefront6targetE0EEEvT1_,comdat
	.protected	_ZN7rocprim17ROCPRIM_400000_NS6detail17trampoline_kernelINS0_14default_configENS1_25partition_config_selectorILNS1_17partition_subalgoE9EiibEEZZNS1_14partition_implILS5_9ELb0ES3_jN6thrust23THRUST_200600_302600_NS10device_ptrIiEESB_PNS0_10empty_typeENS0_5tupleIJSB_SC_EEENSE_IJSB_SD_EEENS0_18inequality_wrapperINS9_8equal_toIiEEEEPmJSC_EEE10hipError_tPvRmT3_T4_T5_T6_T7_T9_mT8_P12ihipStream_tbDpT10_ENKUlT_T0_E_clISt17integral_constantIbLb0EES15_EEDaS10_S11_EUlS10_E_NS1_11comp_targetILNS1_3genE0ELNS1_11target_archE4294967295ELNS1_3gpuE0ELNS1_3repE0EEENS1_30default_config_static_selectorELNS0_4arch9wavefront6targetE0EEEvT1_ ; -- Begin function _ZN7rocprim17ROCPRIM_400000_NS6detail17trampoline_kernelINS0_14default_configENS1_25partition_config_selectorILNS1_17partition_subalgoE9EiibEEZZNS1_14partition_implILS5_9ELb0ES3_jN6thrust23THRUST_200600_302600_NS10device_ptrIiEESB_PNS0_10empty_typeENS0_5tupleIJSB_SC_EEENSE_IJSB_SD_EEENS0_18inequality_wrapperINS9_8equal_toIiEEEEPmJSC_EEE10hipError_tPvRmT3_T4_T5_T6_T7_T9_mT8_P12ihipStream_tbDpT10_ENKUlT_T0_E_clISt17integral_constantIbLb0EES15_EEDaS10_S11_EUlS10_E_NS1_11comp_targetILNS1_3genE0ELNS1_11target_archE4294967295ELNS1_3gpuE0ELNS1_3repE0EEENS1_30default_config_static_selectorELNS0_4arch9wavefront6targetE0EEEvT1_
	.globl	_ZN7rocprim17ROCPRIM_400000_NS6detail17trampoline_kernelINS0_14default_configENS1_25partition_config_selectorILNS1_17partition_subalgoE9EiibEEZZNS1_14partition_implILS5_9ELb0ES3_jN6thrust23THRUST_200600_302600_NS10device_ptrIiEESB_PNS0_10empty_typeENS0_5tupleIJSB_SC_EEENSE_IJSB_SD_EEENS0_18inequality_wrapperINS9_8equal_toIiEEEEPmJSC_EEE10hipError_tPvRmT3_T4_T5_T6_T7_T9_mT8_P12ihipStream_tbDpT10_ENKUlT_T0_E_clISt17integral_constantIbLb0EES15_EEDaS10_S11_EUlS10_E_NS1_11comp_targetILNS1_3genE0ELNS1_11target_archE4294967295ELNS1_3gpuE0ELNS1_3repE0EEENS1_30default_config_static_selectorELNS0_4arch9wavefront6targetE0EEEvT1_
	.p2align	8
	.type	_ZN7rocprim17ROCPRIM_400000_NS6detail17trampoline_kernelINS0_14default_configENS1_25partition_config_selectorILNS1_17partition_subalgoE9EiibEEZZNS1_14partition_implILS5_9ELb0ES3_jN6thrust23THRUST_200600_302600_NS10device_ptrIiEESB_PNS0_10empty_typeENS0_5tupleIJSB_SC_EEENSE_IJSB_SD_EEENS0_18inequality_wrapperINS9_8equal_toIiEEEEPmJSC_EEE10hipError_tPvRmT3_T4_T5_T6_T7_T9_mT8_P12ihipStream_tbDpT10_ENKUlT_T0_E_clISt17integral_constantIbLb0EES15_EEDaS10_S11_EUlS10_E_NS1_11comp_targetILNS1_3genE0ELNS1_11target_archE4294967295ELNS1_3gpuE0ELNS1_3repE0EEENS1_30default_config_static_selectorELNS0_4arch9wavefront6targetE0EEEvT1_,@function
_ZN7rocprim17ROCPRIM_400000_NS6detail17trampoline_kernelINS0_14default_configENS1_25partition_config_selectorILNS1_17partition_subalgoE9EiibEEZZNS1_14partition_implILS5_9ELb0ES3_jN6thrust23THRUST_200600_302600_NS10device_ptrIiEESB_PNS0_10empty_typeENS0_5tupleIJSB_SC_EEENSE_IJSB_SD_EEENS0_18inequality_wrapperINS9_8equal_toIiEEEEPmJSC_EEE10hipError_tPvRmT3_T4_T5_T6_T7_T9_mT8_P12ihipStream_tbDpT10_ENKUlT_T0_E_clISt17integral_constantIbLb0EES15_EEDaS10_S11_EUlS10_E_NS1_11comp_targetILNS1_3genE0ELNS1_11target_archE4294967295ELNS1_3gpuE0ELNS1_3repE0EEENS1_30default_config_static_selectorELNS0_4arch9wavefront6targetE0EEEvT1_: ; @_ZN7rocprim17ROCPRIM_400000_NS6detail17trampoline_kernelINS0_14default_configENS1_25partition_config_selectorILNS1_17partition_subalgoE9EiibEEZZNS1_14partition_implILS5_9ELb0ES3_jN6thrust23THRUST_200600_302600_NS10device_ptrIiEESB_PNS0_10empty_typeENS0_5tupleIJSB_SC_EEENSE_IJSB_SD_EEENS0_18inequality_wrapperINS9_8equal_toIiEEEEPmJSC_EEE10hipError_tPvRmT3_T4_T5_T6_T7_T9_mT8_P12ihipStream_tbDpT10_ENKUlT_T0_E_clISt17integral_constantIbLb0EES15_EEDaS10_S11_EUlS10_E_NS1_11comp_targetILNS1_3genE0ELNS1_11target_archE4294967295ELNS1_3gpuE0ELNS1_3repE0EEENS1_30default_config_static_selectorELNS0_4arch9wavefront6targetE0EEEvT1_
; %bb.0:
	.section	.rodata,"a",@progbits
	.p2align	6, 0x0
	.amdhsa_kernel _ZN7rocprim17ROCPRIM_400000_NS6detail17trampoline_kernelINS0_14default_configENS1_25partition_config_selectorILNS1_17partition_subalgoE9EiibEEZZNS1_14partition_implILS5_9ELb0ES3_jN6thrust23THRUST_200600_302600_NS10device_ptrIiEESB_PNS0_10empty_typeENS0_5tupleIJSB_SC_EEENSE_IJSB_SD_EEENS0_18inequality_wrapperINS9_8equal_toIiEEEEPmJSC_EEE10hipError_tPvRmT3_T4_T5_T6_T7_T9_mT8_P12ihipStream_tbDpT10_ENKUlT_T0_E_clISt17integral_constantIbLb0EES15_EEDaS10_S11_EUlS10_E_NS1_11comp_targetILNS1_3genE0ELNS1_11target_archE4294967295ELNS1_3gpuE0ELNS1_3repE0EEENS1_30default_config_static_selectorELNS0_4arch9wavefront6targetE0EEEvT1_
		.amdhsa_group_segment_fixed_size 0
		.amdhsa_private_segment_fixed_size 0
		.amdhsa_kernarg_size 112
		.amdhsa_user_sgpr_count 15
		.amdhsa_user_sgpr_dispatch_ptr 0
		.amdhsa_user_sgpr_queue_ptr 0
		.amdhsa_user_sgpr_kernarg_segment_ptr 1
		.amdhsa_user_sgpr_dispatch_id 0
		.amdhsa_user_sgpr_private_segment_size 0
		.amdhsa_wavefront_size32 1
		.amdhsa_uses_dynamic_stack 0
		.amdhsa_enable_private_segment 0
		.amdhsa_system_sgpr_workgroup_id_x 1
		.amdhsa_system_sgpr_workgroup_id_y 0
		.amdhsa_system_sgpr_workgroup_id_z 0
		.amdhsa_system_sgpr_workgroup_info 0
		.amdhsa_system_vgpr_workitem_id 0
		.amdhsa_next_free_vgpr 1
		.amdhsa_next_free_sgpr 1
		.amdhsa_reserve_vcc 0
		.amdhsa_float_round_mode_32 0
		.amdhsa_float_round_mode_16_64 0
		.amdhsa_float_denorm_mode_32 3
		.amdhsa_float_denorm_mode_16_64 3
		.amdhsa_dx10_clamp 1
		.amdhsa_ieee_mode 1
		.amdhsa_fp16_overflow 0
		.amdhsa_workgroup_processor_mode 1
		.amdhsa_memory_ordered 1
		.amdhsa_forward_progress 0
		.amdhsa_shared_vgpr_count 0
		.amdhsa_exception_fp_ieee_invalid_op 0
		.amdhsa_exception_fp_denorm_src 0
		.amdhsa_exception_fp_ieee_div_zero 0
		.amdhsa_exception_fp_ieee_overflow 0
		.amdhsa_exception_fp_ieee_underflow 0
		.amdhsa_exception_fp_ieee_inexact 0
		.amdhsa_exception_int_div_zero 0
	.end_amdhsa_kernel
	.section	.text._ZN7rocprim17ROCPRIM_400000_NS6detail17trampoline_kernelINS0_14default_configENS1_25partition_config_selectorILNS1_17partition_subalgoE9EiibEEZZNS1_14partition_implILS5_9ELb0ES3_jN6thrust23THRUST_200600_302600_NS10device_ptrIiEESB_PNS0_10empty_typeENS0_5tupleIJSB_SC_EEENSE_IJSB_SD_EEENS0_18inequality_wrapperINS9_8equal_toIiEEEEPmJSC_EEE10hipError_tPvRmT3_T4_T5_T6_T7_T9_mT8_P12ihipStream_tbDpT10_ENKUlT_T0_E_clISt17integral_constantIbLb0EES15_EEDaS10_S11_EUlS10_E_NS1_11comp_targetILNS1_3genE0ELNS1_11target_archE4294967295ELNS1_3gpuE0ELNS1_3repE0EEENS1_30default_config_static_selectorELNS0_4arch9wavefront6targetE0EEEvT1_,"axG",@progbits,_ZN7rocprim17ROCPRIM_400000_NS6detail17trampoline_kernelINS0_14default_configENS1_25partition_config_selectorILNS1_17partition_subalgoE9EiibEEZZNS1_14partition_implILS5_9ELb0ES3_jN6thrust23THRUST_200600_302600_NS10device_ptrIiEESB_PNS0_10empty_typeENS0_5tupleIJSB_SC_EEENSE_IJSB_SD_EEENS0_18inequality_wrapperINS9_8equal_toIiEEEEPmJSC_EEE10hipError_tPvRmT3_T4_T5_T6_T7_T9_mT8_P12ihipStream_tbDpT10_ENKUlT_T0_E_clISt17integral_constantIbLb0EES15_EEDaS10_S11_EUlS10_E_NS1_11comp_targetILNS1_3genE0ELNS1_11target_archE4294967295ELNS1_3gpuE0ELNS1_3repE0EEENS1_30default_config_static_selectorELNS0_4arch9wavefront6targetE0EEEvT1_,comdat
.Lfunc_end1269:
	.size	_ZN7rocprim17ROCPRIM_400000_NS6detail17trampoline_kernelINS0_14default_configENS1_25partition_config_selectorILNS1_17partition_subalgoE9EiibEEZZNS1_14partition_implILS5_9ELb0ES3_jN6thrust23THRUST_200600_302600_NS10device_ptrIiEESB_PNS0_10empty_typeENS0_5tupleIJSB_SC_EEENSE_IJSB_SD_EEENS0_18inequality_wrapperINS9_8equal_toIiEEEEPmJSC_EEE10hipError_tPvRmT3_T4_T5_T6_T7_T9_mT8_P12ihipStream_tbDpT10_ENKUlT_T0_E_clISt17integral_constantIbLb0EES15_EEDaS10_S11_EUlS10_E_NS1_11comp_targetILNS1_3genE0ELNS1_11target_archE4294967295ELNS1_3gpuE0ELNS1_3repE0EEENS1_30default_config_static_selectorELNS0_4arch9wavefront6targetE0EEEvT1_, .Lfunc_end1269-_ZN7rocprim17ROCPRIM_400000_NS6detail17trampoline_kernelINS0_14default_configENS1_25partition_config_selectorILNS1_17partition_subalgoE9EiibEEZZNS1_14partition_implILS5_9ELb0ES3_jN6thrust23THRUST_200600_302600_NS10device_ptrIiEESB_PNS0_10empty_typeENS0_5tupleIJSB_SC_EEENSE_IJSB_SD_EEENS0_18inequality_wrapperINS9_8equal_toIiEEEEPmJSC_EEE10hipError_tPvRmT3_T4_T5_T6_T7_T9_mT8_P12ihipStream_tbDpT10_ENKUlT_T0_E_clISt17integral_constantIbLb0EES15_EEDaS10_S11_EUlS10_E_NS1_11comp_targetILNS1_3genE0ELNS1_11target_archE4294967295ELNS1_3gpuE0ELNS1_3repE0EEENS1_30default_config_static_selectorELNS0_4arch9wavefront6targetE0EEEvT1_
                                        ; -- End function
	.section	.AMDGPU.csdata,"",@progbits
; Kernel info:
; codeLenInByte = 0
; NumSgprs: 0
; NumVgprs: 0
; ScratchSize: 0
; MemoryBound: 0
; FloatMode: 240
; IeeeMode: 1
; LDSByteSize: 0 bytes/workgroup (compile time only)
; SGPRBlocks: 0
; VGPRBlocks: 0
; NumSGPRsForWavesPerEU: 1
; NumVGPRsForWavesPerEU: 1
; Occupancy: 16
; WaveLimiterHint : 0
; COMPUTE_PGM_RSRC2:SCRATCH_EN: 0
; COMPUTE_PGM_RSRC2:USER_SGPR: 15
; COMPUTE_PGM_RSRC2:TRAP_HANDLER: 0
; COMPUTE_PGM_RSRC2:TGID_X_EN: 1
; COMPUTE_PGM_RSRC2:TGID_Y_EN: 0
; COMPUTE_PGM_RSRC2:TGID_Z_EN: 0
; COMPUTE_PGM_RSRC2:TIDIG_COMP_CNT: 0
	.section	.text._ZN7rocprim17ROCPRIM_400000_NS6detail17trampoline_kernelINS0_14default_configENS1_25partition_config_selectorILNS1_17partition_subalgoE9EiibEEZZNS1_14partition_implILS5_9ELb0ES3_jN6thrust23THRUST_200600_302600_NS10device_ptrIiEESB_PNS0_10empty_typeENS0_5tupleIJSB_SC_EEENSE_IJSB_SD_EEENS0_18inequality_wrapperINS9_8equal_toIiEEEEPmJSC_EEE10hipError_tPvRmT3_T4_T5_T6_T7_T9_mT8_P12ihipStream_tbDpT10_ENKUlT_T0_E_clISt17integral_constantIbLb0EES15_EEDaS10_S11_EUlS10_E_NS1_11comp_targetILNS1_3genE5ELNS1_11target_archE942ELNS1_3gpuE9ELNS1_3repE0EEENS1_30default_config_static_selectorELNS0_4arch9wavefront6targetE0EEEvT1_,"axG",@progbits,_ZN7rocprim17ROCPRIM_400000_NS6detail17trampoline_kernelINS0_14default_configENS1_25partition_config_selectorILNS1_17partition_subalgoE9EiibEEZZNS1_14partition_implILS5_9ELb0ES3_jN6thrust23THRUST_200600_302600_NS10device_ptrIiEESB_PNS0_10empty_typeENS0_5tupleIJSB_SC_EEENSE_IJSB_SD_EEENS0_18inequality_wrapperINS9_8equal_toIiEEEEPmJSC_EEE10hipError_tPvRmT3_T4_T5_T6_T7_T9_mT8_P12ihipStream_tbDpT10_ENKUlT_T0_E_clISt17integral_constantIbLb0EES15_EEDaS10_S11_EUlS10_E_NS1_11comp_targetILNS1_3genE5ELNS1_11target_archE942ELNS1_3gpuE9ELNS1_3repE0EEENS1_30default_config_static_selectorELNS0_4arch9wavefront6targetE0EEEvT1_,comdat
	.protected	_ZN7rocprim17ROCPRIM_400000_NS6detail17trampoline_kernelINS0_14default_configENS1_25partition_config_selectorILNS1_17partition_subalgoE9EiibEEZZNS1_14partition_implILS5_9ELb0ES3_jN6thrust23THRUST_200600_302600_NS10device_ptrIiEESB_PNS0_10empty_typeENS0_5tupleIJSB_SC_EEENSE_IJSB_SD_EEENS0_18inequality_wrapperINS9_8equal_toIiEEEEPmJSC_EEE10hipError_tPvRmT3_T4_T5_T6_T7_T9_mT8_P12ihipStream_tbDpT10_ENKUlT_T0_E_clISt17integral_constantIbLb0EES15_EEDaS10_S11_EUlS10_E_NS1_11comp_targetILNS1_3genE5ELNS1_11target_archE942ELNS1_3gpuE9ELNS1_3repE0EEENS1_30default_config_static_selectorELNS0_4arch9wavefront6targetE0EEEvT1_ ; -- Begin function _ZN7rocprim17ROCPRIM_400000_NS6detail17trampoline_kernelINS0_14default_configENS1_25partition_config_selectorILNS1_17partition_subalgoE9EiibEEZZNS1_14partition_implILS5_9ELb0ES3_jN6thrust23THRUST_200600_302600_NS10device_ptrIiEESB_PNS0_10empty_typeENS0_5tupleIJSB_SC_EEENSE_IJSB_SD_EEENS0_18inequality_wrapperINS9_8equal_toIiEEEEPmJSC_EEE10hipError_tPvRmT3_T4_T5_T6_T7_T9_mT8_P12ihipStream_tbDpT10_ENKUlT_T0_E_clISt17integral_constantIbLb0EES15_EEDaS10_S11_EUlS10_E_NS1_11comp_targetILNS1_3genE5ELNS1_11target_archE942ELNS1_3gpuE9ELNS1_3repE0EEENS1_30default_config_static_selectorELNS0_4arch9wavefront6targetE0EEEvT1_
	.globl	_ZN7rocprim17ROCPRIM_400000_NS6detail17trampoline_kernelINS0_14default_configENS1_25partition_config_selectorILNS1_17partition_subalgoE9EiibEEZZNS1_14partition_implILS5_9ELb0ES3_jN6thrust23THRUST_200600_302600_NS10device_ptrIiEESB_PNS0_10empty_typeENS0_5tupleIJSB_SC_EEENSE_IJSB_SD_EEENS0_18inequality_wrapperINS9_8equal_toIiEEEEPmJSC_EEE10hipError_tPvRmT3_T4_T5_T6_T7_T9_mT8_P12ihipStream_tbDpT10_ENKUlT_T0_E_clISt17integral_constantIbLb0EES15_EEDaS10_S11_EUlS10_E_NS1_11comp_targetILNS1_3genE5ELNS1_11target_archE942ELNS1_3gpuE9ELNS1_3repE0EEENS1_30default_config_static_selectorELNS0_4arch9wavefront6targetE0EEEvT1_
	.p2align	8
	.type	_ZN7rocprim17ROCPRIM_400000_NS6detail17trampoline_kernelINS0_14default_configENS1_25partition_config_selectorILNS1_17partition_subalgoE9EiibEEZZNS1_14partition_implILS5_9ELb0ES3_jN6thrust23THRUST_200600_302600_NS10device_ptrIiEESB_PNS0_10empty_typeENS0_5tupleIJSB_SC_EEENSE_IJSB_SD_EEENS0_18inequality_wrapperINS9_8equal_toIiEEEEPmJSC_EEE10hipError_tPvRmT3_T4_T5_T6_T7_T9_mT8_P12ihipStream_tbDpT10_ENKUlT_T0_E_clISt17integral_constantIbLb0EES15_EEDaS10_S11_EUlS10_E_NS1_11comp_targetILNS1_3genE5ELNS1_11target_archE942ELNS1_3gpuE9ELNS1_3repE0EEENS1_30default_config_static_selectorELNS0_4arch9wavefront6targetE0EEEvT1_,@function
_ZN7rocprim17ROCPRIM_400000_NS6detail17trampoline_kernelINS0_14default_configENS1_25partition_config_selectorILNS1_17partition_subalgoE9EiibEEZZNS1_14partition_implILS5_9ELb0ES3_jN6thrust23THRUST_200600_302600_NS10device_ptrIiEESB_PNS0_10empty_typeENS0_5tupleIJSB_SC_EEENSE_IJSB_SD_EEENS0_18inequality_wrapperINS9_8equal_toIiEEEEPmJSC_EEE10hipError_tPvRmT3_T4_T5_T6_T7_T9_mT8_P12ihipStream_tbDpT10_ENKUlT_T0_E_clISt17integral_constantIbLb0EES15_EEDaS10_S11_EUlS10_E_NS1_11comp_targetILNS1_3genE5ELNS1_11target_archE942ELNS1_3gpuE9ELNS1_3repE0EEENS1_30default_config_static_selectorELNS0_4arch9wavefront6targetE0EEEvT1_: ; @_ZN7rocprim17ROCPRIM_400000_NS6detail17trampoline_kernelINS0_14default_configENS1_25partition_config_selectorILNS1_17partition_subalgoE9EiibEEZZNS1_14partition_implILS5_9ELb0ES3_jN6thrust23THRUST_200600_302600_NS10device_ptrIiEESB_PNS0_10empty_typeENS0_5tupleIJSB_SC_EEENSE_IJSB_SD_EEENS0_18inequality_wrapperINS9_8equal_toIiEEEEPmJSC_EEE10hipError_tPvRmT3_T4_T5_T6_T7_T9_mT8_P12ihipStream_tbDpT10_ENKUlT_T0_E_clISt17integral_constantIbLb0EES15_EEDaS10_S11_EUlS10_E_NS1_11comp_targetILNS1_3genE5ELNS1_11target_archE942ELNS1_3gpuE9ELNS1_3repE0EEENS1_30default_config_static_selectorELNS0_4arch9wavefront6targetE0EEEvT1_
; %bb.0:
	.section	.rodata,"a",@progbits
	.p2align	6, 0x0
	.amdhsa_kernel _ZN7rocprim17ROCPRIM_400000_NS6detail17trampoline_kernelINS0_14default_configENS1_25partition_config_selectorILNS1_17partition_subalgoE9EiibEEZZNS1_14partition_implILS5_9ELb0ES3_jN6thrust23THRUST_200600_302600_NS10device_ptrIiEESB_PNS0_10empty_typeENS0_5tupleIJSB_SC_EEENSE_IJSB_SD_EEENS0_18inequality_wrapperINS9_8equal_toIiEEEEPmJSC_EEE10hipError_tPvRmT3_T4_T5_T6_T7_T9_mT8_P12ihipStream_tbDpT10_ENKUlT_T0_E_clISt17integral_constantIbLb0EES15_EEDaS10_S11_EUlS10_E_NS1_11comp_targetILNS1_3genE5ELNS1_11target_archE942ELNS1_3gpuE9ELNS1_3repE0EEENS1_30default_config_static_selectorELNS0_4arch9wavefront6targetE0EEEvT1_
		.amdhsa_group_segment_fixed_size 0
		.amdhsa_private_segment_fixed_size 0
		.amdhsa_kernarg_size 112
		.amdhsa_user_sgpr_count 15
		.amdhsa_user_sgpr_dispatch_ptr 0
		.amdhsa_user_sgpr_queue_ptr 0
		.amdhsa_user_sgpr_kernarg_segment_ptr 1
		.amdhsa_user_sgpr_dispatch_id 0
		.amdhsa_user_sgpr_private_segment_size 0
		.amdhsa_wavefront_size32 1
		.amdhsa_uses_dynamic_stack 0
		.amdhsa_enable_private_segment 0
		.amdhsa_system_sgpr_workgroup_id_x 1
		.amdhsa_system_sgpr_workgroup_id_y 0
		.amdhsa_system_sgpr_workgroup_id_z 0
		.amdhsa_system_sgpr_workgroup_info 0
		.amdhsa_system_vgpr_workitem_id 0
		.amdhsa_next_free_vgpr 1
		.amdhsa_next_free_sgpr 1
		.amdhsa_reserve_vcc 0
		.amdhsa_float_round_mode_32 0
		.amdhsa_float_round_mode_16_64 0
		.amdhsa_float_denorm_mode_32 3
		.amdhsa_float_denorm_mode_16_64 3
		.amdhsa_dx10_clamp 1
		.amdhsa_ieee_mode 1
		.amdhsa_fp16_overflow 0
		.amdhsa_workgroup_processor_mode 1
		.amdhsa_memory_ordered 1
		.amdhsa_forward_progress 0
		.amdhsa_shared_vgpr_count 0
		.amdhsa_exception_fp_ieee_invalid_op 0
		.amdhsa_exception_fp_denorm_src 0
		.amdhsa_exception_fp_ieee_div_zero 0
		.amdhsa_exception_fp_ieee_overflow 0
		.amdhsa_exception_fp_ieee_underflow 0
		.amdhsa_exception_fp_ieee_inexact 0
		.amdhsa_exception_int_div_zero 0
	.end_amdhsa_kernel
	.section	.text._ZN7rocprim17ROCPRIM_400000_NS6detail17trampoline_kernelINS0_14default_configENS1_25partition_config_selectorILNS1_17partition_subalgoE9EiibEEZZNS1_14partition_implILS5_9ELb0ES3_jN6thrust23THRUST_200600_302600_NS10device_ptrIiEESB_PNS0_10empty_typeENS0_5tupleIJSB_SC_EEENSE_IJSB_SD_EEENS0_18inequality_wrapperINS9_8equal_toIiEEEEPmJSC_EEE10hipError_tPvRmT3_T4_T5_T6_T7_T9_mT8_P12ihipStream_tbDpT10_ENKUlT_T0_E_clISt17integral_constantIbLb0EES15_EEDaS10_S11_EUlS10_E_NS1_11comp_targetILNS1_3genE5ELNS1_11target_archE942ELNS1_3gpuE9ELNS1_3repE0EEENS1_30default_config_static_selectorELNS0_4arch9wavefront6targetE0EEEvT1_,"axG",@progbits,_ZN7rocprim17ROCPRIM_400000_NS6detail17trampoline_kernelINS0_14default_configENS1_25partition_config_selectorILNS1_17partition_subalgoE9EiibEEZZNS1_14partition_implILS5_9ELb0ES3_jN6thrust23THRUST_200600_302600_NS10device_ptrIiEESB_PNS0_10empty_typeENS0_5tupleIJSB_SC_EEENSE_IJSB_SD_EEENS0_18inequality_wrapperINS9_8equal_toIiEEEEPmJSC_EEE10hipError_tPvRmT3_T4_T5_T6_T7_T9_mT8_P12ihipStream_tbDpT10_ENKUlT_T0_E_clISt17integral_constantIbLb0EES15_EEDaS10_S11_EUlS10_E_NS1_11comp_targetILNS1_3genE5ELNS1_11target_archE942ELNS1_3gpuE9ELNS1_3repE0EEENS1_30default_config_static_selectorELNS0_4arch9wavefront6targetE0EEEvT1_,comdat
.Lfunc_end1270:
	.size	_ZN7rocprim17ROCPRIM_400000_NS6detail17trampoline_kernelINS0_14default_configENS1_25partition_config_selectorILNS1_17partition_subalgoE9EiibEEZZNS1_14partition_implILS5_9ELb0ES3_jN6thrust23THRUST_200600_302600_NS10device_ptrIiEESB_PNS0_10empty_typeENS0_5tupleIJSB_SC_EEENSE_IJSB_SD_EEENS0_18inequality_wrapperINS9_8equal_toIiEEEEPmJSC_EEE10hipError_tPvRmT3_T4_T5_T6_T7_T9_mT8_P12ihipStream_tbDpT10_ENKUlT_T0_E_clISt17integral_constantIbLb0EES15_EEDaS10_S11_EUlS10_E_NS1_11comp_targetILNS1_3genE5ELNS1_11target_archE942ELNS1_3gpuE9ELNS1_3repE0EEENS1_30default_config_static_selectorELNS0_4arch9wavefront6targetE0EEEvT1_, .Lfunc_end1270-_ZN7rocprim17ROCPRIM_400000_NS6detail17trampoline_kernelINS0_14default_configENS1_25partition_config_selectorILNS1_17partition_subalgoE9EiibEEZZNS1_14partition_implILS5_9ELb0ES3_jN6thrust23THRUST_200600_302600_NS10device_ptrIiEESB_PNS0_10empty_typeENS0_5tupleIJSB_SC_EEENSE_IJSB_SD_EEENS0_18inequality_wrapperINS9_8equal_toIiEEEEPmJSC_EEE10hipError_tPvRmT3_T4_T5_T6_T7_T9_mT8_P12ihipStream_tbDpT10_ENKUlT_T0_E_clISt17integral_constantIbLb0EES15_EEDaS10_S11_EUlS10_E_NS1_11comp_targetILNS1_3genE5ELNS1_11target_archE942ELNS1_3gpuE9ELNS1_3repE0EEENS1_30default_config_static_selectorELNS0_4arch9wavefront6targetE0EEEvT1_
                                        ; -- End function
	.section	.AMDGPU.csdata,"",@progbits
; Kernel info:
; codeLenInByte = 0
; NumSgprs: 0
; NumVgprs: 0
; ScratchSize: 0
; MemoryBound: 0
; FloatMode: 240
; IeeeMode: 1
; LDSByteSize: 0 bytes/workgroup (compile time only)
; SGPRBlocks: 0
; VGPRBlocks: 0
; NumSGPRsForWavesPerEU: 1
; NumVGPRsForWavesPerEU: 1
; Occupancy: 16
; WaveLimiterHint : 0
; COMPUTE_PGM_RSRC2:SCRATCH_EN: 0
; COMPUTE_PGM_RSRC2:USER_SGPR: 15
; COMPUTE_PGM_RSRC2:TRAP_HANDLER: 0
; COMPUTE_PGM_RSRC2:TGID_X_EN: 1
; COMPUTE_PGM_RSRC2:TGID_Y_EN: 0
; COMPUTE_PGM_RSRC2:TGID_Z_EN: 0
; COMPUTE_PGM_RSRC2:TIDIG_COMP_CNT: 0
	.section	.text._ZN7rocprim17ROCPRIM_400000_NS6detail17trampoline_kernelINS0_14default_configENS1_25partition_config_selectorILNS1_17partition_subalgoE9EiibEEZZNS1_14partition_implILS5_9ELb0ES3_jN6thrust23THRUST_200600_302600_NS10device_ptrIiEESB_PNS0_10empty_typeENS0_5tupleIJSB_SC_EEENSE_IJSB_SD_EEENS0_18inequality_wrapperINS9_8equal_toIiEEEEPmJSC_EEE10hipError_tPvRmT3_T4_T5_T6_T7_T9_mT8_P12ihipStream_tbDpT10_ENKUlT_T0_E_clISt17integral_constantIbLb0EES15_EEDaS10_S11_EUlS10_E_NS1_11comp_targetILNS1_3genE4ELNS1_11target_archE910ELNS1_3gpuE8ELNS1_3repE0EEENS1_30default_config_static_selectorELNS0_4arch9wavefront6targetE0EEEvT1_,"axG",@progbits,_ZN7rocprim17ROCPRIM_400000_NS6detail17trampoline_kernelINS0_14default_configENS1_25partition_config_selectorILNS1_17partition_subalgoE9EiibEEZZNS1_14partition_implILS5_9ELb0ES3_jN6thrust23THRUST_200600_302600_NS10device_ptrIiEESB_PNS0_10empty_typeENS0_5tupleIJSB_SC_EEENSE_IJSB_SD_EEENS0_18inequality_wrapperINS9_8equal_toIiEEEEPmJSC_EEE10hipError_tPvRmT3_T4_T5_T6_T7_T9_mT8_P12ihipStream_tbDpT10_ENKUlT_T0_E_clISt17integral_constantIbLb0EES15_EEDaS10_S11_EUlS10_E_NS1_11comp_targetILNS1_3genE4ELNS1_11target_archE910ELNS1_3gpuE8ELNS1_3repE0EEENS1_30default_config_static_selectorELNS0_4arch9wavefront6targetE0EEEvT1_,comdat
	.protected	_ZN7rocprim17ROCPRIM_400000_NS6detail17trampoline_kernelINS0_14default_configENS1_25partition_config_selectorILNS1_17partition_subalgoE9EiibEEZZNS1_14partition_implILS5_9ELb0ES3_jN6thrust23THRUST_200600_302600_NS10device_ptrIiEESB_PNS0_10empty_typeENS0_5tupleIJSB_SC_EEENSE_IJSB_SD_EEENS0_18inequality_wrapperINS9_8equal_toIiEEEEPmJSC_EEE10hipError_tPvRmT3_T4_T5_T6_T7_T9_mT8_P12ihipStream_tbDpT10_ENKUlT_T0_E_clISt17integral_constantIbLb0EES15_EEDaS10_S11_EUlS10_E_NS1_11comp_targetILNS1_3genE4ELNS1_11target_archE910ELNS1_3gpuE8ELNS1_3repE0EEENS1_30default_config_static_selectorELNS0_4arch9wavefront6targetE0EEEvT1_ ; -- Begin function _ZN7rocprim17ROCPRIM_400000_NS6detail17trampoline_kernelINS0_14default_configENS1_25partition_config_selectorILNS1_17partition_subalgoE9EiibEEZZNS1_14partition_implILS5_9ELb0ES3_jN6thrust23THRUST_200600_302600_NS10device_ptrIiEESB_PNS0_10empty_typeENS0_5tupleIJSB_SC_EEENSE_IJSB_SD_EEENS0_18inequality_wrapperINS9_8equal_toIiEEEEPmJSC_EEE10hipError_tPvRmT3_T4_T5_T6_T7_T9_mT8_P12ihipStream_tbDpT10_ENKUlT_T0_E_clISt17integral_constantIbLb0EES15_EEDaS10_S11_EUlS10_E_NS1_11comp_targetILNS1_3genE4ELNS1_11target_archE910ELNS1_3gpuE8ELNS1_3repE0EEENS1_30default_config_static_selectorELNS0_4arch9wavefront6targetE0EEEvT1_
	.globl	_ZN7rocprim17ROCPRIM_400000_NS6detail17trampoline_kernelINS0_14default_configENS1_25partition_config_selectorILNS1_17partition_subalgoE9EiibEEZZNS1_14partition_implILS5_9ELb0ES3_jN6thrust23THRUST_200600_302600_NS10device_ptrIiEESB_PNS0_10empty_typeENS0_5tupleIJSB_SC_EEENSE_IJSB_SD_EEENS0_18inequality_wrapperINS9_8equal_toIiEEEEPmJSC_EEE10hipError_tPvRmT3_T4_T5_T6_T7_T9_mT8_P12ihipStream_tbDpT10_ENKUlT_T0_E_clISt17integral_constantIbLb0EES15_EEDaS10_S11_EUlS10_E_NS1_11comp_targetILNS1_3genE4ELNS1_11target_archE910ELNS1_3gpuE8ELNS1_3repE0EEENS1_30default_config_static_selectorELNS0_4arch9wavefront6targetE0EEEvT1_
	.p2align	8
	.type	_ZN7rocprim17ROCPRIM_400000_NS6detail17trampoline_kernelINS0_14default_configENS1_25partition_config_selectorILNS1_17partition_subalgoE9EiibEEZZNS1_14partition_implILS5_9ELb0ES3_jN6thrust23THRUST_200600_302600_NS10device_ptrIiEESB_PNS0_10empty_typeENS0_5tupleIJSB_SC_EEENSE_IJSB_SD_EEENS0_18inequality_wrapperINS9_8equal_toIiEEEEPmJSC_EEE10hipError_tPvRmT3_T4_T5_T6_T7_T9_mT8_P12ihipStream_tbDpT10_ENKUlT_T0_E_clISt17integral_constantIbLb0EES15_EEDaS10_S11_EUlS10_E_NS1_11comp_targetILNS1_3genE4ELNS1_11target_archE910ELNS1_3gpuE8ELNS1_3repE0EEENS1_30default_config_static_selectorELNS0_4arch9wavefront6targetE0EEEvT1_,@function
_ZN7rocprim17ROCPRIM_400000_NS6detail17trampoline_kernelINS0_14default_configENS1_25partition_config_selectorILNS1_17partition_subalgoE9EiibEEZZNS1_14partition_implILS5_9ELb0ES3_jN6thrust23THRUST_200600_302600_NS10device_ptrIiEESB_PNS0_10empty_typeENS0_5tupleIJSB_SC_EEENSE_IJSB_SD_EEENS0_18inequality_wrapperINS9_8equal_toIiEEEEPmJSC_EEE10hipError_tPvRmT3_T4_T5_T6_T7_T9_mT8_P12ihipStream_tbDpT10_ENKUlT_T0_E_clISt17integral_constantIbLb0EES15_EEDaS10_S11_EUlS10_E_NS1_11comp_targetILNS1_3genE4ELNS1_11target_archE910ELNS1_3gpuE8ELNS1_3repE0EEENS1_30default_config_static_selectorELNS0_4arch9wavefront6targetE0EEEvT1_: ; @_ZN7rocprim17ROCPRIM_400000_NS6detail17trampoline_kernelINS0_14default_configENS1_25partition_config_selectorILNS1_17partition_subalgoE9EiibEEZZNS1_14partition_implILS5_9ELb0ES3_jN6thrust23THRUST_200600_302600_NS10device_ptrIiEESB_PNS0_10empty_typeENS0_5tupleIJSB_SC_EEENSE_IJSB_SD_EEENS0_18inequality_wrapperINS9_8equal_toIiEEEEPmJSC_EEE10hipError_tPvRmT3_T4_T5_T6_T7_T9_mT8_P12ihipStream_tbDpT10_ENKUlT_T0_E_clISt17integral_constantIbLb0EES15_EEDaS10_S11_EUlS10_E_NS1_11comp_targetILNS1_3genE4ELNS1_11target_archE910ELNS1_3gpuE8ELNS1_3repE0EEENS1_30default_config_static_selectorELNS0_4arch9wavefront6targetE0EEEvT1_
; %bb.0:
	.section	.rodata,"a",@progbits
	.p2align	6, 0x0
	.amdhsa_kernel _ZN7rocprim17ROCPRIM_400000_NS6detail17trampoline_kernelINS0_14default_configENS1_25partition_config_selectorILNS1_17partition_subalgoE9EiibEEZZNS1_14partition_implILS5_9ELb0ES3_jN6thrust23THRUST_200600_302600_NS10device_ptrIiEESB_PNS0_10empty_typeENS0_5tupleIJSB_SC_EEENSE_IJSB_SD_EEENS0_18inequality_wrapperINS9_8equal_toIiEEEEPmJSC_EEE10hipError_tPvRmT3_T4_T5_T6_T7_T9_mT8_P12ihipStream_tbDpT10_ENKUlT_T0_E_clISt17integral_constantIbLb0EES15_EEDaS10_S11_EUlS10_E_NS1_11comp_targetILNS1_3genE4ELNS1_11target_archE910ELNS1_3gpuE8ELNS1_3repE0EEENS1_30default_config_static_selectorELNS0_4arch9wavefront6targetE0EEEvT1_
		.amdhsa_group_segment_fixed_size 0
		.amdhsa_private_segment_fixed_size 0
		.amdhsa_kernarg_size 112
		.amdhsa_user_sgpr_count 15
		.amdhsa_user_sgpr_dispatch_ptr 0
		.amdhsa_user_sgpr_queue_ptr 0
		.amdhsa_user_sgpr_kernarg_segment_ptr 1
		.amdhsa_user_sgpr_dispatch_id 0
		.amdhsa_user_sgpr_private_segment_size 0
		.amdhsa_wavefront_size32 1
		.amdhsa_uses_dynamic_stack 0
		.amdhsa_enable_private_segment 0
		.amdhsa_system_sgpr_workgroup_id_x 1
		.amdhsa_system_sgpr_workgroup_id_y 0
		.amdhsa_system_sgpr_workgroup_id_z 0
		.amdhsa_system_sgpr_workgroup_info 0
		.amdhsa_system_vgpr_workitem_id 0
		.amdhsa_next_free_vgpr 1
		.amdhsa_next_free_sgpr 1
		.amdhsa_reserve_vcc 0
		.amdhsa_float_round_mode_32 0
		.amdhsa_float_round_mode_16_64 0
		.amdhsa_float_denorm_mode_32 3
		.amdhsa_float_denorm_mode_16_64 3
		.amdhsa_dx10_clamp 1
		.amdhsa_ieee_mode 1
		.amdhsa_fp16_overflow 0
		.amdhsa_workgroup_processor_mode 1
		.amdhsa_memory_ordered 1
		.amdhsa_forward_progress 0
		.amdhsa_shared_vgpr_count 0
		.amdhsa_exception_fp_ieee_invalid_op 0
		.amdhsa_exception_fp_denorm_src 0
		.amdhsa_exception_fp_ieee_div_zero 0
		.amdhsa_exception_fp_ieee_overflow 0
		.amdhsa_exception_fp_ieee_underflow 0
		.amdhsa_exception_fp_ieee_inexact 0
		.amdhsa_exception_int_div_zero 0
	.end_amdhsa_kernel
	.section	.text._ZN7rocprim17ROCPRIM_400000_NS6detail17trampoline_kernelINS0_14default_configENS1_25partition_config_selectorILNS1_17partition_subalgoE9EiibEEZZNS1_14partition_implILS5_9ELb0ES3_jN6thrust23THRUST_200600_302600_NS10device_ptrIiEESB_PNS0_10empty_typeENS0_5tupleIJSB_SC_EEENSE_IJSB_SD_EEENS0_18inequality_wrapperINS9_8equal_toIiEEEEPmJSC_EEE10hipError_tPvRmT3_T4_T5_T6_T7_T9_mT8_P12ihipStream_tbDpT10_ENKUlT_T0_E_clISt17integral_constantIbLb0EES15_EEDaS10_S11_EUlS10_E_NS1_11comp_targetILNS1_3genE4ELNS1_11target_archE910ELNS1_3gpuE8ELNS1_3repE0EEENS1_30default_config_static_selectorELNS0_4arch9wavefront6targetE0EEEvT1_,"axG",@progbits,_ZN7rocprim17ROCPRIM_400000_NS6detail17trampoline_kernelINS0_14default_configENS1_25partition_config_selectorILNS1_17partition_subalgoE9EiibEEZZNS1_14partition_implILS5_9ELb0ES3_jN6thrust23THRUST_200600_302600_NS10device_ptrIiEESB_PNS0_10empty_typeENS0_5tupleIJSB_SC_EEENSE_IJSB_SD_EEENS0_18inequality_wrapperINS9_8equal_toIiEEEEPmJSC_EEE10hipError_tPvRmT3_T4_T5_T6_T7_T9_mT8_P12ihipStream_tbDpT10_ENKUlT_T0_E_clISt17integral_constantIbLb0EES15_EEDaS10_S11_EUlS10_E_NS1_11comp_targetILNS1_3genE4ELNS1_11target_archE910ELNS1_3gpuE8ELNS1_3repE0EEENS1_30default_config_static_selectorELNS0_4arch9wavefront6targetE0EEEvT1_,comdat
.Lfunc_end1271:
	.size	_ZN7rocprim17ROCPRIM_400000_NS6detail17trampoline_kernelINS0_14default_configENS1_25partition_config_selectorILNS1_17partition_subalgoE9EiibEEZZNS1_14partition_implILS5_9ELb0ES3_jN6thrust23THRUST_200600_302600_NS10device_ptrIiEESB_PNS0_10empty_typeENS0_5tupleIJSB_SC_EEENSE_IJSB_SD_EEENS0_18inequality_wrapperINS9_8equal_toIiEEEEPmJSC_EEE10hipError_tPvRmT3_T4_T5_T6_T7_T9_mT8_P12ihipStream_tbDpT10_ENKUlT_T0_E_clISt17integral_constantIbLb0EES15_EEDaS10_S11_EUlS10_E_NS1_11comp_targetILNS1_3genE4ELNS1_11target_archE910ELNS1_3gpuE8ELNS1_3repE0EEENS1_30default_config_static_selectorELNS0_4arch9wavefront6targetE0EEEvT1_, .Lfunc_end1271-_ZN7rocprim17ROCPRIM_400000_NS6detail17trampoline_kernelINS0_14default_configENS1_25partition_config_selectorILNS1_17partition_subalgoE9EiibEEZZNS1_14partition_implILS5_9ELb0ES3_jN6thrust23THRUST_200600_302600_NS10device_ptrIiEESB_PNS0_10empty_typeENS0_5tupleIJSB_SC_EEENSE_IJSB_SD_EEENS0_18inequality_wrapperINS9_8equal_toIiEEEEPmJSC_EEE10hipError_tPvRmT3_T4_T5_T6_T7_T9_mT8_P12ihipStream_tbDpT10_ENKUlT_T0_E_clISt17integral_constantIbLb0EES15_EEDaS10_S11_EUlS10_E_NS1_11comp_targetILNS1_3genE4ELNS1_11target_archE910ELNS1_3gpuE8ELNS1_3repE0EEENS1_30default_config_static_selectorELNS0_4arch9wavefront6targetE0EEEvT1_
                                        ; -- End function
	.section	.AMDGPU.csdata,"",@progbits
; Kernel info:
; codeLenInByte = 0
; NumSgprs: 0
; NumVgprs: 0
; ScratchSize: 0
; MemoryBound: 0
; FloatMode: 240
; IeeeMode: 1
; LDSByteSize: 0 bytes/workgroup (compile time only)
; SGPRBlocks: 0
; VGPRBlocks: 0
; NumSGPRsForWavesPerEU: 1
; NumVGPRsForWavesPerEU: 1
; Occupancy: 15
; WaveLimiterHint : 0
; COMPUTE_PGM_RSRC2:SCRATCH_EN: 0
; COMPUTE_PGM_RSRC2:USER_SGPR: 15
; COMPUTE_PGM_RSRC2:TRAP_HANDLER: 0
; COMPUTE_PGM_RSRC2:TGID_X_EN: 1
; COMPUTE_PGM_RSRC2:TGID_Y_EN: 0
; COMPUTE_PGM_RSRC2:TGID_Z_EN: 0
; COMPUTE_PGM_RSRC2:TIDIG_COMP_CNT: 0
	.section	.text._ZN7rocprim17ROCPRIM_400000_NS6detail17trampoline_kernelINS0_14default_configENS1_25partition_config_selectorILNS1_17partition_subalgoE9EiibEEZZNS1_14partition_implILS5_9ELb0ES3_jN6thrust23THRUST_200600_302600_NS10device_ptrIiEESB_PNS0_10empty_typeENS0_5tupleIJSB_SC_EEENSE_IJSB_SD_EEENS0_18inequality_wrapperINS9_8equal_toIiEEEEPmJSC_EEE10hipError_tPvRmT3_T4_T5_T6_T7_T9_mT8_P12ihipStream_tbDpT10_ENKUlT_T0_E_clISt17integral_constantIbLb0EES15_EEDaS10_S11_EUlS10_E_NS1_11comp_targetILNS1_3genE3ELNS1_11target_archE908ELNS1_3gpuE7ELNS1_3repE0EEENS1_30default_config_static_selectorELNS0_4arch9wavefront6targetE0EEEvT1_,"axG",@progbits,_ZN7rocprim17ROCPRIM_400000_NS6detail17trampoline_kernelINS0_14default_configENS1_25partition_config_selectorILNS1_17partition_subalgoE9EiibEEZZNS1_14partition_implILS5_9ELb0ES3_jN6thrust23THRUST_200600_302600_NS10device_ptrIiEESB_PNS0_10empty_typeENS0_5tupleIJSB_SC_EEENSE_IJSB_SD_EEENS0_18inequality_wrapperINS9_8equal_toIiEEEEPmJSC_EEE10hipError_tPvRmT3_T4_T5_T6_T7_T9_mT8_P12ihipStream_tbDpT10_ENKUlT_T0_E_clISt17integral_constantIbLb0EES15_EEDaS10_S11_EUlS10_E_NS1_11comp_targetILNS1_3genE3ELNS1_11target_archE908ELNS1_3gpuE7ELNS1_3repE0EEENS1_30default_config_static_selectorELNS0_4arch9wavefront6targetE0EEEvT1_,comdat
	.protected	_ZN7rocprim17ROCPRIM_400000_NS6detail17trampoline_kernelINS0_14default_configENS1_25partition_config_selectorILNS1_17partition_subalgoE9EiibEEZZNS1_14partition_implILS5_9ELb0ES3_jN6thrust23THRUST_200600_302600_NS10device_ptrIiEESB_PNS0_10empty_typeENS0_5tupleIJSB_SC_EEENSE_IJSB_SD_EEENS0_18inequality_wrapperINS9_8equal_toIiEEEEPmJSC_EEE10hipError_tPvRmT3_T4_T5_T6_T7_T9_mT8_P12ihipStream_tbDpT10_ENKUlT_T0_E_clISt17integral_constantIbLb0EES15_EEDaS10_S11_EUlS10_E_NS1_11comp_targetILNS1_3genE3ELNS1_11target_archE908ELNS1_3gpuE7ELNS1_3repE0EEENS1_30default_config_static_selectorELNS0_4arch9wavefront6targetE0EEEvT1_ ; -- Begin function _ZN7rocprim17ROCPRIM_400000_NS6detail17trampoline_kernelINS0_14default_configENS1_25partition_config_selectorILNS1_17partition_subalgoE9EiibEEZZNS1_14partition_implILS5_9ELb0ES3_jN6thrust23THRUST_200600_302600_NS10device_ptrIiEESB_PNS0_10empty_typeENS0_5tupleIJSB_SC_EEENSE_IJSB_SD_EEENS0_18inequality_wrapperINS9_8equal_toIiEEEEPmJSC_EEE10hipError_tPvRmT3_T4_T5_T6_T7_T9_mT8_P12ihipStream_tbDpT10_ENKUlT_T0_E_clISt17integral_constantIbLb0EES15_EEDaS10_S11_EUlS10_E_NS1_11comp_targetILNS1_3genE3ELNS1_11target_archE908ELNS1_3gpuE7ELNS1_3repE0EEENS1_30default_config_static_selectorELNS0_4arch9wavefront6targetE0EEEvT1_
	.globl	_ZN7rocprim17ROCPRIM_400000_NS6detail17trampoline_kernelINS0_14default_configENS1_25partition_config_selectorILNS1_17partition_subalgoE9EiibEEZZNS1_14partition_implILS5_9ELb0ES3_jN6thrust23THRUST_200600_302600_NS10device_ptrIiEESB_PNS0_10empty_typeENS0_5tupleIJSB_SC_EEENSE_IJSB_SD_EEENS0_18inequality_wrapperINS9_8equal_toIiEEEEPmJSC_EEE10hipError_tPvRmT3_T4_T5_T6_T7_T9_mT8_P12ihipStream_tbDpT10_ENKUlT_T0_E_clISt17integral_constantIbLb0EES15_EEDaS10_S11_EUlS10_E_NS1_11comp_targetILNS1_3genE3ELNS1_11target_archE908ELNS1_3gpuE7ELNS1_3repE0EEENS1_30default_config_static_selectorELNS0_4arch9wavefront6targetE0EEEvT1_
	.p2align	8
	.type	_ZN7rocprim17ROCPRIM_400000_NS6detail17trampoline_kernelINS0_14default_configENS1_25partition_config_selectorILNS1_17partition_subalgoE9EiibEEZZNS1_14partition_implILS5_9ELb0ES3_jN6thrust23THRUST_200600_302600_NS10device_ptrIiEESB_PNS0_10empty_typeENS0_5tupleIJSB_SC_EEENSE_IJSB_SD_EEENS0_18inequality_wrapperINS9_8equal_toIiEEEEPmJSC_EEE10hipError_tPvRmT3_T4_T5_T6_T7_T9_mT8_P12ihipStream_tbDpT10_ENKUlT_T0_E_clISt17integral_constantIbLb0EES15_EEDaS10_S11_EUlS10_E_NS1_11comp_targetILNS1_3genE3ELNS1_11target_archE908ELNS1_3gpuE7ELNS1_3repE0EEENS1_30default_config_static_selectorELNS0_4arch9wavefront6targetE0EEEvT1_,@function
_ZN7rocprim17ROCPRIM_400000_NS6detail17trampoline_kernelINS0_14default_configENS1_25partition_config_selectorILNS1_17partition_subalgoE9EiibEEZZNS1_14partition_implILS5_9ELb0ES3_jN6thrust23THRUST_200600_302600_NS10device_ptrIiEESB_PNS0_10empty_typeENS0_5tupleIJSB_SC_EEENSE_IJSB_SD_EEENS0_18inequality_wrapperINS9_8equal_toIiEEEEPmJSC_EEE10hipError_tPvRmT3_T4_T5_T6_T7_T9_mT8_P12ihipStream_tbDpT10_ENKUlT_T0_E_clISt17integral_constantIbLb0EES15_EEDaS10_S11_EUlS10_E_NS1_11comp_targetILNS1_3genE3ELNS1_11target_archE908ELNS1_3gpuE7ELNS1_3repE0EEENS1_30default_config_static_selectorELNS0_4arch9wavefront6targetE0EEEvT1_: ; @_ZN7rocprim17ROCPRIM_400000_NS6detail17trampoline_kernelINS0_14default_configENS1_25partition_config_selectorILNS1_17partition_subalgoE9EiibEEZZNS1_14partition_implILS5_9ELb0ES3_jN6thrust23THRUST_200600_302600_NS10device_ptrIiEESB_PNS0_10empty_typeENS0_5tupleIJSB_SC_EEENSE_IJSB_SD_EEENS0_18inequality_wrapperINS9_8equal_toIiEEEEPmJSC_EEE10hipError_tPvRmT3_T4_T5_T6_T7_T9_mT8_P12ihipStream_tbDpT10_ENKUlT_T0_E_clISt17integral_constantIbLb0EES15_EEDaS10_S11_EUlS10_E_NS1_11comp_targetILNS1_3genE3ELNS1_11target_archE908ELNS1_3gpuE7ELNS1_3repE0EEENS1_30default_config_static_selectorELNS0_4arch9wavefront6targetE0EEEvT1_
; %bb.0:
	.section	.rodata,"a",@progbits
	.p2align	6, 0x0
	.amdhsa_kernel _ZN7rocprim17ROCPRIM_400000_NS6detail17trampoline_kernelINS0_14default_configENS1_25partition_config_selectorILNS1_17partition_subalgoE9EiibEEZZNS1_14partition_implILS5_9ELb0ES3_jN6thrust23THRUST_200600_302600_NS10device_ptrIiEESB_PNS0_10empty_typeENS0_5tupleIJSB_SC_EEENSE_IJSB_SD_EEENS0_18inequality_wrapperINS9_8equal_toIiEEEEPmJSC_EEE10hipError_tPvRmT3_T4_T5_T6_T7_T9_mT8_P12ihipStream_tbDpT10_ENKUlT_T0_E_clISt17integral_constantIbLb0EES15_EEDaS10_S11_EUlS10_E_NS1_11comp_targetILNS1_3genE3ELNS1_11target_archE908ELNS1_3gpuE7ELNS1_3repE0EEENS1_30default_config_static_selectorELNS0_4arch9wavefront6targetE0EEEvT1_
		.amdhsa_group_segment_fixed_size 0
		.amdhsa_private_segment_fixed_size 0
		.amdhsa_kernarg_size 112
		.amdhsa_user_sgpr_count 15
		.amdhsa_user_sgpr_dispatch_ptr 0
		.amdhsa_user_sgpr_queue_ptr 0
		.amdhsa_user_sgpr_kernarg_segment_ptr 1
		.amdhsa_user_sgpr_dispatch_id 0
		.amdhsa_user_sgpr_private_segment_size 0
		.amdhsa_wavefront_size32 1
		.amdhsa_uses_dynamic_stack 0
		.amdhsa_enable_private_segment 0
		.amdhsa_system_sgpr_workgroup_id_x 1
		.amdhsa_system_sgpr_workgroup_id_y 0
		.amdhsa_system_sgpr_workgroup_id_z 0
		.amdhsa_system_sgpr_workgroup_info 0
		.amdhsa_system_vgpr_workitem_id 0
		.amdhsa_next_free_vgpr 1
		.amdhsa_next_free_sgpr 1
		.amdhsa_reserve_vcc 0
		.amdhsa_float_round_mode_32 0
		.amdhsa_float_round_mode_16_64 0
		.amdhsa_float_denorm_mode_32 3
		.amdhsa_float_denorm_mode_16_64 3
		.amdhsa_dx10_clamp 1
		.amdhsa_ieee_mode 1
		.amdhsa_fp16_overflow 0
		.amdhsa_workgroup_processor_mode 1
		.amdhsa_memory_ordered 1
		.amdhsa_forward_progress 0
		.amdhsa_shared_vgpr_count 0
		.amdhsa_exception_fp_ieee_invalid_op 0
		.amdhsa_exception_fp_denorm_src 0
		.amdhsa_exception_fp_ieee_div_zero 0
		.amdhsa_exception_fp_ieee_overflow 0
		.amdhsa_exception_fp_ieee_underflow 0
		.amdhsa_exception_fp_ieee_inexact 0
		.amdhsa_exception_int_div_zero 0
	.end_amdhsa_kernel
	.section	.text._ZN7rocprim17ROCPRIM_400000_NS6detail17trampoline_kernelINS0_14default_configENS1_25partition_config_selectorILNS1_17partition_subalgoE9EiibEEZZNS1_14partition_implILS5_9ELb0ES3_jN6thrust23THRUST_200600_302600_NS10device_ptrIiEESB_PNS0_10empty_typeENS0_5tupleIJSB_SC_EEENSE_IJSB_SD_EEENS0_18inequality_wrapperINS9_8equal_toIiEEEEPmJSC_EEE10hipError_tPvRmT3_T4_T5_T6_T7_T9_mT8_P12ihipStream_tbDpT10_ENKUlT_T0_E_clISt17integral_constantIbLb0EES15_EEDaS10_S11_EUlS10_E_NS1_11comp_targetILNS1_3genE3ELNS1_11target_archE908ELNS1_3gpuE7ELNS1_3repE0EEENS1_30default_config_static_selectorELNS0_4arch9wavefront6targetE0EEEvT1_,"axG",@progbits,_ZN7rocprim17ROCPRIM_400000_NS6detail17trampoline_kernelINS0_14default_configENS1_25partition_config_selectorILNS1_17partition_subalgoE9EiibEEZZNS1_14partition_implILS5_9ELb0ES3_jN6thrust23THRUST_200600_302600_NS10device_ptrIiEESB_PNS0_10empty_typeENS0_5tupleIJSB_SC_EEENSE_IJSB_SD_EEENS0_18inequality_wrapperINS9_8equal_toIiEEEEPmJSC_EEE10hipError_tPvRmT3_T4_T5_T6_T7_T9_mT8_P12ihipStream_tbDpT10_ENKUlT_T0_E_clISt17integral_constantIbLb0EES15_EEDaS10_S11_EUlS10_E_NS1_11comp_targetILNS1_3genE3ELNS1_11target_archE908ELNS1_3gpuE7ELNS1_3repE0EEENS1_30default_config_static_selectorELNS0_4arch9wavefront6targetE0EEEvT1_,comdat
.Lfunc_end1272:
	.size	_ZN7rocprim17ROCPRIM_400000_NS6detail17trampoline_kernelINS0_14default_configENS1_25partition_config_selectorILNS1_17partition_subalgoE9EiibEEZZNS1_14partition_implILS5_9ELb0ES3_jN6thrust23THRUST_200600_302600_NS10device_ptrIiEESB_PNS0_10empty_typeENS0_5tupleIJSB_SC_EEENSE_IJSB_SD_EEENS0_18inequality_wrapperINS9_8equal_toIiEEEEPmJSC_EEE10hipError_tPvRmT3_T4_T5_T6_T7_T9_mT8_P12ihipStream_tbDpT10_ENKUlT_T0_E_clISt17integral_constantIbLb0EES15_EEDaS10_S11_EUlS10_E_NS1_11comp_targetILNS1_3genE3ELNS1_11target_archE908ELNS1_3gpuE7ELNS1_3repE0EEENS1_30default_config_static_selectorELNS0_4arch9wavefront6targetE0EEEvT1_, .Lfunc_end1272-_ZN7rocprim17ROCPRIM_400000_NS6detail17trampoline_kernelINS0_14default_configENS1_25partition_config_selectorILNS1_17partition_subalgoE9EiibEEZZNS1_14partition_implILS5_9ELb0ES3_jN6thrust23THRUST_200600_302600_NS10device_ptrIiEESB_PNS0_10empty_typeENS0_5tupleIJSB_SC_EEENSE_IJSB_SD_EEENS0_18inequality_wrapperINS9_8equal_toIiEEEEPmJSC_EEE10hipError_tPvRmT3_T4_T5_T6_T7_T9_mT8_P12ihipStream_tbDpT10_ENKUlT_T0_E_clISt17integral_constantIbLb0EES15_EEDaS10_S11_EUlS10_E_NS1_11comp_targetILNS1_3genE3ELNS1_11target_archE908ELNS1_3gpuE7ELNS1_3repE0EEENS1_30default_config_static_selectorELNS0_4arch9wavefront6targetE0EEEvT1_
                                        ; -- End function
	.section	.AMDGPU.csdata,"",@progbits
; Kernel info:
; codeLenInByte = 0
; NumSgprs: 0
; NumVgprs: 0
; ScratchSize: 0
; MemoryBound: 0
; FloatMode: 240
; IeeeMode: 1
; LDSByteSize: 0 bytes/workgroup (compile time only)
; SGPRBlocks: 0
; VGPRBlocks: 0
; NumSGPRsForWavesPerEU: 1
; NumVGPRsForWavesPerEU: 1
; Occupancy: 16
; WaveLimiterHint : 0
; COMPUTE_PGM_RSRC2:SCRATCH_EN: 0
; COMPUTE_PGM_RSRC2:USER_SGPR: 15
; COMPUTE_PGM_RSRC2:TRAP_HANDLER: 0
; COMPUTE_PGM_RSRC2:TGID_X_EN: 1
; COMPUTE_PGM_RSRC2:TGID_Y_EN: 0
; COMPUTE_PGM_RSRC2:TGID_Z_EN: 0
; COMPUTE_PGM_RSRC2:TIDIG_COMP_CNT: 0
	.section	.text._ZN7rocprim17ROCPRIM_400000_NS6detail17trampoline_kernelINS0_14default_configENS1_25partition_config_selectorILNS1_17partition_subalgoE9EiibEEZZNS1_14partition_implILS5_9ELb0ES3_jN6thrust23THRUST_200600_302600_NS10device_ptrIiEESB_PNS0_10empty_typeENS0_5tupleIJSB_SC_EEENSE_IJSB_SD_EEENS0_18inequality_wrapperINS9_8equal_toIiEEEEPmJSC_EEE10hipError_tPvRmT3_T4_T5_T6_T7_T9_mT8_P12ihipStream_tbDpT10_ENKUlT_T0_E_clISt17integral_constantIbLb0EES15_EEDaS10_S11_EUlS10_E_NS1_11comp_targetILNS1_3genE2ELNS1_11target_archE906ELNS1_3gpuE6ELNS1_3repE0EEENS1_30default_config_static_selectorELNS0_4arch9wavefront6targetE0EEEvT1_,"axG",@progbits,_ZN7rocprim17ROCPRIM_400000_NS6detail17trampoline_kernelINS0_14default_configENS1_25partition_config_selectorILNS1_17partition_subalgoE9EiibEEZZNS1_14partition_implILS5_9ELb0ES3_jN6thrust23THRUST_200600_302600_NS10device_ptrIiEESB_PNS0_10empty_typeENS0_5tupleIJSB_SC_EEENSE_IJSB_SD_EEENS0_18inequality_wrapperINS9_8equal_toIiEEEEPmJSC_EEE10hipError_tPvRmT3_T4_T5_T6_T7_T9_mT8_P12ihipStream_tbDpT10_ENKUlT_T0_E_clISt17integral_constantIbLb0EES15_EEDaS10_S11_EUlS10_E_NS1_11comp_targetILNS1_3genE2ELNS1_11target_archE906ELNS1_3gpuE6ELNS1_3repE0EEENS1_30default_config_static_selectorELNS0_4arch9wavefront6targetE0EEEvT1_,comdat
	.protected	_ZN7rocprim17ROCPRIM_400000_NS6detail17trampoline_kernelINS0_14default_configENS1_25partition_config_selectorILNS1_17partition_subalgoE9EiibEEZZNS1_14partition_implILS5_9ELb0ES3_jN6thrust23THRUST_200600_302600_NS10device_ptrIiEESB_PNS0_10empty_typeENS0_5tupleIJSB_SC_EEENSE_IJSB_SD_EEENS0_18inequality_wrapperINS9_8equal_toIiEEEEPmJSC_EEE10hipError_tPvRmT3_T4_T5_T6_T7_T9_mT8_P12ihipStream_tbDpT10_ENKUlT_T0_E_clISt17integral_constantIbLb0EES15_EEDaS10_S11_EUlS10_E_NS1_11comp_targetILNS1_3genE2ELNS1_11target_archE906ELNS1_3gpuE6ELNS1_3repE0EEENS1_30default_config_static_selectorELNS0_4arch9wavefront6targetE0EEEvT1_ ; -- Begin function _ZN7rocprim17ROCPRIM_400000_NS6detail17trampoline_kernelINS0_14default_configENS1_25partition_config_selectorILNS1_17partition_subalgoE9EiibEEZZNS1_14partition_implILS5_9ELb0ES3_jN6thrust23THRUST_200600_302600_NS10device_ptrIiEESB_PNS0_10empty_typeENS0_5tupleIJSB_SC_EEENSE_IJSB_SD_EEENS0_18inequality_wrapperINS9_8equal_toIiEEEEPmJSC_EEE10hipError_tPvRmT3_T4_T5_T6_T7_T9_mT8_P12ihipStream_tbDpT10_ENKUlT_T0_E_clISt17integral_constantIbLb0EES15_EEDaS10_S11_EUlS10_E_NS1_11comp_targetILNS1_3genE2ELNS1_11target_archE906ELNS1_3gpuE6ELNS1_3repE0EEENS1_30default_config_static_selectorELNS0_4arch9wavefront6targetE0EEEvT1_
	.globl	_ZN7rocprim17ROCPRIM_400000_NS6detail17trampoline_kernelINS0_14default_configENS1_25partition_config_selectorILNS1_17partition_subalgoE9EiibEEZZNS1_14partition_implILS5_9ELb0ES3_jN6thrust23THRUST_200600_302600_NS10device_ptrIiEESB_PNS0_10empty_typeENS0_5tupleIJSB_SC_EEENSE_IJSB_SD_EEENS0_18inequality_wrapperINS9_8equal_toIiEEEEPmJSC_EEE10hipError_tPvRmT3_T4_T5_T6_T7_T9_mT8_P12ihipStream_tbDpT10_ENKUlT_T0_E_clISt17integral_constantIbLb0EES15_EEDaS10_S11_EUlS10_E_NS1_11comp_targetILNS1_3genE2ELNS1_11target_archE906ELNS1_3gpuE6ELNS1_3repE0EEENS1_30default_config_static_selectorELNS0_4arch9wavefront6targetE0EEEvT1_
	.p2align	8
	.type	_ZN7rocprim17ROCPRIM_400000_NS6detail17trampoline_kernelINS0_14default_configENS1_25partition_config_selectorILNS1_17partition_subalgoE9EiibEEZZNS1_14partition_implILS5_9ELb0ES3_jN6thrust23THRUST_200600_302600_NS10device_ptrIiEESB_PNS0_10empty_typeENS0_5tupleIJSB_SC_EEENSE_IJSB_SD_EEENS0_18inequality_wrapperINS9_8equal_toIiEEEEPmJSC_EEE10hipError_tPvRmT3_T4_T5_T6_T7_T9_mT8_P12ihipStream_tbDpT10_ENKUlT_T0_E_clISt17integral_constantIbLb0EES15_EEDaS10_S11_EUlS10_E_NS1_11comp_targetILNS1_3genE2ELNS1_11target_archE906ELNS1_3gpuE6ELNS1_3repE0EEENS1_30default_config_static_selectorELNS0_4arch9wavefront6targetE0EEEvT1_,@function
_ZN7rocprim17ROCPRIM_400000_NS6detail17trampoline_kernelINS0_14default_configENS1_25partition_config_selectorILNS1_17partition_subalgoE9EiibEEZZNS1_14partition_implILS5_9ELb0ES3_jN6thrust23THRUST_200600_302600_NS10device_ptrIiEESB_PNS0_10empty_typeENS0_5tupleIJSB_SC_EEENSE_IJSB_SD_EEENS0_18inequality_wrapperINS9_8equal_toIiEEEEPmJSC_EEE10hipError_tPvRmT3_T4_T5_T6_T7_T9_mT8_P12ihipStream_tbDpT10_ENKUlT_T0_E_clISt17integral_constantIbLb0EES15_EEDaS10_S11_EUlS10_E_NS1_11comp_targetILNS1_3genE2ELNS1_11target_archE906ELNS1_3gpuE6ELNS1_3repE0EEENS1_30default_config_static_selectorELNS0_4arch9wavefront6targetE0EEEvT1_: ; @_ZN7rocprim17ROCPRIM_400000_NS6detail17trampoline_kernelINS0_14default_configENS1_25partition_config_selectorILNS1_17partition_subalgoE9EiibEEZZNS1_14partition_implILS5_9ELb0ES3_jN6thrust23THRUST_200600_302600_NS10device_ptrIiEESB_PNS0_10empty_typeENS0_5tupleIJSB_SC_EEENSE_IJSB_SD_EEENS0_18inequality_wrapperINS9_8equal_toIiEEEEPmJSC_EEE10hipError_tPvRmT3_T4_T5_T6_T7_T9_mT8_P12ihipStream_tbDpT10_ENKUlT_T0_E_clISt17integral_constantIbLb0EES15_EEDaS10_S11_EUlS10_E_NS1_11comp_targetILNS1_3genE2ELNS1_11target_archE906ELNS1_3gpuE6ELNS1_3repE0EEENS1_30default_config_static_selectorELNS0_4arch9wavefront6targetE0EEEvT1_
; %bb.0:
	.section	.rodata,"a",@progbits
	.p2align	6, 0x0
	.amdhsa_kernel _ZN7rocprim17ROCPRIM_400000_NS6detail17trampoline_kernelINS0_14default_configENS1_25partition_config_selectorILNS1_17partition_subalgoE9EiibEEZZNS1_14partition_implILS5_9ELb0ES3_jN6thrust23THRUST_200600_302600_NS10device_ptrIiEESB_PNS0_10empty_typeENS0_5tupleIJSB_SC_EEENSE_IJSB_SD_EEENS0_18inequality_wrapperINS9_8equal_toIiEEEEPmJSC_EEE10hipError_tPvRmT3_T4_T5_T6_T7_T9_mT8_P12ihipStream_tbDpT10_ENKUlT_T0_E_clISt17integral_constantIbLb0EES15_EEDaS10_S11_EUlS10_E_NS1_11comp_targetILNS1_3genE2ELNS1_11target_archE906ELNS1_3gpuE6ELNS1_3repE0EEENS1_30default_config_static_selectorELNS0_4arch9wavefront6targetE0EEEvT1_
		.amdhsa_group_segment_fixed_size 0
		.amdhsa_private_segment_fixed_size 0
		.amdhsa_kernarg_size 112
		.amdhsa_user_sgpr_count 15
		.amdhsa_user_sgpr_dispatch_ptr 0
		.amdhsa_user_sgpr_queue_ptr 0
		.amdhsa_user_sgpr_kernarg_segment_ptr 1
		.amdhsa_user_sgpr_dispatch_id 0
		.amdhsa_user_sgpr_private_segment_size 0
		.amdhsa_wavefront_size32 1
		.amdhsa_uses_dynamic_stack 0
		.amdhsa_enable_private_segment 0
		.amdhsa_system_sgpr_workgroup_id_x 1
		.amdhsa_system_sgpr_workgroup_id_y 0
		.amdhsa_system_sgpr_workgroup_id_z 0
		.amdhsa_system_sgpr_workgroup_info 0
		.amdhsa_system_vgpr_workitem_id 0
		.amdhsa_next_free_vgpr 1
		.amdhsa_next_free_sgpr 1
		.amdhsa_reserve_vcc 0
		.amdhsa_float_round_mode_32 0
		.amdhsa_float_round_mode_16_64 0
		.amdhsa_float_denorm_mode_32 3
		.amdhsa_float_denorm_mode_16_64 3
		.amdhsa_dx10_clamp 1
		.amdhsa_ieee_mode 1
		.amdhsa_fp16_overflow 0
		.amdhsa_workgroup_processor_mode 1
		.amdhsa_memory_ordered 1
		.amdhsa_forward_progress 0
		.amdhsa_shared_vgpr_count 0
		.amdhsa_exception_fp_ieee_invalid_op 0
		.amdhsa_exception_fp_denorm_src 0
		.amdhsa_exception_fp_ieee_div_zero 0
		.amdhsa_exception_fp_ieee_overflow 0
		.amdhsa_exception_fp_ieee_underflow 0
		.amdhsa_exception_fp_ieee_inexact 0
		.amdhsa_exception_int_div_zero 0
	.end_amdhsa_kernel
	.section	.text._ZN7rocprim17ROCPRIM_400000_NS6detail17trampoline_kernelINS0_14default_configENS1_25partition_config_selectorILNS1_17partition_subalgoE9EiibEEZZNS1_14partition_implILS5_9ELb0ES3_jN6thrust23THRUST_200600_302600_NS10device_ptrIiEESB_PNS0_10empty_typeENS0_5tupleIJSB_SC_EEENSE_IJSB_SD_EEENS0_18inequality_wrapperINS9_8equal_toIiEEEEPmJSC_EEE10hipError_tPvRmT3_T4_T5_T6_T7_T9_mT8_P12ihipStream_tbDpT10_ENKUlT_T0_E_clISt17integral_constantIbLb0EES15_EEDaS10_S11_EUlS10_E_NS1_11comp_targetILNS1_3genE2ELNS1_11target_archE906ELNS1_3gpuE6ELNS1_3repE0EEENS1_30default_config_static_selectorELNS0_4arch9wavefront6targetE0EEEvT1_,"axG",@progbits,_ZN7rocprim17ROCPRIM_400000_NS6detail17trampoline_kernelINS0_14default_configENS1_25partition_config_selectorILNS1_17partition_subalgoE9EiibEEZZNS1_14partition_implILS5_9ELb0ES3_jN6thrust23THRUST_200600_302600_NS10device_ptrIiEESB_PNS0_10empty_typeENS0_5tupleIJSB_SC_EEENSE_IJSB_SD_EEENS0_18inequality_wrapperINS9_8equal_toIiEEEEPmJSC_EEE10hipError_tPvRmT3_T4_T5_T6_T7_T9_mT8_P12ihipStream_tbDpT10_ENKUlT_T0_E_clISt17integral_constantIbLb0EES15_EEDaS10_S11_EUlS10_E_NS1_11comp_targetILNS1_3genE2ELNS1_11target_archE906ELNS1_3gpuE6ELNS1_3repE0EEENS1_30default_config_static_selectorELNS0_4arch9wavefront6targetE0EEEvT1_,comdat
.Lfunc_end1273:
	.size	_ZN7rocprim17ROCPRIM_400000_NS6detail17trampoline_kernelINS0_14default_configENS1_25partition_config_selectorILNS1_17partition_subalgoE9EiibEEZZNS1_14partition_implILS5_9ELb0ES3_jN6thrust23THRUST_200600_302600_NS10device_ptrIiEESB_PNS0_10empty_typeENS0_5tupleIJSB_SC_EEENSE_IJSB_SD_EEENS0_18inequality_wrapperINS9_8equal_toIiEEEEPmJSC_EEE10hipError_tPvRmT3_T4_T5_T6_T7_T9_mT8_P12ihipStream_tbDpT10_ENKUlT_T0_E_clISt17integral_constantIbLb0EES15_EEDaS10_S11_EUlS10_E_NS1_11comp_targetILNS1_3genE2ELNS1_11target_archE906ELNS1_3gpuE6ELNS1_3repE0EEENS1_30default_config_static_selectorELNS0_4arch9wavefront6targetE0EEEvT1_, .Lfunc_end1273-_ZN7rocprim17ROCPRIM_400000_NS6detail17trampoline_kernelINS0_14default_configENS1_25partition_config_selectorILNS1_17partition_subalgoE9EiibEEZZNS1_14partition_implILS5_9ELb0ES3_jN6thrust23THRUST_200600_302600_NS10device_ptrIiEESB_PNS0_10empty_typeENS0_5tupleIJSB_SC_EEENSE_IJSB_SD_EEENS0_18inequality_wrapperINS9_8equal_toIiEEEEPmJSC_EEE10hipError_tPvRmT3_T4_T5_T6_T7_T9_mT8_P12ihipStream_tbDpT10_ENKUlT_T0_E_clISt17integral_constantIbLb0EES15_EEDaS10_S11_EUlS10_E_NS1_11comp_targetILNS1_3genE2ELNS1_11target_archE906ELNS1_3gpuE6ELNS1_3repE0EEENS1_30default_config_static_selectorELNS0_4arch9wavefront6targetE0EEEvT1_
                                        ; -- End function
	.section	.AMDGPU.csdata,"",@progbits
; Kernel info:
; codeLenInByte = 0
; NumSgprs: 0
; NumVgprs: 0
; ScratchSize: 0
; MemoryBound: 0
; FloatMode: 240
; IeeeMode: 1
; LDSByteSize: 0 bytes/workgroup (compile time only)
; SGPRBlocks: 0
; VGPRBlocks: 0
; NumSGPRsForWavesPerEU: 1
; NumVGPRsForWavesPerEU: 1
; Occupancy: 16
; WaveLimiterHint : 0
; COMPUTE_PGM_RSRC2:SCRATCH_EN: 0
; COMPUTE_PGM_RSRC2:USER_SGPR: 15
; COMPUTE_PGM_RSRC2:TRAP_HANDLER: 0
; COMPUTE_PGM_RSRC2:TGID_X_EN: 1
; COMPUTE_PGM_RSRC2:TGID_Y_EN: 0
; COMPUTE_PGM_RSRC2:TGID_Z_EN: 0
; COMPUTE_PGM_RSRC2:TIDIG_COMP_CNT: 0
	.section	.text._ZN7rocprim17ROCPRIM_400000_NS6detail17trampoline_kernelINS0_14default_configENS1_25partition_config_selectorILNS1_17partition_subalgoE9EiibEEZZNS1_14partition_implILS5_9ELb0ES3_jN6thrust23THRUST_200600_302600_NS10device_ptrIiEESB_PNS0_10empty_typeENS0_5tupleIJSB_SC_EEENSE_IJSB_SD_EEENS0_18inequality_wrapperINS9_8equal_toIiEEEEPmJSC_EEE10hipError_tPvRmT3_T4_T5_T6_T7_T9_mT8_P12ihipStream_tbDpT10_ENKUlT_T0_E_clISt17integral_constantIbLb0EES15_EEDaS10_S11_EUlS10_E_NS1_11comp_targetILNS1_3genE10ELNS1_11target_archE1200ELNS1_3gpuE4ELNS1_3repE0EEENS1_30default_config_static_selectorELNS0_4arch9wavefront6targetE0EEEvT1_,"axG",@progbits,_ZN7rocprim17ROCPRIM_400000_NS6detail17trampoline_kernelINS0_14default_configENS1_25partition_config_selectorILNS1_17partition_subalgoE9EiibEEZZNS1_14partition_implILS5_9ELb0ES3_jN6thrust23THRUST_200600_302600_NS10device_ptrIiEESB_PNS0_10empty_typeENS0_5tupleIJSB_SC_EEENSE_IJSB_SD_EEENS0_18inequality_wrapperINS9_8equal_toIiEEEEPmJSC_EEE10hipError_tPvRmT3_T4_T5_T6_T7_T9_mT8_P12ihipStream_tbDpT10_ENKUlT_T0_E_clISt17integral_constantIbLb0EES15_EEDaS10_S11_EUlS10_E_NS1_11comp_targetILNS1_3genE10ELNS1_11target_archE1200ELNS1_3gpuE4ELNS1_3repE0EEENS1_30default_config_static_selectorELNS0_4arch9wavefront6targetE0EEEvT1_,comdat
	.protected	_ZN7rocprim17ROCPRIM_400000_NS6detail17trampoline_kernelINS0_14default_configENS1_25partition_config_selectorILNS1_17partition_subalgoE9EiibEEZZNS1_14partition_implILS5_9ELb0ES3_jN6thrust23THRUST_200600_302600_NS10device_ptrIiEESB_PNS0_10empty_typeENS0_5tupleIJSB_SC_EEENSE_IJSB_SD_EEENS0_18inequality_wrapperINS9_8equal_toIiEEEEPmJSC_EEE10hipError_tPvRmT3_T4_T5_T6_T7_T9_mT8_P12ihipStream_tbDpT10_ENKUlT_T0_E_clISt17integral_constantIbLb0EES15_EEDaS10_S11_EUlS10_E_NS1_11comp_targetILNS1_3genE10ELNS1_11target_archE1200ELNS1_3gpuE4ELNS1_3repE0EEENS1_30default_config_static_selectorELNS0_4arch9wavefront6targetE0EEEvT1_ ; -- Begin function _ZN7rocprim17ROCPRIM_400000_NS6detail17trampoline_kernelINS0_14default_configENS1_25partition_config_selectorILNS1_17partition_subalgoE9EiibEEZZNS1_14partition_implILS5_9ELb0ES3_jN6thrust23THRUST_200600_302600_NS10device_ptrIiEESB_PNS0_10empty_typeENS0_5tupleIJSB_SC_EEENSE_IJSB_SD_EEENS0_18inequality_wrapperINS9_8equal_toIiEEEEPmJSC_EEE10hipError_tPvRmT3_T4_T5_T6_T7_T9_mT8_P12ihipStream_tbDpT10_ENKUlT_T0_E_clISt17integral_constantIbLb0EES15_EEDaS10_S11_EUlS10_E_NS1_11comp_targetILNS1_3genE10ELNS1_11target_archE1200ELNS1_3gpuE4ELNS1_3repE0EEENS1_30default_config_static_selectorELNS0_4arch9wavefront6targetE0EEEvT1_
	.globl	_ZN7rocprim17ROCPRIM_400000_NS6detail17trampoline_kernelINS0_14default_configENS1_25partition_config_selectorILNS1_17partition_subalgoE9EiibEEZZNS1_14partition_implILS5_9ELb0ES3_jN6thrust23THRUST_200600_302600_NS10device_ptrIiEESB_PNS0_10empty_typeENS0_5tupleIJSB_SC_EEENSE_IJSB_SD_EEENS0_18inequality_wrapperINS9_8equal_toIiEEEEPmJSC_EEE10hipError_tPvRmT3_T4_T5_T6_T7_T9_mT8_P12ihipStream_tbDpT10_ENKUlT_T0_E_clISt17integral_constantIbLb0EES15_EEDaS10_S11_EUlS10_E_NS1_11comp_targetILNS1_3genE10ELNS1_11target_archE1200ELNS1_3gpuE4ELNS1_3repE0EEENS1_30default_config_static_selectorELNS0_4arch9wavefront6targetE0EEEvT1_
	.p2align	8
	.type	_ZN7rocprim17ROCPRIM_400000_NS6detail17trampoline_kernelINS0_14default_configENS1_25partition_config_selectorILNS1_17partition_subalgoE9EiibEEZZNS1_14partition_implILS5_9ELb0ES3_jN6thrust23THRUST_200600_302600_NS10device_ptrIiEESB_PNS0_10empty_typeENS0_5tupleIJSB_SC_EEENSE_IJSB_SD_EEENS0_18inequality_wrapperINS9_8equal_toIiEEEEPmJSC_EEE10hipError_tPvRmT3_T4_T5_T6_T7_T9_mT8_P12ihipStream_tbDpT10_ENKUlT_T0_E_clISt17integral_constantIbLb0EES15_EEDaS10_S11_EUlS10_E_NS1_11comp_targetILNS1_3genE10ELNS1_11target_archE1200ELNS1_3gpuE4ELNS1_3repE0EEENS1_30default_config_static_selectorELNS0_4arch9wavefront6targetE0EEEvT1_,@function
_ZN7rocprim17ROCPRIM_400000_NS6detail17trampoline_kernelINS0_14default_configENS1_25partition_config_selectorILNS1_17partition_subalgoE9EiibEEZZNS1_14partition_implILS5_9ELb0ES3_jN6thrust23THRUST_200600_302600_NS10device_ptrIiEESB_PNS0_10empty_typeENS0_5tupleIJSB_SC_EEENSE_IJSB_SD_EEENS0_18inequality_wrapperINS9_8equal_toIiEEEEPmJSC_EEE10hipError_tPvRmT3_T4_T5_T6_T7_T9_mT8_P12ihipStream_tbDpT10_ENKUlT_T0_E_clISt17integral_constantIbLb0EES15_EEDaS10_S11_EUlS10_E_NS1_11comp_targetILNS1_3genE10ELNS1_11target_archE1200ELNS1_3gpuE4ELNS1_3repE0EEENS1_30default_config_static_selectorELNS0_4arch9wavefront6targetE0EEEvT1_: ; @_ZN7rocprim17ROCPRIM_400000_NS6detail17trampoline_kernelINS0_14default_configENS1_25partition_config_selectorILNS1_17partition_subalgoE9EiibEEZZNS1_14partition_implILS5_9ELb0ES3_jN6thrust23THRUST_200600_302600_NS10device_ptrIiEESB_PNS0_10empty_typeENS0_5tupleIJSB_SC_EEENSE_IJSB_SD_EEENS0_18inequality_wrapperINS9_8equal_toIiEEEEPmJSC_EEE10hipError_tPvRmT3_T4_T5_T6_T7_T9_mT8_P12ihipStream_tbDpT10_ENKUlT_T0_E_clISt17integral_constantIbLb0EES15_EEDaS10_S11_EUlS10_E_NS1_11comp_targetILNS1_3genE10ELNS1_11target_archE1200ELNS1_3gpuE4ELNS1_3repE0EEENS1_30default_config_static_selectorELNS0_4arch9wavefront6targetE0EEEvT1_
; %bb.0:
	.section	.rodata,"a",@progbits
	.p2align	6, 0x0
	.amdhsa_kernel _ZN7rocprim17ROCPRIM_400000_NS6detail17trampoline_kernelINS0_14default_configENS1_25partition_config_selectorILNS1_17partition_subalgoE9EiibEEZZNS1_14partition_implILS5_9ELb0ES3_jN6thrust23THRUST_200600_302600_NS10device_ptrIiEESB_PNS0_10empty_typeENS0_5tupleIJSB_SC_EEENSE_IJSB_SD_EEENS0_18inequality_wrapperINS9_8equal_toIiEEEEPmJSC_EEE10hipError_tPvRmT3_T4_T5_T6_T7_T9_mT8_P12ihipStream_tbDpT10_ENKUlT_T0_E_clISt17integral_constantIbLb0EES15_EEDaS10_S11_EUlS10_E_NS1_11comp_targetILNS1_3genE10ELNS1_11target_archE1200ELNS1_3gpuE4ELNS1_3repE0EEENS1_30default_config_static_selectorELNS0_4arch9wavefront6targetE0EEEvT1_
		.amdhsa_group_segment_fixed_size 0
		.amdhsa_private_segment_fixed_size 0
		.amdhsa_kernarg_size 112
		.amdhsa_user_sgpr_count 15
		.amdhsa_user_sgpr_dispatch_ptr 0
		.amdhsa_user_sgpr_queue_ptr 0
		.amdhsa_user_sgpr_kernarg_segment_ptr 1
		.amdhsa_user_sgpr_dispatch_id 0
		.amdhsa_user_sgpr_private_segment_size 0
		.amdhsa_wavefront_size32 1
		.amdhsa_uses_dynamic_stack 0
		.amdhsa_enable_private_segment 0
		.amdhsa_system_sgpr_workgroup_id_x 1
		.amdhsa_system_sgpr_workgroup_id_y 0
		.amdhsa_system_sgpr_workgroup_id_z 0
		.amdhsa_system_sgpr_workgroup_info 0
		.amdhsa_system_vgpr_workitem_id 0
		.amdhsa_next_free_vgpr 1
		.amdhsa_next_free_sgpr 1
		.amdhsa_reserve_vcc 0
		.amdhsa_float_round_mode_32 0
		.amdhsa_float_round_mode_16_64 0
		.amdhsa_float_denorm_mode_32 3
		.amdhsa_float_denorm_mode_16_64 3
		.amdhsa_dx10_clamp 1
		.amdhsa_ieee_mode 1
		.amdhsa_fp16_overflow 0
		.amdhsa_workgroup_processor_mode 1
		.amdhsa_memory_ordered 1
		.amdhsa_forward_progress 0
		.amdhsa_shared_vgpr_count 0
		.amdhsa_exception_fp_ieee_invalid_op 0
		.amdhsa_exception_fp_denorm_src 0
		.amdhsa_exception_fp_ieee_div_zero 0
		.amdhsa_exception_fp_ieee_overflow 0
		.amdhsa_exception_fp_ieee_underflow 0
		.amdhsa_exception_fp_ieee_inexact 0
		.amdhsa_exception_int_div_zero 0
	.end_amdhsa_kernel
	.section	.text._ZN7rocprim17ROCPRIM_400000_NS6detail17trampoline_kernelINS0_14default_configENS1_25partition_config_selectorILNS1_17partition_subalgoE9EiibEEZZNS1_14partition_implILS5_9ELb0ES3_jN6thrust23THRUST_200600_302600_NS10device_ptrIiEESB_PNS0_10empty_typeENS0_5tupleIJSB_SC_EEENSE_IJSB_SD_EEENS0_18inequality_wrapperINS9_8equal_toIiEEEEPmJSC_EEE10hipError_tPvRmT3_T4_T5_T6_T7_T9_mT8_P12ihipStream_tbDpT10_ENKUlT_T0_E_clISt17integral_constantIbLb0EES15_EEDaS10_S11_EUlS10_E_NS1_11comp_targetILNS1_3genE10ELNS1_11target_archE1200ELNS1_3gpuE4ELNS1_3repE0EEENS1_30default_config_static_selectorELNS0_4arch9wavefront6targetE0EEEvT1_,"axG",@progbits,_ZN7rocprim17ROCPRIM_400000_NS6detail17trampoline_kernelINS0_14default_configENS1_25partition_config_selectorILNS1_17partition_subalgoE9EiibEEZZNS1_14partition_implILS5_9ELb0ES3_jN6thrust23THRUST_200600_302600_NS10device_ptrIiEESB_PNS0_10empty_typeENS0_5tupleIJSB_SC_EEENSE_IJSB_SD_EEENS0_18inequality_wrapperINS9_8equal_toIiEEEEPmJSC_EEE10hipError_tPvRmT3_T4_T5_T6_T7_T9_mT8_P12ihipStream_tbDpT10_ENKUlT_T0_E_clISt17integral_constantIbLb0EES15_EEDaS10_S11_EUlS10_E_NS1_11comp_targetILNS1_3genE10ELNS1_11target_archE1200ELNS1_3gpuE4ELNS1_3repE0EEENS1_30default_config_static_selectorELNS0_4arch9wavefront6targetE0EEEvT1_,comdat
.Lfunc_end1274:
	.size	_ZN7rocprim17ROCPRIM_400000_NS6detail17trampoline_kernelINS0_14default_configENS1_25partition_config_selectorILNS1_17partition_subalgoE9EiibEEZZNS1_14partition_implILS5_9ELb0ES3_jN6thrust23THRUST_200600_302600_NS10device_ptrIiEESB_PNS0_10empty_typeENS0_5tupleIJSB_SC_EEENSE_IJSB_SD_EEENS0_18inequality_wrapperINS9_8equal_toIiEEEEPmJSC_EEE10hipError_tPvRmT3_T4_T5_T6_T7_T9_mT8_P12ihipStream_tbDpT10_ENKUlT_T0_E_clISt17integral_constantIbLb0EES15_EEDaS10_S11_EUlS10_E_NS1_11comp_targetILNS1_3genE10ELNS1_11target_archE1200ELNS1_3gpuE4ELNS1_3repE0EEENS1_30default_config_static_selectorELNS0_4arch9wavefront6targetE0EEEvT1_, .Lfunc_end1274-_ZN7rocprim17ROCPRIM_400000_NS6detail17trampoline_kernelINS0_14default_configENS1_25partition_config_selectorILNS1_17partition_subalgoE9EiibEEZZNS1_14partition_implILS5_9ELb0ES3_jN6thrust23THRUST_200600_302600_NS10device_ptrIiEESB_PNS0_10empty_typeENS0_5tupleIJSB_SC_EEENSE_IJSB_SD_EEENS0_18inequality_wrapperINS9_8equal_toIiEEEEPmJSC_EEE10hipError_tPvRmT3_T4_T5_T6_T7_T9_mT8_P12ihipStream_tbDpT10_ENKUlT_T0_E_clISt17integral_constantIbLb0EES15_EEDaS10_S11_EUlS10_E_NS1_11comp_targetILNS1_3genE10ELNS1_11target_archE1200ELNS1_3gpuE4ELNS1_3repE0EEENS1_30default_config_static_selectorELNS0_4arch9wavefront6targetE0EEEvT1_
                                        ; -- End function
	.section	.AMDGPU.csdata,"",@progbits
; Kernel info:
; codeLenInByte = 0
; NumSgprs: 0
; NumVgprs: 0
; ScratchSize: 0
; MemoryBound: 0
; FloatMode: 240
; IeeeMode: 1
; LDSByteSize: 0 bytes/workgroup (compile time only)
; SGPRBlocks: 0
; VGPRBlocks: 0
; NumSGPRsForWavesPerEU: 1
; NumVGPRsForWavesPerEU: 1
; Occupancy: 15
; WaveLimiterHint : 0
; COMPUTE_PGM_RSRC2:SCRATCH_EN: 0
; COMPUTE_PGM_RSRC2:USER_SGPR: 15
; COMPUTE_PGM_RSRC2:TRAP_HANDLER: 0
; COMPUTE_PGM_RSRC2:TGID_X_EN: 1
; COMPUTE_PGM_RSRC2:TGID_Y_EN: 0
; COMPUTE_PGM_RSRC2:TGID_Z_EN: 0
; COMPUTE_PGM_RSRC2:TIDIG_COMP_CNT: 0
	.section	.text._ZN7rocprim17ROCPRIM_400000_NS6detail17trampoline_kernelINS0_14default_configENS1_25partition_config_selectorILNS1_17partition_subalgoE9EiibEEZZNS1_14partition_implILS5_9ELb0ES3_jN6thrust23THRUST_200600_302600_NS10device_ptrIiEESB_PNS0_10empty_typeENS0_5tupleIJSB_SC_EEENSE_IJSB_SD_EEENS0_18inequality_wrapperINS9_8equal_toIiEEEEPmJSC_EEE10hipError_tPvRmT3_T4_T5_T6_T7_T9_mT8_P12ihipStream_tbDpT10_ENKUlT_T0_E_clISt17integral_constantIbLb0EES15_EEDaS10_S11_EUlS10_E_NS1_11comp_targetILNS1_3genE9ELNS1_11target_archE1100ELNS1_3gpuE3ELNS1_3repE0EEENS1_30default_config_static_selectorELNS0_4arch9wavefront6targetE0EEEvT1_,"axG",@progbits,_ZN7rocprim17ROCPRIM_400000_NS6detail17trampoline_kernelINS0_14default_configENS1_25partition_config_selectorILNS1_17partition_subalgoE9EiibEEZZNS1_14partition_implILS5_9ELb0ES3_jN6thrust23THRUST_200600_302600_NS10device_ptrIiEESB_PNS0_10empty_typeENS0_5tupleIJSB_SC_EEENSE_IJSB_SD_EEENS0_18inequality_wrapperINS9_8equal_toIiEEEEPmJSC_EEE10hipError_tPvRmT3_T4_T5_T6_T7_T9_mT8_P12ihipStream_tbDpT10_ENKUlT_T0_E_clISt17integral_constantIbLb0EES15_EEDaS10_S11_EUlS10_E_NS1_11comp_targetILNS1_3genE9ELNS1_11target_archE1100ELNS1_3gpuE3ELNS1_3repE0EEENS1_30default_config_static_selectorELNS0_4arch9wavefront6targetE0EEEvT1_,comdat
	.protected	_ZN7rocprim17ROCPRIM_400000_NS6detail17trampoline_kernelINS0_14default_configENS1_25partition_config_selectorILNS1_17partition_subalgoE9EiibEEZZNS1_14partition_implILS5_9ELb0ES3_jN6thrust23THRUST_200600_302600_NS10device_ptrIiEESB_PNS0_10empty_typeENS0_5tupleIJSB_SC_EEENSE_IJSB_SD_EEENS0_18inequality_wrapperINS9_8equal_toIiEEEEPmJSC_EEE10hipError_tPvRmT3_T4_T5_T6_T7_T9_mT8_P12ihipStream_tbDpT10_ENKUlT_T0_E_clISt17integral_constantIbLb0EES15_EEDaS10_S11_EUlS10_E_NS1_11comp_targetILNS1_3genE9ELNS1_11target_archE1100ELNS1_3gpuE3ELNS1_3repE0EEENS1_30default_config_static_selectorELNS0_4arch9wavefront6targetE0EEEvT1_ ; -- Begin function _ZN7rocprim17ROCPRIM_400000_NS6detail17trampoline_kernelINS0_14default_configENS1_25partition_config_selectorILNS1_17partition_subalgoE9EiibEEZZNS1_14partition_implILS5_9ELb0ES3_jN6thrust23THRUST_200600_302600_NS10device_ptrIiEESB_PNS0_10empty_typeENS0_5tupleIJSB_SC_EEENSE_IJSB_SD_EEENS0_18inequality_wrapperINS9_8equal_toIiEEEEPmJSC_EEE10hipError_tPvRmT3_T4_T5_T6_T7_T9_mT8_P12ihipStream_tbDpT10_ENKUlT_T0_E_clISt17integral_constantIbLb0EES15_EEDaS10_S11_EUlS10_E_NS1_11comp_targetILNS1_3genE9ELNS1_11target_archE1100ELNS1_3gpuE3ELNS1_3repE0EEENS1_30default_config_static_selectorELNS0_4arch9wavefront6targetE0EEEvT1_
	.globl	_ZN7rocprim17ROCPRIM_400000_NS6detail17trampoline_kernelINS0_14default_configENS1_25partition_config_selectorILNS1_17partition_subalgoE9EiibEEZZNS1_14partition_implILS5_9ELb0ES3_jN6thrust23THRUST_200600_302600_NS10device_ptrIiEESB_PNS0_10empty_typeENS0_5tupleIJSB_SC_EEENSE_IJSB_SD_EEENS0_18inequality_wrapperINS9_8equal_toIiEEEEPmJSC_EEE10hipError_tPvRmT3_T4_T5_T6_T7_T9_mT8_P12ihipStream_tbDpT10_ENKUlT_T0_E_clISt17integral_constantIbLb0EES15_EEDaS10_S11_EUlS10_E_NS1_11comp_targetILNS1_3genE9ELNS1_11target_archE1100ELNS1_3gpuE3ELNS1_3repE0EEENS1_30default_config_static_selectorELNS0_4arch9wavefront6targetE0EEEvT1_
	.p2align	8
	.type	_ZN7rocprim17ROCPRIM_400000_NS6detail17trampoline_kernelINS0_14default_configENS1_25partition_config_selectorILNS1_17partition_subalgoE9EiibEEZZNS1_14partition_implILS5_9ELb0ES3_jN6thrust23THRUST_200600_302600_NS10device_ptrIiEESB_PNS0_10empty_typeENS0_5tupleIJSB_SC_EEENSE_IJSB_SD_EEENS0_18inequality_wrapperINS9_8equal_toIiEEEEPmJSC_EEE10hipError_tPvRmT3_T4_T5_T6_T7_T9_mT8_P12ihipStream_tbDpT10_ENKUlT_T0_E_clISt17integral_constantIbLb0EES15_EEDaS10_S11_EUlS10_E_NS1_11comp_targetILNS1_3genE9ELNS1_11target_archE1100ELNS1_3gpuE3ELNS1_3repE0EEENS1_30default_config_static_selectorELNS0_4arch9wavefront6targetE0EEEvT1_,@function
_ZN7rocprim17ROCPRIM_400000_NS6detail17trampoline_kernelINS0_14default_configENS1_25partition_config_selectorILNS1_17partition_subalgoE9EiibEEZZNS1_14partition_implILS5_9ELb0ES3_jN6thrust23THRUST_200600_302600_NS10device_ptrIiEESB_PNS0_10empty_typeENS0_5tupleIJSB_SC_EEENSE_IJSB_SD_EEENS0_18inequality_wrapperINS9_8equal_toIiEEEEPmJSC_EEE10hipError_tPvRmT3_T4_T5_T6_T7_T9_mT8_P12ihipStream_tbDpT10_ENKUlT_T0_E_clISt17integral_constantIbLb0EES15_EEDaS10_S11_EUlS10_E_NS1_11comp_targetILNS1_3genE9ELNS1_11target_archE1100ELNS1_3gpuE3ELNS1_3repE0EEENS1_30default_config_static_selectorELNS0_4arch9wavefront6targetE0EEEvT1_: ; @_ZN7rocprim17ROCPRIM_400000_NS6detail17trampoline_kernelINS0_14default_configENS1_25partition_config_selectorILNS1_17partition_subalgoE9EiibEEZZNS1_14partition_implILS5_9ELb0ES3_jN6thrust23THRUST_200600_302600_NS10device_ptrIiEESB_PNS0_10empty_typeENS0_5tupleIJSB_SC_EEENSE_IJSB_SD_EEENS0_18inequality_wrapperINS9_8equal_toIiEEEEPmJSC_EEE10hipError_tPvRmT3_T4_T5_T6_T7_T9_mT8_P12ihipStream_tbDpT10_ENKUlT_T0_E_clISt17integral_constantIbLb0EES15_EEDaS10_S11_EUlS10_E_NS1_11comp_targetILNS1_3genE9ELNS1_11target_archE1100ELNS1_3gpuE3ELNS1_3repE0EEENS1_30default_config_static_selectorELNS0_4arch9wavefront6targetE0EEEvT1_
; %bb.0:
	s_clause 0x4
	s_load_b128 s[4:7], s[0:1], 0x8
	s_load_b32 s14, s[0:1], 0x68
	s_load_b128 s[16:19], s[0:1], 0x40
	s_load_b64 s[2:3], s[0:1], 0x50
	s_load_b64 s[8:9], s[0:1], 0x18
	s_mov_b32 s23, 0
	s_mul_i32 s22, s15, 0xc00
	v_lshrrev_b32_e32 v18, 3, v0
	v_add_nc_u32_e32 v23, 0x180, v0
	v_add_nc_u32_e32 v22, 0x300, v0
	;; [unrolled: 1-line block ×3, first 2 shown]
	v_or_b32_e32 v24, 0x600, v0
	v_add_nc_u32_e32 v20, 0x780, v0
	v_add_nc_u32_e32 v17, 0x900, v0
	;; [unrolled: 1-line block ×3, first 2 shown]
	s_waitcnt lgkmcnt(0)
	s_lshl_b64 s[12:13], s[6:7], 2
	s_mul_i32 s20, s14, 0xc00
	s_add_u32 s21, s4, s12
	s_addc_u32 s24, s5, s13
	s_add_i32 s4, s20, s6
	s_load_b64 s[10:11], s[18:19], 0x0
	s_sub_i32 s19, s2, s4
	s_add_i32 s14, s14, -1
	s_addk_i32 s19, 0xc00
	s_add_u32 s4, s6, s20
	s_addc_u32 s5, s7, 0
	s_cmp_eq_u32 s15, s14
	v_cmp_ge_u64_e64 s2, s[4:5], s[2:3]
	s_cselect_b32 s14, -1, 0
	s_lshl_b64 s[4:5], s[22:23], 2
	s_mov_b32 s22, -1
	s_delay_alu instid0(VALU_DEP_1) | instskip(NEXT) | instid1(SALU_CYCLE_1)
	s_and_b32 s20, s14, s2
	s_xor_b32 s18, s20, -1
	s_add_u32 s21, s21, s4
	s_addc_u32 s3, s24, s5
	s_and_b32 vcc_lo, exec_lo, s18
	s_cbranch_vccz .LBB1275_2
; %bb.1:
	v_lshlrev_b32_e32 v7, 2, v0
	v_lshrrev_b32_e32 v11, 3, v23
	v_lshrrev_b32_e32 v12, 3, v22
	;; [unrolled: 1-line block ×4, first 2 shown]
	v_add_co_u32 v1, s2, s21, v7
	s_delay_alu instid0(VALU_DEP_1) | instskip(SKIP_1) | instid1(VALU_DEP_3)
	v_add_co_ci_u32_e64 v2, null, s3, 0, s2
	v_lshrrev_b32_e32 v15, 3, v20
	v_add_co_u32 v3, vcc_lo, 0x1000, v1
	s_delay_alu instid0(VALU_DEP_3)
	v_add_co_ci_u32_e32 v4, vcc_lo, 0, v2, vcc_lo
	v_add_co_u32 v5, vcc_lo, 0x2000, v1
	v_add_co_ci_u32_e32 v6, vcc_lo, 0, v2, vcc_lo
	s_clause 0x7
	flat_load_b32 v8, v[1:2]
	flat_load_b32 v9, v[1:2] offset:1536
	flat_load_b32 v1, v[1:2] offset:3072
	;; [unrolled: 1-line block ×7, first 2 shown]
	v_and_b32_e32 v6, 60, v18
	v_lshrrev_b32_e32 v16, 3, v17
	v_lshrrev_b32_e32 v19, 3, v21
	v_and_b32_e32 v11, 0x7c, v11
	v_and_b32_e32 v12, 0xfc, v12
	;; [unrolled: 1-line block ×4, first 2 shown]
	v_add_nc_u32_e32 v6, v6, v7
	v_and_b32_e32 v15, 0x1fc, v15
	v_and_b32_e32 v16, 0x17c, v16
	;; [unrolled: 1-line block ×3, first 2 shown]
	v_add_nc_u32_e32 v11, v11, v7
	v_add_nc_u32_e32 v12, v12, v7
	;; [unrolled: 1-line block ×4, first 2 shown]
	s_mov_b32 s22, 0
	v_add_nc_u32_e32 v15, v15, v7
	v_add_nc_u32_e32 v16, v16, v7
	;; [unrolled: 1-line block ×3, first 2 shown]
	s_waitcnt vmcnt(7) lgkmcnt(0)
	ds_store_b32 v6, v8
	s_waitcnt vmcnt(6)
	ds_store_b32 v11, v9 offset:1536
	s_waitcnt vmcnt(5)
	ds_store_b32 v12, v1 offset:3072
	;; [unrolled: 2-line block ×7, first 2 shown]
	s_waitcnt lgkmcnt(0)
	s_barrier
.LBB1275_2:
	v_cmp_gt_u32_e64 s2, s19, v0
	s_and_not1_b32 vcc_lo, exec_lo, s22
	s_cbranch_vccnz .LBB1275_20
; %bb.3:
                                        ; implicit-def: $vgpr1_vgpr2_vgpr3_vgpr4_vgpr5_vgpr6_vgpr7_vgpr8
	s_delay_alu instid0(VALU_DEP_1)
	s_and_saveexec_b32 s22, s2
	s_cbranch_execz .LBB1275_11
; %bb.4:
	v_lshlrev_b32_e32 v1, 2, v0
	s_delay_alu instid0(VALU_DEP_1) | instskip(NEXT) | instid1(VALU_DEP_1)
	v_add_co_u32 v1, s2, s21, v1
	v_add_co_ci_u32_e64 v2, null, s3, 0, s2
	flat_load_b32 v1, v[1:2]
	s_or_b32 exec_lo, exec_lo, s22
	s_delay_alu instid0(SALU_CYCLE_1)
	s_mov_b32 s2, exec_lo
	v_cmpx_gt_u32_e64 s19, v23
	s_cbranch_execnz .LBB1275_12
.LBB1275_5:
	s_or_b32 exec_lo, exec_lo, s2
	s_delay_alu instid0(SALU_CYCLE_1)
	s_mov_b32 s2, exec_lo
	v_cmpx_gt_u32_e64 s19, v22
	s_cbranch_execz .LBB1275_13
.LBB1275_6:
	v_lshlrev_b32_e32 v3, 2, v0
	s_delay_alu instid0(VALU_DEP_1) | instskip(NEXT) | instid1(VALU_DEP_1)
	v_add_co_u32 v9, s22, s21, v3
	v_add_co_ci_u32_e64 v10, null, s3, 0, s22
	flat_load_b32 v3, v[9:10] offset:3072
	s_or_b32 exec_lo, exec_lo, s2
	s_delay_alu instid0(SALU_CYCLE_1)
	s_mov_b32 s2, exec_lo
	v_cmpx_gt_u32_e64 s19, v25
	s_cbranch_execnz .LBB1275_14
.LBB1275_7:
	s_or_b32 exec_lo, exec_lo, s2
	s_delay_alu instid0(SALU_CYCLE_1)
	s_mov_b32 s2, exec_lo
	v_cmpx_gt_u32_e64 s19, v24
	s_cbranch_execz .LBB1275_15
.LBB1275_8:
	v_lshlrev_b32_e32 v5, 2, v24
	s_delay_alu instid0(VALU_DEP_1) | instskip(NEXT) | instid1(VALU_DEP_1)
	v_add_co_u32 v9, s22, s21, v5
	v_add_co_ci_u32_e64 v10, null, s3, 0, s22
	flat_load_b32 v5, v[9:10]
	s_or_b32 exec_lo, exec_lo, s2
	s_delay_alu instid0(SALU_CYCLE_1)
	s_mov_b32 s2, exec_lo
	v_cmpx_gt_u32_e64 s19, v20
	s_cbranch_execnz .LBB1275_16
.LBB1275_9:
	s_or_b32 exec_lo, exec_lo, s2
	s_delay_alu instid0(SALU_CYCLE_1)
	s_mov_b32 s2, exec_lo
	v_cmpx_gt_u32_e64 s19, v17
	s_cbranch_execz .LBB1275_17
.LBB1275_10:
	v_lshlrev_b32_e32 v7, 2, v17
	s_delay_alu instid0(VALU_DEP_1) | instskip(NEXT) | instid1(VALU_DEP_1)
	v_add_co_u32 v9, s22, s21, v7
	v_add_co_ci_u32_e64 v10, null, s3, 0, s22
	flat_load_b32 v7, v[9:10]
	s_or_b32 exec_lo, exec_lo, s2
	s_delay_alu instid0(SALU_CYCLE_1)
	s_mov_b32 s2, exec_lo
	v_cmpx_gt_u32_e64 s19, v21
	s_cbranch_execnz .LBB1275_18
	s_branch .LBB1275_19
.LBB1275_11:
	s_or_b32 exec_lo, exec_lo, s22
	s_delay_alu instid0(SALU_CYCLE_1)
	s_mov_b32 s2, exec_lo
	v_cmpx_gt_u32_e64 s19, v23
	s_cbranch_execz .LBB1275_5
.LBB1275_12:
	v_lshlrev_b32_e32 v2, 2, v0
	s_delay_alu instid0(VALU_DEP_1) | instskip(NEXT) | instid1(VALU_DEP_1)
	v_add_co_u32 v9, s22, s21, v2
	v_add_co_ci_u32_e64 v10, null, s3, 0, s22
	flat_load_b32 v2, v[9:10] offset:1536
	s_or_b32 exec_lo, exec_lo, s2
	s_delay_alu instid0(SALU_CYCLE_1)
	s_mov_b32 s2, exec_lo
	v_cmpx_gt_u32_e64 s19, v22
	s_cbranch_execnz .LBB1275_6
.LBB1275_13:
	s_or_b32 exec_lo, exec_lo, s2
	s_delay_alu instid0(SALU_CYCLE_1)
	s_mov_b32 s2, exec_lo
	v_cmpx_gt_u32_e64 s19, v25
	s_cbranch_execz .LBB1275_7
.LBB1275_14:
	v_lshlrev_b32_e32 v4, 2, v25
	s_delay_alu instid0(VALU_DEP_1) | instskip(NEXT) | instid1(VALU_DEP_1)
	v_add_co_u32 v9, s22, s21, v4
	v_add_co_ci_u32_e64 v10, null, s3, 0, s22
	flat_load_b32 v4, v[9:10]
	s_or_b32 exec_lo, exec_lo, s2
	s_delay_alu instid0(SALU_CYCLE_1)
	s_mov_b32 s2, exec_lo
	v_cmpx_gt_u32_e64 s19, v24
	s_cbranch_execnz .LBB1275_8
.LBB1275_15:
	s_or_b32 exec_lo, exec_lo, s2
	s_delay_alu instid0(SALU_CYCLE_1)
	s_mov_b32 s2, exec_lo
	v_cmpx_gt_u32_e64 s19, v20
	s_cbranch_execz .LBB1275_9
.LBB1275_16:
	v_lshlrev_b32_e32 v6, 2, v20
	s_delay_alu instid0(VALU_DEP_1) | instskip(NEXT) | instid1(VALU_DEP_1)
	v_add_co_u32 v9, s22, s21, v6
	v_add_co_ci_u32_e64 v10, null, s3, 0, s22
	flat_load_b32 v6, v[9:10]
	s_or_b32 exec_lo, exec_lo, s2
	s_delay_alu instid0(SALU_CYCLE_1)
	s_mov_b32 s2, exec_lo
	v_cmpx_gt_u32_e64 s19, v17
	s_cbranch_execnz .LBB1275_10
.LBB1275_17:
	s_or_b32 exec_lo, exec_lo, s2
	s_delay_alu instid0(SALU_CYCLE_1)
	s_mov_b32 s2, exec_lo
	v_cmpx_gt_u32_e64 s19, v21
	s_cbranch_execz .LBB1275_19
.LBB1275_18:
	v_lshlrev_b32_e32 v8, 2, v21
	s_delay_alu instid0(VALU_DEP_1) | instskip(NEXT) | instid1(VALU_DEP_1)
	v_add_co_u32 v8, s22, s21, v8
	v_add_co_ci_u32_e64 v9, null, s3, 0, s22
	flat_load_b32 v8, v[8:9]
.LBB1275_19:
	s_or_b32 exec_lo, exec_lo, s2
	v_lshrrev_b32_e32 v9, 3, v23
	v_lshrrev_b32_e32 v10, 3, v22
	;; [unrolled: 1-line block ×4, first 2 shown]
	v_and_b32_e32 v11, 60, v18
	v_lshlrev_b32_e32 v12, 2, v0
	v_lshrrev_b32_e32 v15, 3, v20
	v_lshrrev_b32_e32 v16, 3, v17
	;; [unrolled: 1-line block ×3, first 2 shown]
	v_and_b32_e32 v9, 0x7c, v9
	v_and_b32_e32 v10, 0xfc, v10
	;; [unrolled: 1-line block ×4, first 2 shown]
	v_add_nc_u32_e32 v11, v11, v12
	v_and_b32_e32 v15, 0x1fc, v15
	v_and_b32_e32 v16, 0x1fc, v16
	;; [unrolled: 1-line block ×3, first 2 shown]
	v_add_nc_u32_e32 v9, v9, v12
	v_add_nc_u32_e32 v10, v10, v12
	;; [unrolled: 1-line block ×7, first 2 shown]
	s_waitcnt vmcnt(0) lgkmcnt(0)
	ds_store_b32 v11, v1
	ds_store_b32 v9, v2 offset:1536
	ds_store_b32 v10, v3 offset:3072
	;; [unrolled: 1-line block ×7, first 2 shown]
	s_waitcnt lgkmcnt(0)
	s_barrier
.LBB1275_20:
	v_lshlrev_b32_e32 v19, 3, v0
	v_lshrrev_b32_e32 v1, 2, v0
	s_waitcnt lgkmcnt(0)
	buffer_gl0_inv
	s_add_u32 s2, s8, s12
	s_addc_u32 s8, s9, s13
	s_add_u32 s2, s2, s4
	v_add_lshl_u32 v1, v1, v19, 2
	s_addc_u32 s4, s8, s5
	s_and_b32 vcc_lo, exec_lo, s18
	s_mov_b32 s5, -1
	ds_load_2addr_b32 v[15:16], v1 offset1:1
	ds_load_2addr_b32 v[13:14], v1 offset0:2 offset1:3
	ds_load_2addr_b32 v[11:12], v1 offset0:4 offset1:5
	;; [unrolled: 1-line block ×3, first 2 shown]
	s_waitcnt lgkmcnt(0)
	s_barrier
	buffer_gl0_inv
	s_cbranch_vccz .LBB1275_22
; %bb.21:
	v_lshlrev_b32_e32 v8, 2, v0
	v_lshrrev_b32_e32 v29, 3, v23
	v_lshrrev_b32_e32 v30, 3, v22
	;; [unrolled: 1-line block ×4, first 2 shown]
	v_add_co_u32 v2, s5, s2, v8
	s_delay_alu instid0(VALU_DEP_1) | instskip(SKIP_1) | instid1(VALU_DEP_3)
	v_add_co_ci_u32_e64 v3, null, s4, 0, s5
	v_lshrrev_b32_e32 v33, 3, v20
	v_add_co_u32 v4, vcc_lo, 0x1000, v2
	s_delay_alu instid0(VALU_DEP_3)
	v_add_co_ci_u32_e32 v5, vcc_lo, 0, v3, vcc_lo
	v_add_co_u32 v6, vcc_lo, 0x2000, v2
	v_add_co_ci_u32_e32 v7, vcc_lo, 0, v3, vcc_lo
	s_clause 0x7
	flat_load_b32 v26, v[2:3]
	flat_load_b32 v27, v[2:3] offset:1536
	flat_load_b32 v2, v[2:3] offset:3072
	;; [unrolled: 1-line block ×7, first 2 shown]
	v_and_b32_e32 v7, 60, v18
	v_lshrrev_b32_e32 v34, 3, v17
	v_lshrrev_b32_e32 v35, 3, v21
	v_and_b32_e32 v29, 0x7c, v29
	v_and_b32_e32 v30, 0xfc, v30
	;; [unrolled: 1-line block ×4, first 2 shown]
	v_add_nc_u32_e32 v7, v7, v8
	v_and_b32_e32 v33, 0x1fc, v33
	v_and_b32_e32 v34, 0x17c, v34
	;; [unrolled: 1-line block ×3, first 2 shown]
	v_add_nc_u32_e32 v29, v29, v8
	v_add_nc_u32_e32 v30, v30, v8
	;; [unrolled: 1-line block ×4, first 2 shown]
	s_mov_b32 s5, 0
	v_add_nc_u32_e32 v33, v33, v8
	v_add_nc_u32_e32 v34, v34, v8
	;; [unrolled: 1-line block ×3, first 2 shown]
	s_waitcnt vmcnt(7) lgkmcnt(7)
	ds_store_b32 v7, v26
	s_waitcnt vmcnt(6) lgkmcnt(7)
	ds_store_b32 v29, v27 offset:1536
	s_waitcnt vmcnt(5) lgkmcnt(7)
	ds_store_b32 v30, v2 offset:3072
	;; [unrolled: 2-line block ×7, first 2 shown]
	s_waitcnt lgkmcnt(0)
	s_barrier
.LBB1275_22:
	s_and_not1_b32 vcc_lo, exec_lo, s5
	s_cbranch_vccnz .LBB1275_40
; %bb.23:
	s_mov_b32 s5, exec_lo
                                        ; implicit-def: $vgpr2
	v_cmpx_gt_u32_e64 s19, v0
	s_cbranch_execz .LBB1275_25
; %bb.24:
	v_lshlrev_b32_e32 v2, 2, v0
	s_delay_alu instid0(VALU_DEP_1) | instskip(NEXT) | instid1(VALU_DEP_1)
	v_add_co_u32 v2, s8, s2, v2
	v_add_co_ci_u32_e64 v3, null, s4, 0, s8
	flat_load_b32 v2, v[2:3]
.LBB1275_25:
	s_or_b32 exec_lo, exec_lo, s5
	s_delay_alu instid0(SALU_CYCLE_1)
	s_mov_b32 s5, exec_lo
                                        ; implicit-def: $vgpr3
	v_cmpx_gt_u32_e64 s19, v23
	s_cbranch_execz .LBB1275_27
; %bb.26:
	v_lshlrev_b32_e32 v3, 2, v0
	s_delay_alu instid0(VALU_DEP_1) | instskip(NEXT) | instid1(VALU_DEP_1)
	v_add_co_u32 v3, s8, s2, v3
	v_add_co_ci_u32_e64 v4, null, s4, 0, s8
	flat_load_b32 v3, v[3:4] offset:1536
.LBB1275_27:
	s_or_b32 exec_lo, exec_lo, s5
	s_delay_alu instid0(SALU_CYCLE_1)
	s_mov_b32 s5, exec_lo
                                        ; implicit-def: $vgpr4
	v_cmpx_gt_u32_e64 s19, v22
	s_cbranch_execz .LBB1275_29
; %bb.28:
	v_lshlrev_b32_e32 v4, 2, v0
	s_delay_alu instid0(VALU_DEP_1) | instskip(NEXT) | instid1(VALU_DEP_1)
	v_add_co_u32 v4, s8, s2, v4
	v_add_co_ci_u32_e64 v5, null, s4, 0, s8
	flat_load_b32 v4, v[4:5] offset:3072
.LBB1275_29:
	s_or_b32 exec_lo, exec_lo, s5
	s_delay_alu instid0(SALU_CYCLE_1)
	s_mov_b32 s5, exec_lo
                                        ; implicit-def: $vgpr5
	v_cmpx_gt_u32_e64 s19, v25
	s_cbranch_execz .LBB1275_31
; %bb.30:
	v_lshlrev_b32_e32 v5, 2, v25
	s_delay_alu instid0(VALU_DEP_1) | instskip(NEXT) | instid1(VALU_DEP_1)
	v_add_co_u32 v5, s8, s2, v5
	v_add_co_ci_u32_e64 v6, null, s4, 0, s8
	flat_load_b32 v5, v[5:6]
.LBB1275_31:
	s_or_b32 exec_lo, exec_lo, s5
	s_delay_alu instid0(SALU_CYCLE_1)
	s_mov_b32 s5, exec_lo
                                        ; implicit-def: $vgpr6
	v_cmpx_gt_u32_e64 s19, v24
	s_cbranch_execz .LBB1275_33
; %bb.32:
	v_lshlrev_b32_e32 v6, 2, v24
	s_delay_alu instid0(VALU_DEP_1) | instskip(NEXT) | instid1(VALU_DEP_1)
	v_add_co_u32 v6, s8, s2, v6
	v_add_co_ci_u32_e64 v7, null, s4, 0, s8
	flat_load_b32 v6, v[6:7]
.LBB1275_33:
	s_or_b32 exec_lo, exec_lo, s5
	s_delay_alu instid0(SALU_CYCLE_1)
	s_mov_b32 s5, exec_lo
                                        ; implicit-def: $vgpr7
	v_cmpx_gt_u32_e64 s19, v20
	s_cbranch_execz .LBB1275_35
; %bb.34:
	v_lshlrev_b32_e32 v7, 2, v20
	s_delay_alu instid0(VALU_DEP_1) | instskip(NEXT) | instid1(VALU_DEP_1)
	v_add_co_u32 v7, s8, s2, v7
	v_add_co_ci_u32_e64 v8, null, s4, 0, s8
	flat_load_b32 v7, v[7:8]
.LBB1275_35:
	s_or_b32 exec_lo, exec_lo, s5
	s_delay_alu instid0(SALU_CYCLE_1)
	s_mov_b32 s5, exec_lo
                                        ; implicit-def: $vgpr8
	v_cmpx_gt_u32_e64 s19, v17
	s_cbranch_execz .LBB1275_37
; %bb.36:
	v_lshlrev_b32_e32 v8, 2, v17
	s_delay_alu instid0(VALU_DEP_1) | instskip(NEXT) | instid1(VALU_DEP_1)
	v_add_co_u32 v26, s8, s2, v8
	v_add_co_ci_u32_e64 v27, null, s4, 0, s8
	flat_load_b32 v8, v[26:27]
.LBB1275_37:
	s_or_b32 exec_lo, exec_lo, s5
	s_delay_alu instid0(SALU_CYCLE_1)
	s_mov_b32 s5, exec_lo
                                        ; implicit-def: $vgpr26
	v_cmpx_gt_u32_e64 s19, v21
	s_cbranch_execz .LBB1275_39
; %bb.38:
	v_lshlrev_b32_e32 v26, 2, v21
	s_delay_alu instid0(VALU_DEP_1) | instskip(NEXT) | instid1(VALU_DEP_1)
	v_add_co_u32 v26, s2, s2, v26
	v_add_co_ci_u32_e64 v27, null, s4, 0, s2
	flat_load_b32 v26, v[26:27]
.LBB1275_39:
	s_or_b32 exec_lo, exec_lo, s5
	v_lshrrev_b32_e32 v23, 3, v23
	v_lshrrev_b32_e32 v22, 3, v22
	;; [unrolled: 1-line block ×4, first 2 shown]
	v_and_b32_e32 v18, 60, v18
	v_lshlrev_b32_e32 v27, 2, v0
	v_lshrrev_b32_e32 v20, 3, v20
	v_lshrrev_b32_e32 v17, 3, v17
	;; [unrolled: 1-line block ×3, first 2 shown]
	v_and_b32_e32 v23, 0x7c, v23
	v_and_b32_e32 v22, 0xfc, v22
	;; [unrolled: 1-line block ×4, first 2 shown]
	v_add_nc_u32_e32 v18, v18, v27
	v_and_b32_e32 v20, 0x1fc, v20
	v_and_b32_e32 v17, 0x1fc, v17
	;; [unrolled: 1-line block ×3, first 2 shown]
	v_add_nc_u32_e32 v23, v23, v27
	v_add_nc_u32_e32 v22, v22, v27
	;; [unrolled: 1-line block ×7, first 2 shown]
	s_waitcnt vmcnt(0) lgkmcnt(0)
	ds_store_b32 v18, v2
	ds_store_b32 v23, v3 offset:1536
	ds_store_b32 v22, v4 offset:3072
	;; [unrolled: 1-line block ×7, first 2 shown]
	s_waitcnt lgkmcnt(0)
	s_barrier
.LBB1275_40:
	buffer_gl0_inv
	ds_load_2addr_b32 v[7:8], v1 offset1:1
	ds_load_2addr_b32 v[5:6], v1 offset0:2 offset1:3
	ds_load_2addr_b32 v[3:4], v1 offset0:4 offset1:5
	;; [unrolled: 1-line block ×3, first 2 shown]
	s_cmp_lg_u32 s15, 0
	s_mov_b32 s12, 0
	s_cselect_b32 s9, -1, 0
	s_cmp_lg_u64 s[6:7], 0
	s_waitcnt lgkmcnt(0)
	s_cselect_b32 s2, -1, 0
	s_barrier
	s_or_b32 s2, s9, s2
	buffer_gl0_inv
	s_and_b32 vcc_lo, exec_lo, s2
	s_cbranch_vccz .LBB1275_45
; %bb.41:
	v_add_co_u32 v17, s2, -4, s21
	s_delay_alu instid0(VALU_DEP_1)
	v_add_co_ci_u32_e64 v18, null, -1, s3, s2
	v_lshlrev_b32_e32 v21, 2, v0
	s_mov_b32 s3, -1
	s_and_b32 vcc_lo, exec_lo, s18
	flat_load_b32 v20, v[17:18]
	ds_store_b32 v21, v10
	s_cbranch_vccz .LBB1275_46
; %bb.42:
	s_waitcnt vmcnt(0) lgkmcnt(1)
	v_mov_b32_e32 v17, v20
	s_mov_b32 s3, 0
	s_mov_b32 s2, exec_lo
	s_waitcnt lgkmcnt(0)
	s_barrier
	buffer_gl0_inv
	v_cmpx_ne_u32_e32 0, v0
	s_cbranch_execz .LBB1275_44
; %bb.43:
	v_add_nc_u32_e32 v17, -4, v21
	ds_load_b32 v17, v17
.LBB1275_44:
	s_or_b32 exec_lo, exec_lo, s2
	v_cmp_ne_u32_e32 vcc_lo, v9, v10
	s_waitcnt lgkmcnt(0)
	v_cmp_ne_u32_e64 s2, v17, v15
	v_cndmask_b32_e64 v18, 0, 1, vcc_lo
	v_cmp_ne_u32_e32 vcc_lo, v12, v9
	s_delay_alu instid0(VALU_DEP_2) | instskip(SKIP_2) | instid1(VALU_DEP_2)
	v_lshlrev_b16 v18, 8, v18
	v_cndmask_b32_e64 v22, 0, 1, vcc_lo
	v_cmp_ne_u32_e32 vcc_lo, v11, v12
	v_or_b32_e32 v18, v22, v18
	v_cndmask_b32_e64 v23, 0, 1, vcc_lo
	v_cmp_ne_u32_e32 vcc_lo, v13, v14
	s_delay_alu instid0(VALU_DEP_3) | instskip(NEXT) | instid1(VALU_DEP_3)
	v_lshlrev_b32_e32 v18, 16, v18
	v_lshlrev_b16 v23, 8, v23
	v_cndmask_b32_e64 v24, 0, 1, vcc_lo
	v_cmp_ne_u32_e32 vcc_lo, v14, v11
	s_delay_alu instid0(VALU_DEP_2) | instskip(SKIP_2) | instid1(VALU_DEP_2)
	v_lshlrev_b16 v24, 8, v24
	v_cndmask_b32_e64 v25, 0, 1, vcc_lo
	v_cmp_ne_u32_e32 vcc_lo, v16, v13
	v_or_b32_e32 v23, v25, v23
	v_cndmask_b32_e64 v26, 0, 1, vcc_lo
	v_cmp_ne_u32_e32 vcc_lo, v15, v16
	s_delay_alu instid0(VALU_DEP_3) | instskip(NEXT) | instid1(VALU_DEP_3)
	v_and_b32_e32 v23, 0xffff, v23
	v_or_b32_e32 v24, v26, v24
	v_cndmask_b32_e64 v27, 0, 1, vcc_lo
	s_delay_alu instid0(VALU_DEP_3) | instskip(NEXT) | instid1(VALU_DEP_3)
	v_or_b32_e32 v18, v23, v18
	v_lshlrev_b32_e32 v22, 16, v24
	s_delay_alu instid0(VALU_DEP_3) | instskip(NEXT) | instid1(VALU_DEP_1)
	v_lshlrev_b16 v26, 8, v27
	v_and_b32_e32 v24, 0xffff, v26
	s_delay_alu instid0(VALU_DEP_1)
	v_or_b32_e32 v17, v24, v22
	s_and_b32 vcc_lo, exec_lo, s3
	s_cbranch_vccnz .LBB1275_47
	s_branch .LBB1275_50
.LBB1275_45:
                                        ; implicit-def: $sgpr2
                                        ; implicit-def: $vgpr18
	s_branch .LBB1275_51
.LBB1275_46:
                                        ; implicit-def: $sgpr2
                                        ; implicit-def: $vgpr18
	s_and_b32 vcc_lo, exec_lo, s3
	s_cbranch_vccz .LBB1275_50
.LBB1275_47:
	s_mov_b32 s2, exec_lo
	s_waitcnt vmcnt(0) lgkmcnt(0)
	s_barrier
	buffer_gl0_inv
	v_cmpx_ne_u32_e32 0, v0
	s_cbranch_execz .LBB1275_49
; %bb.48:
	v_add_nc_u32_e32 v17, -4, v21
	ds_load_b32 v20, v17
.LBB1275_49:
	s_or_b32 exec_lo, exec_lo, s2
	v_or_b32_e32 v17, 7, v19
	v_or_b32_e32 v18, 6, v19
	;; [unrolled: 1-line block ×3, first 2 shown]
	v_cmp_ne_u32_e32 vcc_lo, v9, v10
	v_cmp_ne_u32_e64 s3, v12, v9
	v_cmp_gt_u32_e64 s2, s19, v17
	v_cmp_gt_u32_e64 s5, s19, v18
	v_cmp_ne_u32_e64 s4, v11, v12
	v_cmp_gt_u32_e64 s6, s19, v21
	v_or_b32_e32 v18, 3, v19
	s_and_b32 s2, s2, vcc_lo
	v_or_b32_e32 v22, 4, v19
	v_cndmask_b32_e64 v17, 0, 1, s2
	s_and_b32 s2, s5, s3
	v_cmp_gt_u32_e32 vcc_lo, s19, v18
	v_cndmask_b32_e64 v21, 0, 1, s2
	s_and_b32 s2, s6, s4
	v_or_b32_e32 v18, 2, v19
	v_cndmask_b32_e64 v23, 0, 1, s2
	v_cmp_ne_u32_e64 s2, v13, v14
	v_cmp_gt_u32_e64 s3, s19, v22
	v_or_b32_e32 v22, 1, v19
	v_cmp_ne_u32_e64 s4, v14, v11
	v_cmp_ne_u32_e64 s6, v15, v16
	s_and_b32 s2, vcc_lo, s2
	v_cmp_gt_u32_e32 vcc_lo, s19, v18
	v_cndmask_b32_e64 v24, 0, 1, s2
	v_cmp_ne_u32_e64 s2, v16, v13
	v_cmp_gt_u32_e64 s5, s19, v22
	s_and_b32 s3, s3, s4
	v_lshlrev_b16 v23, 8, v23
	v_cndmask_b32_e64 v18, 0, 1, s3
	s_and_b32 s2, vcc_lo, s2
	v_lshlrev_b16 v24, 8, v24
	v_cndmask_b32_e64 v22, 0, 1, s2
	s_and_b32 s2, s5, s6
	v_lshlrev_b16 v17, 8, v17
	v_cndmask_b32_e64 v25, 0, 1, s2
	v_or_b32_e32 v18, v18, v23
	v_or_b32_e32 v22, v22, v24
	v_cmp_gt_u32_e32 vcc_lo, s19, v19
	v_or_b32_e32 v17, v21, v17
	v_lshlrev_b16 v24, 8, v25
	v_and_b32_e32 v18, 0xffff, v18
	v_lshlrev_b32_e32 v21, 16, v22
	s_waitcnt lgkmcnt(0)
	v_cmp_ne_u32_e64 s2, v20, v15
	v_lshlrev_b32_e32 v23, 16, v17
	v_and_b32_e32 v22, 0xffff, v24
	s_delay_alu instid0(VALU_DEP_3) | instskip(NEXT) | instid1(VALU_DEP_2)
	s_and_b32 s2, vcc_lo, s2
	v_or_b32_e32 v18, v18, v23
	s_delay_alu instid0(VALU_DEP_2)
	v_or_b32_e32 v17, v22, v21
.LBB1275_50:
	s_mov_b32 s12, -1
	s_cbranch_execnz .LBB1275_59
.LBB1275_51:
	s_waitcnt vmcnt(0) lgkmcnt(1)
	v_lshlrev_b32_e32 v20, 2, v0
	v_cmp_ne_u32_e64 s3, v9, v10
	v_cmp_ne_u32_e64 s4, v12, v9
	;; [unrolled: 1-line block ×7, first 2 shown]
	s_and_b32 vcc_lo, exec_lo, s18
	ds_store_b32 v20, v10
	s_cbranch_vccz .LBB1275_55
; %bb.52:
	v_cndmask_b32_e64 v17, 0, 1, s3
	v_cndmask_b32_e64 v21, 0, 1, s5
	v_cndmask_b32_e64 v23, 0, 1, s7
	v_cndmask_b32_e64 v24, 0, 1, s8
	v_cndmask_b32_e64 v18, 0, 1, s4
	v_cndmask_b32_e64 v22, 0, 1, s6
	v_cndmask_b32_e64 v25, 0, 1, s2
	v_lshlrev_b16 v21, 8, v21
	v_lshlrev_b16 v17, 8, v17
	v_lshlrev_b16 v23, 8, v23
	v_lshlrev_b16 v24, 8, v24
	s_mov_b32 s3, 0
	v_or_b32_e32 v21, v22, v21
	v_or_b32_e32 v17, v18, v17
	;; [unrolled: 1-line block ×4, first 2 shown]
	s_mov_b32 s4, exec_lo
	v_and_b32_e32 v21, 0xffff, v21
	v_lshlrev_b32_e32 v17, 16, v17
	v_lshlrev_b32_e32 v23, 16, v18
	v_and_b32_e32 v22, 0xffff, v22
	s_waitcnt lgkmcnt(0)
	s_barrier
	v_or_b32_e32 v18, v21, v17
	buffer_gl0_inv
	v_or_b32_e32 v17, v22, v23
                                        ; implicit-def: $sgpr2
	v_cmpx_ne_u32_e32 0, v0
	s_xor_b32 s4, exec_lo, s4
	s_cbranch_execz .LBB1275_54
; %bb.53:
	v_add_nc_u32_e32 v21, -4, v20
	s_or_b32 s12, s12, exec_lo
	ds_load_b32 v21, v21
	s_waitcnt lgkmcnt(0)
	v_cmp_ne_u32_e32 vcc_lo, v21, v15
	s_and_b32 s2, vcc_lo, exec_lo
.LBB1275_54:
	s_or_b32 exec_lo, exec_lo, s4
	s_delay_alu instid0(SALU_CYCLE_1)
	s_and_b32 vcc_lo, exec_lo, s3
	s_cbranch_vccnz .LBB1275_56
	s_branch .LBB1275_59
.LBB1275_55:
                                        ; implicit-def: $sgpr2
                                        ; implicit-def: $vgpr18
	s_cbranch_execz .LBB1275_59
.LBB1275_56:
	v_or_b32_e32 v17, 7, v19
	v_or_b32_e32 v18, 6, v19
	v_cmp_ne_u32_e32 vcc_lo, v9, v10
	v_cmp_ne_u32_e64 s3, v12, v9
	v_or_b32_e32 v21, 5, v19
	v_cmp_gt_u32_e64 s2, s19, v17
	v_cmp_gt_u32_e64 s4, s19, v18
	v_or_b32_e32 v17, 4, v19
	v_or_b32_e32 v22, 3, v19
	v_cmp_gt_u32_e64 s5, s19, v21
	s_and_b32 s2, s2, vcc_lo
	v_cmp_ne_u32_e32 vcc_lo, v11, v12
	v_cndmask_b32_e64 v18, 0, 1, s2
	s_and_b32 s2, s4, s3
	v_cmp_ne_u32_e64 s3, v14, v11
	v_cndmask_b32_e64 v21, 0, 1, s2
	v_cmp_gt_u32_e64 s2, s19, v17
	v_or_b32_e32 v23, 1, v19
	s_and_b32 s4, s5, vcc_lo
	v_cmp_gt_u32_e32 vcc_lo, s19, v22
	v_cndmask_b32_e64 v17, 0, 1, s4
	s_and_b32 s2, s2, s3
	v_or_b32_e32 v25, 2, v19
	v_cndmask_b32_e64 v24, 0, 1, s2
	v_cmp_ne_u32_e64 s2, v13, v14
	v_cmp_gt_u32_e64 s3, s19, v23
	v_cmp_ne_u32_e64 s4, v15, v16
	v_cmp_gt_u32_e64 s5, s19, v25
	v_cmp_ne_u32_e64 s6, v16, v13
	s_and_b32 s2, vcc_lo, s2
	v_lshlrev_b16 v17, 8, v17
	v_cndmask_b32_e64 v22, 0, 1, s2
	s_and_b32 s2, s3, s4
	v_lshlrev_b16 v18, 8, v18
	v_cndmask_b32_e64 v23, 0, 1, s2
	s_and_b32 s2, s5, s6
	v_lshlrev_b16 v22, 8, v22
	v_cndmask_b32_e64 v25, 0, 1, s2
	v_or_b32_e32 v17, v24, v17
	v_lshlrev_b16 v23, 8, v23
	v_or_b32_e32 v18, v21, v18
	s_mov_b32 s3, exec_lo
	v_or_b32_e32 v21, v25, v22
	v_and_b32_e32 v17, 0xffff, v17
	v_or_b32_e32 v22, 1, v23
	v_lshlrev_b32_e32 v18, 16, v18
	s_waitcnt lgkmcnt(0)
	v_lshlrev_b32_e32 v21, 16, v21
	s_barrier
	v_and_b32_e32 v22, 0xffff, v22
	v_or_b32_e32 v18, v17, v18
	buffer_gl0_inv
                                        ; implicit-def: $sgpr2
	v_or_b32_e32 v17, v22, v21
	v_cmpx_ne_u32_e32 0, v0
	s_cbranch_execz .LBB1275_58
; %bb.57:
	v_add_nc_u32_e32 v20, -4, v20
	v_cmp_gt_u32_e32 vcc_lo, s19, v19
	s_or_b32 s12, s12, exec_lo
	ds_load_b32 v20, v20
	s_waitcnt lgkmcnt(0)
	v_cmp_ne_u32_e64 s2, v20, v15
	s_delay_alu instid0(VALU_DEP_1) | instskip(NEXT) | instid1(SALU_CYCLE_1)
	s_and_b32 s2, vcc_lo, s2
	s_and_b32 s2, s2, exec_lo
.LBB1275_58:
	s_or_b32 exec_lo, exec_lo, s3
.LBB1275_59:
	s_and_saveexec_b32 s3, s12
	s_cbranch_execz .LBB1275_61
; %bb.60:
	s_waitcnt vmcnt(0) lgkmcnt(1)
	v_and_b32_e32 v20, 0xffffff00, v17
	v_cndmask_b32_e64 v21, 0, 1, s2
	s_delay_alu instid0(VALU_DEP_1) | instskip(NEXT) | instid1(VALU_DEP_1)
	v_or_b32_e32 v20, v21, v20
	v_and_b32_e32 v20, 0xffff, v20
	s_delay_alu instid0(VALU_DEP_1)
	v_and_or_b32 v17, 0xffff0000, v17, v20
.LBB1275_61:
	s_or_b32 exec_lo, exec_lo, s3
	s_load_b64 s[12:13], s[0:1], 0x60
	s_and_not1_b32 vcc_lo, exec_lo, s20
	s_cbranch_vccnz .LBB1275_63
; %bb.62:
	v_cmp_gt_u32_e32 vcc_lo, s19, v19
	v_or_b32_e32 v21, 1, v19
	v_and_b32_e32 v22, 0xffffff00, v18
	v_or_b32_e32 v23, 2, v19
	s_waitcnt vmcnt(0) lgkmcnt(0)
	v_cndmask_b32_e32 v20, 0, v17, vcc_lo
	v_cmp_gt_u32_e32 vcc_lo, s19, v21
	v_or_b32_e32 v21, 4, v19
	v_cmp_gt_u32_e64 s2, s19, v23
	v_or_b32_e32 v23, 3, v19
	v_and_b32_e32 v20, 0xff, v20
	s_delay_alu instid0(VALU_DEP_2) | instskip(NEXT) | instid1(VALU_DEP_2)
	v_cmp_gt_u32_e64 s3, s19, v23
	v_cndmask_b32_e32 v20, v20, v17, vcc_lo
	v_cmp_gt_u32_e32 vcc_lo, s19, v21
	s_delay_alu instid0(VALU_DEP_2) | instskip(SKIP_1) | instid1(VALU_DEP_2)
	v_dual_cndmask_b32 v21, v22, v18 :: v_dual_and_b32 v20, 0xffff, v20
	v_or_b32_e32 v22, 5, v19
	v_cndmask_b32_e64 v20, v20, v17, s2
	s_delay_alu instid0(VALU_DEP_3) | instskip(NEXT) | instid1(VALU_DEP_3)
	v_and_b32_e32 v21, 0xffff00ff, v21
	v_cmp_gt_u32_e64 s2, s19, v22
	v_or_b32_e32 v22, 6, v19
	v_or_b32_e32 v19, 7, v19
	v_and_b32_e32 v20, 0xffffff, v20
	s_delay_alu instid0(VALU_DEP_4) | instskip(NEXT) | instid1(VALU_DEP_2)
	v_cndmask_b32_e64 v21, v21, v18, s2
	v_cndmask_b32_e64 v20, v20, v17, s3
	s_delay_alu instid0(VALU_DEP_2) | instskip(NEXT) | instid1(VALU_DEP_2)
	v_and_b32_e32 v21, 0xff00ffff, v21
	v_cndmask_b32_e32 v20, v20, v17, vcc_lo
	v_cmp_gt_u32_e32 vcc_lo, s19, v22
	s_delay_alu instid0(VALU_DEP_2) | instskip(NEXT) | instid1(VALU_DEP_1)
	v_cndmask_b32_e64 v20, v20, v17, s2
	v_dual_cndmask_b32 v21, v21, v18 :: v_dual_cndmask_b32 v20, v20, v17
	s_delay_alu instid0(VALU_DEP_1) | instskip(SKIP_1) | instid1(VALU_DEP_2)
	v_and_b32_e32 v21, 0xffffff, v21
	v_cmp_gt_u32_e32 vcc_lo, s19, v19
	v_dual_cndmask_b32 v18, v21, v18 :: v_dual_cndmask_b32 v17, v20, v17
.LBB1275_63:
	s_delay_alu instid0(VALU_DEP_1) | instskip(NEXT) | instid1(VALU_DEP_2)
	v_and_b32_e32 v28, 0xff, v17
	v_alignbit_b32 v19, v18, v17, 24
	v_bfe_u32 v30, v17, 8, 8
	v_bfe_u32 v32, v17, 16, 8
	v_and_b32_e32 v36, 0xff, v18
	v_bfe_u32 v38, v18, 8, 8
	v_and_b32_e32 v34, 0xff, v19
	v_add_nc_u32_e32 v19, v30, v28
	s_waitcnt vmcnt(0) lgkmcnt(0)
	v_and_b32_e32 v20, 0x1e0, v0
	v_mbcnt_lo_u32_b32 v41, -1, 0
	v_bfe_u32 v40, v18, 16, 8
	v_lshrrev_b32_e32 v39, 24, v18
	v_add3_u32 v19, v19, v32, v34
	v_min_u32_e32 v20, 0x160, v20
	v_and_b32_e32 v21, 15, v41
	v_lshrrev_b32_e32 v42, 5, v0
	s_and_b32 vcc_lo, exec_lo, s9
	v_add3_u32 v19, v19, v36, v38
	v_or_b32_e32 v20, 31, v20
	v_cmp_eq_u32_e64 s4, 0, v21
	v_cmp_lt_u32_e64 s5, 1, v21
	v_cmp_lt_u32_e64 s3, 3, v21
	v_add3_u32 v43, v19, v40, v39
	v_and_b32_e32 v19, 16, v41
	v_cmp_lt_u32_e64 s2, 7, v21
	v_cmp_eq_u32_e64 s6, v20, v0
	s_mov_b32 s8, -1
	s_delay_alu instid0(VALU_DEP_3)
	v_cmp_eq_u32_e64 s7, 0, v19
	s_barrier
	buffer_gl0_inv
	s_cbranch_vccz .LBB1275_89
; %bb.64:
	v_mov_b32_dpp v19, v43 row_shr:1 row_mask:0xf bank_mask:0xf
	s_delay_alu instid0(VALU_DEP_1) | instskip(NEXT) | instid1(VALU_DEP_1)
	v_cndmask_b32_e64 v19, v19, 0, s4
	v_add_nc_u32_e32 v19, v19, v43
	s_delay_alu instid0(VALU_DEP_1) | instskip(NEXT) | instid1(VALU_DEP_1)
	v_mov_b32_dpp v20, v19 row_shr:2 row_mask:0xf bank_mask:0xf
	v_cndmask_b32_e64 v20, 0, v20, s5
	s_delay_alu instid0(VALU_DEP_1) | instskip(NEXT) | instid1(VALU_DEP_1)
	v_add_nc_u32_e32 v19, v19, v20
	v_mov_b32_dpp v20, v19 row_shr:4 row_mask:0xf bank_mask:0xf
	s_delay_alu instid0(VALU_DEP_1) | instskip(NEXT) | instid1(VALU_DEP_1)
	v_cndmask_b32_e64 v20, 0, v20, s3
	v_add_nc_u32_e32 v19, v19, v20
	s_delay_alu instid0(VALU_DEP_1) | instskip(NEXT) | instid1(VALU_DEP_1)
	v_mov_b32_dpp v20, v19 row_shr:8 row_mask:0xf bank_mask:0xf
	v_cndmask_b32_e64 v20, 0, v20, s2
	s_delay_alu instid0(VALU_DEP_1) | instskip(SKIP_3) | instid1(VALU_DEP_1)
	v_add_nc_u32_e32 v19, v19, v20
	ds_swizzle_b32 v20, v19 offset:swizzle(BROADCAST,32,15)
	s_waitcnt lgkmcnt(0)
	v_cndmask_b32_e64 v20, v20, 0, s7
	v_add_nc_u32_e32 v19, v19, v20
	s_and_saveexec_b32 s8, s6
	s_cbranch_execz .LBB1275_66
; %bb.65:
	v_lshlrev_b32_e32 v20, 2, v42
	ds_store_b32 v20, v19
.LBB1275_66:
	s_or_b32 exec_lo, exec_lo, s8
	s_delay_alu instid0(SALU_CYCLE_1)
	s_mov_b32 s8, exec_lo
	s_waitcnt lgkmcnt(0)
	s_barrier
	buffer_gl0_inv
	v_cmpx_gt_u32_e32 12, v0
	s_cbranch_execz .LBB1275_68
; %bb.67:
	v_lshlrev_b32_e32 v20, 2, v0
	ds_load_b32 v21, v20
	s_waitcnt lgkmcnt(0)
	v_mov_b32_dpp v22, v21 row_shr:1 row_mask:0xf bank_mask:0xf
	s_delay_alu instid0(VALU_DEP_1) | instskip(NEXT) | instid1(VALU_DEP_1)
	v_cndmask_b32_e64 v22, v22, 0, s4
	v_add_nc_u32_e32 v21, v22, v21
	s_delay_alu instid0(VALU_DEP_1) | instskip(NEXT) | instid1(VALU_DEP_1)
	v_mov_b32_dpp v22, v21 row_shr:2 row_mask:0xf bank_mask:0xf
	v_cndmask_b32_e64 v22, 0, v22, s5
	s_delay_alu instid0(VALU_DEP_1) | instskip(NEXT) | instid1(VALU_DEP_1)
	v_add_nc_u32_e32 v21, v21, v22
	v_mov_b32_dpp v22, v21 row_shr:4 row_mask:0xf bank_mask:0xf
	s_delay_alu instid0(VALU_DEP_1) | instskip(NEXT) | instid1(VALU_DEP_1)
	v_cndmask_b32_e64 v22, 0, v22, s3
	v_add_nc_u32_e32 v21, v21, v22
	s_delay_alu instid0(VALU_DEP_1) | instskip(NEXT) | instid1(VALU_DEP_1)
	v_mov_b32_dpp v22, v21 row_shr:8 row_mask:0xf bank_mask:0xf
	v_cndmask_b32_e64 v22, 0, v22, s2
	s_delay_alu instid0(VALU_DEP_1)
	v_add_nc_u32_e32 v21, v21, v22
	ds_store_b32 v20, v21
.LBB1275_68:
	s_or_b32 exec_lo, exec_lo, s8
	v_cmp_gt_u32_e32 vcc_lo, 32, v0
	s_mov_b32 s9, exec_lo
	s_waitcnt lgkmcnt(0)
	s_barrier
	buffer_gl0_inv
                                        ; implicit-def: $vgpr27
	v_cmpx_lt_u32_e32 31, v0
	s_cbranch_execz .LBB1275_70
; %bb.69:
	v_lshl_add_u32 v20, v42, 2, -4
	ds_load_b32 v27, v20
	s_waitcnt lgkmcnt(0)
	v_add_nc_u32_e32 v19, v27, v19
.LBB1275_70:
	s_or_b32 exec_lo, exec_lo, s9
	v_add_nc_u32_e32 v20, -1, v41
	s_delay_alu instid0(VALU_DEP_1) | instskip(NEXT) | instid1(VALU_DEP_1)
	v_cmp_gt_i32_e64 s8, 0, v20
	v_cndmask_b32_e64 v20, v20, v41, s8
	v_cmp_eq_u32_e64 s8, 0, v41
	s_delay_alu instid0(VALU_DEP_2)
	v_lshlrev_b32_e32 v20, 2, v20
	ds_bpermute_b32 v29, v20, v19
	s_and_saveexec_b32 s9, vcc_lo
	s_cbranch_execz .LBB1275_88
; %bb.71:
	v_mov_b32_e32 v23, 0
	ds_load_b32 v19, v23 offset:44
	s_and_saveexec_b32 s19, s8
	s_cbranch_execz .LBB1275_73
; %bb.72:
	s_add_i32 s20, s15, 32
	s_mov_b32 s21, 0
	v_mov_b32_e32 v20, 1
	s_lshl_b64 s[20:21], s[20:21], 3
	s_delay_alu instid0(SALU_CYCLE_1)
	s_add_u32 s20, s12, s20
	s_addc_u32 s21, s13, s21
	s_waitcnt lgkmcnt(0)
	global_store_b64 v23, v[19:20], s[20:21]
.LBB1275_73:
	s_or_b32 exec_lo, exec_lo, s19
	v_xad_u32 v21, v41, -1, s15
	s_mov_b32 s20, 0
	s_mov_b32 s19, exec_lo
	s_delay_alu instid0(VALU_DEP_1) | instskip(NEXT) | instid1(VALU_DEP_1)
	v_add_nc_u32_e32 v22, 32, v21
	v_lshlrev_b64 v[22:23], 3, v[22:23]
	s_delay_alu instid0(VALU_DEP_1) | instskip(NEXT) | instid1(VALU_DEP_2)
	v_add_co_u32 v25, vcc_lo, s12, v22
	v_add_co_ci_u32_e32 v26, vcc_lo, s13, v23, vcc_lo
	global_load_b64 v[23:24], v[25:26], off glc
	s_waitcnt vmcnt(0)
	v_and_b32_e32 v20, 0xff, v24
	s_delay_alu instid0(VALU_DEP_1)
	v_cmpx_eq_u16_e32 0, v20
	s_cbranch_execz .LBB1275_76
.LBB1275_74:                            ; =>This Inner Loop Header: Depth=1
	global_load_b64 v[23:24], v[25:26], off glc
	s_waitcnt vmcnt(0)
	v_and_b32_e32 v20, 0xff, v24
	s_delay_alu instid0(VALU_DEP_1) | instskip(SKIP_1) | instid1(SALU_CYCLE_1)
	v_cmp_ne_u16_e32 vcc_lo, 0, v20
	s_or_b32 s20, vcc_lo, s20
	s_and_not1_b32 exec_lo, exec_lo, s20
	s_cbranch_execnz .LBB1275_74
; %bb.75:
	s_or_b32 exec_lo, exec_lo, s20
.LBB1275_76:
	s_delay_alu instid0(SALU_CYCLE_1)
	s_or_b32 exec_lo, exec_lo, s19
	v_cmp_ne_u32_e32 vcc_lo, 31, v41
	v_lshlrev_b32_e64 v33, v41, -1
	v_add_nc_u32_e32 v37, 2, v41
	v_add_nc_u32_e32 v45, 4, v41
	;; [unrolled: 1-line block ×3, first 2 shown]
	v_add_co_ci_u32_e32 v20, vcc_lo, 0, v41, vcc_lo
	v_add_nc_u32_e32 v49, 16, v41
	s_delay_alu instid0(VALU_DEP_2)
	v_lshlrev_b32_e32 v31, 2, v20
	v_and_b32_e32 v20, 0xff, v24
	ds_bpermute_b32 v22, v31, v23
	v_cmp_eq_u16_e32 vcc_lo, 2, v20
	v_and_or_b32 v20, vcc_lo, v33, 0x80000000
	v_cmp_gt_u32_e32 vcc_lo, 30, v41
	s_delay_alu instid0(VALU_DEP_2) | instskip(SKIP_1) | instid1(VALU_DEP_2)
	v_ctz_i32_b32_e32 v20, v20
	v_cndmask_b32_e64 v25, 0, 1, vcc_lo
	v_cmp_lt_u32_e32 vcc_lo, v41, v20
	s_waitcnt lgkmcnt(0)
	s_delay_alu instid0(VALU_DEP_2) | instskip(NEXT) | instid1(VALU_DEP_1)
	v_dual_cndmask_b32 v22, 0, v22 :: v_dual_lshlrev_b32 v25, 1, v25
	v_add_lshl_u32 v35, v25, v41, 2
	v_cmp_gt_u32_e32 vcc_lo, 28, v41
	s_delay_alu instid0(VALU_DEP_3) | instskip(SKIP_4) | instid1(VALU_DEP_1)
	v_add_nc_u32_e32 v22, v22, v23
	v_cndmask_b32_e64 v25, 0, 1, vcc_lo
	v_cmp_le_u32_e32 vcc_lo, v37, v20
	ds_bpermute_b32 v23, v35, v22
	v_lshlrev_b32_e32 v25, 2, v25
	v_add_lshl_u32 v44, v25, v41, 2
	s_waitcnt lgkmcnt(0)
	v_cndmask_b32_e32 v23, 0, v23, vcc_lo
	v_cmp_gt_u32_e32 vcc_lo, 24, v41
	s_delay_alu instid0(VALU_DEP_2) | instskip(SKIP_4) | instid1(VALU_DEP_1)
	v_add_nc_u32_e32 v22, v22, v23
	v_cndmask_b32_e64 v25, 0, 1, vcc_lo
	v_cmp_le_u32_e32 vcc_lo, v45, v20
	ds_bpermute_b32 v23, v44, v22
	v_lshlrev_b32_e32 v25, 3, v25
	v_add_lshl_u32 v46, v25, v41, 2
	s_waitcnt lgkmcnt(0)
	v_cndmask_b32_e32 v23, 0, v23, vcc_lo
	v_cmp_gt_u32_e32 vcc_lo, 16, v41
	s_delay_alu instid0(VALU_DEP_2) | instskip(SKIP_4) | instid1(VALU_DEP_1)
	v_add_nc_u32_e32 v22, v22, v23
	v_cndmask_b32_e64 v25, 0, 1, vcc_lo
	v_cmp_le_u32_e32 vcc_lo, v47, v20
	ds_bpermute_b32 v23, v46, v22
	v_lshlrev_b32_e32 v25, 4, v25
	v_add_lshl_u32 v48, v25, v41, 2
	s_waitcnt lgkmcnt(0)
	v_cndmask_b32_e32 v23, 0, v23, vcc_lo
	v_cmp_le_u32_e32 vcc_lo, v49, v20
	s_delay_alu instid0(VALU_DEP_2) | instskip(SKIP_3) | instid1(VALU_DEP_1)
	v_add_nc_u32_e32 v22, v22, v23
	ds_bpermute_b32 v23, v48, v22
	s_waitcnt lgkmcnt(0)
	v_cndmask_b32_e32 v20, 0, v23, vcc_lo
	v_dual_mov_b32 v22, 0 :: v_dual_add_nc_u32 v23, v22, v20
	s_branch .LBB1275_78
.LBB1275_77:                            ;   in Loop: Header=BB1275_78 Depth=1
	s_or_b32 exec_lo, exec_lo, s19
	ds_bpermute_b32 v26, v31, v23
	v_and_b32_e32 v25, 0xff, v24
	v_subrev_nc_u32_e32 v21, 32, v21
	s_delay_alu instid0(VALU_DEP_2) | instskip(SKIP_1) | instid1(VALU_DEP_1)
	v_cmp_eq_u16_e32 vcc_lo, 2, v25
	v_and_or_b32 v25, vcc_lo, v33, 0x80000000
	v_ctz_i32_b32_e32 v25, v25
	s_delay_alu instid0(VALU_DEP_1) | instskip(SKIP_3) | instid1(VALU_DEP_2)
	v_cmp_lt_u32_e32 vcc_lo, v41, v25
	s_waitcnt lgkmcnt(0)
	v_cndmask_b32_e32 v26, 0, v26, vcc_lo
	v_cmp_le_u32_e32 vcc_lo, v37, v25
	v_add_nc_u32_e32 v23, v26, v23
	ds_bpermute_b32 v26, v35, v23
	s_waitcnt lgkmcnt(0)
	v_cndmask_b32_e32 v26, 0, v26, vcc_lo
	v_cmp_le_u32_e32 vcc_lo, v45, v25
	s_delay_alu instid0(VALU_DEP_2) | instskip(SKIP_4) | instid1(VALU_DEP_2)
	v_add_nc_u32_e32 v23, v23, v26
	ds_bpermute_b32 v26, v44, v23
	s_waitcnt lgkmcnt(0)
	v_cndmask_b32_e32 v26, 0, v26, vcc_lo
	v_cmp_le_u32_e32 vcc_lo, v47, v25
	v_add_nc_u32_e32 v23, v23, v26
	ds_bpermute_b32 v26, v46, v23
	s_waitcnt lgkmcnt(0)
	v_cndmask_b32_e32 v26, 0, v26, vcc_lo
	v_cmp_le_u32_e32 vcc_lo, v49, v25
	s_delay_alu instid0(VALU_DEP_2) | instskip(SKIP_3) | instid1(VALU_DEP_1)
	v_add_nc_u32_e32 v23, v23, v26
	ds_bpermute_b32 v26, v48, v23
	s_waitcnt lgkmcnt(0)
	v_cndmask_b32_e32 v25, 0, v26, vcc_lo
	v_add3_u32 v23, v25, v20, v23
.LBB1275_78:                            ; =>This Loop Header: Depth=1
                                        ;     Child Loop BB1275_81 Depth 2
	v_and_b32_e32 v20, 0xff, v24
	s_delay_alu instid0(VALU_DEP_1) | instskip(SKIP_2) | instid1(VALU_DEP_1)
	v_cmp_ne_u16_e32 vcc_lo, 2, v20
	v_cndmask_b32_e64 v20, 0, 1, vcc_lo
	;;#ASMSTART
	;;#ASMEND
	v_cmp_ne_u32_e32 vcc_lo, 0, v20
	v_mov_b32_e32 v20, v23
	s_cmp_lg_u32 vcc_lo, exec_lo
	s_cbranch_scc1 .LBB1275_83
; %bb.79:                               ;   in Loop: Header=BB1275_78 Depth=1
	v_lshlrev_b64 v[23:24], 3, v[21:22]
	s_mov_b32 s19, exec_lo
	s_delay_alu instid0(VALU_DEP_1) | instskip(NEXT) | instid1(VALU_DEP_2)
	v_add_co_u32 v25, vcc_lo, s12, v23
	v_add_co_ci_u32_e32 v26, vcc_lo, s13, v24, vcc_lo
	global_load_b64 v[23:24], v[25:26], off glc
	s_waitcnt vmcnt(0)
	v_and_b32_e32 v50, 0xff, v24
	s_delay_alu instid0(VALU_DEP_1)
	v_cmpx_eq_u16_e32 0, v50
	s_cbranch_execz .LBB1275_77
; %bb.80:                               ;   in Loop: Header=BB1275_78 Depth=1
	s_mov_b32 s20, 0
.LBB1275_81:                            ;   Parent Loop BB1275_78 Depth=1
                                        ; =>  This Inner Loop Header: Depth=2
	global_load_b64 v[23:24], v[25:26], off glc
	s_waitcnt vmcnt(0)
	v_and_b32_e32 v50, 0xff, v24
	s_delay_alu instid0(VALU_DEP_1) | instskip(SKIP_1) | instid1(SALU_CYCLE_1)
	v_cmp_ne_u16_e32 vcc_lo, 0, v50
	s_or_b32 s20, vcc_lo, s20
	s_and_not1_b32 exec_lo, exec_lo, s20
	s_cbranch_execnz .LBB1275_81
; %bb.82:                               ;   in Loop: Header=BB1275_78 Depth=1
	s_or_b32 exec_lo, exec_lo, s20
	s_branch .LBB1275_77
.LBB1275_83:                            ;   in Loop: Header=BB1275_78 Depth=1
                                        ; implicit-def: $vgpr23
                                        ; implicit-def: $vgpr24
	s_cbranch_execz .LBB1275_78
; %bb.84:
	s_and_saveexec_b32 s19, s8
	s_cbranch_execz .LBB1275_86
; %bb.85:
	s_add_i32 s20, s15, 32
	s_mov_b32 s21, 0
	v_dual_mov_b32 v22, 2 :: v_dual_add_nc_u32 v21, v20, v19
	s_lshl_b64 s[20:21], s[20:21], 3
	v_mov_b32_e32 v23, 0
	s_add_u32 s20, s12, s20
	s_addc_u32 s21, s13, s21
	global_store_b64 v23, v[21:22], s[20:21]
	ds_store_b64 v23, v[19:20] offset:12672
.LBB1275_86:
	s_or_b32 exec_lo, exec_lo, s19
	v_cmp_eq_u32_e32 vcc_lo, 0, v0
	s_and_b32 exec_lo, exec_lo, vcc_lo
	s_cbranch_execz .LBB1275_88
; %bb.87:
	v_mov_b32_e32 v19, 0
	ds_store_b32 v19, v20 offset:44
.LBB1275_88:
	s_or_b32 exec_lo, exec_lo, s9
	v_mov_b32_e32 v19, 0
	s_waitcnt lgkmcnt(0)
	s_waitcnt_vscnt null, 0x0
	s_barrier
	buffer_gl0_inv
	v_cndmask_b32_e64 v21, v29, v27, s8
	ds_load_b32 v20, v19 offset:44
	v_cmp_ne_u32_e32 vcc_lo, 0, v0
	s_waitcnt lgkmcnt(0)
	s_barrier
	buffer_gl0_inv
	v_cndmask_b32_e32 v21, 0, v21, vcc_lo
	s_delay_alu instid0(VALU_DEP_1) | instskip(SKIP_2) | instid1(VALU_DEP_1)
	v_add_nc_u32_e32 v37, v20, v21
	ds_load_b64 v[19:20], v19 offset:12672
	v_add_nc_u32_e32 v35, v37, v28
	v_add_nc_u32_e32 v33, v35, v30
	s_delay_alu instid0(VALU_DEP_1) | instskip(NEXT) | instid1(VALU_DEP_1)
	v_add_nc_u32_e32 v31, v33, v32
	v_add_nc_u32_e32 v29, v31, v34
	s_delay_alu instid0(VALU_DEP_1) | instskip(NEXT) | instid1(VALU_DEP_1)
	v_add_nc_u32_e32 v27, v29, v36
	v_add_nc_u32_e32 v25, v27, v38
	s_delay_alu instid0(VALU_DEP_1)
	v_add_nc_u32_e32 v23, v25, v40
	v_lshrrev_b64 v[21:22], 24, v[17:18]
	s_branch .LBB1275_99
.LBB1275_89:
                                        ; implicit-def: $vgpr23
                                        ; implicit-def: $vgpr25
                                        ; implicit-def: $vgpr27
                                        ; implicit-def: $vgpr29
                                        ; implicit-def: $vgpr31
                                        ; implicit-def: $vgpr33
                                        ; implicit-def: $vgpr35
                                        ; implicit-def: $vgpr37
                                        ; implicit-def: $vgpr20
	v_lshrrev_b64 v[21:22], 24, v[17:18]
	s_and_b32 vcc_lo, exec_lo, s8
	s_cbranch_vccz .LBB1275_99
; %bb.90:
	s_waitcnt lgkmcnt(0)
	v_mov_b32_dpp v19, v43 row_shr:1 row_mask:0xf bank_mask:0xf
	s_delay_alu instid0(VALU_DEP_1) | instskip(NEXT) | instid1(VALU_DEP_1)
	v_cndmask_b32_e64 v19, v19, 0, s4
	v_add_nc_u32_e32 v19, v19, v43
	s_delay_alu instid0(VALU_DEP_1) | instskip(NEXT) | instid1(VALU_DEP_1)
	v_mov_b32_dpp v20, v19 row_shr:2 row_mask:0xf bank_mask:0xf
	v_cndmask_b32_e64 v20, 0, v20, s5
	s_delay_alu instid0(VALU_DEP_1) | instskip(NEXT) | instid1(VALU_DEP_1)
	v_add_nc_u32_e32 v19, v19, v20
	v_mov_b32_dpp v20, v19 row_shr:4 row_mask:0xf bank_mask:0xf
	s_delay_alu instid0(VALU_DEP_1) | instskip(NEXT) | instid1(VALU_DEP_1)
	v_cndmask_b32_e64 v20, 0, v20, s3
	v_add_nc_u32_e32 v19, v19, v20
	s_delay_alu instid0(VALU_DEP_1) | instskip(NEXT) | instid1(VALU_DEP_1)
	v_mov_b32_dpp v20, v19 row_shr:8 row_mask:0xf bank_mask:0xf
	v_cndmask_b32_e64 v20, 0, v20, s2
	s_delay_alu instid0(VALU_DEP_1) | instskip(SKIP_3) | instid1(VALU_DEP_1)
	v_add_nc_u32_e32 v19, v19, v20
	ds_swizzle_b32 v20, v19 offset:swizzle(BROADCAST,32,15)
	s_waitcnt lgkmcnt(0)
	v_cndmask_b32_e64 v20, v20, 0, s7
	v_add_nc_u32_e32 v19, v19, v20
	s_and_saveexec_b32 s7, s6
	s_cbranch_execz .LBB1275_92
; %bb.91:
	v_lshlrev_b32_e32 v20, 2, v42
	ds_store_b32 v20, v19
.LBB1275_92:
	s_or_b32 exec_lo, exec_lo, s7
	s_delay_alu instid0(SALU_CYCLE_1)
	s_mov_b32 s6, exec_lo
	s_waitcnt lgkmcnt(0)
	s_barrier
	buffer_gl0_inv
	v_cmpx_gt_u32_e32 12, v0
	s_cbranch_execz .LBB1275_94
; %bb.93:
	v_lshlrev_b32_e32 v20, 2, v0
	ds_load_b32 v22, v20
	s_waitcnt lgkmcnt(0)
	v_mov_b32_dpp v23, v22 row_shr:1 row_mask:0xf bank_mask:0xf
	s_delay_alu instid0(VALU_DEP_1) | instskip(NEXT) | instid1(VALU_DEP_1)
	v_cndmask_b32_e64 v23, v23, 0, s4
	v_add_nc_u32_e32 v22, v23, v22
	s_delay_alu instid0(VALU_DEP_1) | instskip(NEXT) | instid1(VALU_DEP_1)
	v_mov_b32_dpp v23, v22 row_shr:2 row_mask:0xf bank_mask:0xf
	v_cndmask_b32_e64 v23, 0, v23, s5
	s_delay_alu instid0(VALU_DEP_1) | instskip(NEXT) | instid1(VALU_DEP_1)
	v_add_nc_u32_e32 v22, v22, v23
	v_mov_b32_dpp v23, v22 row_shr:4 row_mask:0xf bank_mask:0xf
	s_delay_alu instid0(VALU_DEP_1) | instskip(NEXT) | instid1(VALU_DEP_1)
	v_cndmask_b32_e64 v23, 0, v23, s3
	v_add_nc_u32_e32 v22, v22, v23
	s_delay_alu instid0(VALU_DEP_1) | instskip(NEXT) | instid1(VALU_DEP_1)
	v_mov_b32_dpp v23, v22 row_shr:8 row_mask:0xf bank_mask:0xf
	v_cndmask_b32_e64 v23, 0, v23, s2
	s_delay_alu instid0(VALU_DEP_1)
	v_add_nc_u32_e32 v22, v22, v23
	ds_store_b32 v20, v22
.LBB1275_94:
	s_or_b32 exec_lo, exec_lo, s6
	v_mov_b32_e32 v20, 0
	v_mov_b32_e32 v22, 0
	s_mov_b32 s2, exec_lo
	s_waitcnt lgkmcnt(0)
	s_barrier
	buffer_gl0_inv
	v_cmpx_lt_u32_e32 31, v0
	s_cbranch_execz .LBB1275_96
; %bb.95:
	v_lshl_add_u32 v22, v42, 2, -4
	ds_load_b32 v22, v22
.LBB1275_96:
	s_or_b32 exec_lo, exec_lo, s2
	v_add_nc_u32_e32 v23, -1, v41
	s_waitcnt lgkmcnt(0)
	v_add_nc_u32_e32 v19, v22, v19
	s_delay_alu instid0(VALU_DEP_2) | instskip(SKIP_2) | instid1(VALU_DEP_2)
	v_cmp_gt_i32_e32 vcc_lo, 0, v23
	v_cndmask_b32_e32 v23, v23, v41, vcc_lo
	v_cmp_eq_u32_e32 vcc_lo, 0, v0
	v_lshlrev_b32_e32 v23, 2, v23
	ds_bpermute_b32 v23, v23, v19
	ds_load_b32 v19, v20 offset:44
	s_and_saveexec_b32 s2, vcc_lo
	s_cbranch_execz .LBB1275_98
; %bb.97:
	v_mov_b32_e32 v24, 0
	v_mov_b32_e32 v20, 2
	s_waitcnt lgkmcnt(0)
	global_store_b64 v24, v[19:20], s[12:13] offset:256
.LBB1275_98:
	s_or_b32 exec_lo, exec_lo, s2
	v_cmp_eq_u32_e64 s2, 0, v41
	s_waitcnt lgkmcnt(0)
	s_waitcnt_vscnt null, 0x0
	s_barrier
	buffer_gl0_inv
	v_cndmask_b32_e64 v20, v23, v22, s2
	s_delay_alu instid0(VALU_DEP_1) | instskip(NEXT) | instid1(VALU_DEP_1)
	v_cndmask_b32_e64 v37, v20, 0, vcc_lo
	v_dual_mov_b32 v20, 0 :: v_dual_add_nc_u32 v35, v37, v28
	s_delay_alu instid0(VALU_DEP_1) | instskip(NEXT) | instid1(VALU_DEP_1)
	v_add_nc_u32_e32 v33, v35, v30
	v_add_nc_u32_e32 v31, v33, v32
	s_delay_alu instid0(VALU_DEP_1) | instskip(NEXT) | instid1(VALU_DEP_1)
	v_add_nc_u32_e32 v29, v31, v34
	v_add_nc_u32_e32 v27, v29, v36
	;; [unrolled: 3-line block ×3, first 2 shown]
.LBB1275_99:
	s_load_b128 s[4:7], s[0:1], 0x28
	s_waitcnt lgkmcnt(0)
	v_add_nc_u32_e32 v43, v20, v19
	v_cmp_gt_u32_e64 s0, 0x181, v19
	v_lshrrev_b32_e32 v42, 8, v17
	v_lshrrev_b32_e32 v41, 16, v17
	;; [unrolled: 1-line block ×4, first 2 shown]
	v_cmp_lt_u32_e64 s1, v37, v43
	s_and_b32 vcc_lo, exec_lo, s0
	s_mov_b32 s2, -1
	s_cbranch_vccz .LBB1275_125
; %bb.100:
	s_lshl_b64 s[2:3], s[10:11], 2
	s_delay_alu instid0(SALU_CYCLE_1) | instskip(SKIP_2) | instid1(SALU_CYCLE_1)
	s_add_u32 s2, s4, s2
	s_addc_u32 s3, s5, s3
	s_or_b32 s8, s18, s1
	s_and_saveexec_b32 s1, s8
	s_cbranch_execz .LBB1275_103
; %bb.101:
	v_and_b32_e32 v24, 1, v17
	s_delay_alu instid0(VALU_DEP_1)
	v_cmp_eq_u32_e32 vcc_lo, 1, v24
	s_and_b32 exec_lo, exec_lo, vcc_lo
	s_cbranch_execz .LBB1275_103
; %bb.102:
	v_mov_b32_e32 v38, 0
	s_delay_alu instid0(VALU_DEP_1) | instskip(NEXT) | instid1(VALU_DEP_1)
	v_lshlrev_b64 v[44:45], 2, v[37:38]
	v_add_co_u32 v44, vcc_lo, s2, v44
	s_delay_alu instid0(VALU_DEP_2)
	v_add_co_ci_u32_e32 v45, vcc_lo, s3, v45, vcc_lo
	global_store_b32 v[44:45], v15, off
.LBB1275_103:
	s_or_b32 exec_lo, exec_lo, s1
	v_cmp_lt_u32_e32 vcc_lo, v35, v43
	s_or_b32 s8, s18, vcc_lo
	s_delay_alu instid0(SALU_CYCLE_1)
	s_and_saveexec_b32 s1, s8
	s_cbranch_execz .LBB1275_106
; %bb.104:
	v_and_b32_e32 v24, 1, v42
	s_delay_alu instid0(VALU_DEP_1)
	v_cmp_eq_u32_e32 vcc_lo, 1, v24
	s_and_b32 exec_lo, exec_lo, vcc_lo
	s_cbranch_execz .LBB1275_106
; %bb.105:
	v_mov_b32_e32 v36, 0
	s_delay_alu instid0(VALU_DEP_1) | instskip(NEXT) | instid1(VALU_DEP_1)
	v_lshlrev_b64 v[44:45], 2, v[35:36]
	v_add_co_u32 v44, vcc_lo, s2, v44
	s_delay_alu instid0(VALU_DEP_2)
	v_add_co_ci_u32_e32 v45, vcc_lo, s3, v45, vcc_lo
	global_store_b32 v[44:45], v16, off
.LBB1275_106:
	s_or_b32 exec_lo, exec_lo, s1
	v_cmp_lt_u32_e32 vcc_lo, v33, v43
	s_or_b32 s8, s18, vcc_lo
	s_delay_alu instid0(SALU_CYCLE_1)
	;; [unrolled: 21-line block ×7, first 2 shown]
	s_and_saveexec_b32 s1, s8
	s_cbranch_execz .LBB1275_124
; %bb.122:
	v_and_b32_e32 v24, 1, v39
	s_delay_alu instid0(VALU_DEP_1)
	v_cmp_eq_u32_e32 vcc_lo, 1, v24
	s_and_b32 exec_lo, exec_lo, vcc_lo
	s_cbranch_execz .LBB1275_124
; %bb.123:
	v_mov_b32_e32 v24, 0
	s_delay_alu instid0(VALU_DEP_1) | instskip(NEXT) | instid1(VALU_DEP_1)
	v_lshlrev_b64 v[44:45], 2, v[23:24]
	v_add_co_u32 v44, vcc_lo, s2, v44
	s_delay_alu instid0(VALU_DEP_2)
	v_add_co_ci_u32_e32 v45, vcc_lo, s3, v45, vcc_lo
	global_store_b32 v[44:45], v10, off
.LBB1275_124:
	s_or_b32 exec_lo, exec_lo, s1
	s_mov_b32 s2, 0
.LBB1275_125:
	v_and_b32_e32 v17, 1, v17
	s_and_b32 vcc_lo, exec_lo, s2
	s_delay_alu instid0(VALU_DEP_1)
	v_cmp_eq_u32_e64 s1, 1, v17
	s_cbranch_vccz .LBB1275_146
; %bb.126:
	s_delay_alu instid0(VALU_DEP_1)
	s_and_saveexec_b32 s2, s1
	s_cbranch_execz .LBB1275_128
; %bb.127:
	v_sub_nc_u32_e32 v24, v37, v20
	s_delay_alu instid0(VALU_DEP_1)
	v_lshlrev_b32_e32 v24, 2, v24
	ds_store_b32 v24, v15
.LBB1275_128:
	s_or_b32 exec_lo, exec_lo, s2
	v_and_b32_e32 v15, 1, v42
	s_mov_b32 s1, exec_lo
	s_delay_alu instid0(VALU_DEP_1)
	v_cmpx_eq_u32_e32 1, v15
	s_cbranch_execz .LBB1275_130
; %bb.129:
	v_sub_nc_u32_e32 v15, v35, v20
	s_delay_alu instid0(VALU_DEP_1)
	v_lshlrev_b32_e32 v15, 2, v15
	ds_store_b32 v15, v16
.LBB1275_130:
	s_or_b32 exec_lo, exec_lo, s1
	v_and_b32_e32 v15, 1, v41
	s_mov_b32 s1, exec_lo
	s_delay_alu instid0(VALU_DEP_1)
	v_cmpx_eq_u32_e32 1, v15
	;; [unrolled: 12-line block ×7, first 2 shown]
	s_cbranch_execz .LBB1275_142
; %bb.141:
	v_sub_nc_u32_e32 v9, v23, v20
	s_delay_alu instid0(VALU_DEP_1)
	v_lshlrev_b32_e32 v9, 2, v9
	ds_store_b32 v9, v10
.LBB1275_142:
	s_or_b32 exec_lo, exec_lo, s1
	s_delay_alu instid0(SALU_CYCLE_1)
	s_mov_b32 s2, exec_lo
	s_waitcnt lgkmcnt(0)
	s_waitcnt_vscnt null, 0x0
	s_barrier
	buffer_gl0_inv
	v_cmpx_lt_u32_e64 v0, v19
	s_cbranch_execz .LBB1275_145
; %bb.143:
	v_dual_mov_b32 v10, 0 :: v_dual_mov_b32 v9, v20
	s_lshl_b64 s[8:9], s[10:11], 2
	v_lshlrev_b32_e32 v11, 2, v0
	s_add_u32 s1, s4, s8
	s_addc_u32 s3, s5, s9
	v_lshlrev_b64 v[12:13], 2, v[9:10]
	v_mov_b32_e32 v9, v0
	s_delay_alu instid0(VALU_DEP_2) | instskip(NEXT) | instid1(VALU_DEP_3)
	v_add_co_u32 v12, vcc_lo, s1, v12
	v_add_co_ci_u32_e32 v13, vcc_lo, s3, v13, vcc_lo
	s_mov_b32 s3, 0
	.p2align	6
.LBB1275_144:                           ; =>This Inner Loop Header: Depth=1
	ds_load_b32 v16, v11
	v_lshlrev_b64 v[14:15], 2, v[9:10]
	v_add_nc_u32_e32 v9, 0x180, v9
	v_add_nc_u32_e32 v11, 0x600, v11
	s_delay_alu instid0(VALU_DEP_2) | instskip(NEXT) | instid1(VALU_DEP_4)
	v_cmp_ge_u32_e32 vcc_lo, v9, v19
	v_add_co_u32 v14, s1, v12, v14
	s_delay_alu instid0(VALU_DEP_1)
	v_add_co_ci_u32_e64 v15, s1, v13, v15, s1
	s_or_b32 s3, vcc_lo, s3
	s_waitcnt lgkmcnt(0)
	global_store_b32 v[14:15], v16, off
	s_and_not1_b32 exec_lo, exec_lo, s3
	s_cbranch_execnz .LBB1275_144
.LBB1275_145:
	s_or_b32 exec_lo, exec_lo, s2
.LBB1275_146:
	s_delay_alu instid0(SALU_CYCLE_1)
	s_and_b32 vcc_lo, exec_lo, s0
	s_mov_b32 s0, -1
	s_waitcnt_vscnt null, 0x0
	s_barrier
	buffer_gl0_inv
	s_cbranch_vccz .LBB1275_174
; %bb.147:
	v_cmp_lt_u32_e32 vcc_lo, v37, v43
	s_lshl_b64 s[0:1], s[10:11], 2
	s_delay_alu instid0(SALU_CYCLE_1) | instskip(SKIP_2) | instid1(SALU_CYCLE_1)
	s_add_u32 s0, s6, s0
	s_addc_u32 s1, s7, s1
	s_or_b32 s3, s18, vcc_lo
	s_and_saveexec_b32 s2, s3
	s_cbranch_execz .LBB1275_150
; %bb.148:
	v_cmp_eq_u32_e32 vcc_lo, 1, v17
	s_and_b32 exec_lo, exec_lo, vcc_lo
	s_cbranch_execz .LBB1275_150
; %bb.149:
	v_mov_b32_e32 v38, 0
	s_delay_alu instid0(VALU_DEP_1) | instskip(NEXT) | instid1(VALU_DEP_1)
	v_lshlrev_b64 v[9:10], 2, v[37:38]
	v_add_co_u32 v9, vcc_lo, s0, v9
	s_delay_alu instid0(VALU_DEP_2)
	v_add_co_ci_u32_e32 v10, vcc_lo, s1, v10, vcc_lo
	global_store_b32 v[9:10], v7, off
.LBB1275_150:
	s_or_b32 exec_lo, exec_lo, s2
	v_cmp_lt_u32_e32 vcc_lo, v35, v43
	s_or_b32 s3, s18, vcc_lo
	s_delay_alu instid0(SALU_CYCLE_1)
	s_and_saveexec_b32 s2, s3
	s_cbranch_execz .LBB1275_153
; %bb.151:
	v_and_b32_e32 v9, 1, v42
	s_delay_alu instid0(VALU_DEP_1)
	v_cmp_eq_u32_e32 vcc_lo, 1, v9
	s_and_b32 exec_lo, exec_lo, vcc_lo
	s_cbranch_execz .LBB1275_153
; %bb.152:
	v_mov_b32_e32 v36, 0
	s_delay_alu instid0(VALU_DEP_1) | instskip(NEXT) | instid1(VALU_DEP_1)
	v_lshlrev_b64 v[9:10], 2, v[35:36]
	v_add_co_u32 v9, vcc_lo, s0, v9
	s_delay_alu instid0(VALU_DEP_2)
	v_add_co_ci_u32_e32 v10, vcc_lo, s1, v10, vcc_lo
	global_store_b32 v[9:10], v8, off
.LBB1275_153:
	s_or_b32 exec_lo, exec_lo, s2
	v_cmp_lt_u32_e32 vcc_lo, v33, v43
	s_or_b32 s3, s18, vcc_lo
	s_delay_alu instid0(SALU_CYCLE_1)
	s_and_saveexec_b32 s2, s3
	s_cbranch_execz .LBB1275_156
; %bb.154:
	v_and_b32_e32 v9, 1, v41
	s_delay_alu instid0(VALU_DEP_1)
	v_cmp_eq_u32_e32 vcc_lo, 1, v9
	s_and_b32 exec_lo, exec_lo, vcc_lo
	s_cbranch_execz .LBB1275_156
; %bb.155:
	v_mov_b32_e32 v34, 0
	s_delay_alu instid0(VALU_DEP_1) | instskip(NEXT) | instid1(VALU_DEP_1)
	v_lshlrev_b64 v[9:10], 2, v[33:34]
	v_add_co_u32 v9, vcc_lo, s0, v9
	s_delay_alu instid0(VALU_DEP_2)
	v_add_co_ci_u32_e32 v10, vcc_lo, s1, v10, vcc_lo
	global_store_b32 v[9:10], v5, off
.LBB1275_156:
	;; [unrolled: 21-line block ×7, first 2 shown]
	s_or_b32 exec_lo, exec_lo, s2
.LBB1275_172:
	v_cmp_eq_u32_e32 vcc_lo, 0, v0
	s_and_b32 s0, vcc_lo, s14
	s_delay_alu instid0(SALU_CYCLE_1)
	s_and_saveexec_b32 s1, s0
	s_cbranch_execz .LBB1275_195
.LBB1275_173:
	v_add_co_u32 v0, s0, s10, v19
	s_delay_alu instid0(VALU_DEP_1) | instskip(SKIP_1) | instid1(VALU_DEP_3)
	v_add_co_ci_u32_e64 v1, null, s11, 0, s0
	v_mov_b32_e32 v2, 0
	v_add_co_u32 v0, vcc_lo, v0, v20
	s_delay_alu instid0(VALU_DEP_3)
	v_add_co_ci_u32_e32 v1, vcc_lo, 0, v1, vcc_lo
	global_store_b64 v2, v[0:1], s[16:17]
	s_nop 0
	s_sendmsg sendmsg(MSG_DEALLOC_VGPRS)
	s_endpgm
.LBB1275_174:
	s_and_b32 vcc_lo, exec_lo, s0
	s_cbranch_vccz .LBB1275_172
; %bb.175:
	s_mov_b32 s0, exec_lo
	v_cmpx_eq_u32_e32 1, v17
	s_cbranch_execz .LBB1275_177
; %bb.176:
	v_sub_nc_u32_e32 v9, v37, v20
	s_delay_alu instid0(VALU_DEP_1)
	v_lshlrev_b32_e32 v9, 2, v9
	ds_store_b32 v9, v7
.LBB1275_177:
	s_or_b32 exec_lo, exec_lo, s0
	v_and_b32_e32 v7, 1, v42
	s_mov_b32 s0, exec_lo
	s_delay_alu instid0(VALU_DEP_1)
	v_cmpx_eq_u32_e32 1, v7
	s_cbranch_execz .LBB1275_179
; %bb.178:
	v_sub_nc_u32_e32 v7, v35, v20
	s_delay_alu instid0(VALU_DEP_1)
	v_lshlrev_b32_e32 v7, 2, v7
	ds_store_b32 v7, v8
.LBB1275_179:
	s_or_b32 exec_lo, exec_lo, s0
	v_and_b32_e32 v7, 1, v41
	s_mov_b32 s0, exec_lo
	s_delay_alu instid0(VALU_DEP_1)
	;; [unrolled: 12-line block ×7, first 2 shown]
	v_cmpx_eq_u32_e32 1, v1
	s_cbranch_execz .LBB1275_191
; %bb.190:
	v_sub_nc_u32_e32 v1, v23, v20
	s_delay_alu instid0(VALU_DEP_1)
	v_lshlrev_b32_e32 v1, 2, v1
	ds_store_b32 v1, v2
.LBB1275_191:
	s_or_b32 exec_lo, exec_lo, s0
	s_delay_alu instid0(SALU_CYCLE_1)
	s_mov_b32 s1, exec_lo
	s_waitcnt lgkmcnt(0)
	s_waitcnt_vscnt null, 0x0
	s_barrier
	buffer_gl0_inv
	v_cmpx_lt_u32_e64 v0, v19
	s_cbranch_execz .LBB1275_194
; %bb.192:
	v_dual_mov_b32 v2, 0 :: v_dual_mov_b32 v1, v20
	s_lshl_b64 s[2:3], s[10:11], 2
	v_lshlrev_b32_e32 v3, 2, v0
	s_add_u32 s0, s6, s2
	s_addc_u32 s2, s7, s3
	v_lshlrev_b64 v[4:5], 2, v[1:2]
	v_mov_b32_e32 v1, v0
	s_delay_alu instid0(VALU_DEP_2) | instskip(NEXT) | instid1(VALU_DEP_3)
	v_add_co_u32 v4, vcc_lo, s0, v4
	v_add_co_ci_u32_e32 v5, vcc_lo, s2, v5, vcc_lo
	s_mov_b32 s2, 0
	.p2align	6
.LBB1275_193:                           ; =>This Inner Loop Header: Depth=1
	ds_load_b32 v8, v3
	v_lshlrev_b64 v[6:7], 2, v[1:2]
	v_add_nc_u32_e32 v1, 0x180, v1
	v_add_nc_u32_e32 v3, 0x600, v3
	s_delay_alu instid0(VALU_DEP_2) | instskip(NEXT) | instid1(VALU_DEP_4)
	v_cmp_ge_u32_e32 vcc_lo, v1, v19
	v_add_co_u32 v6, s0, v4, v6
	s_delay_alu instid0(VALU_DEP_1)
	v_add_co_ci_u32_e64 v7, s0, v5, v7, s0
	s_or_b32 s2, vcc_lo, s2
	s_waitcnt lgkmcnt(0)
	global_store_b32 v[6:7], v8, off
	s_and_not1_b32 exec_lo, exec_lo, s2
	s_cbranch_execnz .LBB1275_193
.LBB1275_194:
	s_or_b32 exec_lo, exec_lo, s1
	v_cmp_eq_u32_e32 vcc_lo, 0, v0
	s_and_b32 s0, vcc_lo, s14
	s_delay_alu instid0(SALU_CYCLE_1)
	s_and_saveexec_b32 s1, s0
	s_cbranch_execnz .LBB1275_173
.LBB1275_195:
	s_nop 0
	s_sendmsg sendmsg(MSG_DEALLOC_VGPRS)
	s_endpgm
	.section	.rodata,"a",@progbits
	.p2align	6, 0x0
	.amdhsa_kernel _ZN7rocprim17ROCPRIM_400000_NS6detail17trampoline_kernelINS0_14default_configENS1_25partition_config_selectorILNS1_17partition_subalgoE9EiibEEZZNS1_14partition_implILS5_9ELb0ES3_jN6thrust23THRUST_200600_302600_NS10device_ptrIiEESB_PNS0_10empty_typeENS0_5tupleIJSB_SC_EEENSE_IJSB_SD_EEENS0_18inequality_wrapperINS9_8equal_toIiEEEEPmJSC_EEE10hipError_tPvRmT3_T4_T5_T6_T7_T9_mT8_P12ihipStream_tbDpT10_ENKUlT_T0_E_clISt17integral_constantIbLb0EES15_EEDaS10_S11_EUlS10_E_NS1_11comp_targetILNS1_3genE9ELNS1_11target_archE1100ELNS1_3gpuE3ELNS1_3repE0EEENS1_30default_config_static_selectorELNS0_4arch9wavefront6targetE0EEEvT1_
		.amdhsa_group_segment_fixed_size 12680
		.amdhsa_private_segment_fixed_size 0
		.amdhsa_kernarg_size 112
		.amdhsa_user_sgpr_count 15
		.amdhsa_user_sgpr_dispatch_ptr 0
		.amdhsa_user_sgpr_queue_ptr 0
		.amdhsa_user_sgpr_kernarg_segment_ptr 1
		.amdhsa_user_sgpr_dispatch_id 0
		.amdhsa_user_sgpr_private_segment_size 0
		.amdhsa_wavefront_size32 1
		.amdhsa_uses_dynamic_stack 0
		.amdhsa_enable_private_segment 0
		.amdhsa_system_sgpr_workgroup_id_x 1
		.amdhsa_system_sgpr_workgroup_id_y 0
		.amdhsa_system_sgpr_workgroup_id_z 0
		.amdhsa_system_sgpr_workgroup_info 0
		.amdhsa_system_vgpr_workitem_id 0
		.amdhsa_next_free_vgpr 51
		.amdhsa_next_free_sgpr 25
		.amdhsa_reserve_vcc 1
		.amdhsa_float_round_mode_32 0
		.amdhsa_float_round_mode_16_64 0
		.amdhsa_float_denorm_mode_32 3
		.amdhsa_float_denorm_mode_16_64 3
		.amdhsa_dx10_clamp 1
		.amdhsa_ieee_mode 1
		.amdhsa_fp16_overflow 0
		.amdhsa_workgroup_processor_mode 1
		.amdhsa_memory_ordered 1
		.amdhsa_forward_progress 0
		.amdhsa_shared_vgpr_count 0
		.amdhsa_exception_fp_ieee_invalid_op 0
		.amdhsa_exception_fp_denorm_src 0
		.amdhsa_exception_fp_ieee_div_zero 0
		.amdhsa_exception_fp_ieee_overflow 0
		.amdhsa_exception_fp_ieee_underflow 0
		.amdhsa_exception_fp_ieee_inexact 0
		.amdhsa_exception_int_div_zero 0
	.end_amdhsa_kernel
	.section	.text._ZN7rocprim17ROCPRIM_400000_NS6detail17trampoline_kernelINS0_14default_configENS1_25partition_config_selectorILNS1_17partition_subalgoE9EiibEEZZNS1_14partition_implILS5_9ELb0ES3_jN6thrust23THRUST_200600_302600_NS10device_ptrIiEESB_PNS0_10empty_typeENS0_5tupleIJSB_SC_EEENSE_IJSB_SD_EEENS0_18inequality_wrapperINS9_8equal_toIiEEEEPmJSC_EEE10hipError_tPvRmT3_T4_T5_T6_T7_T9_mT8_P12ihipStream_tbDpT10_ENKUlT_T0_E_clISt17integral_constantIbLb0EES15_EEDaS10_S11_EUlS10_E_NS1_11comp_targetILNS1_3genE9ELNS1_11target_archE1100ELNS1_3gpuE3ELNS1_3repE0EEENS1_30default_config_static_selectorELNS0_4arch9wavefront6targetE0EEEvT1_,"axG",@progbits,_ZN7rocprim17ROCPRIM_400000_NS6detail17trampoline_kernelINS0_14default_configENS1_25partition_config_selectorILNS1_17partition_subalgoE9EiibEEZZNS1_14partition_implILS5_9ELb0ES3_jN6thrust23THRUST_200600_302600_NS10device_ptrIiEESB_PNS0_10empty_typeENS0_5tupleIJSB_SC_EEENSE_IJSB_SD_EEENS0_18inequality_wrapperINS9_8equal_toIiEEEEPmJSC_EEE10hipError_tPvRmT3_T4_T5_T6_T7_T9_mT8_P12ihipStream_tbDpT10_ENKUlT_T0_E_clISt17integral_constantIbLb0EES15_EEDaS10_S11_EUlS10_E_NS1_11comp_targetILNS1_3genE9ELNS1_11target_archE1100ELNS1_3gpuE3ELNS1_3repE0EEENS1_30default_config_static_selectorELNS0_4arch9wavefront6targetE0EEEvT1_,comdat
.Lfunc_end1275:
	.size	_ZN7rocprim17ROCPRIM_400000_NS6detail17trampoline_kernelINS0_14default_configENS1_25partition_config_selectorILNS1_17partition_subalgoE9EiibEEZZNS1_14partition_implILS5_9ELb0ES3_jN6thrust23THRUST_200600_302600_NS10device_ptrIiEESB_PNS0_10empty_typeENS0_5tupleIJSB_SC_EEENSE_IJSB_SD_EEENS0_18inequality_wrapperINS9_8equal_toIiEEEEPmJSC_EEE10hipError_tPvRmT3_T4_T5_T6_T7_T9_mT8_P12ihipStream_tbDpT10_ENKUlT_T0_E_clISt17integral_constantIbLb0EES15_EEDaS10_S11_EUlS10_E_NS1_11comp_targetILNS1_3genE9ELNS1_11target_archE1100ELNS1_3gpuE3ELNS1_3repE0EEENS1_30default_config_static_selectorELNS0_4arch9wavefront6targetE0EEEvT1_, .Lfunc_end1275-_ZN7rocprim17ROCPRIM_400000_NS6detail17trampoline_kernelINS0_14default_configENS1_25partition_config_selectorILNS1_17partition_subalgoE9EiibEEZZNS1_14partition_implILS5_9ELb0ES3_jN6thrust23THRUST_200600_302600_NS10device_ptrIiEESB_PNS0_10empty_typeENS0_5tupleIJSB_SC_EEENSE_IJSB_SD_EEENS0_18inequality_wrapperINS9_8equal_toIiEEEEPmJSC_EEE10hipError_tPvRmT3_T4_T5_T6_T7_T9_mT8_P12ihipStream_tbDpT10_ENKUlT_T0_E_clISt17integral_constantIbLb0EES15_EEDaS10_S11_EUlS10_E_NS1_11comp_targetILNS1_3genE9ELNS1_11target_archE1100ELNS1_3gpuE3ELNS1_3repE0EEENS1_30default_config_static_selectorELNS0_4arch9wavefront6targetE0EEEvT1_
                                        ; -- End function
	.section	.AMDGPU.csdata,"",@progbits
; Kernel info:
; codeLenInByte = 9220
; NumSgprs: 27
; NumVgprs: 51
; ScratchSize: 0
; MemoryBound: 0
; FloatMode: 240
; IeeeMode: 1
; LDSByteSize: 12680 bytes/workgroup (compile time only)
; SGPRBlocks: 3
; VGPRBlocks: 6
; NumSGPRsForWavesPerEU: 27
; NumVGPRsForWavesPerEU: 51
; Occupancy: 15
; WaveLimiterHint : 1
; COMPUTE_PGM_RSRC2:SCRATCH_EN: 0
; COMPUTE_PGM_RSRC2:USER_SGPR: 15
; COMPUTE_PGM_RSRC2:TRAP_HANDLER: 0
; COMPUTE_PGM_RSRC2:TGID_X_EN: 1
; COMPUTE_PGM_RSRC2:TGID_Y_EN: 0
; COMPUTE_PGM_RSRC2:TGID_Z_EN: 0
; COMPUTE_PGM_RSRC2:TIDIG_COMP_CNT: 0
	.section	.text._ZN7rocprim17ROCPRIM_400000_NS6detail17trampoline_kernelINS0_14default_configENS1_25partition_config_selectorILNS1_17partition_subalgoE9EiibEEZZNS1_14partition_implILS5_9ELb0ES3_jN6thrust23THRUST_200600_302600_NS10device_ptrIiEESB_PNS0_10empty_typeENS0_5tupleIJSB_SC_EEENSE_IJSB_SD_EEENS0_18inequality_wrapperINS9_8equal_toIiEEEEPmJSC_EEE10hipError_tPvRmT3_T4_T5_T6_T7_T9_mT8_P12ihipStream_tbDpT10_ENKUlT_T0_E_clISt17integral_constantIbLb0EES15_EEDaS10_S11_EUlS10_E_NS1_11comp_targetILNS1_3genE8ELNS1_11target_archE1030ELNS1_3gpuE2ELNS1_3repE0EEENS1_30default_config_static_selectorELNS0_4arch9wavefront6targetE0EEEvT1_,"axG",@progbits,_ZN7rocprim17ROCPRIM_400000_NS6detail17trampoline_kernelINS0_14default_configENS1_25partition_config_selectorILNS1_17partition_subalgoE9EiibEEZZNS1_14partition_implILS5_9ELb0ES3_jN6thrust23THRUST_200600_302600_NS10device_ptrIiEESB_PNS0_10empty_typeENS0_5tupleIJSB_SC_EEENSE_IJSB_SD_EEENS0_18inequality_wrapperINS9_8equal_toIiEEEEPmJSC_EEE10hipError_tPvRmT3_T4_T5_T6_T7_T9_mT8_P12ihipStream_tbDpT10_ENKUlT_T0_E_clISt17integral_constantIbLb0EES15_EEDaS10_S11_EUlS10_E_NS1_11comp_targetILNS1_3genE8ELNS1_11target_archE1030ELNS1_3gpuE2ELNS1_3repE0EEENS1_30default_config_static_selectorELNS0_4arch9wavefront6targetE0EEEvT1_,comdat
	.protected	_ZN7rocprim17ROCPRIM_400000_NS6detail17trampoline_kernelINS0_14default_configENS1_25partition_config_selectorILNS1_17partition_subalgoE9EiibEEZZNS1_14partition_implILS5_9ELb0ES3_jN6thrust23THRUST_200600_302600_NS10device_ptrIiEESB_PNS0_10empty_typeENS0_5tupleIJSB_SC_EEENSE_IJSB_SD_EEENS0_18inequality_wrapperINS9_8equal_toIiEEEEPmJSC_EEE10hipError_tPvRmT3_T4_T5_T6_T7_T9_mT8_P12ihipStream_tbDpT10_ENKUlT_T0_E_clISt17integral_constantIbLb0EES15_EEDaS10_S11_EUlS10_E_NS1_11comp_targetILNS1_3genE8ELNS1_11target_archE1030ELNS1_3gpuE2ELNS1_3repE0EEENS1_30default_config_static_selectorELNS0_4arch9wavefront6targetE0EEEvT1_ ; -- Begin function _ZN7rocprim17ROCPRIM_400000_NS6detail17trampoline_kernelINS0_14default_configENS1_25partition_config_selectorILNS1_17partition_subalgoE9EiibEEZZNS1_14partition_implILS5_9ELb0ES3_jN6thrust23THRUST_200600_302600_NS10device_ptrIiEESB_PNS0_10empty_typeENS0_5tupleIJSB_SC_EEENSE_IJSB_SD_EEENS0_18inequality_wrapperINS9_8equal_toIiEEEEPmJSC_EEE10hipError_tPvRmT3_T4_T5_T6_T7_T9_mT8_P12ihipStream_tbDpT10_ENKUlT_T0_E_clISt17integral_constantIbLb0EES15_EEDaS10_S11_EUlS10_E_NS1_11comp_targetILNS1_3genE8ELNS1_11target_archE1030ELNS1_3gpuE2ELNS1_3repE0EEENS1_30default_config_static_selectorELNS0_4arch9wavefront6targetE0EEEvT1_
	.globl	_ZN7rocprim17ROCPRIM_400000_NS6detail17trampoline_kernelINS0_14default_configENS1_25partition_config_selectorILNS1_17partition_subalgoE9EiibEEZZNS1_14partition_implILS5_9ELb0ES3_jN6thrust23THRUST_200600_302600_NS10device_ptrIiEESB_PNS0_10empty_typeENS0_5tupleIJSB_SC_EEENSE_IJSB_SD_EEENS0_18inequality_wrapperINS9_8equal_toIiEEEEPmJSC_EEE10hipError_tPvRmT3_T4_T5_T6_T7_T9_mT8_P12ihipStream_tbDpT10_ENKUlT_T0_E_clISt17integral_constantIbLb0EES15_EEDaS10_S11_EUlS10_E_NS1_11comp_targetILNS1_3genE8ELNS1_11target_archE1030ELNS1_3gpuE2ELNS1_3repE0EEENS1_30default_config_static_selectorELNS0_4arch9wavefront6targetE0EEEvT1_
	.p2align	8
	.type	_ZN7rocprim17ROCPRIM_400000_NS6detail17trampoline_kernelINS0_14default_configENS1_25partition_config_selectorILNS1_17partition_subalgoE9EiibEEZZNS1_14partition_implILS5_9ELb0ES3_jN6thrust23THRUST_200600_302600_NS10device_ptrIiEESB_PNS0_10empty_typeENS0_5tupleIJSB_SC_EEENSE_IJSB_SD_EEENS0_18inequality_wrapperINS9_8equal_toIiEEEEPmJSC_EEE10hipError_tPvRmT3_T4_T5_T6_T7_T9_mT8_P12ihipStream_tbDpT10_ENKUlT_T0_E_clISt17integral_constantIbLb0EES15_EEDaS10_S11_EUlS10_E_NS1_11comp_targetILNS1_3genE8ELNS1_11target_archE1030ELNS1_3gpuE2ELNS1_3repE0EEENS1_30default_config_static_selectorELNS0_4arch9wavefront6targetE0EEEvT1_,@function
_ZN7rocprim17ROCPRIM_400000_NS6detail17trampoline_kernelINS0_14default_configENS1_25partition_config_selectorILNS1_17partition_subalgoE9EiibEEZZNS1_14partition_implILS5_9ELb0ES3_jN6thrust23THRUST_200600_302600_NS10device_ptrIiEESB_PNS0_10empty_typeENS0_5tupleIJSB_SC_EEENSE_IJSB_SD_EEENS0_18inequality_wrapperINS9_8equal_toIiEEEEPmJSC_EEE10hipError_tPvRmT3_T4_T5_T6_T7_T9_mT8_P12ihipStream_tbDpT10_ENKUlT_T0_E_clISt17integral_constantIbLb0EES15_EEDaS10_S11_EUlS10_E_NS1_11comp_targetILNS1_3genE8ELNS1_11target_archE1030ELNS1_3gpuE2ELNS1_3repE0EEENS1_30default_config_static_selectorELNS0_4arch9wavefront6targetE0EEEvT1_: ; @_ZN7rocprim17ROCPRIM_400000_NS6detail17trampoline_kernelINS0_14default_configENS1_25partition_config_selectorILNS1_17partition_subalgoE9EiibEEZZNS1_14partition_implILS5_9ELb0ES3_jN6thrust23THRUST_200600_302600_NS10device_ptrIiEESB_PNS0_10empty_typeENS0_5tupleIJSB_SC_EEENSE_IJSB_SD_EEENS0_18inequality_wrapperINS9_8equal_toIiEEEEPmJSC_EEE10hipError_tPvRmT3_T4_T5_T6_T7_T9_mT8_P12ihipStream_tbDpT10_ENKUlT_T0_E_clISt17integral_constantIbLb0EES15_EEDaS10_S11_EUlS10_E_NS1_11comp_targetILNS1_3genE8ELNS1_11target_archE1030ELNS1_3gpuE2ELNS1_3repE0EEENS1_30default_config_static_selectorELNS0_4arch9wavefront6targetE0EEEvT1_
; %bb.0:
	.section	.rodata,"a",@progbits
	.p2align	6, 0x0
	.amdhsa_kernel _ZN7rocprim17ROCPRIM_400000_NS6detail17trampoline_kernelINS0_14default_configENS1_25partition_config_selectorILNS1_17partition_subalgoE9EiibEEZZNS1_14partition_implILS5_9ELb0ES3_jN6thrust23THRUST_200600_302600_NS10device_ptrIiEESB_PNS0_10empty_typeENS0_5tupleIJSB_SC_EEENSE_IJSB_SD_EEENS0_18inequality_wrapperINS9_8equal_toIiEEEEPmJSC_EEE10hipError_tPvRmT3_T4_T5_T6_T7_T9_mT8_P12ihipStream_tbDpT10_ENKUlT_T0_E_clISt17integral_constantIbLb0EES15_EEDaS10_S11_EUlS10_E_NS1_11comp_targetILNS1_3genE8ELNS1_11target_archE1030ELNS1_3gpuE2ELNS1_3repE0EEENS1_30default_config_static_selectorELNS0_4arch9wavefront6targetE0EEEvT1_
		.amdhsa_group_segment_fixed_size 0
		.amdhsa_private_segment_fixed_size 0
		.amdhsa_kernarg_size 112
		.amdhsa_user_sgpr_count 15
		.amdhsa_user_sgpr_dispatch_ptr 0
		.amdhsa_user_sgpr_queue_ptr 0
		.amdhsa_user_sgpr_kernarg_segment_ptr 1
		.amdhsa_user_sgpr_dispatch_id 0
		.amdhsa_user_sgpr_private_segment_size 0
		.amdhsa_wavefront_size32 1
		.amdhsa_uses_dynamic_stack 0
		.amdhsa_enable_private_segment 0
		.amdhsa_system_sgpr_workgroup_id_x 1
		.amdhsa_system_sgpr_workgroup_id_y 0
		.amdhsa_system_sgpr_workgroup_id_z 0
		.amdhsa_system_sgpr_workgroup_info 0
		.amdhsa_system_vgpr_workitem_id 0
		.amdhsa_next_free_vgpr 1
		.amdhsa_next_free_sgpr 1
		.amdhsa_reserve_vcc 0
		.amdhsa_float_round_mode_32 0
		.amdhsa_float_round_mode_16_64 0
		.amdhsa_float_denorm_mode_32 3
		.amdhsa_float_denorm_mode_16_64 3
		.amdhsa_dx10_clamp 1
		.amdhsa_ieee_mode 1
		.amdhsa_fp16_overflow 0
		.amdhsa_workgroup_processor_mode 1
		.amdhsa_memory_ordered 1
		.amdhsa_forward_progress 0
		.amdhsa_shared_vgpr_count 0
		.amdhsa_exception_fp_ieee_invalid_op 0
		.amdhsa_exception_fp_denorm_src 0
		.amdhsa_exception_fp_ieee_div_zero 0
		.amdhsa_exception_fp_ieee_overflow 0
		.amdhsa_exception_fp_ieee_underflow 0
		.amdhsa_exception_fp_ieee_inexact 0
		.amdhsa_exception_int_div_zero 0
	.end_amdhsa_kernel
	.section	.text._ZN7rocprim17ROCPRIM_400000_NS6detail17trampoline_kernelINS0_14default_configENS1_25partition_config_selectorILNS1_17partition_subalgoE9EiibEEZZNS1_14partition_implILS5_9ELb0ES3_jN6thrust23THRUST_200600_302600_NS10device_ptrIiEESB_PNS0_10empty_typeENS0_5tupleIJSB_SC_EEENSE_IJSB_SD_EEENS0_18inequality_wrapperINS9_8equal_toIiEEEEPmJSC_EEE10hipError_tPvRmT3_T4_T5_T6_T7_T9_mT8_P12ihipStream_tbDpT10_ENKUlT_T0_E_clISt17integral_constantIbLb0EES15_EEDaS10_S11_EUlS10_E_NS1_11comp_targetILNS1_3genE8ELNS1_11target_archE1030ELNS1_3gpuE2ELNS1_3repE0EEENS1_30default_config_static_selectorELNS0_4arch9wavefront6targetE0EEEvT1_,"axG",@progbits,_ZN7rocprim17ROCPRIM_400000_NS6detail17trampoline_kernelINS0_14default_configENS1_25partition_config_selectorILNS1_17partition_subalgoE9EiibEEZZNS1_14partition_implILS5_9ELb0ES3_jN6thrust23THRUST_200600_302600_NS10device_ptrIiEESB_PNS0_10empty_typeENS0_5tupleIJSB_SC_EEENSE_IJSB_SD_EEENS0_18inequality_wrapperINS9_8equal_toIiEEEEPmJSC_EEE10hipError_tPvRmT3_T4_T5_T6_T7_T9_mT8_P12ihipStream_tbDpT10_ENKUlT_T0_E_clISt17integral_constantIbLb0EES15_EEDaS10_S11_EUlS10_E_NS1_11comp_targetILNS1_3genE8ELNS1_11target_archE1030ELNS1_3gpuE2ELNS1_3repE0EEENS1_30default_config_static_selectorELNS0_4arch9wavefront6targetE0EEEvT1_,comdat
.Lfunc_end1276:
	.size	_ZN7rocprim17ROCPRIM_400000_NS6detail17trampoline_kernelINS0_14default_configENS1_25partition_config_selectorILNS1_17partition_subalgoE9EiibEEZZNS1_14partition_implILS5_9ELb0ES3_jN6thrust23THRUST_200600_302600_NS10device_ptrIiEESB_PNS0_10empty_typeENS0_5tupleIJSB_SC_EEENSE_IJSB_SD_EEENS0_18inequality_wrapperINS9_8equal_toIiEEEEPmJSC_EEE10hipError_tPvRmT3_T4_T5_T6_T7_T9_mT8_P12ihipStream_tbDpT10_ENKUlT_T0_E_clISt17integral_constantIbLb0EES15_EEDaS10_S11_EUlS10_E_NS1_11comp_targetILNS1_3genE8ELNS1_11target_archE1030ELNS1_3gpuE2ELNS1_3repE0EEENS1_30default_config_static_selectorELNS0_4arch9wavefront6targetE0EEEvT1_, .Lfunc_end1276-_ZN7rocprim17ROCPRIM_400000_NS6detail17trampoline_kernelINS0_14default_configENS1_25partition_config_selectorILNS1_17partition_subalgoE9EiibEEZZNS1_14partition_implILS5_9ELb0ES3_jN6thrust23THRUST_200600_302600_NS10device_ptrIiEESB_PNS0_10empty_typeENS0_5tupleIJSB_SC_EEENSE_IJSB_SD_EEENS0_18inequality_wrapperINS9_8equal_toIiEEEEPmJSC_EEE10hipError_tPvRmT3_T4_T5_T6_T7_T9_mT8_P12ihipStream_tbDpT10_ENKUlT_T0_E_clISt17integral_constantIbLb0EES15_EEDaS10_S11_EUlS10_E_NS1_11comp_targetILNS1_3genE8ELNS1_11target_archE1030ELNS1_3gpuE2ELNS1_3repE0EEENS1_30default_config_static_selectorELNS0_4arch9wavefront6targetE0EEEvT1_
                                        ; -- End function
	.section	.AMDGPU.csdata,"",@progbits
; Kernel info:
; codeLenInByte = 0
; NumSgprs: 0
; NumVgprs: 0
; ScratchSize: 0
; MemoryBound: 0
; FloatMode: 240
; IeeeMode: 1
; LDSByteSize: 0 bytes/workgroup (compile time only)
; SGPRBlocks: 0
; VGPRBlocks: 0
; NumSGPRsForWavesPerEU: 1
; NumVGPRsForWavesPerEU: 1
; Occupancy: 16
; WaveLimiterHint : 0
; COMPUTE_PGM_RSRC2:SCRATCH_EN: 0
; COMPUTE_PGM_RSRC2:USER_SGPR: 15
; COMPUTE_PGM_RSRC2:TRAP_HANDLER: 0
; COMPUTE_PGM_RSRC2:TGID_X_EN: 1
; COMPUTE_PGM_RSRC2:TGID_Y_EN: 0
; COMPUTE_PGM_RSRC2:TGID_Z_EN: 0
; COMPUTE_PGM_RSRC2:TIDIG_COMP_CNT: 0
	.section	.text._ZN7rocprim17ROCPRIM_400000_NS6detail17trampoline_kernelINS0_14default_configENS1_25partition_config_selectorILNS1_17partition_subalgoE9EiibEEZZNS1_14partition_implILS5_9ELb0ES3_jN6thrust23THRUST_200600_302600_NS10device_ptrIiEESB_PNS0_10empty_typeENS0_5tupleIJSB_SC_EEENSE_IJSB_SD_EEENS0_18inequality_wrapperINS9_8equal_toIiEEEEPmJSC_EEE10hipError_tPvRmT3_T4_T5_T6_T7_T9_mT8_P12ihipStream_tbDpT10_ENKUlT_T0_E_clISt17integral_constantIbLb1EES15_EEDaS10_S11_EUlS10_E_NS1_11comp_targetILNS1_3genE0ELNS1_11target_archE4294967295ELNS1_3gpuE0ELNS1_3repE0EEENS1_30default_config_static_selectorELNS0_4arch9wavefront6targetE0EEEvT1_,"axG",@progbits,_ZN7rocprim17ROCPRIM_400000_NS6detail17trampoline_kernelINS0_14default_configENS1_25partition_config_selectorILNS1_17partition_subalgoE9EiibEEZZNS1_14partition_implILS5_9ELb0ES3_jN6thrust23THRUST_200600_302600_NS10device_ptrIiEESB_PNS0_10empty_typeENS0_5tupleIJSB_SC_EEENSE_IJSB_SD_EEENS0_18inequality_wrapperINS9_8equal_toIiEEEEPmJSC_EEE10hipError_tPvRmT3_T4_T5_T6_T7_T9_mT8_P12ihipStream_tbDpT10_ENKUlT_T0_E_clISt17integral_constantIbLb1EES15_EEDaS10_S11_EUlS10_E_NS1_11comp_targetILNS1_3genE0ELNS1_11target_archE4294967295ELNS1_3gpuE0ELNS1_3repE0EEENS1_30default_config_static_selectorELNS0_4arch9wavefront6targetE0EEEvT1_,comdat
	.protected	_ZN7rocprim17ROCPRIM_400000_NS6detail17trampoline_kernelINS0_14default_configENS1_25partition_config_selectorILNS1_17partition_subalgoE9EiibEEZZNS1_14partition_implILS5_9ELb0ES3_jN6thrust23THRUST_200600_302600_NS10device_ptrIiEESB_PNS0_10empty_typeENS0_5tupleIJSB_SC_EEENSE_IJSB_SD_EEENS0_18inequality_wrapperINS9_8equal_toIiEEEEPmJSC_EEE10hipError_tPvRmT3_T4_T5_T6_T7_T9_mT8_P12ihipStream_tbDpT10_ENKUlT_T0_E_clISt17integral_constantIbLb1EES15_EEDaS10_S11_EUlS10_E_NS1_11comp_targetILNS1_3genE0ELNS1_11target_archE4294967295ELNS1_3gpuE0ELNS1_3repE0EEENS1_30default_config_static_selectorELNS0_4arch9wavefront6targetE0EEEvT1_ ; -- Begin function _ZN7rocprim17ROCPRIM_400000_NS6detail17trampoline_kernelINS0_14default_configENS1_25partition_config_selectorILNS1_17partition_subalgoE9EiibEEZZNS1_14partition_implILS5_9ELb0ES3_jN6thrust23THRUST_200600_302600_NS10device_ptrIiEESB_PNS0_10empty_typeENS0_5tupleIJSB_SC_EEENSE_IJSB_SD_EEENS0_18inequality_wrapperINS9_8equal_toIiEEEEPmJSC_EEE10hipError_tPvRmT3_T4_T5_T6_T7_T9_mT8_P12ihipStream_tbDpT10_ENKUlT_T0_E_clISt17integral_constantIbLb1EES15_EEDaS10_S11_EUlS10_E_NS1_11comp_targetILNS1_3genE0ELNS1_11target_archE4294967295ELNS1_3gpuE0ELNS1_3repE0EEENS1_30default_config_static_selectorELNS0_4arch9wavefront6targetE0EEEvT1_
	.globl	_ZN7rocprim17ROCPRIM_400000_NS6detail17trampoline_kernelINS0_14default_configENS1_25partition_config_selectorILNS1_17partition_subalgoE9EiibEEZZNS1_14partition_implILS5_9ELb0ES3_jN6thrust23THRUST_200600_302600_NS10device_ptrIiEESB_PNS0_10empty_typeENS0_5tupleIJSB_SC_EEENSE_IJSB_SD_EEENS0_18inequality_wrapperINS9_8equal_toIiEEEEPmJSC_EEE10hipError_tPvRmT3_T4_T5_T6_T7_T9_mT8_P12ihipStream_tbDpT10_ENKUlT_T0_E_clISt17integral_constantIbLb1EES15_EEDaS10_S11_EUlS10_E_NS1_11comp_targetILNS1_3genE0ELNS1_11target_archE4294967295ELNS1_3gpuE0ELNS1_3repE0EEENS1_30default_config_static_selectorELNS0_4arch9wavefront6targetE0EEEvT1_
	.p2align	8
	.type	_ZN7rocprim17ROCPRIM_400000_NS6detail17trampoline_kernelINS0_14default_configENS1_25partition_config_selectorILNS1_17partition_subalgoE9EiibEEZZNS1_14partition_implILS5_9ELb0ES3_jN6thrust23THRUST_200600_302600_NS10device_ptrIiEESB_PNS0_10empty_typeENS0_5tupleIJSB_SC_EEENSE_IJSB_SD_EEENS0_18inequality_wrapperINS9_8equal_toIiEEEEPmJSC_EEE10hipError_tPvRmT3_T4_T5_T6_T7_T9_mT8_P12ihipStream_tbDpT10_ENKUlT_T0_E_clISt17integral_constantIbLb1EES15_EEDaS10_S11_EUlS10_E_NS1_11comp_targetILNS1_3genE0ELNS1_11target_archE4294967295ELNS1_3gpuE0ELNS1_3repE0EEENS1_30default_config_static_selectorELNS0_4arch9wavefront6targetE0EEEvT1_,@function
_ZN7rocprim17ROCPRIM_400000_NS6detail17trampoline_kernelINS0_14default_configENS1_25partition_config_selectorILNS1_17partition_subalgoE9EiibEEZZNS1_14partition_implILS5_9ELb0ES3_jN6thrust23THRUST_200600_302600_NS10device_ptrIiEESB_PNS0_10empty_typeENS0_5tupleIJSB_SC_EEENSE_IJSB_SD_EEENS0_18inequality_wrapperINS9_8equal_toIiEEEEPmJSC_EEE10hipError_tPvRmT3_T4_T5_T6_T7_T9_mT8_P12ihipStream_tbDpT10_ENKUlT_T0_E_clISt17integral_constantIbLb1EES15_EEDaS10_S11_EUlS10_E_NS1_11comp_targetILNS1_3genE0ELNS1_11target_archE4294967295ELNS1_3gpuE0ELNS1_3repE0EEENS1_30default_config_static_selectorELNS0_4arch9wavefront6targetE0EEEvT1_: ; @_ZN7rocprim17ROCPRIM_400000_NS6detail17trampoline_kernelINS0_14default_configENS1_25partition_config_selectorILNS1_17partition_subalgoE9EiibEEZZNS1_14partition_implILS5_9ELb0ES3_jN6thrust23THRUST_200600_302600_NS10device_ptrIiEESB_PNS0_10empty_typeENS0_5tupleIJSB_SC_EEENSE_IJSB_SD_EEENS0_18inequality_wrapperINS9_8equal_toIiEEEEPmJSC_EEE10hipError_tPvRmT3_T4_T5_T6_T7_T9_mT8_P12ihipStream_tbDpT10_ENKUlT_T0_E_clISt17integral_constantIbLb1EES15_EEDaS10_S11_EUlS10_E_NS1_11comp_targetILNS1_3genE0ELNS1_11target_archE4294967295ELNS1_3gpuE0ELNS1_3repE0EEENS1_30default_config_static_selectorELNS0_4arch9wavefront6targetE0EEEvT1_
; %bb.0:
	.section	.rodata,"a",@progbits
	.p2align	6, 0x0
	.amdhsa_kernel _ZN7rocprim17ROCPRIM_400000_NS6detail17trampoline_kernelINS0_14default_configENS1_25partition_config_selectorILNS1_17partition_subalgoE9EiibEEZZNS1_14partition_implILS5_9ELb0ES3_jN6thrust23THRUST_200600_302600_NS10device_ptrIiEESB_PNS0_10empty_typeENS0_5tupleIJSB_SC_EEENSE_IJSB_SD_EEENS0_18inequality_wrapperINS9_8equal_toIiEEEEPmJSC_EEE10hipError_tPvRmT3_T4_T5_T6_T7_T9_mT8_P12ihipStream_tbDpT10_ENKUlT_T0_E_clISt17integral_constantIbLb1EES15_EEDaS10_S11_EUlS10_E_NS1_11comp_targetILNS1_3genE0ELNS1_11target_archE4294967295ELNS1_3gpuE0ELNS1_3repE0EEENS1_30default_config_static_selectorELNS0_4arch9wavefront6targetE0EEEvT1_
		.amdhsa_group_segment_fixed_size 0
		.amdhsa_private_segment_fixed_size 0
		.amdhsa_kernarg_size 128
		.amdhsa_user_sgpr_count 15
		.amdhsa_user_sgpr_dispatch_ptr 0
		.amdhsa_user_sgpr_queue_ptr 0
		.amdhsa_user_sgpr_kernarg_segment_ptr 1
		.amdhsa_user_sgpr_dispatch_id 0
		.amdhsa_user_sgpr_private_segment_size 0
		.amdhsa_wavefront_size32 1
		.amdhsa_uses_dynamic_stack 0
		.amdhsa_enable_private_segment 0
		.amdhsa_system_sgpr_workgroup_id_x 1
		.amdhsa_system_sgpr_workgroup_id_y 0
		.amdhsa_system_sgpr_workgroup_id_z 0
		.amdhsa_system_sgpr_workgroup_info 0
		.amdhsa_system_vgpr_workitem_id 0
		.amdhsa_next_free_vgpr 1
		.amdhsa_next_free_sgpr 1
		.amdhsa_reserve_vcc 0
		.amdhsa_float_round_mode_32 0
		.amdhsa_float_round_mode_16_64 0
		.amdhsa_float_denorm_mode_32 3
		.amdhsa_float_denorm_mode_16_64 3
		.amdhsa_dx10_clamp 1
		.amdhsa_ieee_mode 1
		.amdhsa_fp16_overflow 0
		.amdhsa_workgroup_processor_mode 1
		.amdhsa_memory_ordered 1
		.amdhsa_forward_progress 0
		.amdhsa_shared_vgpr_count 0
		.amdhsa_exception_fp_ieee_invalid_op 0
		.amdhsa_exception_fp_denorm_src 0
		.amdhsa_exception_fp_ieee_div_zero 0
		.amdhsa_exception_fp_ieee_overflow 0
		.amdhsa_exception_fp_ieee_underflow 0
		.amdhsa_exception_fp_ieee_inexact 0
		.amdhsa_exception_int_div_zero 0
	.end_amdhsa_kernel
	.section	.text._ZN7rocprim17ROCPRIM_400000_NS6detail17trampoline_kernelINS0_14default_configENS1_25partition_config_selectorILNS1_17partition_subalgoE9EiibEEZZNS1_14partition_implILS5_9ELb0ES3_jN6thrust23THRUST_200600_302600_NS10device_ptrIiEESB_PNS0_10empty_typeENS0_5tupleIJSB_SC_EEENSE_IJSB_SD_EEENS0_18inequality_wrapperINS9_8equal_toIiEEEEPmJSC_EEE10hipError_tPvRmT3_T4_T5_T6_T7_T9_mT8_P12ihipStream_tbDpT10_ENKUlT_T0_E_clISt17integral_constantIbLb1EES15_EEDaS10_S11_EUlS10_E_NS1_11comp_targetILNS1_3genE0ELNS1_11target_archE4294967295ELNS1_3gpuE0ELNS1_3repE0EEENS1_30default_config_static_selectorELNS0_4arch9wavefront6targetE0EEEvT1_,"axG",@progbits,_ZN7rocprim17ROCPRIM_400000_NS6detail17trampoline_kernelINS0_14default_configENS1_25partition_config_selectorILNS1_17partition_subalgoE9EiibEEZZNS1_14partition_implILS5_9ELb0ES3_jN6thrust23THRUST_200600_302600_NS10device_ptrIiEESB_PNS0_10empty_typeENS0_5tupleIJSB_SC_EEENSE_IJSB_SD_EEENS0_18inequality_wrapperINS9_8equal_toIiEEEEPmJSC_EEE10hipError_tPvRmT3_T4_T5_T6_T7_T9_mT8_P12ihipStream_tbDpT10_ENKUlT_T0_E_clISt17integral_constantIbLb1EES15_EEDaS10_S11_EUlS10_E_NS1_11comp_targetILNS1_3genE0ELNS1_11target_archE4294967295ELNS1_3gpuE0ELNS1_3repE0EEENS1_30default_config_static_selectorELNS0_4arch9wavefront6targetE0EEEvT1_,comdat
.Lfunc_end1277:
	.size	_ZN7rocprim17ROCPRIM_400000_NS6detail17trampoline_kernelINS0_14default_configENS1_25partition_config_selectorILNS1_17partition_subalgoE9EiibEEZZNS1_14partition_implILS5_9ELb0ES3_jN6thrust23THRUST_200600_302600_NS10device_ptrIiEESB_PNS0_10empty_typeENS0_5tupleIJSB_SC_EEENSE_IJSB_SD_EEENS0_18inequality_wrapperINS9_8equal_toIiEEEEPmJSC_EEE10hipError_tPvRmT3_T4_T5_T6_T7_T9_mT8_P12ihipStream_tbDpT10_ENKUlT_T0_E_clISt17integral_constantIbLb1EES15_EEDaS10_S11_EUlS10_E_NS1_11comp_targetILNS1_3genE0ELNS1_11target_archE4294967295ELNS1_3gpuE0ELNS1_3repE0EEENS1_30default_config_static_selectorELNS0_4arch9wavefront6targetE0EEEvT1_, .Lfunc_end1277-_ZN7rocprim17ROCPRIM_400000_NS6detail17trampoline_kernelINS0_14default_configENS1_25partition_config_selectorILNS1_17partition_subalgoE9EiibEEZZNS1_14partition_implILS5_9ELb0ES3_jN6thrust23THRUST_200600_302600_NS10device_ptrIiEESB_PNS0_10empty_typeENS0_5tupleIJSB_SC_EEENSE_IJSB_SD_EEENS0_18inequality_wrapperINS9_8equal_toIiEEEEPmJSC_EEE10hipError_tPvRmT3_T4_T5_T6_T7_T9_mT8_P12ihipStream_tbDpT10_ENKUlT_T0_E_clISt17integral_constantIbLb1EES15_EEDaS10_S11_EUlS10_E_NS1_11comp_targetILNS1_3genE0ELNS1_11target_archE4294967295ELNS1_3gpuE0ELNS1_3repE0EEENS1_30default_config_static_selectorELNS0_4arch9wavefront6targetE0EEEvT1_
                                        ; -- End function
	.section	.AMDGPU.csdata,"",@progbits
; Kernel info:
; codeLenInByte = 0
; NumSgprs: 0
; NumVgprs: 0
; ScratchSize: 0
; MemoryBound: 0
; FloatMode: 240
; IeeeMode: 1
; LDSByteSize: 0 bytes/workgroup (compile time only)
; SGPRBlocks: 0
; VGPRBlocks: 0
; NumSGPRsForWavesPerEU: 1
; NumVGPRsForWavesPerEU: 1
; Occupancy: 16
; WaveLimiterHint : 0
; COMPUTE_PGM_RSRC2:SCRATCH_EN: 0
; COMPUTE_PGM_RSRC2:USER_SGPR: 15
; COMPUTE_PGM_RSRC2:TRAP_HANDLER: 0
; COMPUTE_PGM_RSRC2:TGID_X_EN: 1
; COMPUTE_PGM_RSRC2:TGID_Y_EN: 0
; COMPUTE_PGM_RSRC2:TGID_Z_EN: 0
; COMPUTE_PGM_RSRC2:TIDIG_COMP_CNT: 0
	.section	.text._ZN7rocprim17ROCPRIM_400000_NS6detail17trampoline_kernelINS0_14default_configENS1_25partition_config_selectorILNS1_17partition_subalgoE9EiibEEZZNS1_14partition_implILS5_9ELb0ES3_jN6thrust23THRUST_200600_302600_NS10device_ptrIiEESB_PNS0_10empty_typeENS0_5tupleIJSB_SC_EEENSE_IJSB_SD_EEENS0_18inequality_wrapperINS9_8equal_toIiEEEEPmJSC_EEE10hipError_tPvRmT3_T4_T5_T6_T7_T9_mT8_P12ihipStream_tbDpT10_ENKUlT_T0_E_clISt17integral_constantIbLb1EES15_EEDaS10_S11_EUlS10_E_NS1_11comp_targetILNS1_3genE5ELNS1_11target_archE942ELNS1_3gpuE9ELNS1_3repE0EEENS1_30default_config_static_selectorELNS0_4arch9wavefront6targetE0EEEvT1_,"axG",@progbits,_ZN7rocprim17ROCPRIM_400000_NS6detail17trampoline_kernelINS0_14default_configENS1_25partition_config_selectorILNS1_17partition_subalgoE9EiibEEZZNS1_14partition_implILS5_9ELb0ES3_jN6thrust23THRUST_200600_302600_NS10device_ptrIiEESB_PNS0_10empty_typeENS0_5tupleIJSB_SC_EEENSE_IJSB_SD_EEENS0_18inequality_wrapperINS9_8equal_toIiEEEEPmJSC_EEE10hipError_tPvRmT3_T4_T5_T6_T7_T9_mT8_P12ihipStream_tbDpT10_ENKUlT_T0_E_clISt17integral_constantIbLb1EES15_EEDaS10_S11_EUlS10_E_NS1_11comp_targetILNS1_3genE5ELNS1_11target_archE942ELNS1_3gpuE9ELNS1_3repE0EEENS1_30default_config_static_selectorELNS0_4arch9wavefront6targetE0EEEvT1_,comdat
	.protected	_ZN7rocprim17ROCPRIM_400000_NS6detail17trampoline_kernelINS0_14default_configENS1_25partition_config_selectorILNS1_17partition_subalgoE9EiibEEZZNS1_14partition_implILS5_9ELb0ES3_jN6thrust23THRUST_200600_302600_NS10device_ptrIiEESB_PNS0_10empty_typeENS0_5tupleIJSB_SC_EEENSE_IJSB_SD_EEENS0_18inequality_wrapperINS9_8equal_toIiEEEEPmJSC_EEE10hipError_tPvRmT3_T4_T5_T6_T7_T9_mT8_P12ihipStream_tbDpT10_ENKUlT_T0_E_clISt17integral_constantIbLb1EES15_EEDaS10_S11_EUlS10_E_NS1_11comp_targetILNS1_3genE5ELNS1_11target_archE942ELNS1_3gpuE9ELNS1_3repE0EEENS1_30default_config_static_selectorELNS0_4arch9wavefront6targetE0EEEvT1_ ; -- Begin function _ZN7rocprim17ROCPRIM_400000_NS6detail17trampoline_kernelINS0_14default_configENS1_25partition_config_selectorILNS1_17partition_subalgoE9EiibEEZZNS1_14partition_implILS5_9ELb0ES3_jN6thrust23THRUST_200600_302600_NS10device_ptrIiEESB_PNS0_10empty_typeENS0_5tupleIJSB_SC_EEENSE_IJSB_SD_EEENS0_18inequality_wrapperINS9_8equal_toIiEEEEPmJSC_EEE10hipError_tPvRmT3_T4_T5_T6_T7_T9_mT8_P12ihipStream_tbDpT10_ENKUlT_T0_E_clISt17integral_constantIbLb1EES15_EEDaS10_S11_EUlS10_E_NS1_11comp_targetILNS1_3genE5ELNS1_11target_archE942ELNS1_3gpuE9ELNS1_3repE0EEENS1_30default_config_static_selectorELNS0_4arch9wavefront6targetE0EEEvT1_
	.globl	_ZN7rocprim17ROCPRIM_400000_NS6detail17trampoline_kernelINS0_14default_configENS1_25partition_config_selectorILNS1_17partition_subalgoE9EiibEEZZNS1_14partition_implILS5_9ELb0ES3_jN6thrust23THRUST_200600_302600_NS10device_ptrIiEESB_PNS0_10empty_typeENS0_5tupleIJSB_SC_EEENSE_IJSB_SD_EEENS0_18inequality_wrapperINS9_8equal_toIiEEEEPmJSC_EEE10hipError_tPvRmT3_T4_T5_T6_T7_T9_mT8_P12ihipStream_tbDpT10_ENKUlT_T0_E_clISt17integral_constantIbLb1EES15_EEDaS10_S11_EUlS10_E_NS1_11comp_targetILNS1_3genE5ELNS1_11target_archE942ELNS1_3gpuE9ELNS1_3repE0EEENS1_30default_config_static_selectorELNS0_4arch9wavefront6targetE0EEEvT1_
	.p2align	8
	.type	_ZN7rocprim17ROCPRIM_400000_NS6detail17trampoline_kernelINS0_14default_configENS1_25partition_config_selectorILNS1_17partition_subalgoE9EiibEEZZNS1_14partition_implILS5_9ELb0ES3_jN6thrust23THRUST_200600_302600_NS10device_ptrIiEESB_PNS0_10empty_typeENS0_5tupleIJSB_SC_EEENSE_IJSB_SD_EEENS0_18inequality_wrapperINS9_8equal_toIiEEEEPmJSC_EEE10hipError_tPvRmT3_T4_T5_T6_T7_T9_mT8_P12ihipStream_tbDpT10_ENKUlT_T0_E_clISt17integral_constantIbLb1EES15_EEDaS10_S11_EUlS10_E_NS1_11comp_targetILNS1_3genE5ELNS1_11target_archE942ELNS1_3gpuE9ELNS1_3repE0EEENS1_30default_config_static_selectorELNS0_4arch9wavefront6targetE0EEEvT1_,@function
_ZN7rocprim17ROCPRIM_400000_NS6detail17trampoline_kernelINS0_14default_configENS1_25partition_config_selectorILNS1_17partition_subalgoE9EiibEEZZNS1_14partition_implILS5_9ELb0ES3_jN6thrust23THRUST_200600_302600_NS10device_ptrIiEESB_PNS0_10empty_typeENS0_5tupleIJSB_SC_EEENSE_IJSB_SD_EEENS0_18inequality_wrapperINS9_8equal_toIiEEEEPmJSC_EEE10hipError_tPvRmT3_T4_T5_T6_T7_T9_mT8_P12ihipStream_tbDpT10_ENKUlT_T0_E_clISt17integral_constantIbLb1EES15_EEDaS10_S11_EUlS10_E_NS1_11comp_targetILNS1_3genE5ELNS1_11target_archE942ELNS1_3gpuE9ELNS1_3repE0EEENS1_30default_config_static_selectorELNS0_4arch9wavefront6targetE0EEEvT1_: ; @_ZN7rocprim17ROCPRIM_400000_NS6detail17trampoline_kernelINS0_14default_configENS1_25partition_config_selectorILNS1_17partition_subalgoE9EiibEEZZNS1_14partition_implILS5_9ELb0ES3_jN6thrust23THRUST_200600_302600_NS10device_ptrIiEESB_PNS0_10empty_typeENS0_5tupleIJSB_SC_EEENSE_IJSB_SD_EEENS0_18inequality_wrapperINS9_8equal_toIiEEEEPmJSC_EEE10hipError_tPvRmT3_T4_T5_T6_T7_T9_mT8_P12ihipStream_tbDpT10_ENKUlT_T0_E_clISt17integral_constantIbLb1EES15_EEDaS10_S11_EUlS10_E_NS1_11comp_targetILNS1_3genE5ELNS1_11target_archE942ELNS1_3gpuE9ELNS1_3repE0EEENS1_30default_config_static_selectorELNS0_4arch9wavefront6targetE0EEEvT1_
; %bb.0:
	.section	.rodata,"a",@progbits
	.p2align	6, 0x0
	.amdhsa_kernel _ZN7rocprim17ROCPRIM_400000_NS6detail17trampoline_kernelINS0_14default_configENS1_25partition_config_selectorILNS1_17partition_subalgoE9EiibEEZZNS1_14partition_implILS5_9ELb0ES3_jN6thrust23THRUST_200600_302600_NS10device_ptrIiEESB_PNS0_10empty_typeENS0_5tupleIJSB_SC_EEENSE_IJSB_SD_EEENS0_18inequality_wrapperINS9_8equal_toIiEEEEPmJSC_EEE10hipError_tPvRmT3_T4_T5_T6_T7_T9_mT8_P12ihipStream_tbDpT10_ENKUlT_T0_E_clISt17integral_constantIbLb1EES15_EEDaS10_S11_EUlS10_E_NS1_11comp_targetILNS1_3genE5ELNS1_11target_archE942ELNS1_3gpuE9ELNS1_3repE0EEENS1_30default_config_static_selectorELNS0_4arch9wavefront6targetE0EEEvT1_
		.amdhsa_group_segment_fixed_size 0
		.amdhsa_private_segment_fixed_size 0
		.amdhsa_kernarg_size 128
		.amdhsa_user_sgpr_count 15
		.amdhsa_user_sgpr_dispatch_ptr 0
		.amdhsa_user_sgpr_queue_ptr 0
		.amdhsa_user_sgpr_kernarg_segment_ptr 1
		.amdhsa_user_sgpr_dispatch_id 0
		.amdhsa_user_sgpr_private_segment_size 0
		.amdhsa_wavefront_size32 1
		.amdhsa_uses_dynamic_stack 0
		.amdhsa_enable_private_segment 0
		.amdhsa_system_sgpr_workgroup_id_x 1
		.amdhsa_system_sgpr_workgroup_id_y 0
		.amdhsa_system_sgpr_workgroup_id_z 0
		.amdhsa_system_sgpr_workgroup_info 0
		.amdhsa_system_vgpr_workitem_id 0
		.amdhsa_next_free_vgpr 1
		.amdhsa_next_free_sgpr 1
		.amdhsa_reserve_vcc 0
		.amdhsa_float_round_mode_32 0
		.amdhsa_float_round_mode_16_64 0
		.amdhsa_float_denorm_mode_32 3
		.amdhsa_float_denorm_mode_16_64 3
		.amdhsa_dx10_clamp 1
		.amdhsa_ieee_mode 1
		.amdhsa_fp16_overflow 0
		.amdhsa_workgroup_processor_mode 1
		.amdhsa_memory_ordered 1
		.amdhsa_forward_progress 0
		.amdhsa_shared_vgpr_count 0
		.amdhsa_exception_fp_ieee_invalid_op 0
		.amdhsa_exception_fp_denorm_src 0
		.amdhsa_exception_fp_ieee_div_zero 0
		.amdhsa_exception_fp_ieee_overflow 0
		.amdhsa_exception_fp_ieee_underflow 0
		.amdhsa_exception_fp_ieee_inexact 0
		.amdhsa_exception_int_div_zero 0
	.end_amdhsa_kernel
	.section	.text._ZN7rocprim17ROCPRIM_400000_NS6detail17trampoline_kernelINS0_14default_configENS1_25partition_config_selectorILNS1_17partition_subalgoE9EiibEEZZNS1_14partition_implILS5_9ELb0ES3_jN6thrust23THRUST_200600_302600_NS10device_ptrIiEESB_PNS0_10empty_typeENS0_5tupleIJSB_SC_EEENSE_IJSB_SD_EEENS0_18inequality_wrapperINS9_8equal_toIiEEEEPmJSC_EEE10hipError_tPvRmT3_T4_T5_T6_T7_T9_mT8_P12ihipStream_tbDpT10_ENKUlT_T0_E_clISt17integral_constantIbLb1EES15_EEDaS10_S11_EUlS10_E_NS1_11comp_targetILNS1_3genE5ELNS1_11target_archE942ELNS1_3gpuE9ELNS1_3repE0EEENS1_30default_config_static_selectorELNS0_4arch9wavefront6targetE0EEEvT1_,"axG",@progbits,_ZN7rocprim17ROCPRIM_400000_NS6detail17trampoline_kernelINS0_14default_configENS1_25partition_config_selectorILNS1_17partition_subalgoE9EiibEEZZNS1_14partition_implILS5_9ELb0ES3_jN6thrust23THRUST_200600_302600_NS10device_ptrIiEESB_PNS0_10empty_typeENS0_5tupleIJSB_SC_EEENSE_IJSB_SD_EEENS0_18inequality_wrapperINS9_8equal_toIiEEEEPmJSC_EEE10hipError_tPvRmT3_T4_T5_T6_T7_T9_mT8_P12ihipStream_tbDpT10_ENKUlT_T0_E_clISt17integral_constantIbLb1EES15_EEDaS10_S11_EUlS10_E_NS1_11comp_targetILNS1_3genE5ELNS1_11target_archE942ELNS1_3gpuE9ELNS1_3repE0EEENS1_30default_config_static_selectorELNS0_4arch9wavefront6targetE0EEEvT1_,comdat
.Lfunc_end1278:
	.size	_ZN7rocprim17ROCPRIM_400000_NS6detail17trampoline_kernelINS0_14default_configENS1_25partition_config_selectorILNS1_17partition_subalgoE9EiibEEZZNS1_14partition_implILS5_9ELb0ES3_jN6thrust23THRUST_200600_302600_NS10device_ptrIiEESB_PNS0_10empty_typeENS0_5tupleIJSB_SC_EEENSE_IJSB_SD_EEENS0_18inequality_wrapperINS9_8equal_toIiEEEEPmJSC_EEE10hipError_tPvRmT3_T4_T5_T6_T7_T9_mT8_P12ihipStream_tbDpT10_ENKUlT_T0_E_clISt17integral_constantIbLb1EES15_EEDaS10_S11_EUlS10_E_NS1_11comp_targetILNS1_3genE5ELNS1_11target_archE942ELNS1_3gpuE9ELNS1_3repE0EEENS1_30default_config_static_selectorELNS0_4arch9wavefront6targetE0EEEvT1_, .Lfunc_end1278-_ZN7rocprim17ROCPRIM_400000_NS6detail17trampoline_kernelINS0_14default_configENS1_25partition_config_selectorILNS1_17partition_subalgoE9EiibEEZZNS1_14partition_implILS5_9ELb0ES3_jN6thrust23THRUST_200600_302600_NS10device_ptrIiEESB_PNS0_10empty_typeENS0_5tupleIJSB_SC_EEENSE_IJSB_SD_EEENS0_18inequality_wrapperINS9_8equal_toIiEEEEPmJSC_EEE10hipError_tPvRmT3_T4_T5_T6_T7_T9_mT8_P12ihipStream_tbDpT10_ENKUlT_T0_E_clISt17integral_constantIbLb1EES15_EEDaS10_S11_EUlS10_E_NS1_11comp_targetILNS1_3genE5ELNS1_11target_archE942ELNS1_3gpuE9ELNS1_3repE0EEENS1_30default_config_static_selectorELNS0_4arch9wavefront6targetE0EEEvT1_
                                        ; -- End function
	.section	.AMDGPU.csdata,"",@progbits
; Kernel info:
; codeLenInByte = 0
; NumSgprs: 0
; NumVgprs: 0
; ScratchSize: 0
; MemoryBound: 0
; FloatMode: 240
; IeeeMode: 1
; LDSByteSize: 0 bytes/workgroup (compile time only)
; SGPRBlocks: 0
; VGPRBlocks: 0
; NumSGPRsForWavesPerEU: 1
; NumVGPRsForWavesPerEU: 1
; Occupancy: 16
; WaveLimiterHint : 0
; COMPUTE_PGM_RSRC2:SCRATCH_EN: 0
; COMPUTE_PGM_RSRC2:USER_SGPR: 15
; COMPUTE_PGM_RSRC2:TRAP_HANDLER: 0
; COMPUTE_PGM_RSRC2:TGID_X_EN: 1
; COMPUTE_PGM_RSRC2:TGID_Y_EN: 0
; COMPUTE_PGM_RSRC2:TGID_Z_EN: 0
; COMPUTE_PGM_RSRC2:TIDIG_COMP_CNT: 0
	.section	.text._ZN7rocprim17ROCPRIM_400000_NS6detail17trampoline_kernelINS0_14default_configENS1_25partition_config_selectorILNS1_17partition_subalgoE9EiibEEZZNS1_14partition_implILS5_9ELb0ES3_jN6thrust23THRUST_200600_302600_NS10device_ptrIiEESB_PNS0_10empty_typeENS0_5tupleIJSB_SC_EEENSE_IJSB_SD_EEENS0_18inequality_wrapperINS9_8equal_toIiEEEEPmJSC_EEE10hipError_tPvRmT3_T4_T5_T6_T7_T9_mT8_P12ihipStream_tbDpT10_ENKUlT_T0_E_clISt17integral_constantIbLb1EES15_EEDaS10_S11_EUlS10_E_NS1_11comp_targetILNS1_3genE4ELNS1_11target_archE910ELNS1_3gpuE8ELNS1_3repE0EEENS1_30default_config_static_selectorELNS0_4arch9wavefront6targetE0EEEvT1_,"axG",@progbits,_ZN7rocprim17ROCPRIM_400000_NS6detail17trampoline_kernelINS0_14default_configENS1_25partition_config_selectorILNS1_17partition_subalgoE9EiibEEZZNS1_14partition_implILS5_9ELb0ES3_jN6thrust23THRUST_200600_302600_NS10device_ptrIiEESB_PNS0_10empty_typeENS0_5tupleIJSB_SC_EEENSE_IJSB_SD_EEENS0_18inequality_wrapperINS9_8equal_toIiEEEEPmJSC_EEE10hipError_tPvRmT3_T4_T5_T6_T7_T9_mT8_P12ihipStream_tbDpT10_ENKUlT_T0_E_clISt17integral_constantIbLb1EES15_EEDaS10_S11_EUlS10_E_NS1_11comp_targetILNS1_3genE4ELNS1_11target_archE910ELNS1_3gpuE8ELNS1_3repE0EEENS1_30default_config_static_selectorELNS0_4arch9wavefront6targetE0EEEvT1_,comdat
	.protected	_ZN7rocprim17ROCPRIM_400000_NS6detail17trampoline_kernelINS0_14default_configENS1_25partition_config_selectorILNS1_17partition_subalgoE9EiibEEZZNS1_14partition_implILS5_9ELb0ES3_jN6thrust23THRUST_200600_302600_NS10device_ptrIiEESB_PNS0_10empty_typeENS0_5tupleIJSB_SC_EEENSE_IJSB_SD_EEENS0_18inequality_wrapperINS9_8equal_toIiEEEEPmJSC_EEE10hipError_tPvRmT3_T4_T5_T6_T7_T9_mT8_P12ihipStream_tbDpT10_ENKUlT_T0_E_clISt17integral_constantIbLb1EES15_EEDaS10_S11_EUlS10_E_NS1_11comp_targetILNS1_3genE4ELNS1_11target_archE910ELNS1_3gpuE8ELNS1_3repE0EEENS1_30default_config_static_selectorELNS0_4arch9wavefront6targetE0EEEvT1_ ; -- Begin function _ZN7rocprim17ROCPRIM_400000_NS6detail17trampoline_kernelINS0_14default_configENS1_25partition_config_selectorILNS1_17partition_subalgoE9EiibEEZZNS1_14partition_implILS5_9ELb0ES3_jN6thrust23THRUST_200600_302600_NS10device_ptrIiEESB_PNS0_10empty_typeENS0_5tupleIJSB_SC_EEENSE_IJSB_SD_EEENS0_18inequality_wrapperINS9_8equal_toIiEEEEPmJSC_EEE10hipError_tPvRmT3_T4_T5_T6_T7_T9_mT8_P12ihipStream_tbDpT10_ENKUlT_T0_E_clISt17integral_constantIbLb1EES15_EEDaS10_S11_EUlS10_E_NS1_11comp_targetILNS1_3genE4ELNS1_11target_archE910ELNS1_3gpuE8ELNS1_3repE0EEENS1_30default_config_static_selectorELNS0_4arch9wavefront6targetE0EEEvT1_
	.globl	_ZN7rocprim17ROCPRIM_400000_NS6detail17trampoline_kernelINS0_14default_configENS1_25partition_config_selectorILNS1_17partition_subalgoE9EiibEEZZNS1_14partition_implILS5_9ELb0ES3_jN6thrust23THRUST_200600_302600_NS10device_ptrIiEESB_PNS0_10empty_typeENS0_5tupleIJSB_SC_EEENSE_IJSB_SD_EEENS0_18inequality_wrapperINS9_8equal_toIiEEEEPmJSC_EEE10hipError_tPvRmT3_T4_T5_T6_T7_T9_mT8_P12ihipStream_tbDpT10_ENKUlT_T0_E_clISt17integral_constantIbLb1EES15_EEDaS10_S11_EUlS10_E_NS1_11comp_targetILNS1_3genE4ELNS1_11target_archE910ELNS1_3gpuE8ELNS1_3repE0EEENS1_30default_config_static_selectorELNS0_4arch9wavefront6targetE0EEEvT1_
	.p2align	8
	.type	_ZN7rocprim17ROCPRIM_400000_NS6detail17trampoline_kernelINS0_14default_configENS1_25partition_config_selectorILNS1_17partition_subalgoE9EiibEEZZNS1_14partition_implILS5_9ELb0ES3_jN6thrust23THRUST_200600_302600_NS10device_ptrIiEESB_PNS0_10empty_typeENS0_5tupleIJSB_SC_EEENSE_IJSB_SD_EEENS0_18inequality_wrapperINS9_8equal_toIiEEEEPmJSC_EEE10hipError_tPvRmT3_T4_T5_T6_T7_T9_mT8_P12ihipStream_tbDpT10_ENKUlT_T0_E_clISt17integral_constantIbLb1EES15_EEDaS10_S11_EUlS10_E_NS1_11comp_targetILNS1_3genE4ELNS1_11target_archE910ELNS1_3gpuE8ELNS1_3repE0EEENS1_30default_config_static_selectorELNS0_4arch9wavefront6targetE0EEEvT1_,@function
_ZN7rocprim17ROCPRIM_400000_NS6detail17trampoline_kernelINS0_14default_configENS1_25partition_config_selectorILNS1_17partition_subalgoE9EiibEEZZNS1_14partition_implILS5_9ELb0ES3_jN6thrust23THRUST_200600_302600_NS10device_ptrIiEESB_PNS0_10empty_typeENS0_5tupleIJSB_SC_EEENSE_IJSB_SD_EEENS0_18inequality_wrapperINS9_8equal_toIiEEEEPmJSC_EEE10hipError_tPvRmT3_T4_T5_T6_T7_T9_mT8_P12ihipStream_tbDpT10_ENKUlT_T0_E_clISt17integral_constantIbLb1EES15_EEDaS10_S11_EUlS10_E_NS1_11comp_targetILNS1_3genE4ELNS1_11target_archE910ELNS1_3gpuE8ELNS1_3repE0EEENS1_30default_config_static_selectorELNS0_4arch9wavefront6targetE0EEEvT1_: ; @_ZN7rocprim17ROCPRIM_400000_NS6detail17trampoline_kernelINS0_14default_configENS1_25partition_config_selectorILNS1_17partition_subalgoE9EiibEEZZNS1_14partition_implILS5_9ELb0ES3_jN6thrust23THRUST_200600_302600_NS10device_ptrIiEESB_PNS0_10empty_typeENS0_5tupleIJSB_SC_EEENSE_IJSB_SD_EEENS0_18inequality_wrapperINS9_8equal_toIiEEEEPmJSC_EEE10hipError_tPvRmT3_T4_T5_T6_T7_T9_mT8_P12ihipStream_tbDpT10_ENKUlT_T0_E_clISt17integral_constantIbLb1EES15_EEDaS10_S11_EUlS10_E_NS1_11comp_targetILNS1_3genE4ELNS1_11target_archE910ELNS1_3gpuE8ELNS1_3repE0EEENS1_30default_config_static_selectorELNS0_4arch9wavefront6targetE0EEEvT1_
; %bb.0:
	.section	.rodata,"a",@progbits
	.p2align	6, 0x0
	.amdhsa_kernel _ZN7rocprim17ROCPRIM_400000_NS6detail17trampoline_kernelINS0_14default_configENS1_25partition_config_selectorILNS1_17partition_subalgoE9EiibEEZZNS1_14partition_implILS5_9ELb0ES3_jN6thrust23THRUST_200600_302600_NS10device_ptrIiEESB_PNS0_10empty_typeENS0_5tupleIJSB_SC_EEENSE_IJSB_SD_EEENS0_18inequality_wrapperINS9_8equal_toIiEEEEPmJSC_EEE10hipError_tPvRmT3_T4_T5_T6_T7_T9_mT8_P12ihipStream_tbDpT10_ENKUlT_T0_E_clISt17integral_constantIbLb1EES15_EEDaS10_S11_EUlS10_E_NS1_11comp_targetILNS1_3genE4ELNS1_11target_archE910ELNS1_3gpuE8ELNS1_3repE0EEENS1_30default_config_static_selectorELNS0_4arch9wavefront6targetE0EEEvT1_
		.amdhsa_group_segment_fixed_size 0
		.amdhsa_private_segment_fixed_size 0
		.amdhsa_kernarg_size 128
		.amdhsa_user_sgpr_count 15
		.amdhsa_user_sgpr_dispatch_ptr 0
		.amdhsa_user_sgpr_queue_ptr 0
		.amdhsa_user_sgpr_kernarg_segment_ptr 1
		.amdhsa_user_sgpr_dispatch_id 0
		.amdhsa_user_sgpr_private_segment_size 0
		.amdhsa_wavefront_size32 1
		.amdhsa_uses_dynamic_stack 0
		.amdhsa_enable_private_segment 0
		.amdhsa_system_sgpr_workgroup_id_x 1
		.amdhsa_system_sgpr_workgroup_id_y 0
		.amdhsa_system_sgpr_workgroup_id_z 0
		.amdhsa_system_sgpr_workgroup_info 0
		.amdhsa_system_vgpr_workitem_id 0
		.amdhsa_next_free_vgpr 1
		.amdhsa_next_free_sgpr 1
		.amdhsa_reserve_vcc 0
		.amdhsa_float_round_mode_32 0
		.amdhsa_float_round_mode_16_64 0
		.amdhsa_float_denorm_mode_32 3
		.amdhsa_float_denorm_mode_16_64 3
		.amdhsa_dx10_clamp 1
		.amdhsa_ieee_mode 1
		.amdhsa_fp16_overflow 0
		.amdhsa_workgroup_processor_mode 1
		.amdhsa_memory_ordered 1
		.amdhsa_forward_progress 0
		.amdhsa_shared_vgpr_count 0
		.amdhsa_exception_fp_ieee_invalid_op 0
		.amdhsa_exception_fp_denorm_src 0
		.amdhsa_exception_fp_ieee_div_zero 0
		.amdhsa_exception_fp_ieee_overflow 0
		.amdhsa_exception_fp_ieee_underflow 0
		.amdhsa_exception_fp_ieee_inexact 0
		.amdhsa_exception_int_div_zero 0
	.end_amdhsa_kernel
	.section	.text._ZN7rocprim17ROCPRIM_400000_NS6detail17trampoline_kernelINS0_14default_configENS1_25partition_config_selectorILNS1_17partition_subalgoE9EiibEEZZNS1_14partition_implILS5_9ELb0ES3_jN6thrust23THRUST_200600_302600_NS10device_ptrIiEESB_PNS0_10empty_typeENS0_5tupleIJSB_SC_EEENSE_IJSB_SD_EEENS0_18inequality_wrapperINS9_8equal_toIiEEEEPmJSC_EEE10hipError_tPvRmT3_T4_T5_T6_T7_T9_mT8_P12ihipStream_tbDpT10_ENKUlT_T0_E_clISt17integral_constantIbLb1EES15_EEDaS10_S11_EUlS10_E_NS1_11comp_targetILNS1_3genE4ELNS1_11target_archE910ELNS1_3gpuE8ELNS1_3repE0EEENS1_30default_config_static_selectorELNS0_4arch9wavefront6targetE0EEEvT1_,"axG",@progbits,_ZN7rocprim17ROCPRIM_400000_NS6detail17trampoline_kernelINS0_14default_configENS1_25partition_config_selectorILNS1_17partition_subalgoE9EiibEEZZNS1_14partition_implILS5_9ELb0ES3_jN6thrust23THRUST_200600_302600_NS10device_ptrIiEESB_PNS0_10empty_typeENS0_5tupleIJSB_SC_EEENSE_IJSB_SD_EEENS0_18inequality_wrapperINS9_8equal_toIiEEEEPmJSC_EEE10hipError_tPvRmT3_T4_T5_T6_T7_T9_mT8_P12ihipStream_tbDpT10_ENKUlT_T0_E_clISt17integral_constantIbLb1EES15_EEDaS10_S11_EUlS10_E_NS1_11comp_targetILNS1_3genE4ELNS1_11target_archE910ELNS1_3gpuE8ELNS1_3repE0EEENS1_30default_config_static_selectorELNS0_4arch9wavefront6targetE0EEEvT1_,comdat
.Lfunc_end1279:
	.size	_ZN7rocprim17ROCPRIM_400000_NS6detail17trampoline_kernelINS0_14default_configENS1_25partition_config_selectorILNS1_17partition_subalgoE9EiibEEZZNS1_14partition_implILS5_9ELb0ES3_jN6thrust23THRUST_200600_302600_NS10device_ptrIiEESB_PNS0_10empty_typeENS0_5tupleIJSB_SC_EEENSE_IJSB_SD_EEENS0_18inequality_wrapperINS9_8equal_toIiEEEEPmJSC_EEE10hipError_tPvRmT3_T4_T5_T6_T7_T9_mT8_P12ihipStream_tbDpT10_ENKUlT_T0_E_clISt17integral_constantIbLb1EES15_EEDaS10_S11_EUlS10_E_NS1_11comp_targetILNS1_3genE4ELNS1_11target_archE910ELNS1_3gpuE8ELNS1_3repE0EEENS1_30default_config_static_selectorELNS0_4arch9wavefront6targetE0EEEvT1_, .Lfunc_end1279-_ZN7rocprim17ROCPRIM_400000_NS6detail17trampoline_kernelINS0_14default_configENS1_25partition_config_selectorILNS1_17partition_subalgoE9EiibEEZZNS1_14partition_implILS5_9ELb0ES3_jN6thrust23THRUST_200600_302600_NS10device_ptrIiEESB_PNS0_10empty_typeENS0_5tupleIJSB_SC_EEENSE_IJSB_SD_EEENS0_18inequality_wrapperINS9_8equal_toIiEEEEPmJSC_EEE10hipError_tPvRmT3_T4_T5_T6_T7_T9_mT8_P12ihipStream_tbDpT10_ENKUlT_T0_E_clISt17integral_constantIbLb1EES15_EEDaS10_S11_EUlS10_E_NS1_11comp_targetILNS1_3genE4ELNS1_11target_archE910ELNS1_3gpuE8ELNS1_3repE0EEENS1_30default_config_static_selectorELNS0_4arch9wavefront6targetE0EEEvT1_
                                        ; -- End function
	.section	.AMDGPU.csdata,"",@progbits
; Kernel info:
; codeLenInByte = 0
; NumSgprs: 0
; NumVgprs: 0
; ScratchSize: 0
; MemoryBound: 0
; FloatMode: 240
; IeeeMode: 1
; LDSByteSize: 0 bytes/workgroup (compile time only)
; SGPRBlocks: 0
; VGPRBlocks: 0
; NumSGPRsForWavesPerEU: 1
; NumVGPRsForWavesPerEU: 1
; Occupancy: 15
; WaveLimiterHint : 0
; COMPUTE_PGM_RSRC2:SCRATCH_EN: 0
; COMPUTE_PGM_RSRC2:USER_SGPR: 15
; COMPUTE_PGM_RSRC2:TRAP_HANDLER: 0
; COMPUTE_PGM_RSRC2:TGID_X_EN: 1
; COMPUTE_PGM_RSRC2:TGID_Y_EN: 0
; COMPUTE_PGM_RSRC2:TGID_Z_EN: 0
; COMPUTE_PGM_RSRC2:TIDIG_COMP_CNT: 0
	.section	.text._ZN7rocprim17ROCPRIM_400000_NS6detail17trampoline_kernelINS0_14default_configENS1_25partition_config_selectorILNS1_17partition_subalgoE9EiibEEZZNS1_14partition_implILS5_9ELb0ES3_jN6thrust23THRUST_200600_302600_NS10device_ptrIiEESB_PNS0_10empty_typeENS0_5tupleIJSB_SC_EEENSE_IJSB_SD_EEENS0_18inequality_wrapperINS9_8equal_toIiEEEEPmJSC_EEE10hipError_tPvRmT3_T4_T5_T6_T7_T9_mT8_P12ihipStream_tbDpT10_ENKUlT_T0_E_clISt17integral_constantIbLb1EES15_EEDaS10_S11_EUlS10_E_NS1_11comp_targetILNS1_3genE3ELNS1_11target_archE908ELNS1_3gpuE7ELNS1_3repE0EEENS1_30default_config_static_selectorELNS0_4arch9wavefront6targetE0EEEvT1_,"axG",@progbits,_ZN7rocprim17ROCPRIM_400000_NS6detail17trampoline_kernelINS0_14default_configENS1_25partition_config_selectorILNS1_17partition_subalgoE9EiibEEZZNS1_14partition_implILS5_9ELb0ES3_jN6thrust23THRUST_200600_302600_NS10device_ptrIiEESB_PNS0_10empty_typeENS0_5tupleIJSB_SC_EEENSE_IJSB_SD_EEENS0_18inequality_wrapperINS9_8equal_toIiEEEEPmJSC_EEE10hipError_tPvRmT3_T4_T5_T6_T7_T9_mT8_P12ihipStream_tbDpT10_ENKUlT_T0_E_clISt17integral_constantIbLb1EES15_EEDaS10_S11_EUlS10_E_NS1_11comp_targetILNS1_3genE3ELNS1_11target_archE908ELNS1_3gpuE7ELNS1_3repE0EEENS1_30default_config_static_selectorELNS0_4arch9wavefront6targetE0EEEvT1_,comdat
	.protected	_ZN7rocprim17ROCPRIM_400000_NS6detail17trampoline_kernelINS0_14default_configENS1_25partition_config_selectorILNS1_17partition_subalgoE9EiibEEZZNS1_14partition_implILS5_9ELb0ES3_jN6thrust23THRUST_200600_302600_NS10device_ptrIiEESB_PNS0_10empty_typeENS0_5tupleIJSB_SC_EEENSE_IJSB_SD_EEENS0_18inequality_wrapperINS9_8equal_toIiEEEEPmJSC_EEE10hipError_tPvRmT3_T4_T5_T6_T7_T9_mT8_P12ihipStream_tbDpT10_ENKUlT_T0_E_clISt17integral_constantIbLb1EES15_EEDaS10_S11_EUlS10_E_NS1_11comp_targetILNS1_3genE3ELNS1_11target_archE908ELNS1_3gpuE7ELNS1_3repE0EEENS1_30default_config_static_selectorELNS0_4arch9wavefront6targetE0EEEvT1_ ; -- Begin function _ZN7rocprim17ROCPRIM_400000_NS6detail17trampoline_kernelINS0_14default_configENS1_25partition_config_selectorILNS1_17partition_subalgoE9EiibEEZZNS1_14partition_implILS5_9ELb0ES3_jN6thrust23THRUST_200600_302600_NS10device_ptrIiEESB_PNS0_10empty_typeENS0_5tupleIJSB_SC_EEENSE_IJSB_SD_EEENS0_18inequality_wrapperINS9_8equal_toIiEEEEPmJSC_EEE10hipError_tPvRmT3_T4_T5_T6_T7_T9_mT8_P12ihipStream_tbDpT10_ENKUlT_T0_E_clISt17integral_constantIbLb1EES15_EEDaS10_S11_EUlS10_E_NS1_11comp_targetILNS1_3genE3ELNS1_11target_archE908ELNS1_3gpuE7ELNS1_3repE0EEENS1_30default_config_static_selectorELNS0_4arch9wavefront6targetE0EEEvT1_
	.globl	_ZN7rocprim17ROCPRIM_400000_NS6detail17trampoline_kernelINS0_14default_configENS1_25partition_config_selectorILNS1_17partition_subalgoE9EiibEEZZNS1_14partition_implILS5_9ELb0ES3_jN6thrust23THRUST_200600_302600_NS10device_ptrIiEESB_PNS0_10empty_typeENS0_5tupleIJSB_SC_EEENSE_IJSB_SD_EEENS0_18inequality_wrapperINS9_8equal_toIiEEEEPmJSC_EEE10hipError_tPvRmT3_T4_T5_T6_T7_T9_mT8_P12ihipStream_tbDpT10_ENKUlT_T0_E_clISt17integral_constantIbLb1EES15_EEDaS10_S11_EUlS10_E_NS1_11comp_targetILNS1_3genE3ELNS1_11target_archE908ELNS1_3gpuE7ELNS1_3repE0EEENS1_30default_config_static_selectorELNS0_4arch9wavefront6targetE0EEEvT1_
	.p2align	8
	.type	_ZN7rocprim17ROCPRIM_400000_NS6detail17trampoline_kernelINS0_14default_configENS1_25partition_config_selectorILNS1_17partition_subalgoE9EiibEEZZNS1_14partition_implILS5_9ELb0ES3_jN6thrust23THRUST_200600_302600_NS10device_ptrIiEESB_PNS0_10empty_typeENS0_5tupleIJSB_SC_EEENSE_IJSB_SD_EEENS0_18inequality_wrapperINS9_8equal_toIiEEEEPmJSC_EEE10hipError_tPvRmT3_T4_T5_T6_T7_T9_mT8_P12ihipStream_tbDpT10_ENKUlT_T0_E_clISt17integral_constantIbLb1EES15_EEDaS10_S11_EUlS10_E_NS1_11comp_targetILNS1_3genE3ELNS1_11target_archE908ELNS1_3gpuE7ELNS1_3repE0EEENS1_30default_config_static_selectorELNS0_4arch9wavefront6targetE0EEEvT1_,@function
_ZN7rocprim17ROCPRIM_400000_NS6detail17trampoline_kernelINS0_14default_configENS1_25partition_config_selectorILNS1_17partition_subalgoE9EiibEEZZNS1_14partition_implILS5_9ELb0ES3_jN6thrust23THRUST_200600_302600_NS10device_ptrIiEESB_PNS0_10empty_typeENS0_5tupleIJSB_SC_EEENSE_IJSB_SD_EEENS0_18inequality_wrapperINS9_8equal_toIiEEEEPmJSC_EEE10hipError_tPvRmT3_T4_T5_T6_T7_T9_mT8_P12ihipStream_tbDpT10_ENKUlT_T0_E_clISt17integral_constantIbLb1EES15_EEDaS10_S11_EUlS10_E_NS1_11comp_targetILNS1_3genE3ELNS1_11target_archE908ELNS1_3gpuE7ELNS1_3repE0EEENS1_30default_config_static_selectorELNS0_4arch9wavefront6targetE0EEEvT1_: ; @_ZN7rocprim17ROCPRIM_400000_NS6detail17trampoline_kernelINS0_14default_configENS1_25partition_config_selectorILNS1_17partition_subalgoE9EiibEEZZNS1_14partition_implILS5_9ELb0ES3_jN6thrust23THRUST_200600_302600_NS10device_ptrIiEESB_PNS0_10empty_typeENS0_5tupleIJSB_SC_EEENSE_IJSB_SD_EEENS0_18inequality_wrapperINS9_8equal_toIiEEEEPmJSC_EEE10hipError_tPvRmT3_T4_T5_T6_T7_T9_mT8_P12ihipStream_tbDpT10_ENKUlT_T0_E_clISt17integral_constantIbLb1EES15_EEDaS10_S11_EUlS10_E_NS1_11comp_targetILNS1_3genE3ELNS1_11target_archE908ELNS1_3gpuE7ELNS1_3repE0EEENS1_30default_config_static_selectorELNS0_4arch9wavefront6targetE0EEEvT1_
; %bb.0:
	.section	.rodata,"a",@progbits
	.p2align	6, 0x0
	.amdhsa_kernel _ZN7rocprim17ROCPRIM_400000_NS6detail17trampoline_kernelINS0_14default_configENS1_25partition_config_selectorILNS1_17partition_subalgoE9EiibEEZZNS1_14partition_implILS5_9ELb0ES3_jN6thrust23THRUST_200600_302600_NS10device_ptrIiEESB_PNS0_10empty_typeENS0_5tupleIJSB_SC_EEENSE_IJSB_SD_EEENS0_18inequality_wrapperINS9_8equal_toIiEEEEPmJSC_EEE10hipError_tPvRmT3_T4_T5_T6_T7_T9_mT8_P12ihipStream_tbDpT10_ENKUlT_T0_E_clISt17integral_constantIbLb1EES15_EEDaS10_S11_EUlS10_E_NS1_11comp_targetILNS1_3genE3ELNS1_11target_archE908ELNS1_3gpuE7ELNS1_3repE0EEENS1_30default_config_static_selectorELNS0_4arch9wavefront6targetE0EEEvT1_
		.amdhsa_group_segment_fixed_size 0
		.amdhsa_private_segment_fixed_size 0
		.amdhsa_kernarg_size 128
		.amdhsa_user_sgpr_count 15
		.amdhsa_user_sgpr_dispatch_ptr 0
		.amdhsa_user_sgpr_queue_ptr 0
		.amdhsa_user_sgpr_kernarg_segment_ptr 1
		.amdhsa_user_sgpr_dispatch_id 0
		.amdhsa_user_sgpr_private_segment_size 0
		.amdhsa_wavefront_size32 1
		.amdhsa_uses_dynamic_stack 0
		.amdhsa_enable_private_segment 0
		.amdhsa_system_sgpr_workgroup_id_x 1
		.amdhsa_system_sgpr_workgroup_id_y 0
		.amdhsa_system_sgpr_workgroup_id_z 0
		.amdhsa_system_sgpr_workgroup_info 0
		.amdhsa_system_vgpr_workitem_id 0
		.amdhsa_next_free_vgpr 1
		.amdhsa_next_free_sgpr 1
		.amdhsa_reserve_vcc 0
		.amdhsa_float_round_mode_32 0
		.amdhsa_float_round_mode_16_64 0
		.amdhsa_float_denorm_mode_32 3
		.amdhsa_float_denorm_mode_16_64 3
		.amdhsa_dx10_clamp 1
		.amdhsa_ieee_mode 1
		.amdhsa_fp16_overflow 0
		.amdhsa_workgroup_processor_mode 1
		.amdhsa_memory_ordered 1
		.amdhsa_forward_progress 0
		.amdhsa_shared_vgpr_count 0
		.amdhsa_exception_fp_ieee_invalid_op 0
		.amdhsa_exception_fp_denorm_src 0
		.amdhsa_exception_fp_ieee_div_zero 0
		.amdhsa_exception_fp_ieee_overflow 0
		.amdhsa_exception_fp_ieee_underflow 0
		.amdhsa_exception_fp_ieee_inexact 0
		.amdhsa_exception_int_div_zero 0
	.end_amdhsa_kernel
	.section	.text._ZN7rocprim17ROCPRIM_400000_NS6detail17trampoline_kernelINS0_14default_configENS1_25partition_config_selectorILNS1_17partition_subalgoE9EiibEEZZNS1_14partition_implILS5_9ELb0ES3_jN6thrust23THRUST_200600_302600_NS10device_ptrIiEESB_PNS0_10empty_typeENS0_5tupleIJSB_SC_EEENSE_IJSB_SD_EEENS0_18inequality_wrapperINS9_8equal_toIiEEEEPmJSC_EEE10hipError_tPvRmT3_T4_T5_T6_T7_T9_mT8_P12ihipStream_tbDpT10_ENKUlT_T0_E_clISt17integral_constantIbLb1EES15_EEDaS10_S11_EUlS10_E_NS1_11comp_targetILNS1_3genE3ELNS1_11target_archE908ELNS1_3gpuE7ELNS1_3repE0EEENS1_30default_config_static_selectorELNS0_4arch9wavefront6targetE0EEEvT1_,"axG",@progbits,_ZN7rocprim17ROCPRIM_400000_NS6detail17trampoline_kernelINS0_14default_configENS1_25partition_config_selectorILNS1_17partition_subalgoE9EiibEEZZNS1_14partition_implILS5_9ELb0ES3_jN6thrust23THRUST_200600_302600_NS10device_ptrIiEESB_PNS0_10empty_typeENS0_5tupleIJSB_SC_EEENSE_IJSB_SD_EEENS0_18inequality_wrapperINS9_8equal_toIiEEEEPmJSC_EEE10hipError_tPvRmT3_T4_T5_T6_T7_T9_mT8_P12ihipStream_tbDpT10_ENKUlT_T0_E_clISt17integral_constantIbLb1EES15_EEDaS10_S11_EUlS10_E_NS1_11comp_targetILNS1_3genE3ELNS1_11target_archE908ELNS1_3gpuE7ELNS1_3repE0EEENS1_30default_config_static_selectorELNS0_4arch9wavefront6targetE0EEEvT1_,comdat
.Lfunc_end1280:
	.size	_ZN7rocprim17ROCPRIM_400000_NS6detail17trampoline_kernelINS0_14default_configENS1_25partition_config_selectorILNS1_17partition_subalgoE9EiibEEZZNS1_14partition_implILS5_9ELb0ES3_jN6thrust23THRUST_200600_302600_NS10device_ptrIiEESB_PNS0_10empty_typeENS0_5tupleIJSB_SC_EEENSE_IJSB_SD_EEENS0_18inequality_wrapperINS9_8equal_toIiEEEEPmJSC_EEE10hipError_tPvRmT3_T4_T5_T6_T7_T9_mT8_P12ihipStream_tbDpT10_ENKUlT_T0_E_clISt17integral_constantIbLb1EES15_EEDaS10_S11_EUlS10_E_NS1_11comp_targetILNS1_3genE3ELNS1_11target_archE908ELNS1_3gpuE7ELNS1_3repE0EEENS1_30default_config_static_selectorELNS0_4arch9wavefront6targetE0EEEvT1_, .Lfunc_end1280-_ZN7rocprim17ROCPRIM_400000_NS6detail17trampoline_kernelINS0_14default_configENS1_25partition_config_selectorILNS1_17partition_subalgoE9EiibEEZZNS1_14partition_implILS5_9ELb0ES3_jN6thrust23THRUST_200600_302600_NS10device_ptrIiEESB_PNS0_10empty_typeENS0_5tupleIJSB_SC_EEENSE_IJSB_SD_EEENS0_18inequality_wrapperINS9_8equal_toIiEEEEPmJSC_EEE10hipError_tPvRmT3_T4_T5_T6_T7_T9_mT8_P12ihipStream_tbDpT10_ENKUlT_T0_E_clISt17integral_constantIbLb1EES15_EEDaS10_S11_EUlS10_E_NS1_11comp_targetILNS1_3genE3ELNS1_11target_archE908ELNS1_3gpuE7ELNS1_3repE0EEENS1_30default_config_static_selectorELNS0_4arch9wavefront6targetE0EEEvT1_
                                        ; -- End function
	.section	.AMDGPU.csdata,"",@progbits
; Kernel info:
; codeLenInByte = 0
; NumSgprs: 0
; NumVgprs: 0
; ScratchSize: 0
; MemoryBound: 0
; FloatMode: 240
; IeeeMode: 1
; LDSByteSize: 0 bytes/workgroup (compile time only)
; SGPRBlocks: 0
; VGPRBlocks: 0
; NumSGPRsForWavesPerEU: 1
; NumVGPRsForWavesPerEU: 1
; Occupancy: 16
; WaveLimiterHint : 0
; COMPUTE_PGM_RSRC2:SCRATCH_EN: 0
; COMPUTE_PGM_RSRC2:USER_SGPR: 15
; COMPUTE_PGM_RSRC2:TRAP_HANDLER: 0
; COMPUTE_PGM_RSRC2:TGID_X_EN: 1
; COMPUTE_PGM_RSRC2:TGID_Y_EN: 0
; COMPUTE_PGM_RSRC2:TGID_Z_EN: 0
; COMPUTE_PGM_RSRC2:TIDIG_COMP_CNT: 0
	.section	.text._ZN7rocprim17ROCPRIM_400000_NS6detail17trampoline_kernelINS0_14default_configENS1_25partition_config_selectorILNS1_17partition_subalgoE9EiibEEZZNS1_14partition_implILS5_9ELb0ES3_jN6thrust23THRUST_200600_302600_NS10device_ptrIiEESB_PNS0_10empty_typeENS0_5tupleIJSB_SC_EEENSE_IJSB_SD_EEENS0_18inequality_wrapperINS9_8equal_toIiEEEEPmJSC_EEE10hipError_tPvRmT3_T4_T5_T6_T7_T9_mT8_P12ihipStream_tbDpT10_ENKUlT_T0_E_clISt17integral_constantIbLb1EES15_EEDaS10_S11_EUlS10_E_NS1_11comp_targetILNS1_3genE2ELNS1_11target_archE906ELNS1_3gpuE6ELNS1_3repE0EEENS1_30default_config_static_selectorELNS0_4arch9wavefront6targetE0EEEvT1_,"axG",@progbits,_ZN7rocprim17ROCPRIM_400000_NS6detail17trampoline_kernelINS0_14default_configENS1_25partition_config_selectorILNS1_17partition_subalgoE9EiibEEZZNS1_14partition_implILS5_9ELb0ES3_jN6thrust23THRUST_200600_302600_NS10device_ptrIiEESB_PNS0_10empty_typeENS0_5tupleIJSB_SC_EEENSE_IJSB_SD_EEENS0_18inequality_wrapperINS9_8equal_toIiEEEEPmJSC_EEE10hipError_tPvRmT3_T4_T5_T6_T7_T9_mT8_P12ihipStream_tbDpT10_ENKUlT_T0_E_clISt17integral_constantIbLb1EES15_EEDaS10_S11_EUlS10_E_NS1_11comp_targetILNS1_3genE2ELNS1_11target_archE906ELNS1_3gpuE6ELNS1_3repE0EEENS1_30default_config_static_selectorELNS0_4arch9wavefront6targetE0EEEvT1_,comdat
	.protected	_ZN7rocprim17ROCPRIM_400000_NS6detail17trampoline_kernelINS0_14default_configENS1_25partition_config_selectorILNS1_17partition_subalgoE9EiibEEZZNS1_14partition_implILS5_9ELb0ES3_jN6thrust23THRUST_200600_302600_NS10device_ptrIiEESB_PNS0_10empty_typeENS0_5tupleIJSB_SC_EEENSE_IJSB_SD_EEENS0_18inequality_wrapperINS9_8equal_toIiEEEEPmJSC_EEE10hipError_tPvRmT3_T4_T5_T6_T7_T9_mT8_P12ihipStream_tbDpT10_ENKUlT_T0_E_clISt17integral_constantIbLb1EES15_EEDaS10_S11_EUlS10_E_NS1_11comp_targetILNS1_3genE2ELNS1_11target_archE906ELNS1_3gpuE6ELNS1_3repE0EEENS1_30default_config_static_selectorELNS0_4arch9wavefront6targetE0EEEvT1_ ; -- Begin function _ZN7rocprim17ROCPRIM_400000_NS6detail17trampoline_kernelINS0_14default_configENS1_25partition_config_selectorILNS1_17partition_subalgoE9EiibEEZZNS1_14partition_implILS5_9ELb0ES3_jN6thrust23THRUST_200600_302600_NS10device_ptrIiEESB_PNS0_10empty_typeENS0_5tupleIJSB_SC_EEENSE_IJSB_SD_EEENS0_18inequality_wrapperINS9_8equal_toIiEEEEPmJSC_EEE10hipError_tPvRmT3_T4_T5_T6_T7_T9_mT8_P12ihipStream_tbDpT10_ENKUlT_T0_E_clISt17integral_constantIbLb1EES15_EEDaS10_S11_EUlS10_E_NS1_11comp_targetILNS1_3genE2ELNS1_11target_archE906ELNS1_3gpuE6ELNS1_3repE0EEENS1_30default_config_static_selectorELNS0_4arch9wavefront6targetE0EEEvT1_
	.globl	_ZN7rocprim17ROCPRIM_400000_NS6detail17trampoline_kernelINS0_14default_configENS1_25partition_config_selectorILNS1_17partition_subalgoE9EiibEEZZNS1_14partition_implILS5_9ELb0ES3_jN6thrust23THRUST_200600_302600_NS10device_ptrIiEESB_PNS0_10empty_typeENS0_5tupleIJSB_SC_EEENSE_IJSB_SD_EEENS0_18inequality_wrapperINS9_8equal_toIiEEEEPmJSC_EEE10hipError_tPvRmT3_T4_T5_T6_T7_T9_mT8_P12ihipStream_tbDpT10_ENKUlT_T0_E_clISt17integral_constantIbLb1EES15_EEDaS10_S11_EUlS10_E_NS1_11comp_targetILNS1_3genE2ELNS1_11target_archE906ELNS1_3gpuE6ELNS1_3repE0EEENS1_30default_config_static_selectorELNS0_4arch9wavefront6targetE0EEEvT1_
	.p2align	8
	.type	_ZN7rocprim17ROCPRIM_400000_NS6detail17trampoline_kernelINS0_14default_configENS1_25partition_config_selectorILNS1_17partition_subalgoE9EiibEEZZNS1_14partition_implILS5_9ELb0ES3_jN6thrust23THRUST_200600_302600_NS10device_ptrIiEESB_PNS0_10empty_typeENS0_5tupleIJSB_SC_EEENSE_IJSB_SD_EEENS0_18inequality_wrapperINS9_8equal_toIiEEEEPmJSC_EEE10hipError_tPvRmT3_T4_T5_T6_T7_T9_mT8_P12ihipStream_tbDpT10_ENKUlT_T0_E_clISt17integral_constantIbLb1EES15_EEDaS10_S11_EUlS10_E_NS1_11comp_targetILNS1_3genE2ELNS1_11target_archE906ELNS1_3gpuE6ELNS1_3repE0EEENS1_30default_config_static_selectorELNS0_4arch9wavefront6targetE0EEEvT1_,@function
_ZN7rocprim17ROCPRIM_400000_NS6detail17trampoline_kernelINS0_14default_configENS1_25partition_config_selectorILNS1_17partition_subalgoE9EiibEEZZNS1_14partition_implILS5_9ELb0ES3_jN6thrust23THRUST_200600_302600_NS10device_ptrIiEESB_PNS0_10empty_typeENS0_5tupleIJSB_SC_EEENSE_IJSB_SD_EEENS0_18inequality_wrapperINS9_8equal_toIiEEEEPmJSC_EEE10hipError_tPvRmT3_T4_T5_T6_T7_T9_mT8_P12ihipStream_tbDpT10_ENKUlT_T0_E_clISt17integral_constantIbLb1EES15_EEDaS10_S11_EUlS10_E_NS1_11comp_targetILNS1_3genE2ELNS1_11target_archE906ELNS1_3gpuE6ELNS1_3repE0EEENS1_30default_config_static_selectorELNS0_4arch9wavefront6targetE0EEEvT1_: ; @_ZN7rocprim17ROCPRIM_400000_NS6detail17trampoline_kernelINS0_14default_configENS1_25partition_config_selectorILNS1_17partition_subalgoE9EiibEEZZNS1_14partition_implILS5_9ELb0ES3_jN6thrust23THRUST_200600_302600_NS10device_ptrIiEESB_PNS0_10empty_typeENS0_5tupleIJSB_SC_EEENSE_IJSB_SD_EEENS0_18inequality_wrapperINS9_8equal_toIiEEEEPmJSC_EEE10hipError_tPvRmT3_T4_T5_T6_T7_T9_mT8_P12ihipStream_tbDpT10_ENKUlT_T0_E_clISt17integral_constantIbLb1EES15_EEDaS10_S11_EUlS10_E_NS1_11comp_targetILNS1_3genE2ELNS1_11target_archE906ELNS1_3gpuE6ELNS1_3repE0EEENS1_30default_config_static_selectorELNS0_4arch9wavefront6targetE0EEEvT1_
; %bb.0:
	.section	.rodata,"a",@progbits
	.p2align	6, 0x0
	.amdhsa_kernel _ZN7rocprim17ROCPRIM_400000_NS6detail17trampoline_kernelINS0_14default_configENS1_25partition_config_selectorILNS1_17partition_subalgoE9EiibEEZZNS1_14partition_implILS5_9ELb0ES3_jN6thrust23THRUST_200600_302600_NS10device_ptrIiEESB_PNS0_10empty_typeENS0_5tupleIJSB_SC_EEENSE_IJSB_SD_EEENS0_18inequality_wrapperINS9_8equal_toIiEEEEPmJSC_EEE10hipError_tPvRmT3_T4_T5_T6_T7_T9_mT8_P12ihipStream_tbDpT10_ENKUlT_T0_E_clISt17integral_constantIbLb1EES15_EEDaS10_S11_EUlS10_E_NS1_11comp_targetILNS1_3genE2ELNS1_11target_archE906ELNS1_3gpuE6ELNS1_3repE0EEENS1_30default_config_static_selectorELNS0_4arch9wavefront6targetE0EEEvT1_
		.amdhsa_group_segment_fixed_size 0
		.amdhsa_private_segment_fixed_size 0
		.amdhsa_kernarg_size 128
		.amdhsa_user_sgpr_count 15
		.amdhsa_user_sgpr_dispatch_ptr 0
		.amdhsa_user_sgpr_queue_ptr 0
		.amdhsa_user_sgpr_kernarg_segment_ptr 1
		.amdhsa_user_sgpr_dispatch_id 0
		.amdhsa_user_sgpr_private_segment_size 0
		.amdhsa_wavefront_size32 1
		.amdhsa_uses_dynamic_stack 0
		.amdhsa_enable_private_segment 0
		.amdhsa_system_sgpr_workgroup_id_x 1
		.amdhsa_system_sgpr_workgroup_id_y 0
		.amdhsa_system_sgpr_workgroup_id_z 0
		.amdhsa_system_sgpr_workgroup_info 0
		.amdhsa_system_vgpr_workitem_id 0
		.amdhsa_next_free_vgpr 1
		.amdhsa_next_free_sgpr 1
		.amdhsa_reserve_vcc 0
		.amdhsa_float_round_mode_32 0
		.amdhsa_float_round_mode_16_64 0
		.amdhsa_float_denorm_mode_32 3
		.amdhsa_float_denorm_mode_16_64 3
		.amdhsa_dx10_clamp 1
		.amdhsa_ieee_mode 1
		.amdhsa_fp16_overflow 0
		.amdhsa_workgroup_processor_mode 1
		.amdhsa_memory_ordered 1
		.amdhsa_forward_progress 0
		.amdhsa_shared_vgpr_count 0
		.amdhsa_exception_fp_ieee_invalid_op 0
		.amdhsa_exception_fp_denorm_src 0
		.amdhsa_exception_fp_ieee_div_zero 0
		.amdhsa_exception_fp_ieee_overflow 0
		.amdhsa_exception_fp_ieee_underflow 0
		.amdhsa_exception_fp_ieee_inexact 0
		.amdhsa_exception_int_div_zero 0
	.end_amdhsa_kernel
	.section	.text._ZN7rocprim17ROCPRIM_400000_NS6detail17trampoline_kernelINS0_14default_configENS1_25partition_config_selectorILNS1_17partition_subalgoE9EiibEEZZNS1_14partition_implILS5_9ELb0ES3_jN6thrust23THRUST_200600_302600_NS10device_ptrIiEESB_PNS0_10empty_typeENS0_5tupleIJSB_SC_EEENSE_IJSB_SD_EEENS0_18inequality_wrapperINS9_8equal_toIiEEEEPmJSC_EEE10hipError_tPvRmT3_T4_T5_T6_T7_T9_mT8_P12ihipStream_tbDpT10_ENKUlT_T0_E_clISt17integral_constantIbLb1EES15_EEDaS10_S11_EUlS10_E_NS1_11comp_targetILNS1_3genE2ELNS1_11target_archE906ELNS1_3gpuE6ELNS1_3repE0EEENS1_30default_config_static_selectorELNS0_4arch9wavefront6targetE0EEEvT1_,"axG",@progbits,_ZN7rocprim17ROCPRIM_400000_NS6detail17trampoline_kernelINS0_14default_configENS1_25partition_config_selectorILNS1_17partition_subalgoE9EiibEEZZNS1_14partition_implILS5_9ELb0ES3_jN6thrust23THRUST_200600_302600_NS10device_ptrIiEESB_PNS0_10empty_typeENS0_5tupleIJSB_SC_EEENSE_IJSB_SD_EEENS0_18inequality_wrapperINS9_8equal_toIiEEEEPmJSC_EEE10hipError_tPvRmT3_T4_T5_T6_T7_T9_mT8_P12ihipStream_tbDpT10_ENKUlT_T0_E_clISt17integral_constantIbLb1EES15_EEDaS10_S11_EUlS10_E_NS1_11comp_targetILNS1_3genE2ELNS1_11target_archE906ELNS1_3gpuE6ELNS1_3repE0EEENS1_30default_config_static_selectorELNS0_4arch9wavefront6targetE0EEEvT1_,comdat
.Lfunc_end1281:
	.size	_ZN7rocprim17ROCPRIM_400000_NS6detail17trampoline_kernelINS0_14default_configENS1_25partition_config_selectorILNS1_17partition_subalgoE9EiibEEZZNS1_14partition_implILS5_9ELb0ES3_jN6thrust23THRUST_200600_302600_NS10device_ptrIiEESB_PNS0_10empty_typeENS0_5tupleIJSB_SC_EEENSE_IJSB_SD_EEENS0_18inequality_wrapperINS9_8equal_toIiEEEEPmJSC_EEE10hipError_tPvRmT3_T4_T5_T6_T7_T9_mT8_P12ihipStream_tbDpT10_ENKUlT_T0_E_clISt17integral_constantIbLb1EES15_EEDaS10_S11_EUlS10_E_NS1_11comp_targetILNS1_3genE2ELNS1_11target_archE906ELNS1_3gpuE6ELNS1_3repE0EEENS1_30default_config_static_selectorELNS0_4arch9wavefront6targetE0EEEvT1_, .Lfunc_end1281-_ZN7rocprim17ROCPRIM_400000_NS6detail17trampoline_kernelINS0_14default_configENS1_25partition_config_selectorILNS1_17partition_subalgoE9EiibEEZZNS1_14partition_implILS5_9ELb0ES3_jN6thrust23THRUST_200600_302600_NS10device_ptrIiEESB_PNS0_10empty_typeENS0_5tupleIJSB_SC_EEENSE_IJSB_SD_EEENS0_18inequality_wrapperINS9_8equal_toIiEEEEPmJSC_EEE10hipError_tPvRmT3_T4_T5_T6_T7_T9_mT8_P12ihipStream_tbDpT10_ENKUlT_T0_E_clISt17integral_constantIbLb1EES15_EEDaS10_S11_EUlS10_E_NS1_11comp_targetILNS1_3genE2ELNS1_11target_archE906ELNS1_3gpuE6ELNS1_3repE0EEENS1_30default_config_static_selectorELNS0_4arch9wavefront6targetE0EEEvT1_
                                        ; -- End function
	.section	.AMDGPU.csdata,"",@progbits
; Kernel info:
; codeLenInByte = 0
; NumSgprs: 0
; NumVgprs: 0
; ScratchSize: 0
; MemoryBound: 0
; FloatMode: 240
; IeeeMode: 1
; LDSByteSize: 0 bytes/workgroup (compile time only)
; SGPRBlocks: 0
; VGPRBlocks: 0
; NumSGPRsForWavesPerEU: 1
; NumVGPRsForWavesPerEU: 1
; Occupancy: 16
; WaveLimiterHint : 0
; COMPUTE_PGM_RSRC2:SCRATCH_EN: 0
; COMPUTE_PGM_RSRC2:USER_SGPR: 15
; COMPUTE_PGM_RSRC2:TRAP_HANDLER: 0
; COMPUTE_PGM_RSRC2:TGID_X_EN: 1
; COMPUTE_PGM_RSRC2:TGID_Y_EN: 0
; COMPUTE_PGM_RSRC2:TGID_Z_EN: 0
; COMPUTE_PGM_RSRC2:TIDIG_COMP_CNT: 0
	.section	.text._ZN7rocprim17ROCPRIM_400000_NS6detail17trampoline_kernelINS0_14default_configENS1_25partition_config_selectorILNS1_17partition_subalgoE9EiibEEZZNS1_14partition_implILS5_9ELb0ES3_jN6thrust23THRUST_200600_302600_NS10device_ptrIiEESB_PNS0_10empty_typeENS0_5tupleIJSB_SC_EEENSE_IJSB_SD_EEENS0_18inequality_wrapperINS9_8equal_toIiEEEEPmJSC_EEE10hipError_tPvRmT3_T4_T5_T6_T7_T9_mT8_P12ihipStream_tbDpT10_ENKUlT_T0_E_clISt17integral_constantIbLb1EES15_EEDaS10_S11_EUlS10_E_NS1_11comp_targetILNS1_3genE10ELNS1_11target_archE1200ELNS1_3gpuE4ELNS1_3repE0EEENS1_30default_config_static_selectorELNS0_4arch9wavefront6targetE0EEEvT1_,"axG",@progbits,_ZN7rocprim17ROCPRIM_400000_NS6detail17trampoline_kernelINS0_14default_configENS1_25partition_config_selectorILNS1_17partition_subalgoE9EiibEEZZNS1_14partition_implILS5_9ELb0ES3_jN6thrust23THRUST_200600_302600_NS10device_ptrIiEESB_PNS0_10empty_typeENS0_5tupleIJSB_SC_EEENSE_IJSB_SD_EEENS0_18inequality_wrapperINS9_8equal_toIiEEEEPmJSC_EEE10hipError_tPvRmT3_T4_T5_T6_T7_T9_mT8_P12ihipStream_tbDpT10_ENKUlT_T0_E_clISt17integral_constantIbLb1EES15_EEDaS10_S11_EUlS10_E_NS1_11comp_targetILNS1_3genE10ELNS1_11target_archE1200ELNS1_3gpuE4ELNS1_3repE0EEENS1_30default_config_static_selectorELNS0_4arch9wavefront6targetE0EEEvT1_,comdat
	.protected	_ZN7rocprim17ROCPRIM_400000_NS6detail17trampoline_kernelINS0_14default_configENS1_25partition_config_selectorILNS1_17partition_subalgoE9EiibEEZZNS1_14partition_implILS5_9ELb0ES3_jN6thrust23THRUST_200600_302600_NS10device_ptrIiEESB_PNS0_10empty_typeENS0_5tupleIJSB_SC_EEENSE_IJSB_SD_EEENS0_18inequality_wrapperINS9_8equal_toIiEEEEPmJSC_EEE10hipError_tPvRmT3_T4_T5_T6_T7_T9_mT8_P12ihipStream_tbDpT10_ENKUlT_T0_E_clISt17integral_constantIbLb1EES15_EEDaS10_S11_EUlS10_E_NS1_11comp_targetILNS1_3genE10ELNS1_11target_archE1200ELNS1_3gpuE4ELNS1_3repE0EEENS1_30default_config_static_selectorELNS0_4arch9wavefront6targetE0EEEvT1_ ; -- Begin function _ZN7rocprim17ROCPRIM_400000_NS6detail17trampoline_kernelINS0_14default_configENS1_25partition_config_selectorILNS1_17partition_subalgoE9EiibEEZZNS1_14partition_implILS5_9ELb0ES3_jN6thrust23THRUST_200600_302600_NS10device_ptrIiEESB_PNS0_10empty_typeENS0_5tupleIJSB_SC_EEENSE_IJSB_SD_EEENS0_18inequality_wrapperINS9_8equal_toIiEEEEPmJSC_EEE10hipError_tPvRmT3_T4_T5_T6_T7_T9_mT8_P12ihipStream_tbDpT10_ENKUlT_T0_E_clISt17integral_constantIbLb1EES15_EEDaS10_S11_EUlS10_E_NS1_11comp_targetILNS1_3genE10ELNS1_11target_archE1200ELNS1_3gpuE4ELNS1_3repE0EEENS1_30default_config_static_selectorELNS0_4arch9wavefront6targetE0EEEvT1_
	.globl	_ZN7rocprim17ROCPRIM_400000_NS6detail17trampoline_kernelINS0_14default_configENS1_25partition_config_selectorILNS1_17partition_subalgoE9EiibEEZZNS1_14partition_implILS5_9ELb0ES3_jN6thrust23THRUST_200600_302600_NS10device_ptrIiEESB_PNS0_10empty_typeENS0_5tupleIJSB_SC_EEENSE_IJSB_SD_EEENS0_18inequality_wrapperINS9_8equal_toIiEEEEPmJSC_EEE10hipError_tPvRmT3_T4_T5_T6_T7_T9_mT8_P12ihipStream_tbDpT10_ENKUlT_T0_E_clISt17integral_constantIbLb1EES15_EEDaS10_S11_EUlS10_E_NS1_11comp_targetILNS1_3genE10ELNS1_11target_archE1200ELNS1_3gpuE4ELNS1_3repE0EEENS1_30default_config_static_selectorELNS0_4arch9wavefront6targetE0EEEvT1_
	.p2align	8
	.type	_ZN7rocprim17ROCPRIM_400000_NS6detail17trampoline_kernelINS0_14default_configENS1_25partition_config_selectorILNS1_17partition_subalgoE9EiibEEZZNS1_14partition_implILS5_9ELb0ES3_jN6thrust23THRUST_200600_302600_NS10device_ptrIiEESB_PNS0_10empty_typeENS0_5tupleIJSB_SC_EEENSE_IJSB_SD_EEENS0_18inequality_wrapperINS9_8equal_toIiEEEEPmJSC_EEE10hipError_tPvRmT3_T4_T5_T6_T7_T9_mT8_P12ihipStream_tbDpT10_ENKUlT_T0_E_clISt17integral_constantIbLb1EES15_EEDaS10_S11_EUlS10_E_NS1_11comp_targetILNS1_3genE10ELNS1_11target_archE1200ELNS1_3gpuE4ELNS1_3repE0EEENS1_30default_config_static_selectorELNS0_4arch9wavefront6targetE0EEEvT1_,@function
_ZN7rocprim17ROCPRIM_400000_NS6detail17trampoline_kernelINS0_14default_configENS1_25partition_config_selectorILNS1_17partition_subalgoE9EiibEEZZNS1_14partition_implILS5_9ELb0ES3_jN6thrust23THRUST_200600_302600_NS10device_ptrIiEESB_PNS0_10empty_typeENS0_5tupleIJSB_SC_EEENSE_IJSB_SD_EEENS0_18inequality_wrapperINS9_8equal_toIiEEEEPmJSC_EEE10hipError_tPvRmT3_T4_T5_T6_T7_T9_mT8_P12ihipStream_tbDpT10_ENKUlT_T0_E_clISt17integral_constantIbLb1EES15_EEDaS10_S11_EUlS10_E_NS1_11comp_targetILNS1_3genE10ELNS1_11target_archE1200ELNS1_3gpuE4ELNS1_3repE0EEENS1_30default_config_static_selectorELNS0_4arch9wavefront6targetE0EEEvT1_: ; @_ZN7rocprim17ROCPRIM_400000_NS6detail17trampoline_kernelINS0_14default_configENS1_25partition_config_selectorILNS1_17partition_subalgoE9EiibEEZZNS1_14partition_implILS5_9ELb0ES3_jN6thrust23THRUST_200600_302600_NS10device_ptrIiEESB_PNS0_10empty_typeENS0_5tupleIJSB_SC_EEENSE_IJSB_SD_EEENS0_18inequality_wrapperINS9_8equal_toIiEEEEPmJSC_EEE10hipError_tPvRmT3_T4_T5_T6_T7_T9_mT8_P12ihipStream_tbDpT10_ENKUlT_T0_E_clISt17integral_constantIbLb1EES15_EEDaS10_S11_EUlS10_E_NS1_11comp_targetILNS1_3genE10ELNS1_11target_archE1200ELNS1_3gpuE4ELNS1_3repE0EEENS1_30default_config_static_selectorELNS0_4arch9wavefront6targetE0EEEvT1_
; %bb.0:
	.section	.rodata,"a",@progbits
	.p2align	6, 0x0
	.amdhsa_kernel _ZN7rocprim17ROCPRIM_400000_NS6detail17trampoline_kernelINS0_14default_configENS1_25partition_config_selectorILNS1_17partition_subalgoE9EiibEEZZNS1_14partition_implILS5_9ELb0ES3_jN6thrust23THRUST_200600_302600_NS10device_ptrIiEESB_PNS0_10empty_typeENS0_5tupleIJSB_SC_EEENSE_IJSB_SD_EEENS0_18inequality_wrapperINS9_8equal_toIiEEEEPmJSC_EEE10hipError_tPvRmT3_T4_T5_T6_T7_T9_mT8_P12ihipStream_tbDpT10_ENKUlT_T0_E_clISt17integral_constantIbLb1EES15_EEDaS10_S11_EUlS10_E_NS1_11comp_targetILNS1_3genE10ELNS1_11target_archE1200ELNS1_3gpuE4ELNS1_3repE0EEENS1_30default_config_static_selectorELNS0_4arch9wavefront6targetE0EEEvT1_
		.amdhsa_group_segment_fixed_size 0
		.amdhsa_private_segment_fixed_size 0
		.amdhsa_kernarg_size 128
		.amdhsa_user_sgpr_count 15
		.amdhsa_user_sgpr_dispatch_ptr 0
		.amdhsa_user_sgpr_queue_ptr 0
		.amdhsa_user_sgpr_kernarg_segment_ptr 1
		.amdhsa_user_sgpr_dispatch_id 0
		.amdhsa_user_sgpr_private_segment_size 0
		.amdhsa_wavefront_size32 1
		.amdhsa_uses_dynamic_stack 0
		.amdhsa_enable_private_segment 0
		.amdhsa_system_sgpr_workgroup_id_x 1
		.amdhsa_system_sgpr_workgroup_id_y 0
		.amdhsa_system_sgpr_workgroup_id_z 0
		.amdhsa_system_sgpr_workgroup_info 0
		.amdhsa_system_vgpr_workitem_id 0
		.amdhsa_next_free_vgpr 1
		.amdhsa_next_free_sgpr 1
		.amdhsa_reserve_vcc 0
		.amdhsa_float_round_mode_32 0
		.amdhsa_float_round_mode_16_64 0
		.amdhsa_float_denorm_mode_32 3
		.amdhsa_float_denorm_mode_16_64 3
		.amdhsa_dx10_clamp 1
		.amdhsa_ieee_mode 1
		.amdhsa_fp16_overflow 0
		.amdhsa_workgroup_processor_mode 1
		.amdhsa_memory_ordered 1
		.amdhsa_forward_progress 0
		.amdhsa_shared_vgpr_count 0
		.amdhsa_exception_fp_ieee_invalid_op 0
		.amdhsa_exception_fp_denorm_src 0
		.amdhsa_exception_fp_ieee_div_zero 0
		.amdhsa_exception_fp_ieee_overflow 0
		.amdhsa_exception_fp_ieee_underflow 0
		.amdhsa_exception_fp_ieee_inexact 0
		.amdhsa_exception_int_div_zero 0
	.end_amdhsa_kernel
	.section	.text._ZN7rocprim17ROCPRIM_400000_NS6detail17trampoline_kernelINS0_14default_configENS1_25partition_config_selectorILNS1_17partition_subalgoE9EiibEEZZNS1_14partition_implILS5_9ELb0ES3_jN6thrust23THRUST_200600_302600_NS10device_ptrIiEESB_PNS0_10empty_typeENS0_5tupleIJSB_SC_EEENSE_IJSB_SD_EEENS0_18inequality_wrapperINS9_8equal_toIiEEEEPmJSC_EEE10hipError_tPvRmT3_T4_T5_T6_T7_T9_mT8_P12ihipStream_tbDpT10_ENKUlT_T0_E_clISt17integral_constantIbLb1EES15_EEDaS10_S11_EUlS10_E_NS1_11comp_targetILNS1_3genE10ELNS1_11target_archE1200ELNS1_3gpuE4ELNS1_3repE0EEENS1_30default_config_static_selectorELNS0_4arch9wavefront6targetE0EEEvT1_,"axG",@progbits,_ZN7rocprim17ROCPRIM_400000_NS6detail17trampoline_kernelINS0_14default_configENS1_25partition_config_selectorILNS1_17partition_subalgoE9EiibEEZZNS1_14partition_implILS5_9ELb0ES3_jN6thrust23THRUST_200600_302600_NS10device_ptrIiEESB_PNS0_10empty_typeENS0_5tupleIJSB_SC_EEENSE_IJSB_SD_EEENS0_18inequality_wrapperINS9_8equal_toIiEEEEPmJSC_EEE10hipError_tPvRmT3_T4_T5_T6_T7_T9_mT8_P12ihipStream_tbDpT10_ENKUlT_T0_E_clISt17integral_constantIbLb1EES15_EEDaS10_S11_EUlS10_E_NS1_11comp_targetILNS1_3genE10ELNS1_11target_archE1200ELNS1_3gpuE4ELNS1_3repE0EEENS1_30default_config_static_selectorELNS0_4arch9wavefront6targetE0EEEvT1_,comdat
.Lfunc_end1282:
	.size	_ZN7rocprim17ROCPRIM_400000_NS6detail17trampoline_kernelINS0_14default_configENS1_25partition_config_selectorILNS1_17partition_subalgoE9EiibEEZZNS1_14partition_implILS5_9ELb0ES3_jN6thrust23THRUST_200600_302600_NS10device_ptrIiEESB_PNS0_10empty_typeENS0_5tupleIJSB_SC_EEENSE_IJSB_SD_EEENS0_18inequality_wrapperINS9_8equal_toIiEEEEPmJSC_EEE10hipError_tPvRmT3_T4_T5_T6_T7_T9_mT8_P12ihipStream_tbDpT10_ENKUlT_T0_E_clISt17integral_constantIbLb1EES15_EEDaS10_S11_EUlS10_E_NS1_11comp_targetILNS1_3genE10ELNS1_11target_archE1200ELNS1_3gpuE4ELNS1_3repE0EEENS1_30default_config_static_selectorELNS0_4arch9wavefront6targetE0EEEvT1_, .Lfunc_end1282-_ZN7rocprim17ROCPRIM_400000_NS6detail17trampoline_kernelINS0_14default_configENS1_25partition_config_selectorILNS1_17partition_subalgoE9EiibEEZZNS1_14partition_implILS5_9ELb0ES3_jN6thrust23THRUST_200600_302600_NS10device_ptrIiEESB_PNS0_10empty_typeENS0_5tupleIJSB_SC_EEENSE_IJSB_SD_EEENS0_18inequality_wrapperINS9_8equal_toIiEEEEPmJSC_EEE10hipError_tPvRmT3_T4_T5_T6_T7_T9_mT8_P12ihipStream_tbDpT10_ENKUlT_T0_E_clISt17integral_constantIbLb1EES15_EEDaS10_S11_EUlS10_E_NS1_11comp_targetILNS1_3genE10ELNS1_11target_archE1200ELNS1_3gpuE4ELNS1_3repE0EEENS1_30default_config_static_selectorELNS0_4arch9wavefront6targetE0EEEvT1_
                                        ; -- End function
	.section	.AMDGPU.csdata,"",@progbits
; Kernel info:
; codeLenInByte = 0
; NumSgprs: 0
; NumVgprs: 0
; ScratchSize: 0
; MemoryBound: 0
; FloatMode: 240
; IeeeMode: 1
; LDSByteSize: 0 bytes/workgroup (compile time only)
; SGPRBlocks: 0
; VGPRBlocks: 0
; NumSGPRsForWavesPerEU: 1
; NumVGPRsForWavesPerEU: 1
; Occupancy: 15
; WaveLimiterHint : 0
; COMPUTE_PGM_RSRC2:SCRATCH_EN: 0
; COMPUTE_PGM_RSRC2:USER_SGPR: 15
; COMPUTE_PGM_RSRC2:TRAP_HANDLER: 0
; COMPUTE_PGM_RSRC2:TGID_X_EN: 1
; COMPUTE_PGM_RSRC2:TGID_Y_EN: 0
; COMPUTE_PGM_RSRC2:TGID_Z_EN: 0
; COMPUTE_PGM_RSRC2:TIDIG_COMP_CNT: 0
	.section	.text._ZN7rocprim17ROCPRIM_400000_NS6detail17trampoline_kernelINS0_14default_configENS1_25partition_config_selectorILNS1_17partition_subalgoE9EiibEEZZNS1_14partition_implILS5_9ELb0ES3_jN6thrust23THRUST_200600_302600_NS10device_ptrIiEESB_PNS0_10empty_typeENS0_5tupleIJSB_SC_EEENSE_IJSB_SD_EEENS0_18inequality_wrapperINS9_8equal_toIiEEEEPmJSC_EEE10hipError_tPvRmT3_T4_T5_T6_T7_T9_mT8_P12ihipStream_tbDpT10_ENKUlT_T0_E_clISt17integral_constantIbLb1EES15_EEDaS10_S11_EUlS10_E_NS1_11comp_targetILNS1_3genE9ELNS1_11target_archE1100ELNS1_3gpuE3ELNS1_3repE0EEENS1_30default_config_static_selectorELNS0_4arch9wavefront6targetE0EEEvT1_,"axG",@progbits,_ZN7rocprim17ROCPRIM_400000_NS6detail17trampoline_kernelINS0_14default_configENS1_25partition_config_selectorILNS1_17partition_subalgoE9EiibEEZZNS1_14partition_implILS5_9ELb0ES3_jN6thrust23THRUST_200600_302600_NS10device_ptrIiEESB_PNS0_10empty_typeENS0_5tupleIJSB_SC_EEENSE_IJSB_SD_EEENS0_18inequality_wrapperINS9_8equal_toIiEEEEPmJSC_EEE10hipError_tPvRmT3_T4_T5_T6_T7_T9_mT8_P12ihipStream_tbDpT10_ENKUlT_T0_E_clISt17integral_constantIbLb1EES15_EEDaS10_S11_EUlS10_E_NS1_11comp_targetILNS1_3genE9ELNS1_11target_archE1100ELNS1_3gpuE3ELNS1_3repE0EEENS1_30default_config_static_selectorELNS0_4arch9wavefront6targetE0EEEvT1_,comdat
	.protected	_ZN7rocprim17ROCPRIM_400000_NS6detail17trampoline_kernelINS0_14default_configENS1_25partition_config_selectorILNS1_17partition_subalgoE9EiibEEZZNS1_14partition_implILS5_9ELb0ES3_jN6thrust23THRUST_200600_302600_NS10device_ptrIiEESB_PNS0_10empty_typeENS0_5tupleIJSB_SC_EEENSE_IJSB_SD_EEENS0_18inequality_wrapperINS9_8equal_toIiEEEEPmJSC_EEE10hipError_tPvRmT3_T4_T5_T6_T7_T9_mT8_P12ihipStream_tbDpT10_ENKUlT_T0_E_clISt17integral_constantIbLb1EES15_EEDaS10_S11_EUlS10_E_NS1_11comp_targetILNS1_3genE9ELNS1_11target_archE1100ELNS1_3gpuE3ELNS1_3repE0EEENS1_30default_config_static_selectorELNS0_4arch9wavefront6targetE0EEEvT1_ ; -- Begin function _ZN7rocprim17ROCPRIM_400000_NS6detail17trampoline_kernelINS0_14default_configENS1_25partition_config_selectorILNS1_17partition_subalgoE9EiibEEZZNS1_14partition_implILS5_9ELb0ES3_jN6thrust23THRUST_200600_302600_NS10device_ptrIiEESB_PNS0_10empty_typeENS0_5tupleIJSB_SC_EEENSE_IJSB_SD_EEENS0_18inequality_wrapperINS9_8equal_toIiEEEEPmJSC_EEE10hipError_tPvRmT3_T4_T5_T6_T7_T9_mT8_P12ihipStream_tbDpT10_ENKUlT_T0_E_clISt17integral_constantIbLb1EES15_EEDaS10_S11_EUlS10_E_NS1_11comp_targetILNS1_3genE9ELNS1_11target_archE1100ELNS1_3gpuE3ELNS1_3repE0EEENS1_30default_config_static_selectorELNS0_4arch9wavefront6targetE0EEEvT1_
	.globl	_ZN7rocprim17ROCPRIM_400000_NS6detail17trampoline_kernelINS0_14default_configENS1_25partition_config_selectorILNS1_17partition_subalgoE9EiibEEZZNS1_14partition_implILS5_9ELb0ES3_jN6thrust23THRUST_200600_302600_NS10device_ptrIiEESB_PNS0_10empty_typeENS0_5tupleIJSB_SC_EEENSE_IJSB_SD_EEENS0_18inequality_wrapperINS9_8equal_toIiEEEEPmJSC_EEE10hipError_tPvRmT3_T4_T5_T6_T7_T9_mT8_P12ihipStream_tbDpT10_ENKUlT_T0_E_clISt17integral_constantIbLb1EES15_EEDaS10_S11_EUlS10_E_NS1_11comp_targetILNS1_3genE9ELNS1_11target_archE1100ELNS1_3gpuE3ELNS1_3repE0EEENS1_30default_config_static_selectorELNS0_4arch9wavefront6targetE0EEEvT1_
	.p2align	8
	.type	_ZN7rocprim17ROCPRIM_400000_NS6detail17trampoline_kernelINS0_14default_configENS1_25partition_config_selectorILNS1_17partition_subalgoE9EiibEEZZNS1_14partition_implILS5_9ELb0ES3_jN6thrust23THRUST_200600_302600_NS10device_ptrIiEESB_PNS0_10empty_typeENS0_5tupleIJSB_SC_EEENSE_IJSB_SD_EEENS0_18inequality_wrapperINS9_8equal_toIiEEEEPmJSC_EEE10hipError_tPvRmT3_T4_T5_T6_T7_T9_mT8_P12ihipStream_tbDpT10_ENKUlT_T0_E_clISt17integral_constantIbLb1EES15_EEDaS10_S11_EUlS10_E_NS1_11comp_targetILNS1_3genE9ELNS1_11target_archE1100ELNS1_3gpuE3ELNS1_3repE0EEENS1_30default_config_static_selectorELNS0_4arch9wavefront6targetE0EEEvT1_,@function
_ZN7rocprim17ROCPRIM_400000_NS6detail17trampoline_kernelINS0_14default_configENS1_25partition_config_selectorILNS1_17partition_subalgoE9EiibEEZZNS1_14partition_implILS5_9ELb0ES3_jN6thrust23THRUST_200600_302600_NS10device_ptrIiEESB_PNS0_10empty_typeENS0_5tupleIJSB_SC_EEENSE_IJSB_SD_EEENS0_18inequality_wrapperINS9_8equal_toIiEEEEPmJSC_EEE10hipError_tPvRmT3_T4_T5_T6_T7_T9_mT8_P12ihipStream_tbDpT10_ENKUlT_T0_E_clISt17integral_constantIbLb1EES15_EEDaS10_S11_EUlS10_E_NS1_11comp_targetILNS1_3genE9ELNS1_11target_archE1100ELNS1_3gpuE3ELNS1_3repE0EEENS1_30default_config_static_selectorELNS0_4arch9wavefront6targetE0EEEvT1_: ; @_ZN7rocprim17ROCPRIM_400000_NS6detail17trampoline_kernelINS0_14default_configENS1_25partition_config_selectorILNS1_17partition_subalgoE9EiibEEZZNS1_14partition_implILS5_9ELb0ES3_jN6thrust23THRUST_200600_302600_NS10device_ptrIiEESB_PNS0_10empty_typeENS0_5tupleIJSB_SC_EEENSE_IJSB_SD_EEENS0_18inequality_wrapperINS9_8equal_toIiEEEEPmJSC_EEE10hipError_tPvRmT3_T4_T5_T6_T7_T9_mT8_P12ihipStream_tbDpT10_ENKUlT_T0_E_clISt17integral_constantIbLb1EES15_EEDaS10_S11_EUlS10_E_NS1_11comp_targetILNS1_3genE9ELNS1_11target_archE1100ELNS1_3gpuE3ELNS1_3repE0EEENS1_30default_config_static_selectorELNS0_4arch9wavefront6targetE0EEEvT1_
; %bb.0:
	s_clause 0x4
	s_load_b128 s[4:7], s[0:1], 0x8
	s_load_b64 s[8:9], s[0:1], 0x18
	s_load_b128 s[12:15], s[0:1], 0x40
	s_load_b64 s[10:11], s[0:1], 0x50
	s_load_b64 s[20:21], s[0:1], 0x60
	v_cmp_ne_u32_e64 s3, 0, v0
	v_cmp_eq_u32_e64 s2, 0, v0
	s_delay_alu instid0(VALU_DEP_1)
	s_and_saveexec_b32 s16, s2
	s_cbranch_execz .LBB1283_4
; %bb.1:
	s_mov_b32 s18, exec_lo
	s_mov_b32 s17, exec_lo
	v_mbcnt_lo_u32_b32 v1, s18, 0
                                        ; implicit-def: $vgpr2
	s_delay_alu instid0(VALU_DEP_1)
	v_cmpx_eq_u32_e32 0, v1
	s_cbranch_execz .LBB1283_3
; %bb.2:
	s_load_b64 s[22:23], s[0:1], 0x70
	s_bcnt1_i32_b32 s18, s18
	s_delay_alu instid0(SALU_CYCLE_1)
	v_dual_mov_b32 v2, 0 :: v_dual_mov_b32 v3, s18
	s_waitcnt lgkmcnt(0)
	global_atomic_add_u32 v2, v2, v3, s[22:23] glc
.LBB1283_3:
	s_or_b32 exec_lo, exec_lo, s17
	s_waitcnt vmcnt(0)
	v_readfirstlane_b32 s17, v2
	s_delay_alu instid0(VALU_DEP_1)
	v_dual_mov_b32 v2, 0 :: v_dual_add_nc_u32 v1, s17, v1
	ds_store_b32 v2, v1
.LBB1283_4:
	s_or_b32 exec_lo, exec_lo, s16
	v_dual_mov_b32 v1, 0 :: v_dual_add_nc_u32 v22, 0x300, v0
	s_clause 0x1
	s_load_b128 s[16:19], s[0:1], 0x28
	s_load_b32 s0, s[0:1], 0x68
	s_waitcnt lgkmcnt(0)
	s_barrier
	buffer_gl0_inv
	ds_load_b32 v3, v1
	s_waitcnt lgkmcnt(0)
	s_barrier
	buffer_gl0_inv
	global_load_b64 v[1:2], v1, s[14:15]
	s_lshl_b64 s[14:15], s[6:7], 2
	s_mov_b32 s1, 0
	s_add_u32 s27, s4, s14
	s_addc_u32 s28, s5, s15
	v_lshrrev_b32_e32 v20, 3, v0
	v_add_nc_u32_e32 v25, 0x180, v0
	v_add_nc_u32_e32 v21, 0x480, v0
	v_or_b32_e32 v23, 0x600, v0
	v_add_nc_u32_e32 v18, 0x780, v0
	v_add_nc_u32_e32 v17, 0x900, v0
	;; [unrolled: 1-line block ×3, first 2 shown]
	s_mul_i32 s22, s0, 0xc00
	s_add_i32 s0, s0, -1
	s_add_i32 s4, s22, s6
	s_delay_alu instid0(SALU_CYCLE_1) | instskip(SKIP_4) | instid1(SALU_CYCLE_1)
	s_sub_i32 s25, s10, s4
	v_readfirstlane_b32 s24, v3
	s_addk_i32 s25, 0xc00
	s_add_u32 s4, s6, s22
	s_addc_u32 s5, s7, 0
	v_cmp_ge_u64_e64 s4, s[4:5], s[10:11]
	s_cmp_eq_u32 s24, s0
	s_mul_i32 s0, s24, 0xc00
	s_cselect_b32 s22, -1, 0
	s_delay_alu instid0(VALU_DEP_1) | instid1(SALU_CYCLE_1)
	s_and_b32 s26, s4, s22
	s_lshl_b64 s[4:5], s[0:1], 2
	s_xor_b32 s23, s26, -1
	s_add_u32 s27, s27, s4
	s_addc_u32 s1, s28, s5
	s_and_b32 vcc_lo, exec_lo, s23
	s_mov_b32 s28, -1
	s_waitcnt vmcnt(0)
	v_readfirstlane_b32 s10, v1
	v_readfirstlane_b32 s11, v2
	s_cbranch_vccz .LBB1283_6
; %bb.5:
	v_lshlrev_b32_e32 v7, 2, v0
	v_lshrrev_b32_e32 v11, 3, v25
	v_lshrrev_b32_e32 v12, 3, v22
	;; [unrolled: 1-line block ×4, first 2 shown]
	v_add_co_u32 v1, s0, s27, v7
	s_delay_alu instid0(VALU_DEP_1) | instskip(SKIP_1) | instid1(VALU_DEP_3)
	v_add_co_ci_u32_e64 v2, null, s1, 0, s0
	v_lshrrev_b32_e32 v15, 3, v18
	v_add_co_u32 v3, vcc_lo, 0x1000, v1
	s_delay_alu instid0(VALU_DEP_3)
	v_add_co_ci_u32_e32 v4, vcc_lo, 0, v2, vcc_lo
	v_add_co_u32 v5, vcc_lo, 0x2000, v1
	v_add_co_ci_u32_e32 v6, vcc_lo, 0, v2, vcc_lo
	s_clause 0x7
	flat_load_b32 v8, v[1:2]
	flat_load_b32 v9, v[1:2] offset:1536
	flat_load_b32 v1, v[1:2] offset:3072
	;; [unrolled: 1-line block ×7, first 2 shown]
	v_and_b32_e32 v6, 60, v20
	v_lshrrev_b32_e32 v16, 3, v17
	v_lshrrev_b32_e32 v19, 3, v24
	v_and_b32_e32 v11, 0x7c, v11
	v_and_b32_e32 v12, 0xfc, v12
	;; [unrolled: 1-line block ×4, first 2 shown]
	v_add_nc_u32_e32 v6, v6, v7
	v_and_b32_e32 v15, 0x1fc, v15
	v_and_b32_e32 v16, 0x17c, v16
	;; [unrolled: 1-line block ×3, first 2 shown]
	v_add_nc_u32_e32 v11, v11, v7
	v_add_nc_u32_e32 v12, v12, v7
	;; [unrolled: 1-line block ×4, first 2 shown]
	s_mov_b32 s28, 0
	v_add_nc_u32_e32 v15, v15, v7
	v_add_nc_u32_e32 v16, v16, v7
	;; [unrolled: 1-line block ×3, first 2 shown]
	s_waitcnt vmcnt(7) lgkmcnt(7)
	ds_store_b32 v6, v8
	s_waitcnt vmcnt(6) lgkmcnt(7)
	ds_store_b32 v11, v9 offset:1536
	s_waitcnt vmcnt(5) lgkmcnt(7)
	ds_store_b32 v12, v1 offset:3072
	s_waitcnt vmcnt(4) lgkmcnt(7)
	ds_store_b32 v13, v2 offset:4608
	s_waitcnt vmcnt(3) lgkmcnt(7)
	ds_store_b32 v14, v10 offset:6144
	s_waitcnt vmcnt(2) lgkmcnt(7)
	ds_store_b32 v15, v3 offset:7680
	s_waitcnt vmcnt(1) lgkmcnt(7)
	ds_store_b32 v16, v4 offset:9216
	s_waitcnt vmcnt(0) lgkmcnt(7)
	ds_store_b32 v7, v5 offset:10752
	s_waitcnt lgkmcnt(0)
	s_barrier
.LBB1283_6:
	v_cmp_gt_u32_e64 s0, s25, v0
	s_and_not1_b32 vcc_lo, exec_lo, s28
	s_cbranch_vccnz .LBB1283_24
; %bb.7:
                                        ; implicit-def: $vgpr1_vgpr2_vgpr3_vgpr4_vgpr5_vgpr6_vgpr7_vgpr8
	s_delay_alu instid0(VALU_DEP_1)
	s_and_saveexec_b32 s28, s0
	s_cbranch_execz .LBB1283_15
; %bb.8:
	v_lshlrev_b32_e32 v1, 2, v0
	s_delay_alu instid0(VALU_DEP_1) | instskip(NEXT) | instid1(VALU_DEP_1)
	v_add_co_u32 v1, s0, s27, v1
	v_add_co_ci_u32_e64 v2, null, s1, 0, s0
	flat_load_b32 v1, v[1:2]
	s_or_b32 exec_lo, exec_lo, s28
	s_delay_alu instid0(SALU_CYCLE_1)
	s_mov_b32 s0, exec_lo
	v_cmpx_gt_u32_e64 s25, v25
	s_cbranch_execnz .LBB1283_16
.LBB1283_9:
	s_or_b32 exec_lo, exec_lo, s0
	s_delay_alu instid0(SALU_CYCLE_1)
	s_mov_b32 s0, exec_lo
	v_cmpx_gt_u32_e64 s25, v22
	s_cbranch_execz .LBB1283_17
.LBB1283_10:
	v_lshlrev_b32_e32 v3, 2, v0
	s_delay_alu instid0(VALU_DEP_1) | instskip(NEXT) | instid1(VALU_DEP_1)
	v_add_co_u32 v9, s28, s27, v3
	v_add_co_ci_u32_e64 v10, null, s1, 0, s28
	flat_load_b32 v3, v[9:10] offset:3072
	s_or_b32 exec_lo, exec_lo, s0
	s_delay_alu instid0(SALU_CYCLE_1)
	s_mov_b32 s0, exec_lo
	v_cmpx_gt_u32_e64 s25, v21
	s_cbranch_execnz .LBB1283_18
.LBB1283_11:
	s_or_b32 exec_lo, exec_lo, s0
	s_delay_alu instid0(SALU_CYCLE_1)
	s_mov_b32 s0, exec_lo
	v_cmpx_gt_u32_e64 s25, v23
	s_cbranch_execz .LBB1283_19
.LBB1283_12:
	v_lshlrev_b32_e32 v5, 2, v23
	s_delay_alu instid0(VALU_DEP_1) | instskip(NEXT) | instid1(VALU_DEP_1)
	v_add_co_u32 v9, s28, s27, v5
	v_add_co_ci_u32_e64 v10, null, s1, 0, s28
	flat_load_b32 v5, v[9:10]
	s_or_b32 exec_lo, exec_lo, s0
	s_delay_alu instid0(SALU_CYCLE_1)
	s_mov_b32 s0, exec_lo
	v_cmpx_gt_u32_e64 s25, v18
	s_cbranch_execnz .LBB1283_20
.LBB1283_13:
	s_or_b32 exec_lo, exec_lo, s0
	s_delay_alu instid0(SALU_CYCLE_1)
	s_mov_b32 s0, exec_lo
	v_cmpx_gt_u32_e64 s25, v17
	s_cbranch_execz .LBB1283_21
.LBB1283_14:
	v_lshlrev_b32_e32 v7, 2, v17
	s_delay_alu instid0(VALU_DEP_1) | instskip(NEXT) | instid1(VALU_DEP_1)
	v_add_co_u32 v9, s28, s27, v7
	v_add_co_ci_u32_e64 v10, null, s1, 0, s28
	flat_load_b32 v7, v[9:10]
	s_or_b32 exec_lo, exec_lo, s0
	s_delay_alu instid0(SALU_CYCLE_1)
	s_mov_b32 s0, exec_lo
	v_cmpx_gt_u32_e64 s25, v24
	s_cbranch_execnz .LBB1283_22
	s_branch .LBB1283_23
.LBB1283_15:
	s_or_b32 exec_lo, exec_lo, s28
	s_delay_alu instid0(SALU_CYCLE_1)
	s_mov_b32 s0, exec_lo
	v_cmpx_gt_u32_e64 s25, v25
	s_cbranch_execz .LBB1283_9
.LBB1283_16:
	v_lshlrev_b32_e32 v2, 2, v0
	s_delay_alu instid0(VALU_DEP_1) | instskip(NEXT) | instid1(VALU_DEP_1)
	v_add_co_u32 v9, s28, s27, v2
	v_add_co_ci_u32_e64 v10, null, s1, 0, s28
	flat_load_b32 v2, v[9:10] offset:1536
	s_or_b32 exec_lo, exec_lo, s0
	s_delay_alu instid0(SALU_CYCLE_1)
	s_mov_b32 s0, exec_lo
	v_cmpx_gt_u32_e64 s25, v22
	s_cbranch_execnz .LBB1283_10
.LBB1283_17:
	s_or_b32 exec_lo, exec_lo, s0
	s_delay_alu instid0(SALU_CYCLE_1)
	s_mov_b32 s0, exec_lo
	v_cmpx_gt_u32_e64 s25, v21
	s_cbranch_execz .LBB1283_11
.LBB1283_18:
	v_lshlrev_b32_e32 v4, 2, v21
	s_delay_alu instid0(VALU_DEP_1) | instskip(NEXT) | instid1(VALU_DEP_1)
	v_add_co_u32 v9, s28, s27, v4
	v_add_co_ci_u32_e64 v10, null, s1, 0, s28
	flat_load_b32 v4, v[9:10]
	s_or_b32 exec_lo, exec_lo, s0
	s_delay_alu instid0(SALU_CYCLE_1)
	s_mov_b32 s0, exec_lo
	v_cmpx_gt_u32_e64 s25, v23
	s_cbranch_execnz .LBB1283_12
.LBB1283_19:
	s_or_b32 exec_lo, exec_lo, s0
	s_delay_alu instid0(SALU_CYCLE_1)
	s_mov_b32 s0, exec_lo
	v_cmpx_gt_u32_e64 s25, v18
	s_cbranch_execz .LBB1283_13
.LBB1283_20:
	v_lshlrev_b32_e32 v6, 2, v18
	s_delay_alu instid0(VALU_DEP_1) | instskip(NEXT) | instid1(VALU_DEP_1)
	v_add_co_u32 v9, s28, s27, v6
	v_add_co_ci_u32_e64 v10, null, s1, 0, s28
	flat_load_b32 v6, v[9:10]
	s_or_b32 exec_lo, exec_lo, s0
	s_delay_alu instid0(SALU_CYCLE_1)
	s_mov_b32 s0, exec_lo
	v_cmpx_gt_u32_e64 s25, v17
	s_cbranch_execnz .LBB1283_14
.LBB1283_21:
	s_or_b32 exec_lo, exec_lo, s0
	s_delay_alu instid0(SALU_CYCLE_1)
	s_mov_b32 s0, exec_lo
	v_cmpx_gt_u32_e64 s25, v24
	s_cbranch_execz .LBB1283_23
.LBB1283_22:
	v_lshlrev_b32_e32 v8, 2, v24
	s_delay_alu instid0(VALU_DEP_1) | instskip(NEXT) | instid1(VALU_DEP_1)
	v_add_co_u32 v8, s28, s27, v8
	v_add_co_ci_u32_e64 v9, null, s1, 0, s28
	flat_load_b32 v8, v[8:9]
.LBB1283_23:
	s_or_b32 exec_lo, exec_lo, s0
	v_lshrrev_b32_e32 v9, 3, v25
	v_lshrrev_b32_e32 v10, 3, v22
	;; [unrolled: 1-line block ×4, first 2 shown]
	v_and_b32_e32 v11, 60, v20
	v_lshlrev_b32_e32 v12, 2, v0
	v_lshrrev_b32_e32 v15, 3, v18
	v_lshrrev_b32_e32 v16, 3, v17
	;; [unrolled: 1-line block ×3, first 2 shown]
	v_and_b32_e32 v9, 0x7c, v9
	v_and_b32_e32 v10, 0xfc, v10
	;; [unrolled: 1-line block ×4, first 2 shown]
	v_add_nc_u32_e32 v11, v11, v12
	v_and_b32_e32 v15, 0x1fc, v15
	v_and_b32_e32 v16, 0x1fc, v16
	;; [unrolled: 1-line block ×3, first 2 shown]
	v_add_nc_u32_e32 v9, v9, v12
	v_add_nc_u32_e32 v10, v10, v12
	;; [unrolled: 1-line block ×7, first 2 shown]
	s_waitcnt vmcnt(0) lgkmcnt(0)
	ds_store_b32 v11, v1
	ds_store_b32 v9, v2 offset:1536
	ds_store_b32 v10, v3 offset:3072
	;; [unrolled: 1-line block ×7, first 2 shown]
	s_waitcnt lgkmcnt(0)
	s_barrier
.LBB1283_24:
	v_lshlrev_b32_e32 v19, 3, v0
	v_lshrrev_b32_e32 v1, 2, v0
	buffer_gl0_inv
	s_add_u32 s0, s8, s14
	s_addc_u32 s8, s9, s15
	s_add_u32 s0, s0, s4
	v_add_lshl_u32 v1, v1, v19, 2
	s_addc_u32 s4, s8, s5
	s_and_b32 vcc_lo, exec_lo, s23
	s_mov_b32 s5, -1
	ds_load_2addr_b32 v[15:16], v1 offset1:1
	ds_load_2addr_b32 v[13:14], v1 offset0:2 offset1:3
	ds_load_2addr_b32 v[11:12], v1 offset0:4 offset1:5
	;; [unrolled: 1-line block ×3, first 2 shown]
	s_waitcnt lgkmcnt(0)
	s_barrier
	buffer_gl0_inv
	s_cbranch_vccz .LBB1283_26
; %bb.25:
	v_lshlrev_b32_e32 v8, 2, v0
	v_lshrrev_b32_e32 v29, 3, v25
	v_lshrrev_b32_e32 v30, 3, v22
	;; [unrolled: 1-line block ×4, first 2 shown]
	v_add_co_u32 v2, s5, s0, v8
	s_delay_alu instid0(VALU_DEP_1) | instskip(SKIP_1) | instid1(VALU_DEP_3)
	v_add_co_ci_u32_e64 v3, null, s4, 0, s5
	v_lshrrev_b32_e32 v33, 3, v18
	v_add_co_u32 v4, vcc_lo, 0x1000, v2
	s_delay_alu instid0(VALU_DEP_3)
	v_add_co_ci_u32_e32 v5, vcc_lo, 0, v3, vcc_lo
	v_add_co_u32 v6, vcc_lo, 0x2000, v2
	v_add_co_ci_u32_e32 v7, vcc_lo, 0, v3, vcc_lo
	s_clause 0x7
	flat_load_b32 v26, v[2:3]
	flat_load_b32 v27, v[2:3] offset:1536
	flat_load_b32 v2, v[2:3] offset:3072
	;; [unrolled: 1-line block ×7, first 2 shown]
	v_and_b32_e32 v7, 60, v20
	v_lshrrev_b32_e32 v34, 3, v17
	v_lshrrev_b32_e32 v35, 3, v24
	v_and_b32_e32 v29, 0x7c, v29
	v_and_b32_e32 v30, 0xfc, v30
	v_and_b32_e32 v31, 0xfc, v31
	v_and_b32_e32 v32, 0xfc, v32
	v_add_nc_u32_e32 v7, v7, v8
	v_and_b32_e32 v33, 0x1fc, v33
	v_and_b32_e32 v34, 0x17c, v34
	;; [unrolled: 1-line block ×3, first 2 shown]
	v_add_nc_u32_e32 v29, v29, v8
	v_add_nc_u32_e32 v30, v30, v8
	;; [unrolled: 1-line block ×4, first 2 shown]
	s_mov_b32 s5, 0
	v_add_nc_u32_e32 v33, v33, v8
	v_add_nc_u32_e32 v34, v34, v8
	v_add_nc_u32_e32 v8, v35, v8
	s_waitcnt vmcnt(7) lgkmcnt(7)
	ds_store_b32 v7, v26
	s_waitcnt vmcnt(6) lgkmcnt(7)
	ds_store_b32 v29, v27 offset:1536
	s_waitcnt vmcnt(5) lgkmcnt(7)
	ds_store_b32 v30, v2 offset:3072
	;; [unrolled: 2-line block ×7, first 2 shown]
	s_waitcnt lgkmcnt(0)
	s_barrier
.LBB1283_26:
	s_and_not1_b32 vcc_lo, exec_lo, s5
	s_cbranch_vccnz .LBB1283_44
; %bb.27:
	s_mov_b32 s5, exec_lo
                                        ; implicit-def: $vgpr2
	v_cmpx_gt_u32_e64 s25, v0
	s_cbranch_execz .LBB1283_29
; %bb.28:
	v_lshlrev_b32_e32 v2, 2, v0
	s_delay_alu instid0(VALU_DEP_1) | instskip(NEXT) | instid1(VALU_DEP_1)
	v_add_co_u32 v2, s8, s0, v2
	v_add_co_ci_u32_e64 v3, null, s4, 0, s8
	flat_load_b32 v2, v[2:3]
.LBB1283_29:
	s_or_b32 exec_lo, exec_lo, s5
	s_delay_alu instid0(SALU_CYCLE_1)
	s_mov_b32 s5, exec_lo
                                        ; implicit-def: $vgpr3
	v_cmpx_gt_u32_e64 s25, v25
	s_cbranch_execz .LBB1283_31
; %bb.30:
	v_lshlrev_b32_e32 v3, 2, v0
	s_delay_alu instid0(VALU_DEP_1) | instskip(NEXT) | instid1(VALU_DEP_1)
	v_add_co_u32 v3, s8, s0, v3
	v_add_co_ci_u32_e64 v4, null, s4, 0, s8
	flat_load_b32 v3, v[3:4] offset:1536
.LBB1283_31:
	s_or_b32 exec_lo, exec_lo, s5
	s_delay_alu instid0(SALU_CYCLE_1)
	s_mov_b32 s5, exec_lo
                                        ; implicit-def: $vgpr4
	v_cmpx_gt_u32_e64 s25, v22
	s_cbranch_execz .LBB1283_33
; %bb.32:
	v_lshlrev_b32_e32 v4, 2, v0
	s_delay_alu instid0(VALU_DEP_1) | instskip(NEXT) | instid1(VALU_DEP_1)
	v_add_co_u32 v4, s8, s0, v4
	v_add_co_ci_u32_e64 v5, null, s4, 0, s8
	flat_load_b32 v4, v[4:5] offset:3072
.LBB1283_33:
	s_or_b32 exec_lo, exec_lo, s5
	s_delay_alu instid0(SALU_CYCLE_1)
	s_mov_b32 s5, exec_lo
                                        ; implicit-def: $vgpr5
	v_cmpx_gt_u32_e64 s25, v21
	s_cbranch_execz .LBB1283_35
; %bb.34:
	v_lshlrev_b32_e32 v5, 2, v21
	s_delay_alu instid0(VALU_DEP_1) | instskip(NEXT) | instid1(VALU_DEP_1)
	v_add_co_u32 v5, s8, s0, v5
	v_add_co_ci_u32_e64 v6, null, s4, 0, s8
	flat_load_b32 v5, v[5:6]
.LBB1283_35:
	s_or_b32 exec_lo, exec_lo, s5
	s_delay_alu instid0(SALU_CYCLE_1)
	s_mov_b32 s5, exec_lo
                                        ; implicit-def: $vgpr6
	v_cmpx_gt_u32_e64 s25, v23
	s_cbranch_execz .LBB1283_37
; %bb.36:
	v_lshlrev_b32_e32 v6, 2, v23
	s_delay_alu instid0(VALU_DEP_1) | instskip(NEXT) | instid1(VALU_DEP_1)
	v_add_co_u32 v6, s8, s0, v6
	v_add_co_ci_u32_e64 v7, null, s4, 0, s8
	flat_load_b32 v6, v[6:7]
.LBB1283_37:
	s_or_b32 exec_lo, exec_lo, s5
	s_delay_alu instid0(SALU_CYCLE_1)
	s_mov_b32 s5, exec_lo
                                        ; implicit-def: $vgpr7
	v_cmpx_gt_u32_e64 s25, v18
	s_cbranch_execz .LBB1283_39
; %bb.38:
	v_lshlrev_b32_e32 v7, 2, v18
	s_delay_alu instid0(VALU_DEP_1) | instskip(NEXT) | instid1(VALU_DEP_1)
	v_add_co_u32 v7, s8, s0, v7
	v_add_co_ci_u32_e64 v8, null, s4, 0, s8
	flat_load_b32 v7, v[7:8]
.LBB1283_39:
	s_or_b32 exec_lo, exec_lo, s5
	s_delay_alu instid0(SALU_CYCLE_1)
	s_mov_b32 s5, exec_lo
                                        ; implicit-def: $vgpr8
	v_cmpx_gt_u32_e64 s25, v17
	s_cbranch_execz .LBB1283_41
; %bb.40:
	v_lshlrev_b32_e32 v8, 2, v17
	s_delay_alu instid0(VALU_DEP_1) | instskip(NEXT) | instid1(VALU_DEP_1)
	v_add_co_u32 v26, s8, s0, v8
	v_add_co_ci_u32_e64 v27, null, s4, 0, s8
	flat_load_b32 v8, v[26:27]
.LBB1283_41:
	s_or_b32 exec_lo, exec_lo, s5
	s_delay_alu instid0(SALU_CYCLE_1)
	s_mov_b32 s5, exec_lo
                                        ; implicit-def: $vgpr26
	v_cmpx_gt_u32_e64 s25, v24
	s_cbranch_execz .LBB1283_43
; %bb.42:
	v_lshlrev_b32_e32 v26, 2, v24
	s_delay_alu instid0(VALU_DEP_1) | instskip(NEXT) | instid1(VALU_DEP_1)
	v_add_co_u32 v26, s0, s0, v26
	v_add_co_ci_u32_e64 v27, null, s4, 0, s0
	flat_load_b32 v26, v[26:27]
.LBB1283_43:
	s_or_b32 exec_lo, exec_lo, s5
	v_lshrrev_b32_e32 v25, 3, v25
	v_lshrrev_b32_e32 v22, 3, v22
	;; [unrolled: 1-line block ×4, first 2 shown]
	v_and_b32_e32 v20, 60, v20
	v_lshlrev_b32_e32 v27, 2, v0
	v_lshrrev_b32_e32 v18, 3, v18
	v_lshrrev_b32_e32 v17, 3, v17
	;; [unrolled: 1-line block ×3, first 2 shown]
	v_and_b32_e32 v25, 0x7c, v25
	v_and_b32_e32 v22, 0xfc, v22
	;; [unrolled: 1-line block ×4, first 2 shown]
	v_add_nc_u32_e32 v20, v20, v27
	v_and_b32_e32 v18, 0x1fc, v18
	v_and_b32_e32 v17, 0x1fc, v17
	;; [unrolled: 1-line block ×3, first 2 shown]
	v_add_nc_u32_e32 v25, v25, v27
	v_add_nc_u32_e32 v22, v22, v27
	;; [unrolled: 1-line block ×7, first 2 shown]
	s_waitcnt vmcnt(0) lgkmcnt(0)
	ds_store_b32 v20, v2
	ds_store_b32 v25, v3 offset:1536
	ds_store_b32 v22, v4 offset:3072
	;; [unrolled: 1-line block ×7, first 2 shown]
	s_waitcnt lgkmcnt(0)
	s_barrier
.LBB1283_44:
	buffer_gl0_inv
	ds_load_2addr_b32 v[7:8], v1 offset1:1
	ds_load_2addr_b32 v[5:6], v1 offset0:2 offset1:3
	ds_load_2addr_b32 v[3:4], v1 offset0:4 offset1:5
	;; [unrolled: 1-line block ×3, first 2 shown]
	s_cmp_lg_u32 s24, 0
	s_mov_b32 s14, 0
	s_cselect_b32 s9, -1, 0
	s_cmp_lg_u64 s[6:7], 0
	s_waitcnt lgkmcnt(0)
	s_cselect_b32 s0, -1, 0
	s_barrier
	s_or_b32 s0, s0, s9
	buffer_gl0_inv
	s_and_b32 vcc_lo, exec_lo, s0
	s_cbranch_vccz .LBB1283_49
; %bb.45:
	v_add_co_u32 v17, s0, -4, s27
	s_delay_alu instid0(VALU_DEP_1)
	v_add_co_ci_u32_e64 v18, null, -1, s1, s0
	v_lshlrev_b32_e32 v21, 2, v0
	s_mov_b32 s1, -1
	s_and_b32 vcc_lo, exec_lo, s23
	flat_load_b32 v20, v[17:18]
	ds_store_b32 v21, v10
	s_cbranch_vccz .LBB1283_50
; %bb.46:
	s_waitcnt vmcnt(0) lgkmcnt(1)
	v_mov_b32_e32 v17, v20
	s_waitcnt lgkmcnt(0)
	s_barrier
	buffer_gl0_inv
	s_and_saveexec_b32 s0, s3
	s_cbranch_execz .LBB1283_48
; %bb.47:
	v_add_nc_u32_e32 v17, -4, v21
	ds_load_b32 v17, v17
.LBB1283_48:
	s_or_b32 exec_lo, exec_lo, s0
	v_cmp_ne_u32_e32 vcc_lo, v9, v10
	s_waitcnt lgkmcnt(0)
	v_cmp_ne_u32_e64 s0, v17, v15
	v_cndmask_b32_e64 v18, 0, 1, vcc_lo
	v_cmp_ne_u32_e32 vcc_lo, v12, v9
	s_delay_alu instid0(VALU_DEP_2) | instskip(SKIP_2) | instid1(VALU_DEP_2)
	v_lshlrev_b16 v18, 8, v18
	v_cndmask_b32_e64 v22, 0, 1, vcc_lo
	v_cmp_ne_u32_e32 vcc_lo, v11, v12
	v_or_b32_e32 v18, v22, v18
	v_cndmask_b32_e64 v23, 0, 1, vcc_lo
	v_cmp_ne_u32_e32 vcc_lo, v13, v14
	s_delay_alu instid0(VALU_DEP_3) | instskip(NEXT) | instid1(VALU_DEP_3)
	v_lshlrev_b32_e32 v18, 16, v18
	v_lshlrev_b16 v23, 8, v23
	v_cndmask_b32_e64 v24, 0, 1, vcc_lo
	v_cmp_ne_u32_e32 vcc_lo, v14, v11
	s_delay_alu instid0(VALU_DEP_2) | instskip(SKIP_2) | instid1(VALU_DEP_2)
	v_lshlrev_b16 v24, 8, v24
	v_cndmask_b32_e64 v25, 0, 1, vcc_lo
	v_cmp_ne_u32_e32 vcc_lo, v16, v13
	v_or_b32_e32 v23, v25, v23
	v_cndmask_b32_e64 v26, 0, 1, vcc_lo
	v_cmp_ne_u32_e32 vcc_lo, v15, v16
	s_delay_alu instid0(VALU_DEP_3) | instskip(NEXT) | instid1(VALU_DEP_3)
	v_and_b32_e32 v23, 0xffff, v23
	v_or_b32_e32 v24, v26, v24
	v_cndmask_b32_e64 v27, 0, 1, vcc_lo
	s_delay_alu instid0(VALU_DEP_3) | instskip(NEXT) | instid1(VALU_DEP_3)
	v_or_b32_e32 v18, v23, v18
	v_lshlrev_b32_e32 v22, 16, v24
	s_delay_alu instid0(VALU_DEP_3) | instskip(NEXT) | instid1(VALU_DEP_1)
	v_lshlrev_b16 v26, 8, v27
	v_and_b32_e32 v24, 0xffff, v26
	s_delay_alu instid0(VALU_DEP_1)
	v_or_b32_e32 v17, v24, v22
	s_branch .LBB1283_54
.LBB1283_49:
                                        ; implicit-def: $sgpr0
                                        ; implicit-def: $vgpr18
	s_branch .LBB1283_55
.LBB1283_50:
                                        ; implicit-def: $sgpr0
                                        ; implicit-def: $vgpr18
	s_and_b32 vcc_lo, exec_lo, s1
	s_cbranch_vccz .LBB1283_54
; %bb.51:
	s_waitcnt vmcnt(0) lgkmcnt(0)
	s_barrier
	buffer_gl0_inv
	s_and_saveexec_b32 s0, s3
	s_cbranch_execz .LBB1283_53
; %bb.52:
	v_add_nc_u32_e32 v17, -4, v21
	ds_load_b32 v20, v17
.LBB1283_53:
	s_or_b32 exec_lo, exec_lo, s0
	v_or_b32_e32 v17, 7, v19
	v_or_b32_e32 v18, 6, v19
	;; [unrolled: 1-line block ×3, first 2 shown]
	v_cmp_ne_u32_e32 vcc_lo, v9, v10
	v_cmp_ne_u32_e64 s1, v12, v9
	v_cmp_gt_u32_e64 s0, s25, v17
	v_cmp_gt_u32_e64 s5, s25, v18
	v_cmp_ne_u32_e64 s4, v11, v12
	v_cmp_gt_u32_e64 s6, s25, v21
	v_or_b32_e32 v18, 3, v19
	s_and_b32 s0, s0, vcc_lo
	v_or_b32_e32 v22, 4, v19
	v_cndmask_b32_e64 v17, 0, 1, s0
	s_and_b32 s0, s5, s1
	v_cmp_gt_u32_e32 vcc_lo, s25, v18
	v_cndmask_b32_e64 v21, 0, 1, s0
	s_and_b32 s0, s6, s4
	v_or_b32_e32 v18, 2, v19
	v_cndmask_b32_e64 v23, 0, 1, s0
	v_cmp_ne_u32_e64 s0, v13, v14
	v_cmp_gt_u32_e64 s1, s25, v22
	v_or_b32_e32 v22, 1, v19
	v_cmp_ne_u32_e64 s4, v14, v11
	v_cmp_ne_u32_e64 s6, v15, v16
	s_and_b32 s0, vcc_lo, s0
	v_cmp_gt_u32_e32 vcc_lo, s25, v18
	v_cndmask_b32_e64 v24, 0, 1, s0
	v_cmp_ne_u32_e64 s0, v16, v13
	v_cmp_gt_u32_e64 s5, s25, v22
	s_and_b32 s1, s1, s4
	v_lshlrev_b16 v23, 8, v23
	v_cndmask_b32_e64 v18, 0, 1, s1
	s_and_b32 s0, vcc_lo, s0
	v_lshlrev_b16 v24, 8, v24
	v_cndmask_b32_e64 v22, 0, 1, s0
	s_and_b32 s0, s5, s6
	v_lshlrev_b16 v17, 8, v17
	v_cndmask_b32_e64 v25, 0, 1, s0
	v_or_b32_e32 v18, v18, v23
	v_or_b32_e32 v22, v22, v24
	v_cmp_gt_u32_e32 vcc_lo, s25, v19
	v_or_b32_e32 v17, v21, v17
	v_lshlrev_b16 v24, 8, v25
	v_and_b32_e32 v18, 0xffff, v18
	v_lshlrev_b32_e32 v21, 16, v22
	s_waitcnt lgkmcnt(0)
	v_cmp_ne_u32_e64 s0, v20, v15
	v_lshlrev_b32_e32 v23, 16, v17
	v_and_b32_e32 v22, 0xffff, v24
	s_delay_alu instid0(VALU_DEP_3) | instskip(NEXT) | instid1(VALU_DEP_2)
	s_and_b32 s0, vcc_lo, s0
	v_or_b32_e32 v18, v18, v23
	s_delay_alu instid0(VALU_DEP_2)
	v_or_b32_e32 v17, v22, v21
.LBB1283_54:
	s_mov_b32 s14, -1
	s_cbranch_execnz .LBB1283_63
.LBB1283_55:
	s_waitcnt vmcnt(0) lgkmcnt(1)
	v_lshlrev_b32_e32 v20, 2, v0
	v_cmp_ne_u32_e64 s1, v9, v10
	v_cmp_ne_u32_e64 s4, v12, v9
	v_cmp_ne_u32_e64 s5, v11, v12
	v_cmp_ne_u32_e64 s6, v14, v11
	v_cmp_ne_u32_e64 s7, v13, v14
	v_cmp_ne_u32_e64 s0, v16, v13
	v_cmp_ne_u32_e64 s8, v15, v16
	s_and_b32 vcc_lo, exec_lo, s23
	ds_store_b32 v20, v10
	s_cbranch_vccz .LBB1283_59
; %bb.56:
	v_cndmask_b32_e64 v17, 0, 1, s1
	v_cndmask_b32_e64 v21, 0, 1, s5
	;; [unrolled: 1-line block ×7, first 2 shown]
	v_lshlrev_b16 v21, 8, v21
	v_lshlrev_b16 v17, 8, v17
	;; [unrolled: 1-line block ×4, first 2 shown]
	s_waitcnt lgkmcnt(0)
	v_or_b32_e32 v21, v22, v21
	v_or_b32_e32 v17, v18, v17
	;; [unrolled: 1-line block ×4, first 2 shown]
	s_barrier
	v_and_b32_e32 v21, 0xffff, v21
	v_lshlrev_b32_e32 v17, 16, v17
	v_lshlrev_b32_e32 v23, 16, v18
	v_and_b32_e32 v22, 0xffff, v22
	buffer_gl0_inv
                                        ; implicit-def: $sgpr0
	v_or_b32_e32 v18, v21, v17
	v_or_b32_e32 v17, v22, v23
	s_and_saveexec_b32 s1, s3
	s_delay_alu instid0(SALU_CYCLE_1)
	s_xor_b32 s1, exec_lo, s1
	s_cbranch_execz .LBB1283_58
; %bb.57:
	v_add_nc_u32_e32 v21, -4, v20
	s_or_b32 s14, s14, exec_lo
	ds_load_b32 v21, v21
	s_waitcnt lgkmcnt(0)
	v_cmp_ne_u32_e32 vcc_lo, v21, v15
	s_and_b32 s0, vcc_lo, exec_lo
.LBB1283_58:
	s_or_b32 exec_lo, exec_lo, s1
	s_branch .LBB1283_63
.LBB1283_59:
                                        ; implicit-def: $sgpr0
                                        ; implicit-def: $vgpr18
	s_cbranch_execz .LBB1283_63
; %bb.60:
	v_or_b32_e32 v17, 7, v19
	v_or_b32_e32 v18, 6, v19
	v_cmp_ne_u32_e32 vcc_lo, v9, v10
	v_cmp_ne_u32_e64 s1, v12, v9
	v_or_b32_e32 v21, 5, v19
	v_cmp_gt_u32_e64 s0, s25, v17
	v_cmp_gt_u32_e64 s4, s25, v18
	v_or_b32_e32 v17, 4, v19
	v_or_b32_e32 v22, 3, v19
	v_cmp_gt_u32_e64 s5, s25, v21
	s_and_b32 s0, s0, vcc_lo
	v_cmp_ne_u32_e32 vcc_lo, v11, v12
	v_cndmask_b32_e64 v18, 0, 1, s0
	s_and_b32 s0, s4, s1
	v_cmp_ne_u32_e64 s1, v14, v11
	v_cndmask_b32_e64 v21, 0, 1, s0
	v_cmp_gt_u32_e64 s0, s25, v17
	v_or_b32_e32 v23, 1, v19
	s_and_b32 s4, s5, vcc_lo
	v_cmp_gt_u32_e32 vcc_lo, s25, v22
	v_cndmask_b32_e64 v17, 0, 1, s4
	s_and_b32 s0, s0, s1
	v_or_b32_e32 v25, 2, v19
	v_cndmask_b32_e64 v24, 0, 1, s0
	v_cmp_ne_u32_e64 s0, v13, v14
	v_cmp_gt_u32_e64 s1, s25, v23
	v_cmp_ne_u32_e64 s4, v15, v16
	v_cmp_gt_u32_e64 s5, s25, v25
	v_cmp_ne_u32_e64 s6, v16, v13
	s_and_b32 s0, vcc_lo, s0
	v_lshlrev_b16 v17, 8, v17
	v_cndmask_b32_e64 v22, 0, 1, s0
	s_and_b32 s0, s1, s4
	v_lshlrev_b16 v18, 8, v18
	v_cndmask_b32_e64 v23, 0, 1, s0
	s_and_b32 s0, s5, s6
	v_lshlrev_b16 v22, 8, v22
	v_cndmask_b32_e64 v25, 0, 1, s0
	v_or_b32_e32 v17, v24, v17
	v_lshlrev_b16 v23, 8, v23
	v_or_b32_e32 v18, v21, v18
	s_waitcnt lgkmcnt(0)
	v_or_b32_e32 v21, v25, v22
	v_and_b32_e32 v17, 0xffff, v17
	v_or_b32_e32 v22, 1, v23
	v_lshlrev_b32_e32 v18, 16, v18
	s_barrier
	v_lshlrev_b32_e32 v21, 16, v21
	buffer_gl0_inv
	v_and_b32_e32 v22, 0xffff, v22
	v_or_b32_e32 v18, v17, v18
                                        ; implicit-def: $sgpr0
	s_delay_alu instid0(VALU_DEP_2)
	v_or_b32_e32 v17, v22, v21
	s_and_saveexec_b32 s1, s3
	s_cbranch_execz .LBB1283_62
; %bb.61:
	v_add_nc_u32_e32 v20, -4, v20
	v_cmp_gt_u32_e32 vcc_lo, s25, v19
	s_or_b32 s14, s14, exec_lo
	ds_load_b32 v20, v20
	s_waitcnt lgkmcnt(0)
	v_cmp_ne_u32_e64 s0, v20, v15
	s_delay_alu instid0(VALU_DEP_1) | instskip(NEXT) | instid1(SALU_CYCLE_1)
	s_and_b32 s0, vcc_lo, s0
	s_and_b32 s0, s0, exec_lo
.LBB1283_62:
	s_or_b32 exec_lo, exec_lo, s1
.LBB1283_63:
	s_and_saveexec_b32 s1, s14
	s_cbranch_execz .LBB1283_65
; %bb.64:
	s_waitcnt vmcnt(0) lgkmcnt(1)
	v_and_b32_e32 v20, 0xffffff00, v17
	v_cndmask_b32_e64 v21, 0, 1, s0
	s_delay_alu instid0(VALU_DEP_1) | instskip(NEXT) | instid1(VALU_DEP_1)
	v_or_b32_e32 v20, v21, v20
	v_and_b32_e32 v20, 0xffff, v20
	s_delay_alu instid0(VALU_DEP_1)
	v_and_or_b32 v17, 0xffff0000, v17, v20
.LBB1283_65:
	s_or_b32 exec_lo, exec_lo, s1
	s_delay_alu instid0(SALU_CYCLE_1)
	s_and_not1_b32 vcc_lo, exec_lo, s26
	s_cbranch_vccnz .LBB1283_67
; %bb.66:
	v_cmp_gt_u32_e32 vcc_lo, s25, v19
	v_or_b32_e32 v21, 1, v19
	v_and_b32_e32 v22, 0xffffff00, v18
	v_or_b32_e32 v23, 2, v19
	s_waitcnt vmcnt(0) lgkmcnt(1)
	v_cndmask_b32_e32 v20, 0, v17, vcc_lo
	v_cmp_gt_u32_e32 vcc_lo, s25, v21
	v_or_b32_e32 v21, 4, v19
	v_cmp_gt_u32_e64 s0, s25, v23
	v_or_b32_e32 v23, 3, v19
	v_and_b32_e32 v20, 0xff, v20
	s_delay_alu instid0(VALU_DEP_2) | instskip(NEXT) | instid1(VALU_DEP_2)
	v_cmp_gt_u32_e64 s1, s25, v23
	v_cndmask_b32_e32 v20, v20, v17, vcc_lo
	v_cmp_gt_u32_e32 vcc_lo, s25, v21
	s_delay_alu instid0(VALU_DEP_2) | instskip(SKIP_1) | instid1(VALU_DEP_2)
	v_dual_cndmask_b32 v21, v22, v18 :: v_dual_and_b32 v20, 0xffff, v20
	v_or_b32_e32 v22, 5, v19
	v_cndmask_b32_e64 v20, v20, v17, s0
	s_delay_alu instid0(VALU_DEP_3) | instskip(NEXT) | instid1(VALU_DEP_3)
	v_and_b32_e32 v21, 0xffff00ff, v21
	v_cmp_gt_u32_e64 s0, s25, v22
	v_or_b32_e32 v22, 6, v19
	v_or_b32_e32 v19, 7, v19
	v_and_b32_e32 v20, 0xffffff, v20
	s_delay_alu instid0(VALU_DEP_4) | instskip(NEXT) | instid1(VALU_DEP_2)
	v_cndmask_b32_e64 v21, v21, v18, s0
	v_cndmask_b32_e64 v20, v20, v17, s1
	s_delay_alu instid0(VALU_DEP_2) | instskip(NEXT) | instid1(VALU_DEP_2)
	v_and_b32_e32 v21, 0xff00ffff, v21
	v_cndmask_b32_e32 v20, v20, v17, vcc_lo
	v_cmp_gt_u32_e32 vcc_lo, s25, v22
	s_delay_alu instid0(VALU_DEP_2) | instskip(NEXT) | instid1(VALU_DEP_1)
	v_cndmask_b32_e64 v20, v20, v17, s0
	v_dual_cndmask_b32 v21, v21, v18 :: v_dual_cndmask_b32 v20, v20, v17
	s_delay_alu instid0(VALU_DEP_1) | instskip(SKIP_1) | instid1(VALU_DEP_2)
	v_and_b32_e32 v21, 0xffffff, v21
	v_cmp_gt_u32_e32 vcc_lo, s25, v19
	v_dual_cndmask_b32 v18, v21, v18 :: v_dual_cndmask_b32 v17, v20, v17
.LBB1283_67:
	s_delay_alu instid0(VALU_DEP_1) | instskip(NEXT) | instid1(VALU_DEP_2)
	v_and_b32_e32 v28, 0xff, v17
	v_alignbit_b32 v19, v18, v17, 24
	v_bfe_u32 v30, v17, 8, 8
	v_bfe_u32 v32, v17, 16, 8
	v_and_b32_e32 v36, 0xff, v18
	v_bfe_u32 v38, v18, 8, 8
	v_and_b32_e32 v34, 0xff, v19
	v_add_nc_u32_e32 v19, v30, v28
	s_waitcnt vmcnt(0) lgkmcnt(1)
	v_and_b32_e32 v20, 0x1e0, v0
	v_mbcnt_lo_u32_b32 v41, -1, 0
	v_bfe_u32 v40, v18, 16, 8
	v_lshrrev_b32_e32 v39, 24, v18
	v_add3_u32 v19, v19, v32, v34
	v_min_u32_e32 v20, 0x160, v20
	v_and_b32_e32 v21, 15, v41
	v_lshrrev_b32_e32 v42, 5, v0
	s_and_b32 vcc_lo, exec_lo, s9
	v_add3_u32 v19, v19, v36, v38
	v_or_b32_e32 v20, 31, v20
	v_cmp_eq_u32_e64 s3, 0, v21
	v_cmp_lt_u32_e64 s4, 1, v21
	v_cmp_lt_u32_e64 s1, 3, v21
	v_add3_u32 v43, v19, v40, v39
	v_and_b32_e32 v19, 16, v41
	v_cmp_lt_u32_e64 s0, 7, v21
	v_cmp_eq_u32_e64 s5, v20, v0
	s_mov_b32 s7, -1
	s_waitcnt lgkmcnt(0)
	v_cmp_eq_u32_e64 s6, 0, v19
	s_barrier
	buffer_gl0_inv
	s_cbranch_vccz .LBB1283_98
; %bb.68:
	v_mov_b32_dpp v19, v43 row_shr:1 row_mask:0xf bank_mask:0xf
	s_delay_alu instid0(VALU_DEP_1) | instskip(NEXT) | instid1(VALU_DEP_1)
	v_cndmask_b32_e64 v19, v19, 0, s3
	v_add_nc_u32_e32 v19, v19, v43
	s_delay_alu instid0(VALU_DEP_1) | instskip(NEXT) | instid1(VALU_DEP_1)
	v_mov_b32_dpp v20, v19 row_shr:2 row_mask:0xf bank_mask:0xf
	v_cndmask_b32_e64 v20, 0, v20, s4
	s_delay_alu instid0(VALU_DEP_1) | instskip(NEXT) | instid1(VALU_DEP_1)
	v_add_nc_u32_e32 v19, v19, v20
	v_mov_b32_dpp v20, v19 row_shr:4 row_mask:0xf bank_mask:0xf
	s_delay_alu instid0(VALU_DEP_1) | instskip(NEXT) | instid1(VALU_DEP_1)
	v_cndmask_b32_e64 v20, 0, v20, s1
	v_add_nc_u32_e32 v19, v19, v20
	s_delay_alu instid0(VALU_DEP_1) | instskip(NEXT) | instid1(VALU_DEP_1)
	v_mov_b32_dpp v20, v19 row_shr:8 row_mask:0xf bank_mask:0xf
	v_cndmask_b32_e64 v20, 0, v20, s0
	s_delay_alu instid0(VALU_DEP_1) | instskip(SKIP_3) | instid1(VALU_DEP_1)
	v_add_nc_u32_e32 v19, v19, v20
	ds_swizzle_b32 v20, v19 offset:swizzle(BROADCAST,32,15)
	s_waitcnt lgkmcnt(0)
	v_cndmask_b32_e64 v20, v20, 0, s6
	v_add_nc_u32_e32 v19, v19, v20
	s_and_saveexec_b32 s7, s5
	s_cbranch_execz .LBB1283_70
; %bb.69:
	v_lshlrev_b32_e32 v20, 2, v42
	ds_store_b32 v20, v19
.LBB1283_70:
	s_or_b32 exec_lo, exec_lo, s7
	s_delay_alu instid0(SALU_CYCLE_1)
	s_mov_b32 s7, exec_lo
	s_waitcnt lgkmcnt(0)
	s_barrier
	buffer_gl0_inv
	v_cmpx_gt_u32_e32 12, v0
	s_cbranch_execz .LBB1283_72
; %bb.71:
	v_lshlrev_b32_e32 v20, 2, v0
	ds_load_b32 v21, v20
	s_waitcnt lgkmcnt(0)
	v_mov_b32_dpp v22, v21 row_shr:1 row_mask:0xf bank_mask:0xf
	s_delay_alu instid0(VALU_DEP_1) | instskip(NEXT) | instid1(VALU_DEP_1)
	v_cndmask_b32_e64 v22, v22, 0, s3
	v_add_nc_u32_e32 v21, v22, v21
	s_delay_alu instid0(VALU_DEP_1) | instskip(NEXT) | instid1(VALU_DEP_1)
	v_mov_b32_dpp v22, v21 row_shr:2 row_mask:0xf bank_mask:0xf
	v_cndmask_b32_e64 v22, 0, v22, s4
	s_delay_alu instid0(VALU_DEP_1) | instskip(NEXT) | instid1(VALU_DEP_1)
	v_add_nc_u32_e32 v21, v21, v22
	v_mov_b32_dpp v22, v21 row_shr:4 row_mask:0xf bank_mask:0xf
	s_delay_alu instid0(VALU_DEP_1) | instskip(NEXT) | instid1(VALU_DEP_1)
	v_cndmask_b32_e64 v22, 0, v22, s1
	v_add_nc_u32_e32 v21, v21, v22
	s_delay_alu instid0(VALU_DEP_1) | instskip(NEXT) | instid1(VALU_DEP_1)
	v_mov_b32_dpp v22, v21 row_shr:8 row_mask:0xf bank_mask:0xf
	v_cndmask_b32_e64 v22, 0, v22, s0
	s_delay_alu instid0(VALU_DEP_1)
	v_add_nc_u32_e32 v21, v21, v22
	ds_store_b32 v20, v21
.LBB1283_72:
	s_or_b32 exec_lo, exec_lo, s7
	v_cmp_gt_u32_e32 vcc_lo, 32, v0
	s_mov_b32 s8, exec_lo
	s_waitcnt lgkmcnt(0)
	s_barrier
	buffer_gl0_inv
                                        ; implicit-def: $vgpr27
	v_cmpx_lt_u32_e32 31, v0
	s_cbranch_execz .LBB1283_74
; %bb.73:
	v_lshl_add_u32 v20, v42, 2, -4
	ds_load_b32 v27, v20
	s_waitcnt lgkmcnt(0)
	v_add_nc_u32_e32 v19, v27, v19
.LBB1283_74:
	s_or_b32 exec_lo, exec_lo, s8
	v_add_nc_u32_e32 v20, -1, v41
	s_delay_alu instid0(VALU_DEP_1) | instskip(NEXT) | instid1(VALU_DEP_1)
	v_cmp_gt_i32_e64 s7, 0, v20
	v_cndmask_b32_e64 v20, v20, v41, s7
	v_cmp_eq_u32_e64 s7, 0, v41
	s_delay_alu instid0(VALU_DEP_2)
	v_lshlrev_b32_e32 v20, 2, v20
	ds_bpermute_b32 v29, v20, v19
	s_and_saveexec_b32 s8, vcc_lo
	s_cbranch_execz .LBB1283_97
; %bb.75:
	v_mov_b32_e32 v23, 0
	ds_load_b32 v19, v23 offset:44
	s_and_saveexec_b32 s9, s7
	s_cbranch_execz .LBB1283_77
; %bb.76:
	s_add_i32 s14, s24, 32
	s_mov_b32 s15, 0
	v_mov_b32_e32 v20, 1
	s_lshl_b64 s[14:15], s[14:15], 3
	s_delay_alu instid0(SALU_CYCLE_1)
	s_add_u32 s14, s20, s14
	s_addc_u32 s15, s21, s15
	s_waitcnt lgkmcnt(0)
	global_store_b64 v23, v[19:20], s[14:15]
.LBB1283_77:
	s_or_b32 exec_lo, exec_lo, s9
	v_xad_u32 v21, v41, -1, s24
	s_mov_b32 s14, 0
	s_mov_b32 s9, exec_lo
	s_delay_alu instid0(VALU_DEP_1) | instskip(NEXT) | instid1(VALU_DEP_1)
	v_add_nc_u32_e32 v22, 32, v21
	v_lshlrev_b64 v[22:23], 3, v[22:23]
	s_delay_alu instid0(VALU_DEP_1) | instskip(NEXT) | instid1(VALU_DEP_2)
	v_add_co_u32 v25, vcc_lo, s20, v22
	v_add_co_ci_u32_e32 v26, vcc_lo, s21, v23, vcc_lo
	global_load_b64 v[23:24], v[25:26], off glc
	s_waitcnt vmcnt(0)
	v_and_b32_e32 v20, 0xff, v24
	s_delay_alu instid0(VALU_DEP_1)
	v_cmpx_eq_u16_e32 0, v20
	s_cbranch_execz .LBB1283_83
; %bb.78:
	s_mov_b32 s15, 1
	.p2align	6
.LBB1283_79:                            ; =>This Loop Header: Depth=1
                                        ;     Child Loop BB1283_80 Depth 2
	s_delay_alu instid0(SALU_CYCLE_1)
	s_max_u32 s25, s15, 1
.LBB1283_80:                            ;   Parent Loop BB1283_79 Depth=1
                                        ; =>  This Inner Loop Header: Depth=2
	s_delay_alu instid0(SALU_CYCLE_1)
	s_add_i32 s25, s25, -1
	s_sleep 1
	s_cmp_eq_u32 s25, 0
	s_cbranch_scc0 .LBB1283_80
; %bb.81:                               ;   in Loop: Header=BB1283_79 Depth=1
	global_load_b64 v[23:24], v[25:26], off glc
	s_cmp_lt_u32 s15, 32
	s_cselect_b32 s25, -1, 0
	s_delay_alu instid0(SALU_CYCLE_1) | instskip(SKIP_3) | instid1(VALU_DEP_1)
	s_cmp_lg_u32 s25, 0
	s_addc_u32 s15, s15, 0
	s_waitcnt vmcnt(0)
	v_and_b32_e32 v20, 0xff, v24
	v_cmp_ne_u16_e32 vcc_lo, 0, v20
	s_or_b32 s14, vcc_lo, s14
	s_delay_alu instid0(SALU_CYCLE_1)
	s_and_not1_b32 exec_lo, exec_lo, s14
	s_cbranch_execnz .LBB1283_79
; %bb.82:
	s_or_b32 exec_lo, exec_lo, s14
.LBB1283_83:
	s_delay_alu instid0(SALU_CYCLE_1)
	s_or_b32 exec_lo, exec_lo, s9
	v_cmp_ne_u32_e32 vcc_lo, 31, v41
	v_lshlrev_b32_e64 v33, v41, -1
	v_add_nc_u32_e32 v37, 2, v41
	v_add_nc_u32_e32 v45, 4, v41
	;; [unrolled: 1-line block ×3, first 2 shown]
	v_add_co_ci_u32_e32 v20, vcc_lo, 0, v41, vcc_lo
	v_add_nc_u32_e32 v49, 16, v41
	s_delay_alu instid0(VALU_DEP_2)
	v_lshlrev_b32_e32 v31, 2, v20
	v_and_b32_e32 v20, 0xff, v24
	ds_bpermute_b32 v22, v31, v23
	v_cmp_eq_u16_e32 vcc_lo, 2, v20
	v_and_or_b32 v20, vcc_lo, v33, 0x80000000
	v_cmp_gt_u32_e32 vcc_lo, 30, v41
	s_delay_alu instid0(VALU_DEP_2) | instskip(SKIP_1) | instid1(VALU_DEP_2)
	v_ctz_i32_b32_e32 v20, v20
	v_cndmask_b32_e64 v25, 0, 1, vcc_lo
	v_cmp_lt_u32_e32 vcc_lo, v41, v20
	s_waitcnt lgkmcnt(0)
	s_delay_alu instid0(VALU_DEP_2) | instskip(NEXT) | instid1(VALU_DEP_1)
	v_dual_cndmask_b32 v22, 0, v22 :: v_dual_lshlrev_b32 v25, 1, v25
	v_add_lshl_u32 v35, v25, v41, 2
	v_cmp_gt_u32_e32 vcc_lo, 28, v41
	s_delay_alu instid0(VALU_DEP_3) | instskip(SKIP_4) | instid1(VALU_DEP_1)
	v_add_nc_u32_e32 v22, v22, v23
	v_cndmask_b32_e64 v25, 0, 1, vcc_lo
	v_cmp_le_u32_e32 vcc_lo, v37, v20
	ds_bpermute_b32 v23, v35, v22
	v_lshlrev_b32_e32 v25, 2, v25
	v_add_lshl_u32 v44, v25, v41, 2
	s_waitcnt lgkmcnt(0)
	v_cndmask_b32_e32 v23, 0, v23, vcc_lo
	v_cmp_gt_u32_e32 vcc_lo, 24, v41
	s_delay_alu instid0(VALU_DEP_2) | instskip(SKIP_4) | instid1(VALU_DEP_1)
	v_add_nc_u32_e32 v22, v22, v23
	v_cndmask_b32_e64 v25, 0, 1, vcc_lo
	v_cmp_le_u32_e32 vcc_lo, v45, v20
	ds_bpermute_b32 v23, v44, v22
	v_lshlrev_b32_e32 v25, 3, v25
	v_add_lshl_u32 v46, v25, v41, 2
	s_waitcnt lgkmcnt(0)
	v_cndmask_b32_e32 v23, 0, v23, vcc_lo
	v_cmp_gt_u32_e32 vcc_lo, 16, v41
	s_delay_alu instid0(VALU_DEP_2) | instskip(SKIP_4) | instid1(VALU_DEP_1)
	v_add_nc_u32_e32 v22, v22, v23
	v_cndmask_b32_e64 v25, 0, 1, vcc_lo
	v_cmp_le_u32_e32 vcc_lo, v47, v20
	ds_bpermute_b32 v23, v46, v22
	v_lshlrev_b32_e32 v25, 4, v25
	v_add_lshl_u32 v48, v25, v41, 2
	s_waitcnt lgkmcnt(0)
	v_cndmask_b32_e32 v23, 0, v23, vcc_lo
	v_cmp_le_u32_e32 vcc_lo, v49, v20
	s_delay_alu instid0(VALU_DEP_2) | instskip(SKIP_3) | instid1(VALU_DEP_1)
	v_add_nc_u32_e32 v22, v22, v23
	ds_bpermute_b32 v23, v48, v22
	s_waitcnt lgkmcnt(0)
	v_cndmask_b32_e32 v20, 0, v23, vcc_lo
	v_dual_mov_b32 v22, 0 :: v_dual_add_nc_u32 v23, v22, v20
	s_branch .LBB1283_85
.LBB1283_84:                            ;   in Loop: Header=BB1283_85 Depth=1
	s_or_b32 exec_lo, exec_lo, s9
	ds_bpermute_b32 v26, v31, v23
	v_and_b32_e32 v25, 0xff, v24
	v_subrev_nc_u32_e32 v21, 32, v21
	s_delay_alu instid0(VALU_DEP_2) | instskip(SKIP_1) | instid1(VALU_DEP_1)
	v_cmp_eq_u16_e32 vcc_lo, 2, v25
	v_and_or_b32 v25, vcc_lo, v33, 0x80000000
	v_ctz_i32_b32_e32 v25, v25
	s_delay_alu instid0(VALU_DEP_1) | instskip(SKIP_3) | instid1(VALU_DEP_2)
	v_cmp_lt_u32_e32 vcc_lo, v41, v25
	s_waitcnt lgkmcnt(0)
	v_cndmask_b32_e32 v26, 0, v26, vcc_lo
	v_cmp_le_u32_e32 vcc_lo, v37, v25
	v_add_nc_u32_e32 v23, v26, v23
	ds_bpermute_b32 v26, v35, v23
	s_waitcnt lgkmcnt(0)
	v_cndmask_b32_e32 v26, 0, v26, vcc_lo
	v_cmp_le_u32_e32 vcc_lo, v45, v25
	s_delay_alu instid0(VALU_DEP_2) | instskip(SKIP_4) | instid1(VALU_DEP_2)
	v_add_nc_u32_e32 v23, v23, v26
	ds_bpermute_b32 v26, v44, v23
	s_waitcnt lgkmcnt(0)
	v_cndmask_b32_e32 v26, 0, v26, vcc_lo
	v_cmp_le_u32_e32 vcc_lo, v47, v25
	v_add_nc_u32_e32 v23, v23, v26
	ds_bpermute_b32 v26, v46, v23
	s_waitcnt lgkmcnt(0)
	v_cndmask_b32_e32 v26, 0, v26, vcc_lo
	v_cmp_le_u32_e32 vcc_lo, v49, v25
	s_delay_alu instid0(VALU_DEP_2) | instskip(SKIP_3) | instid1(VALU_DEP_1)
	v_add_nc_u32_e32 v23, v23, v26
	ds_bpermute_b32 v26, v48, v23
	s_waitcnt lgkmcnt(0)
	v_cndmask_b32_e32 v25, 0, v26, vcc_lo
	v_add3_u32 v23, v25, v20, v23
.LBB1283_85:                            ; =>This Loop Header: Depth=1
                                        ;     Child Loop BB1283_88 Depth 2
                                        ;       Child Loop BB1283_89 Depth 3
	v_and_b32_e32 v20, 0xff, v24
	s_delay_alu instid0(VALU_DEP_1) | instskip(SKIP_2) | instid1(VALU_DEP_1)
	v_cmp_ne_u16_e32 vcc_lo, 2, v20
	v_cndmask_b32_e64 v20, 0, 1, vcc_lo
	;;#ASMSTART
	;;#ASMEND
	v_cmp_ne_u32_e32 vcc_lo, 0, v20
	v_mov_b32_e32 v20, v23
	s_cmp_lg_u32 vcc_lo, exec_lo
	s_cbranch_scc1 .LBB1283_92
; %bb.86:                               ;   in Loop: Header=BB1283_85 Depth=1
	v_lshlrev_b64 v[23:24], 3, v[21:22]
	s_mov_b32 s9, exec_lo
	s_delay_alu instid0(VALU_DEP_1) | instskip(NEXT) | instid1(VALU_DEP_2)
	v_add_co_u32 v25, vcc_lo, s20, v23
	v_add_co_ci_u32_e32 v26, vcc_lo, s21, v24, vcc_lo
	global_load_b64 v[23:24], v[25:26], off glc
	s_waitcnt vmcnt(0)
	v_and_b32_e32 v50, 0xff, v24
	s_delay_alu instid0(VALU_DEP_1)
	v_cmpx_eq_u16_e32 0, v50
	s_cbranch_execz .LBB1283_84
; %bb.87:                               ;   in Loop: Header=BB1283_85 Depth=1
	s_mov_b32 s15, 1
	s_mov_b32 s14, 0
	.p2align	6
.LBB1283_88:                            ;   Parent Loop BB1283_85 Depth=1
                                        ; =>  This Loop Header: Depth=2
                                        ;       Child Loop BB1283_89 Depth 3
	s_max_u32 s25, s15, 1
.LBB1283_89:                            ;   Parent Loop BB1283_85 Depth=1
                                        ;     Parent Loop BB1283_88 Depth=2
                                        ; =>    This Inner Loop Header: Depth=3
	s_delay_alu instid0(SALU_CYCLE_1)
	s_add_i32 s25, s25, -1
	s_sleep 1
	s_cmp_eq_u32 s25, 0
	s_cbranch_scc0 .LBB1283_89
; %bb.90:                               ;   in Loop: Header=BB1283_88 Depth=2
	global_load_b64 v[23:24], v[25:26], off glc
	s_cmp_lt_u32 s15, 32
	s_cselect_b32 s25, -1, 0
	s_delay_alu instid0(SALU_CYCLE_1) | instskip(SKIP_3) | instid1(VALU_DEP_1)
	s_cmp_lg_u32 s25, 0
	s_addc_u32 s15, s15, 0
	s_waitcnt vmcnt(0)
	v_and_b32_e32 v50, 0xff, v24
	v_cmp_ne_u16_e32 vcc_lo, 0, v50
	s_or_b32 s14, vcc_lo, s14
	s_delay_alu instid0(SALU_CYCLE_1)
	s_and_not1_b32 exec_lo, exec_lo, s14
	s_cbranch_execnz .LBB1283_88
; %bb.91:                               ;   in Loop: Header=BB1283_85 Depth=1
	s_or_b32 exec_lo, exec_lo, s14
	s_branch .LBB1283_84
.LBB1283_92:                            ;   in Loop: Header=BB1283_85 Depth=1
                                        ; implicit-def: $vgpr23
                                        ; implicit-def: $vgpr24
	s_cbranch_execz .LBB1283_85
; %bb.93:
	s_and_saveexec_b32 s9, s7
	s_cbranch_execz .LBB1283_95
; %bb.94:
	s_add_i32 s14, s24, 32
	s_mov_b32 s15, 0
	v_dual_mov_b32 v22, 2 :: v_dual_add_nc_u32 v21, v20, v19
	s_lshl_b64 s[14:15], s[14:15], 3
	v_mov_b32_e32 v23, 0
	s_add_u32 s14, s20, s14
	s_addc_u32 s15, s21, s15
	global_store_b64 v23, v[21:22], s[14:15]
	ds_store_b64 v23, v[19:20] offset:12672
.LBB1283_95:
	s_or_b32 exec_lo, exec_lo, s9
	s_delay_alu instid0(SALU_CYCLE_1)
	s_and_b32 exec_lo, exec_lo, s2
	s_cbranch_execz .LBB1283_97
; %bb.96:
	v_mov_b32_e32 v19, 0
	ds_store_b32 v19, v20 offset:44
.LBB1283_97:
	s_or_b32 exec_lo, exec_lo, s8
	v_mov_b32_e32 v19, 0
	s_waitcnt lgkmcnt(0)
	s_waitcnt_vscnt null, 0x0
	s_barrier
	buffer_gl0_inv
	v_cndmask_b32_e64 v21, v29, v27, s7
	ds_load_b32 v20, v19 offset:44
	s_waitcnt lgkmcnt(0)
	s_barrier
	buffer_gl0_inv
	v_cndmask_b32_e64 v21, v21, 0, s2
	s_delay_alu instid0(VALU_DEP_1) | instskip(SKIP_2) | instid1(VALU_DEP_1)
	v_add_nc_u32_e32 v37, v20, v21
	ds_load_b64 v[19:20], v19 offset:12672
	v_add_nc_u32_e32 v35, v37, v28
	v_add_nc_u32_e32 v33, v35, v30
	s_delay_alu instid0(VALU_DEP_1) | instskip(NEXT) | instid1(VALU_DEP_1)
	v_add_nc_u32_e32 v31, v33, v32
	v_add_nc_u32_e32 v29, v31, v34
	s_delay_alu instid0(VALU_DEP_1) | instskip(NEXT) | instid1(VALU_DEP_1)
	v_add_nc_u32_e32 v27, v29, v36
	v_add_nc_u32_e32 v25, v27, v38
	s_delay_alu instid0(VALU_DEP_1)
	v_add_nc_u32_e32 v23, v25, v40
	v_lshrrev_b64 v[21:22], 24, v[17:18]
	s_branch .LBB1283_108
.LBB1283_98:
                                        ; implicit-def: $vgpr23
                                        ; implicit-def: $vgpr25
                                        ; implicit-def: $vgpr27
                                        ; implicit-def: $vgpr29
                                        ; implicit-def: $vgpr31
                                        ; implicit-def: $vgpr33
                                        ; implicit-def: $vgpr35
                                        ; implicit-def: $vgpr37
                                        ; implicit-def: $vgpr20
	v_lshrrev_b64 v[21:22], 24, v[17:18]
	s_and_b32 vcc_lo, exec_lo, s7
	s_cbranch_vccz .LBB1283_108
; %bb.99:
	s_waitcnt lgkmcnt(0)
	v_mov_b32_dpp v19, v43 row_shr:1 row_mask:0xf bank_mask:0xf
	s_delay_alu instid0(VALU_DEP_1) | instskip(NEXT) | instid1(VALU_DEP_1)
	v_cndmask_b32_e64 v19, v19, 0, s3
	v_add_nc_u32_e32 v19, v19, v43
	s_delay_alu instid0(VALU_DEP_1) | instskip(NEXT) | instid1(VALU_DEP_1)
	v_mov_b32_dpp v20, v19 row_shr:2 row_mask:0xf bank_mask:0xf
	v_cndmask_b32_e64 v20, 0, v20, s4
	s_delay_alu instid0(VALU_DEP_1) | instskip(NEXT) | instid1(VALU_DEP_1)
	v_add_nc_u32_e32 v19, v19, v20
	v_mov_b32_dpp v20, v19 row_shr:4 row_mask:0xf bank_mask:0xf
	s_delay_alu instid0(VALU_DEP_1) | instskip(NEXT) | instid1(VALU_DEP_1)
	v_cndmask_b32_e64 v20, 0, v20, s1
	v_add_nc_u32_e32 v19, v19, v20
	s_delay_alu instid0(VALU_DEP_1) | instskip(NEXT) | instid1(VALU_DEP_1)
	v_mov_b32_dpp v20, v19 row_shr:8 row_mask:0xf bank_mask:0xf
	v_cndmask_b32_e64 v20, 0, v20, s0
	s_delay_alu instid0(VALU_DEP_1) | instskip(SKIP_3) | instid1(VALU_DEP_1)
	v_add_nc_u32_e32 v19, v19, v20
	ds_swizzle_b32 v20, v19 offset:swizzle(BROADCAST,32,15)
	s_waitcnt lgkmcnt(0)
	v_cndmask_b32_e64 v20, v20, 0, s6
	v_add_nc_u32_e32 v19, v19, v20
	s_and_saveexec_b32 s6, s5
	s_cbranch_execz .LBB1283_101
; %bb.100:
	v_lshlrev_b32_e32 v20, 2, v42
	ds_store_b32 v20, v19
.LBB1283_101:
	s_or_b32 exec_lo, exec_lo, s6
	s_delay_alu instid0(SALU_CYCLE_1)
	s_mov_b32 s5, exec_lo
	s_waitcnt lgkmcnt(0)
	s_barrier
	buffer_gl0_inv
	v_cmpx_gt_u32_e32 12, v0
	s_cbranch_execz .LBB1283_103
; %bb.102:
	v_lshlrev_b32_e32 v20, 2, v0
	ds_load_b32 v22, v20
	s_waitcnt lgkmcnt(0)
	v_mov_b32_dpp v23, v22 row_shr:1 row_mask:0xf bank_mask:0xf
	s_delay_alu instid0(VALU_DEP_1) | instskip(NEXT) | instid1(VALU_DEP_1)
	v_cndmask_b32_e64 v23, v23, 0, s3
	v_add_nc_u32_e32 v22, v23, v22
	s_delay_alu instid0(VALU_DEP_1) | instskip(NEXT) | instid1(VALU_DEP_1)
	v_mov_b32_dpp v23, v22 row_shr:2 row_mask:0xf bank_mask:0xf
	v_cndmask_b32_e64 v23, 0, v23, s4
	s_delay_alu instid0(VALU_DEP_1) | instskip(NEXT) | instid1(VALU_DEP_1)
	v_add_nc_u32_e32 v22, v22, v23
	v_mov_b32_dpp v23, v22 row_shr:4 row_mask:0xf bank_mask:0xf
	s_delay_alu instid0(VALU_DEP_1) | instskip(NEXT) | instid1(VALU_DEP_1)
	v_cndmask_b32_e64 v23, 0, v23, s1
	v_add_nc_u32_e32 v22, v22, v23
	s_delay_alu instid0(VALU_DEP_1) | instskip(NEXT) | instid1(VALU_DEP_1)
	v_mov_b32_dpp v23, v22 row_shr:8 row_mask:0xf bank_mask:0xf
	v_cndmask_b32_e64 v23, 0, v23, s0
	s_delay_alu instid0(VALU_DEP_1)
	v_add_nc_u32_e32 v22, v22, v23
	ds_store_b32 v20, v22
.LBB1283_103:
	s_or_b32 exec_lo, exec_lo, s5
	v_mov_b32_e32 v20, 0
	v_mov_b32_e32 v22, 0
	s_mov_b32 s0, exec_lo
	s_waitcnt lgkmcnt(0)
	s_barrier
	buffer_gl0_inv
	v_cmpx_lt_u32_e32 31, v0
	s_cbranch_execz .LBB1283_105
; %bb.104:
	v_lshl_add_u32 v22, v42, 2, -4
	ds_load_b32 v22, v22
.LBB1283_105:
	s_or_b32 exec_lo, exec_lo, s0
	v_add_nc_u32_e32 v23, -1, v41
	s_waitcnt lgkmcnt(0)
	v_add_nc_u32_e32 v19, v22, v19
	s_delay_alu instid0(VALU_DEP_2) | instskip(SKIP_1) | instid1(VALU_DEP_1)
	v_cmp_gt_i32_e32 vcc_lo, 0, v23
	v_cndmask_b32_e32 v23, v23, v41, vcc_lo
	v_lshlrev_b32_e32 v23, 2, v23
	ds_bpermute_b32 v23, v23, v19
	ds_load_b32 v19, v20 offset:44
	s_and_saveexec_b32 s0, s2
	s_cbranch_execz .LBB1283_107
; %bb.106:
	v_mov_b32_e32 v24, 0
	v_mov_b32_e32 v20, 2
	s_waitcnt lgkmcnt(0)
	global_store_b64 v24, v[19:20], s[20:21] offset:256
.LBB1283_107:
	s_or_b32 exec_lo, exec_lo, s0
	v_cmp_eq_u32_e32 vcc_lo, 0, v41
	s_waitcnt lgkmcnt(0)
	s_waitcnt_vscnt null, 0x0
	s_barrier
	buffer_gl0_inv
	v_cndmask_b32_e32 v20, v23, v22, vcc_lo
	s_delay_alu instid0(VALU_DEP_1) | instskip(NEXT) | instid1(VALU_DEP_1)
	v_cndmask_b32_e64 v37, v20, 0, s2
	v_dual_mov_b32 v20, 0 :: v_dual_add_nc_u32 v35, v37, v28
	s_delay_alu instid0(VALU_DEP_1) | instskip(NEXT) | instid1(VALU_DEP_1)
	v_add_nc_u32_e32 v33, v35, v30
	v_add_nc_u32_e32 v31, v33, v32
	s_delay_alu instid0(VALU_DEP_1) | instskip(NEXT) | instid1(VALU_DEP_1)
	v_add_nc_u32_e32 v29, v31, v34
	v_add_nc_u32_e32 v27, v29, v36
	;; [unrolled: 3-line block ×3, first 2 shown]
.LBB1283_108:
	s_waitcnt lgkmcnt(0)
	v_add_nc_u32_e32 v43, v20, v19
	v_cmp_gt_u32_e64 s0, 0x181, v19
	v_lshrrev_b32_e32 v42, 8, v17
	v_lshrrev_b32_e32 v41, 16, v17
	;; [unrolled: 1-line block ×4, first 2 shown]
	v_cmp_lt_u32_e64 s1, v37, v43
	s_and_b32 vcc_lo, exec_lo, s0
	s_mov_b32 s3, -1
	s_cbranch_vccz .LBB1283_134
; %bb.109:
	s_lshl_b64 s[4:5], s[10:11], 2
	s_delay_alu instid0(SALU_CYCLE_1) | instskip(SKIP_2) | instid1(SALU_CYCLE_1)
	s_add_u32 s3, s16, s4
	s_addc_u32 s4, s17, s5
	s_or_b32 s5, s23, s1
	s_and_saveexec_b32 s1, s5
	s_cbranch_execz .LBB1283_112
; %bb.110:
	v_and_b32_e32 v24, 1, v17
	s_delay_alu instid0(VALU_DEP_1)
	v_cmp_eq_u32_e32 vcc_lo, 1, v24
	s_and_b32 exec_lo, exec_lo, vcc_lo
	s_cbranch_execz .LBB1283_112
; %bb.111:
	v_mov_b32_e32 v38, 0
	s_delay_alu instid0(VALU_DEP_1) | instskip(NEXT) | instid1(VALU_DEP_1)
	v_lshlrev_b64 v[44:45], 2, v[37:38]
	v_add_co_u32 v44, vcc_lo, s3, v44
	s_delay_alu instid0(VALU_DEP_2)
	v_add_co_ci_u32_e32 v45, vcc_lo, s4, v45, vcc_lo
	global_store_b32 v[44:45], v15, off
.LBB1283_112:
	s_or_b32 exec_lo, exec_lo, s1
	v_cmp_lt_u32_e32 vcc_lo, v35, v43
	s_or_b32 s5, s23, vcc_lo
	s_delay_alu instid0(SALU_CYCLE_1)
	s_and_saveexec_b32 s1, s5
	s_cbranch_execz .LBB1283_115
; %bb.113:
	v_and_b32_e32 v24, 1, v42
	s_delay_alu instid0(VALU_DEP_1)
	v_cmp_eq_u32_e32 vcc_lo, 1, v24
	s_and_b32 exec_lo, exec_lo, vcc_lo
	s_cbranch_execz .LBB1283_115
; %bb.114:
	v_mov_b32_e32 v36, 0
	s_delay_alu instid0(VALU_DEP_1) | instskip(NEXT) | instid1(VALU_DEP_1)
	v_lshlrev_b64 v[44:45], 2, v[35:36]
	v_add_co_u32 v44, vcc_lo, s3, v44
	s_delay_alu instid0(VALU_DEP_2)
	v_add_co_ci_u32_e32 v45, vcc_lo, s4, v45, vcc_lo
	global_store_b32 v[44:45], v16, off
.LBB1283_115:
	s_or_b32 exec_lo, exec_lo, s1
	v_cmp_lt_u32_e32 vcc_lo, v33, v43
	s_or_b32 s5, s23, vcc_lo
	s_delay_alu instid0(SALU_CYCLE_1)
	s_and_saveexec_b32 s1, s5
	s_cbranch_execz .LBB1283_118
; %bb.116:
	v_and_b32_e32 v24, 1, v41
	s_delay_alu instid0(VALU_DEP_1)
	v_cmp_eq_u32_e32 vcc_lo, 1, v24
	s_and_b32 exec_lo, exec_lo, vcc_lo
	s_cbranch_execz .LBB1283_118
; %bb.117:
	v_mov_b32_e32 v34, 0
	s_delay_alu instid0(VALU_DEP_1) | instskip(NEXT) | instid1(VALU_DEP_1)
	v_lshlrev_b64 v[44:45], 2, v[33:34]
	v_add_co_u32 v44, vcc_lo, s3, v44
	s_delay_alu instid0(VALU_DEP_2)
	v_add_co_ci_u32_e32 v45, vcc_lo, s4, v45, vcc_lo
	global_store_b32 v[44:45], v13, off
.LBB1283_118:
	s_or_b32 exec_lo, exec_lo, s1
	v_cmp_lt_u32_e32 vcc_lo, v31, v43
	s_or_b32 s5, s23, vcc_lo
	s_delay_alu instid0(SALU_CYCLE_1)
	s_and_saveexec_b32 s1, s5
	s_cbranch_execz .LBB1283_121
; %bb.119:
	v_and_b32_e32 v24, 1, v21
	s_delay_alu instid0(VALU_DEP_1)
	v_cmp_eq_u32_e32 vcc_lo, 1, v24
	s_and_b32 exec_lo, exec_lo, vcc_lo
	s_cbranch_execz .LBB1283_121
; %bb.120:
	v_mov_b32_e32 v32, 0
	s_delay_alu instid0(VALU_DEP_1) | instskip(NEXT) | instid1(VALU_DEP_1)
	v_lshlrev_b64 v[44:45], 2, v[31:32]
	v_add_co_u32 v44, vcc_lo, s3, v44
	s_delay_alu instid0(VALU_DEP_2)
	v_add_co_ci_u32_e32 v45, vcc_lo, s4, v45, vcc_lo
	global_store_b32 v[44:45], v14, off
.LBB1283_121:
	s_or_b32 exec_lo, exec_lo, s1
	v_cmp_lt_u32_e32 vcc_lo, v29, v43
	s_or_b32 s5, s23, vcc_lo
	s_delay_alu instid0(SALU_CYCLE_1)
	s_and_saveexec_b32 s1, s5
	s_cbranch_execz .LBB1283_124
; %bb.122:
	v_and_b32_e32 v24, 1, v18
	s_delay_alu instid0(VALU_DEP_1)
	v_cmp_eq_u32_e32 vcc_lo, 1, v24
	s_and_b32 exec_lo, exec_lo, vcc_lo
	s_cbranch_execz .LBB1283_124
; %bb.123:
	v_mov_b32_e32 v30, 0
	s_delay_alu instid0(VALU_DEP_1) | instskip(NEXT) | instid1(VALU_DEP_1)
	v_lshlrev_b64 v[44:45], 2, v[29:30]
	v_add_co_u32 v44, vcc_lo, s3, v44
	s_delay_alu instid0(VALU_DEP_2)
	v_add_co_ci_u32_e32 v45, vcc_lo, s4, v45, vcc_lo
	global_store_b32 v[44:45], v11, off
.LBB1283_124:
	s_or_b32 exec_lo, exec_lo, s1
	v_cmp_lt_u32_e32 vcc_lo, v27, v43
	s_or_b32 s5, s23, vcc_lo
	s_delay_alu instid0(SALU_CYCLE_1)
	s_and_saveexec_b32 s1, s5
	s_cbranch_execz .LBB1283_127
; %bb.125:
	v_and_b32_e32 v24, 1, v40
	s_delay_alu instid0(VALU_DEP_1)
	v_cmp_eq_u32_e32 vcc_lo, 1, v24
	s_and_b32 exec_lo, exec_lo, vcc_lo
	s_cbranch_execz .LBB1283_127
; %bb.126:
	v_mov_b32_e32 v28, 0
	s_delay_alu instid0(VALU_DEP_1) | instskip(NEXT) | instid1(VALU_DEP_1)
	v_lshlrev_b64 v[44:45], 2, v[27:28]
	v_add_co_u32 v44, vcc_lo, s3, v44
	s_delay_alu instid0(VALU_DEP_2)
	v_add_co_ci_u32_e32 v45, vcc_lo, s4, v45, vcc_lo
	global_store_b32 v[44:45], v12, off
.LBB1283_127:
	s_or_b32 exec_lo, exec_lo, s1
	v_cmp_lt_u32_e32 vcc_lo, v25, v43
	s_or_b32 s5, s23, vcc_lo
	s_delay_alu instid0(SALU_CYCLE_1)
	s_and_saveexec_b32 s1, s5
	s_cbranch_execz .LBB1283_130
; %bb.128:
	v_and_b32_e32 v24, 1, v22
	s_delay_alu instid0(VALU_DEP_1)
	v_cmp_eq_u32_e32 vcc_lo, 1, v24
	s_and_b32 exec_lo, exec_lo, vcc_lo
	s_cbranch_execz .LBB1283_130
; %bb.129:
	v_mov_b32_e32 v26, 0
	s_delay_alu instid0(VALU_DEP_1) | instskip(NEXT) | instid1(VALU_DEP_1)
	v_lshlrev_b64 v[44:45], 2, v[25:26]
	v_add_co_u32 v44, vcc_lo, s3, v44
	s_delay_alu instid0(VALU_DEP_2)
	v_add_co_ci_u32_e32 v45, vcc_lo, s4, v45, vcc_lo
	global_store_b32 v[44:45], v9, off
.LBB1283_130:
	s_or_b32 exec_lo, exec_lo, s1
	v_cmp_lt_u32_e32 vcc_lo, v23, v43
	s_or_b32 s5, s23, vcc_lo
	s_delay_alu instid0(SALU_CYCLE_1)
	s_and_saveexec_b32 s1, s5
	s_cbranch_execz .LBB1283_133
; %bb.131:
	v_and_b32_e32 v24, 1, v39
	s_delay_alu instid0(VALU_DEP_1)
	v_cmp_eq_u32_e32 vcc_lo, 1, v24
	s_and_b32 exec_lo, exec_lo, vcc_lo
	s_cbranch_execz .LBB1283_133
; %bb.132:
	v_mov_b32_e32 v24, 0
	s_delay_alu instid0(VALU_DEP_1) | instskip(NEXT) | instid1(VALU_DEP_1)
	v_lshlrev_b64 v[44:45], 2, v[23:24]
	v_add_co_u32 v44, vcc_lo, s3, v44
	s_delay_alu instid0(VALU_DEP_2)
	v_add_co_ci_u32_e32 v45, vcc_lo, s4, v45, vcc_lo
	global_store_b32 v[44:45], v10, off
.LBB1283_133:
	s_or_b32 exec_lo, exec_lo, s1
	s_mov_b32 s3, 0
.LBB1283_134:
	v_and_b32_e32 v17, 1, v17
	s_and_b32 vcc_lo, exec_lo, s3
	s_delay_alu instid0(VALU_DEP_1)
	v_cmp_eq_u32_e64 s1, 1, v17
	s_cbranch_vccz .LBB1283_155
; %bb.135:
	s_delay_alu instid0(VALU_DEP_1)
	s_and_saveexec_b32 s3, s1
	s_cbranch_execz .LBB1283_137
; %bb.136:
	v_sub_nc_u32_e32 v24, v37, v20
	s_delay_alu instid0(VALU_DEP_1)
	v_lshlrev_b32_e32 v24, 2, v24
	ds_store_b32 v24, v15
.LBB1283_137:
	s_or_b32 exec_lo, exec_lo, s3
	v_and_b32_e32 v15, 1, v42
	s_mov_b32 s1, exec_lo
	s_delay_alu instid0(VALU_DEP_1)
	v_cmpx_eq_u32_e32 1, v15
	s_cbranch_execz .LBB1283_139
; %bb.138:
	v_sub_nc_u32_e32 v15, v35, v20
	s_delay_alu instid0(VALU_DEP_1)
	v_lshlrev_b32_e32 v15, 2, v15
	ds_store_b32 v15, v16
.LBB1283_139:
	s_or_b32 exec_lo, exec_lo, s1
	v_and_b32_e32 v15, 1, v41
	s_mov_b32 s1, exec_lo
	s_delay_alu instid0(VALU_DEP_1)
	v_cmpx_eq_u32_e32 1, v15
	;; [unrolled: 12-line block ×7, first 2 shown]
	s_cbranch_execz .LBB1283_151
; %bb.150:
	v_sub_nc_u32_e32 v9, v23, v20
	s_delay_alu instid0(VALU_DEP_1)
	v_lshlrev_b32_e32 v9, 2, v9
	ds_store_b32 v9, v10
.LBB1283_151:
	s_or_b32 exec_lo, exec_lo, s1
	s_delay_alu instid0(SALU_CYCLE_1)
	s_mov_b32 s3, exec_lo
	s_waitcnt lgkmcnt(0)
	s_waitcnt_vscnt null, 0x0
	s_barrier
	buffer_gl0_inv
	v_cmpx_lt_u32_e64 v0, v19
	s_cbranch_execz .LBB1283_154
; %bb.152:
	v_dual_mov_b32 v10, 0 :: v_dual_mov_b32 v9, v20
	s_lshl_b64 s[4:5], s[10:11], 2
	v_lshlrev_b32_e32 v11, 2, v0
	s_add_u32 s1, s16, s4
	s_addc_u32 s4, s17, s5
	v_lshlrev_b64 v[12:13], 2, v[9:10]
	v_mov_b32_e32 v9, v0
	s_delay_alu instid0(VALU_DEP_2) | instskip(NEXT) | instid1(VALU_DEP_3)
	v_add_co_u32 v12, vcc_lo, s1, v12
	v_add_co_ci_u32_e32 v13, vcc_lo, s4, v13, vcc_lo
	s_mov_b32 s4, 0
	.p2align	6
.LBB1283_153:                           ; =>This Inner Loop Header: Depth=1
	ds_load_b32 v16, v11
	v_lshlrev_b64 v[14:15], 2, v[9:10]
	v_add_nc_u32_e32 v9, 0x180, v9
	v_add_nc_u32_e32 v11, 0x600, v11
	s_delay_alu instid0(VALU_DEP_2) | instskip(NEXT) | instid1(VALU_DEP_4)
	v_cmp_ge_u32_e32 vcc_lo, v9, v19
	v_add_co_u32 v14, s1, v12, v14
	s_delay_alu instid0(VALU_DEP_1)
	v_add_co_ci_u32_e64 v15, s1, v13, v15, s1
	s_or_b32 s4, vcc_lo, s4
	s_waitcnt lgkmcnt(0)
	global_store_b32 v[14:15], v16, off
	s_and_not1_b32 exec_lo, exec_lo, s4
	s_cbranch_execnz .LBB1283_153
.LBB1283_154:
	s_or_b32 exec_lo, exec_lo, s3
.LBB1283_155:
	s_delay_alu instid0(SALU_CYCLE_1)
	s_and_b32 vcc_lo, exec_lo, s0
	s_mov_b32 s0, -1
	s_waitcnt_vscnt null, 0x0
	s_barrier
	buffer_gl0_inv
	s_cbranch_vccz .LBB1283_183
; %bb.156:
	v_cmp_lt_u32_e32 vcc_lo, v37, v43
	s_lshl_b64 s[0:1], s[10:11], 2
	s_delay_alu instid0(SALU_CYCLE_1) | instskip(SKIP_2) | instid1(SALU_CYCLE_1)
	s_add_u32 s0, s18, s0
	s_addc_u32 s1, s19, s1
	s_or_b32 s4, s23, vcc_lo
	s_and_saveexec_b32 s3, s4
	s_cbranch_execz .LBB1283_159
; %bb.157:
	v_cmp_eq_u32_e32 vcc_lo, 1, v17
	s_and_b32 exec_lo, exec_lo, vcc_lo
	s_cbranch_execz .LBB1283_159
; %bb.158:
	v_mov_b32_e32 v38, 0
	s_delay_alu instid0(VALU_DEP_1) | instskip(NEXT) | instid1(VALU_DEP_1)
	v_lshlrev_b64 v[9:10], 2, v[37:38]
	v_add_co_u32 v9, vcc_lo, s0, v9
	s_delay_alu instid0(VALU_DEP_2)
	v_add_co_ci_u32_e32 v10, vcc_lo, s1, v10, vcc_lo
	global_store_b32 v[9:10], v7, off
.LBB1283_159:
	s_or_b32 exec_lo, exec_lo, s3
	v_cmp_lt_u32_e32 vcc_lo, v35, v43
	s_or_b32 s4, s23, vcc_lo
	s_delay_alu instid0(SALU_CYCLE_1)
	s_and_saveexec_b32 s3, s4
	s_cbranch_execz .LBB1283_162
; %bb.160:
	v_and_b32_e32 v9, 1, v42
	s_delay_alu instid0(VALU_DEP_1)
	v_cmp_eq_u32_e32 vcc_lo, 1, v9
	s_and_b32 exec_lo, exec_lo, vcc_lo
	s_cbranch_execz .LBB1283_162
; %bb.161:
	v_mov_b32_e32 v36, 0
	s_delay_alu instid0(VALU_DEP_1) | instskip(NEXT) | instid1(VALU_DEP_1)
	v_lshlrev_b64 v[9:10], 2, v[35:36]
	v_add_co_u32 v9, vcc_lo, s0, v9
	s_delay_alu instid0(VALU_DEP_2)
	v_add_co_ci_u32_e32 v10, vcc_lo, s1, v10, vcc_lo
	global_store_b32 v[9:10], v8, off
.LBB1283_162:
	s_or_b32 exec_lo, exec_lo, s3
	v_cmp_lt_u32_e32 vcc_lo, v33, v43
	s_or_b32 s4, s23, vcc_lo
	s_delay_alu instid0(SALU_CYCLE_1)
	s_and_saveexec_b32 s3, s4
	s_cbranch_execz .LBB1283_165
; %bb.163:
	v_and_b32_e32 v9, 1, v41
	s_delay_alu instid0(VALU_DEP_1)
	v_cmp_eq_u32_e32 vcc_lo, 1, v9
	s_and_b32 exec_lo, exec_lo, vcc_lo
	s_cbranch_execz .LBB1283_165
; %bb.164:
	v_mov_b32_e32 v34, 0
	s_delay_alu instid0(VALU_DEP_1) | instskip(NEXT) | instid1(VALU_DEP_1)
	v_lshlrev_b64 v[9:10], 2, v[33:34]
	v_add_co_u32 v9, vcc_lo, s0, v9
	s_delay_alu instid0(VALU_DEP_2)
	v_add_co_ci_u32_e32 v10, vcc_lo, s1, v10, vcc_lo
	global_store_b32 v[9:10], v5, off
.LBB1283_165:
	;; [unrolled: 21-line block ×7, first 2 shown]
	s_or_b32 exec_lo, exec_lo, s3
.LBB1283_181:
	s_and_b32 s0, s2, s22
	s_delay_alu instid0(SALU_CYCLE_1)
	s_and_saveexec_b32 s1, s0
	s_cbranch_execz .LBB1283_204
.LBB1283_182:
	v_add_co_u32 v0, s0, s10, v19
	s_delay_alu instid0(VALU_DEP_1) | instskip(SKIP_1) | instid1(VALU_DEP_3)
	v_add_co_ci_u32_e64 v1, null, s11, 0, s0
	v_mov_b32_e32 v2, 0
	v_add_co_u32 v0, vcc_lo, v0, v20
	s_delay_alu instid0(VALU_DEP_3)
	v_add_co_ci_u32_e32 v1, vcc_lo, 0, v1, vcc_lo
	global_store_b64 v2, v[0:1], s[12:13]
	s_nop 0
	s_sendmsg sendmsg(MSG_DEALLOC_VGPRS)
	s_endpgm
.LBB1283_183:
	s_and_b32 vcc_lo, exec_lo, s0
	s_cbranch_vccz .LBB1283_181
; %bb.184:
	s_mov_b32 s0, exec_lo
	v_cmpx_eq_u32_e32 1, v17
	s_cbranch_execz .LBB1283_186
; %bb.185:
	v_sub_nc_u32_e32 v9, v37, v20
	s_delay_alu instid0(VALU_DEP_1)
	v_lshlrev_b32_e32 v9, 2, v9
	ds_store_b32 v9, v7
.LBB1283_186:
	s_or_b32 exec_lo, exec_lo, s0
	v_and_b32_e32 v7, 1, v42
	s_mov_b32 s0, exec_lo
	s_delay_alu instid0(VALU_DEP_1)
	v_cmpx_eq_u32_e32 1, v7
	s_cbranch_execz .LBB1283_188
; %bb.187:
	v_sub_nc_u32_e32 v7, v35, v20
	s_delay_alu instid0(VALU_DEP_1)
	v_lshlrev_b32_e32 v7, 2, v7
	ds_store_b32 v7, v8
.LBB1283_188:
	s_or_b32 exec_lo, exec_lo, s0
	v_and_b32_e32 v7, 1, v41
	s_mov_b32 s0, exec_lo
	s_delay_alu instid0(VALU_DEP_1)
	;; [unrolled: 12-line block ×7, first 2 shown]
	v_cmpx_eq_u32_e32 1, v1
	s_cbranch_execz .LBB1283_200
; %bb.199:
	v_sub_nc_u32_e32 v1, v23, v20
	s_delay_alu instid0(VALU_DEP_1)
	v_lshlrev_b32_e32 v1, 2, v1
	ds_store_b32 v1, v2
.LBB1283_200:
	s_or_b32 exec_lo, exec_lo, s0
	s_delay_alu instid0(SALU_CYCLE_1)
	s_mov_b32 s1, exec_lo
	s_waitcnt lgkmcnt(0)
	s_waitcnt_vscnt null, 0x0
	s_barrier
	buffer_gl0_inv
	v_cmpx_lt_u32_e64 v0, v19
	s_cbranch_execz .LBB1283_203
; %bb.201:
	v_dual_mov_b32 v1, 0 :: v_dual_mov_b32 v2, v20
	s_lshl_b64 s[4:5], s[10:11], 2
	v_lshlrev_b32_e32 v4, 2, v0
	s_add_u32 s0, s18, s4
	s_delay_alu instid0(VALU_DEP_2) | instskip(SKIP_1) | instid1(VALU_DEP_1)
	v_mov_b32_e32 v3, v1
	s_addc_u32 s3, s19, s5
	v_lshlrev_b64 v[2:3], 2, v[2:3]
	s_delay_alu instid0(VALU_DEP_1) | instskip(NEXT) | instid1(VALU_DEP_2)
	v_add_co_u32 v2, vcc_lo, s0, v2
	v_add_co_ci_u32_e32 v3, vcc_lo, s3, v3, vcc_lo
	s_mov_b32 s3, 0
	.p2align	6
.LBB1283_202:                           ; =>This Inner Loop Header: Depth=1
	ds_load_b32 v7, v4
	v_lshlrev_b64 v[5:6], 2, v[0:1]
	v_add_nc_u32_e32 v0, 0x180, v0
	v_add_nc_u32_e32 v4, 0x600, v4
	s_delay_alu instid0(VALU_DEP_2) | instskip(NEXT) | instid1(VALU_DEP_4)
	v_cmp_ge_u32_e32 vcc_lo, v0, v19
	v_add_co_u32 v5, s0, v2, v5
	s_delay_alu instid0(VALU_DEP_1)
	v_add_co_ci_u32_e64 v6, s0, v3, v6, s0
	s_or_b32 s3, vcc_lo, s3
	s_waitcnt lgkmcnt(0)
	global_store_b32 v[5:6], v7, off
	s_and_not1_b32 exec_lo, exec_lo, s3
	s_cbranch_execnz .LBB1283_202
.LBB1283_203:
	s_or_b32 exec_lo, exec_lo, s1
	s_and_b32 s0, s2, s22
	s_delay_alu instid0(SALU_CYCLE_1)
	s_and_saveexec_b32 s1, s0
	s_cbranch_execnz .LBB1283_182
.LBB1283_204:
	s_nop 0
	s_sendmsg sendmsg(MSG_DEALLOC_VGPRS)
	s_endpgm
	.section	.rodata,"a",@progbits
	.p2align	6, 0x0
	.amdhsa_kernel _ZN7rocprim17ROCPRIM_400000_NS6detail17trampoline_kernelINS0_14default_configENS1_25partition_config_selectorILNS1_17partition_subalgoE9EiibEEZZNS1_14partition_implILS5_9ELb0ES3_jN6thrust23THRUST_200600_302600_NS10device_ptrIiEESB_PNS0_10empty_typeENS0_5tupleIJSB_SC_EEENSE_IJSB_SD_EEENS0_18inequality_wrapperINS9_8equal_toIiEEEEPmJSC_EEE10hipError_tPvRmT3_T4_T5_T6_T7_T9_mT8_P12ihipStream_tbDpT10_ENKUlT_T0_E_clISt17integral_constantIbLb1EES15_EEDaS10_S11_EUlS10_E_NS1_11comp_targetILNS1_3genE9ELNS1_11target_archE1100ELNS1_3gpuE3ELNS1_3repE0EEENS1_30default_config_static_selectorELNS0_4arch9wavefront6targetE0EEEvT1_
		.amdhsa_group_segment_fixed_size 12680
		.amdhsa_private_segment_fixed_size 0
		.amdhsa_kernarg_size 128
		.amdhsa_user_sgpr_count 15
		.amdhsa_user_sgpr_dispatch_ptr 0
		.amdhsa_user_sgpr_queue_ptr 0
		.amdhsa_user_sgpr_kernarg_segment_ptr 1
		.amdhsa_user_sgpr_dispatch_id 0
		.amdhsa_user_sgpr_private_segment_size 0
		.amdhsa_wavefront_size32 1
		.amdhsa_uses_dynamic_stack 0
		.amdhsa_enable_private_segment 0
		.amdhsa_system_sgpr_workgroup_id_x 1
		.amdhsa_system_sgpr_workgroup_id_y 0
		.amdhsa_system_sgpr_workgroup_id_z 0
		.amdhsa_system_sgpr_workgroup_info 0
		.amdhsa_system_vgpr_workitem_id 0
		.amdhsa_next_free_vgpr 51
		.amdhsa_next_free_sgpr 29
		.amdhsa_reserve_vcc 1
		.amdhsa_float_round_mode_32 0
		.amdhsa_float_round_mode_16_64 0
		.amdhsa_float_denorm_mode_32 3
		.amdhsa_float_denorm_mode_16_64 3
		.amdhsa_dx10_clamp 1
		.amdhsa_ieee_mode 1
		.amdhsa_fp16_overflow 0
		.amdhsa_workgroup_processor_mode 1
		.amdhsa_memory_ordered 1
		.amdhsa_forward_progress 0
		.amdhsa_shared_vgpr_count 0
		.amdhsa_exception_fp_ieee_invalid_op 0
		.amdhsa_exception_fp_denorm_src 0
		.amdhsa_exception_fp_ieee_div_zero 0
		.amdhsa_exception_fp_ieee_overflow 0
		.amdhsa_exception_fp_ieee_underflow 0
		.amdhsa_exception_fp_ieee_inexact 0
		.amdhsa_exception_int_div_zero 0
	.end_amdhsa_kernel
	.section	.text._ZN7rocprim17ROCPRIM_400000_NS6detail17trampoline_kernelINS0_14default_configENS1_25partition_config_selectorILNS1_17partition_subalgoE9EiibEEZZNS1_14partition_implILS5_9ELb0ES3_jN6thrust23THRUST_200600_302600_NS10device_ptrIiEESB_PNS0_10empty_typeENS0_5tupleIJSB_SC_EEENSE_IJSB_SD_EEENS0_18inequality_wrapperINS9_8equal_toIiEEEEPmJSC_EEE10hipError_tPvRmT3_T4_T5_T6_T7_T9_mT8_P12ihipStream_tbDpT10_ENKUlT_T0_E_clISt17integral_constantIbLb1EES15_EEDaS10_S11_EUlS10_E_NS1_11comp_targetILNS1_3genE9ELNS1_11target_archE1100ELNS1_3gpuE3ELNS1_3repE0EEENS1_30default_config_static_selectorELNS0_4arch9wavefront6targetE0EEEvT1_,"axG",@progbits,_ZN7rocprim17ROCPRIM_400000_NS6detail17trampoline_kernelINS0_14default_configENS1_25partition_config_selectorILNS1_17partition_subalgoE9EiibEEZZNS1_14partition_implILS5_9ELb0ES3_jN6thrust23THRUST_200600_302600_NS10device_ptrIiEESB_PNS0_10empty_typeENS0_5tupleIJSB_SC_EEENSE_IJSB_SD_EEENS0_18inequality_wrapperINS9_8equal_toIiEEEEPmJSC_EEE10hipError_tPvRmT3_T4_T5_T6_T7_T9_mT8_P12ihipStream_tbDpT10_ENKUlT_T0_E_clISt17integral_constantIbLb1EES15_EEDaS10_S11_EUlS10_E_NS1_11comp_targetILNS1_3genE9ELNS1_11target_archE1100ELNS1_3gpuE3ELNS1_3repE0EEENS1_30default_config_static_selectorELNS0_4arch9wavefront6targetE0EEEvT1_,comdat
.Lfunc_end1283:
	.size	_ZN7rocprim17ROCPRIM_400000_NS6detail17trampoline_kernelINS0_14default_configENS1_25partition_config_selectorILNS1_17partition_subalgoE9EiibEEZZNS1_14partition_implILS5_9ELb0ES3_jN6thrust23THRUST_200600_302600_NS10device_ptrIiEESB_PNS0_10empty_typeENS0_5tupleIJSB_SC_EEENSE_IJSB_SD_EEENS0_18inequality_wrapperINS9_8equal_toIiEEEEPmJSC_EEE10hipError_tPvRmT3_T4_T5_T6_T7_T9_mT8_P12ihipStream_tbDpT10_ENKUlT_T0_E_clISt17integral_constantIbLb1EES15_EEDaS10_S11_EUlS10_E_NS1_11comp_targetILNS1_3genE9ELNS1_11target_archE1100ELNS1_3gpuE3ELNS1_3repE0EEENS1_30default_config_static_selectorELNS0_4arch9wavefront6targetE0EEEvT1_, .Lfunc_end1283-_ZN7rocprim17ROCPRIM_400000_NS6detail17trampoline_kernelINS0_14default_configENS1_25partition_config_selectorILNS1_17partition_subalgoE9EiibEEZZNS1_14partition_implILS5_9ELb0ES3_jN6thrust23THRUST_200600_302600_NS10device_ptrIiEESB_PNS0_10empty_typeENS0_5tupleIJSB_SC_EEENSE_IJSB_SD_EEENS0_18inequality_wrapperINS9_8equal_toIiEEEEPmJSC_EEE10hipError_tPvRmT3_T4_T5_T6_T7_T9_mT8_P12ihipStream_tbDpT10_ENKUlT_T0_E_clISt17integral_constantIbLb1EES15_EEDaS10_S11_EUlS10_E_NS1_11comp_targetILNS1_3genE9ELNS1_11target_archE1100ELNS1_3gpuE3ELNS1_3repE0EEENS1_30default_config_static_selectorELNS0_4arch9wavefront6targetE0EEEvT1_
                                        ; -- End function
	.section	.AMDGPU.csdata,"",@progbits
; Kernel info:
; codeLenInByte = 9460
; NumSgprs: 31
; NumVgprs: 51
; ScratchSize: 0
; MemoryBound: 0
; FloatMode: 240
; IeeeMode: 1
; LDSByteSize: 12680 bytes/workgroup (compile time only)
; SGPRBlocks: 3
; VGPRBlocks: 6
; NumSGPRsForWavesPerEU: 31
; NumVGPRsForWavesPerEU: 51
; Occupancy: 15
; WaveLimiterHint : 1
; COMPUTE_PGM_RSRC2:SCRATCH_EN: 0
; COMPUTE_PGM_RSRC2:USER_SGPR: 15
; COMPUTE_PGM_RSRC2:TRAP_HANDLER: 0
; COMPUTE_PGM_RSRC2:TGID_X_EN: 1
; COMPUTE_PGM_RSRC2:TGID_Y_EN: 0
; COMPUTE_PGM_RSRC2:TGID_Z_EN: 0
; COMPUTE_PGM_RSRC2:TIDIG_COMP_CNT: 0
	.section	.text._ZN7rocprim17ROCPRIM_400000_NS6detail17trampoline_kernelINS0_14default_configENS1_25partition_config_selectorILNS1_17partition_subalgoE9EiibEEZZNS1_14partition_implILS5_9ELb0ES3_jN6thrust23THRUST_200600_302600_NS10device_ptrIiEESB_PNS0_10empty_typeENS0_5tupleIJSB_SC_EEENSE_IJSB_SD_EEENS0_18inequality_wrapperINS9_8equal_toIiEEEEPmJSC_EEE10hipError_tPvRmT3_T4_T5_T6_T7_T9_mT8_P12ihipStream_tbDpT10_ENKUlT_T0_E_clISt17integral_constantIbLb1EES15_EEDaS10_S11_EUlS10_E_NS1_11comp_targetILNS1_3genE8ELNS1_11target_archE1030ELNS1_3gpuE2ELNS1_3repE0EEENS1_30default_config_static_selectorELNS0_4arch9wavefront6targetE0EEEvT1_,"axG",@progbits,_ZN7rocprim17ROCPRIM_400000_NS6detail17trampoline_kernelINS0_14default_configENS1_25partition_config_selectorILNS1_17partition_subalgoE9EiibEEZZNS1_14partition_implILS5_9ELb0ES3_jN6thrust23THRUST_200600_302600_NS10device_ptrIiEESB_PNS0_10empty_typeENS0_5tupleIJSB_SC_EEENSE_IJSB_SD_EEENS0_18inequality_wrapperINS9_8equal_toIiEEEEPmJSC_EEE10hipError_tPvRmT3_T4_T5_T6_T7_T9_mT8_P12ihipStream_tbDpT10_ENKUlT_T0_E_clISt17integral_constantIbLb1EES15_EEDaS10_S11_EUlS10_E_NS1_11comp_targetILNS1_3genE8ELNS1_11target_archE1030ELNS1_3gpuE2ELNS1_3repE0EEENS1_30default_config_static_selectorELNS0_4arch9wavefront6targetE0EEEvT1_,comdat
	.protected	_ZN7rocprim17ROCPRIM_400000_NS6detail17trampoline_kernelINS0_14default_configENS1_25partition_config_selectorILNS1_17partition_subalgoE9EiibEEZZNS1_14partition_implILS5_9ELb0ES3_jN6thrust23THRUST_200600_302600_NS10device_ptrIiEESB_PNS0_10empty_typeENS0_5tupleIJSB_SC_EEENSE_IJSB_SD_EEENS0_18inequality_wrapperINS9_8equal_toIiEEEEPmJSC_EEE10hipError_tPvRmT3_T4_T5_T6_T7_T9_mT8_P12ihipStream_tbDpT10_ENKUlT_T0_E_clISt17integral_constantIbLb1EES15_EEDaS10_S11_EUlS10_E_NS1_11comp_targetILNS1_3genE8ELNS1_11target_archE1030ELNS1_3gpuE2ELNS1_3repE0EEENS1_30default_config_static_selectorELNS0_4arch9wavefront6targetE0EEEvT1_ ; -- Begin function _ZN7rocprim17ROCPRIM_400000_NS6detail17trampoline_kernelINS0_14default_configENS1_25partition_config_selectorILNS1_17partition_subalgoE9EiibEEZZNS1_14partition_implILS5_9ELb0ES3_jN6thrust23THRUST_200600_302600_NS10device_ptrIiEESB_PNS0_10empty_typeENS0_5tupleIJSB_SC_EEENSE_IJSB_SD_EEENS0_18inequality_wrapperINS9_8equal_toIiEEEEPmJSC_EEE10hipError_tPvRmT3_T4_T5_T6_T7_T9_mT8_P12ihipStream_tbDpT10_ENKUlT_T0_E_clISt17integral_constantIbLb1EES15_EEDaS10_S11_EUlS10_E_NS1_11comp_targetILNS1_3genE8ELNS1_11target_archE1030ELNS1_3gpuE2ELNS1_3repE0EEENS1_30default_config_static_selectorELNS0_4arch9wavefront6targetE0EEEvT1_
	.globl	_ZN7rocprim17ROCPRIM_400000_NS6detail17trampoline_kernelINS0_14default_configENS1_25partition_config_selectorILNS1_17partition_subalgoE9EiibEEZZNS1_14partition_implILS5_9ELb0ES3_jN6thrust23THRUST_200600_302600_NS10device_ptrIiEESB_PNS0_10empty_typeENS0_5tupleIJSB_SC_EEENSE_IJSB_SD_EEENS0_18inequality_wrapperINS9_8equal_toIiEEEEPmJSC_EEE10hipError_tPvRmT3_T4_T5_T6_T7_T9_mT8_P12ihipStream_tbDpT10_ENKUlT_T0_E_clISt17integral_constantIbLb1EES15_EEDaS10_S11_EUlS10_E_NS1_11comp_targetILNS1_3genE8ELNS1_11target_archE1030ELNS1_3gpuE2ELNS1_3repE0EEENS1_30default_config_static_selectorELNS0_4arch9wavefront6targetE0EEEvT1_
	.p2align	8
	.type	_ZN7rocprim17ROCPRIM_400000_NS6detail17trampoline_kernelINS0_14default_configENS1_25partition_config_selectorILNS1_17partition_subalgoE9EiibEEZZNS1_14partition_implILS5_9ELb0ES3_jN6thrust23THRUST_200600_302600_NS10device_ptrIiEESB_PNS0_10empty_typeENS0_5tupleIJSB_SC_EEENSE_IJSB_SD_EEENS0_18inequality_wrapperINS9_8equal_toIiEEEEPmJSC_EEE10hipError_tPvRmT3_T4_T5_T6_T7_T9_mT8_P12ihipStream_tbDpT10_ENKUlT_T0_E_clISt17integral_constantIbLb1EES15_EEDaS10_S11_EUlS10_E_NS1_11comp_targetILNS1_3genE8ELNS1_11target_archE1030ELNS1_3gpuE2ELNS1_3repE0EEENS1_30default_config_static_selectorELNS0_4arch9wavefront6targetE0EEEvT1_,@function
_ZN7rocprim17ROCPRIM_400000_NS6detail17trampoline_kernelINS0_14default_configENS1_25partition_config_selectorILNS1_17partition_subalgoE9EiibEEZZNS1_14partition_implILS5_9ELb0ES3_jN6thrust23THRUST_200600_302600_NS10device_ptrIiEESB_PNS0_10empty_typeENS0_5tupleIJSB_SC_EEENSE_IJSB_SD_EEENS0_18inequality_wrapperINS9_8equal_toIiEEEEPmJSC_EEE10hipError_tPvRmT3_T4_T5_T6_T7_T9_mT8_P12ihipStream_tbDpT10_ENKUlT_T0_E_clISt17integral_constantIbLb1EES15_EEDaS10_S11_EUlS10_E_NS1_11comp_targetILNS1_3genE8ELNS1_11target_archE1030ELNS1_3gpuE2ELNS1_3repE0EEENS1_30default_config_static_selectorELNS0_4arch9wavefront6targetE0EEEvT1_: ; @_ZN7rocprim17ROCPRIM_400000_NS6detail17trampoline_kernelINS0_14default_configENS1_25partition_config_selectorILNS1_17partition_subalgoE9EiibEEZZNS1_14partition_implILS5_9ELb0ES3_jN6thrust23THRUST_200600_302600_NS10device_ptrIiEESB_PNS0_10empty_typeENS0_5tupleIJSB_SC_EEENSE_IJSB_SD_EEENS0_18inequality_wrapperINS9_8equal_toIiEEEEPmJSC_EEE10hipError_tPvRmT3_T4_T5_T6_T7_T9_mT8_P12ihipStream_tbDpT10_ENKUlT_T0_E_clISt17integral_constantIbLb1EES15_EEDaS10_S11_EUlS10_E_NS1_11comp_targetILNS1_3genE8ELNS1_11target_archE1030ELNS1_3gpuE2ELNS1_3repE0EEENS1_30default_config_static_selectorELNS0_4arch9wavefront6targetE0EEEvT1_
; %bb.0:
	.section	.rodata,"a",@progbits
	.p2align	6, 0x0
	.amdhsa_kernel _ZN7rocprim17ROCPRIM_400000_NS6detail17trampoline_kernelINS0_14default_configENS1_25partition_config_selectorILNS1_17partition_subalgoE9EiibEEZZNS1_14partition_implILS5_9ELb0ES3_jN6thrust23THRUST_200600_302600_NS10device_ptrIiEESB_PNS0_10empty_typeENS0_5tupleIJSB_SC_EEENSE_IJSB_SD_EEENS0_18inequality_wrapperINS9_8equal_toIiEEEEPmJSC_EEE10hipError_tPvRmT3_T4_T5_T6_T7_T9_mT8_P12ihipStream_tbDpT10_ENKUlT_T0_E_clISt17integral_constantIbLb1EES15_EEDaS10_S11_EUlS10_E_NS1_11comp_targetILNS1_3genE8ELNS1_11target_archE1030ELNS1_3gpuE2ELNS1_3repE0EEENS1_30default_config_static_selectorELNS0_4arch9wavefront6targetE0EEEvT1_
		.amdhsa_group_segment_fixed_size 0
		.amdhsa_private_segment_fixed_size 0
		.amdhsa_kernarg_size 128
		.amdhsa_user_sgpr_count 15
		.amdhsa_user_sgpr_dispatch_ptr 0
		.amdhsa_user_sgpr_queue_ptr 0
		.amdhsa_user_sgpr_kernarg_segment_ptr 1
		.amdhsa_user_sgpr_dispatch_id 0
		.amdhsa_user_sgpr_private_segment_size 0
		.amdhsa_wavefront_size32 1
		.amdhsa_uses_dynamic_stack 0
		.amdhsa_enable_private_segment 0
		.amdhsa_system_sgpr_workgroup_id_x 1
		.amdhsa_system_sgpr_workgroup_id_y 0
		.amdhsa_system_sgpr_workgroup_id_z 0
		.amdhsa_system_sgpr_workgroup_info 0
		.amdhsa_system_vgpr_workitem_id 0
		.amdhsa_next_free_vgpr 1
		.amdhsa_next_free_sgpr 1
		.amdhsa_reserve_vcc 0
		.amdhsa_float_round_mode_32 0
		.amdhsa_float_round_mode_16_64 0
		.amdhsa_float_denorm_mode_32 3
		.amdhsa_float_denorm_mode_16_64 3
		.amdhsa_dx10_clamp 1
		.amdhsa_ieee_mode 1
		.amdhsa_fp16_overflow 0
		.amdhsa_workgroup_processor_mode 1
		.amdhsa_memory_ordered 1
		.amdhsa_forward_progress 0
		.amdhsa_shared_vgpr_count 0
		.amdhsa_exception_fp_ieee_invalid_op 0
		.amdhsa_exception_fp_denorm_src 0
		.amdhsa_exception_fp_ieee_div_zero 0
		.amdhsa_exception_fp_ieee_overflow 0
		.amdhsa_exception_fp_ieee_underflow 0
		.amdhsa_exception_fp_ieee_inexact 0
		.amdhsa_exception_int_div_zero 0
	.end_amdhsa_kernel
	.section	.text._ZN7rocprim17ROCPRIM_400000_NS6detail17trampoline_kernelINS0_14default_configENS1_25partition_config_selectorILNS1_17partition_subalgoE9EiibEEZZNS1_14partition_implILS5_9ELb0ES3_jN6thrust23THRUST_200600_302600_NS10device_ptrIiEESB_PNS0_10empty_typeENS0_5tupleIJSB_SC_EEENSE_IJSB_SD_EEENS0_18inequality_wrapperINS9_8equal_toIiEEEEPmJSC_EEE10hipError_tPvRmT3_T4_T5_T6_T7_T9_mT8_P12ihipStream_tbDpT10_ENKUlT_T0_E_clISt17integral_constantIbLb1EES15_EEDaS10_S11_EUlS10_E_NS1_11comp_targetILNS1_3genE8ELNS1_11target_archE1030ELNS1_3gpuE2ELNS1_3repE0EEENS1_30default_config_static_selectorELNS0_4arch9wavefront6targetE0EEEvT1_,"axG",@progbits,_ZN7rocprim17ROCPRIM_400000_NS6detail17trampoline_kernelINS0_14default_configENS1_25partition_config_selectorILNS1_17partition_subalgoE9EiibEEZZNS1_14partition_implILS5_9ELb0ES3_jN6thrust23THRUST_200600_302600_NS10device_ptrIiEESB_PNS0_10empty_typeENS0_5tupleIJSB_SC_EEENSE_IJSB_SD_EEENS0_18inequality_wrapperINS9_8equal_toIiEEEEPmJSC_EEE10hipError_tPvRmT3_T4_T5_T6_T7_T9_mT8_P12ihipStream_tbDpT10_ENKUlT_T0_E_clISt17integral_constantIbLb1EES15_EEDaS10_S11_EUlS10_E_NS1_11comp_targetILNS1_3genE8ELNS1_11target_archE1030ELNS1_3gpuE2ELNS1_3repE0EEENS1_30default_config_static_selectorELNS0_4arch9wavefront6targetE0EEEvT1_,comdat
.Lfunc_end1284:
	.size	_ZN7rocprim17ROCPRIM_400000_NS6detail17trampoline_kernelINS0_14default_configENS1_25partition_config_selectorILNS1_17partition_subalgoE9EiibEEZZNS1_14partition_implILS5_9ELb0ES3_jN6thrust23THRUST_200600_302600_NS10device_ptrIiEESB_PNS0_10empty_typeENS0_5tupleIJSB_SC_EEENSE_IJSB_SD_EEENS0_18inequality_wrapperINS9_8equal_toIiEEEEPmJSC_EEE10hipError_tPvRmT3_T4_T5_T6_T7_T9_mT8_P12ihipStream_tbDpT10_ENKUlT_T0_E_clISt17integral_constantIbLb1EES15_EEDaS10_S11_EUlS10_E_NS1_11comp_targetILNS1_3genE8ELNS1_11target_archE1030ELNS1_3gpuE2ELNS1_3repE0EEENS1_30default_config_static_selectorELNS0_4arch9wavefront6targetE0EEEvT1_, .Lfunc_end1284-_ZN7rocprim17ROCPRIM_400000_NS6detail17trampoline_kernelINS0_14default_configENS1_25partition_config_selectorILNS1_17partition_subalgoE9EiibEEZZNS1_14partition_implILS5_9ELb0ES3_jN6thrust23THRUST_200600_302600_NS10device_ptrIiEESB_PNS0_10empty_typeENS0_5tupleIJSB_SC_EEENSE_IJSB_SD_EEENS0_18inequality_wrapperINS9_8equal_toIiEEEEPmJSC_EEE10hipError_tPvRmT3_T4_T5_T6_T7_T9_mT8_P12ihipStream_tbDpT10_ENKUlT_T0_E_clISt17integral_constantIbLb1EES15_EEDaS10_S11_EUlS10_E_NS1_11comp_targetILNS1_3genE8ELNS1_11target_archE1030ELNS1_3gpuE2ELNS1_3repE0EEENS1_30default_config_static_selectorELNS0_4arch9wavefront6targetE0EEEvT1_
                                        ; -- End function
	.section	.AMDGPU.csdata,"",@progbits
; Kernel info:
; codeLenInByte = 0
; NumSgprs: 0
; NumVgprs: 0
; ScratchSize: 0
; MemoryBound: 0
; FloatMode: 240
; IeeeMode: 1
; LDSByteSize: 0 bytes/workgroup (compile time only)
; SGPRBlocks: 0
; VGPRBlocks: 0
; NumSGPRsForWavesPerEU: 1
; NumVGPRsForWavesPerEU: 1
; Occupancy: 16
; WaveLimiterHint : 0
; COMPUTE_PGM_RSRC2:SCRATCH_EN: 0
; COMPUTE_PGM_RSRC2:USER_SGPR: 15
; COMPUTE_PGM_RSRC2:TRAP_HANDLER: 0
; COMPUTE_PGM_RSRC2:TGID_X_EN: 1
; COMPUTE_PGM_RSRC2:TGID_Y_EN: 0
; COMPUTE_PGM_RSRC2:TGID_Z_EN: 0
; COMPUTE_PGM_RSRC2:TIDIG_COMP_CNT: 0
	.section	.text._ZN7rocprim17ROCPRIM_400000_NS6detail17trampoline_kernelINS0_14default_configENS1_25partition_config_selectorILNS1_17partition_subalgoE9EiibEEZZNS1_14partition_implILS5_9ELb0ES3_jN6thrust23THRUST_200600_302600_NS10device_ptrIiEESB_PNS0_10empty_typeENS0_5tupleIJSB_SC_EEENSE_IJSB_SD_EEENS0_18inequality_wrapperINS9_8equal_toIiEEEEPmJSC_EEE10hipError_tPvRmT3_T4_T5_T6_T7_T9_mT8_P12ihipStream_tbDpT10_ENKUlT_T0_E_clISt17integral_constantIbLb1EES14_IbLb0EEEEDaS10_S11_EUlS10_E_NS1_11comp_targetILNS1_3genE0ELNS1_11target_archE4294967295ELNS1_3gpuE0ELNS1_3repE0EEENS1_30default_config_static_selectorELNS0_4arch9wavefront6targetE0EEEvT1_,"axG",@progbits,_ZN7rocprim17ROCPRIM_400000_NS6detail17trampoline_kernelINS0_14default_configENS1_25partition_config_selectorILNS1_17partition_subalgoE9EiibEEZZNS1_14partition_implILS5_9ELb0ES3_jN6thrust23THRUST_200600_302600_NS10device_ptrIiEESB_PNS0_10empty_typeENS0_5tupleIJSB_SC_EEENSE_IJSB_SD_EEENS0_18inequality_wrapperINS9_8equal_toIiEEEEPmJSC_EEE10hipError_tPvRmT3_T4_T5_T6_T7_T9_mT8_P12ihipStream_tbDpT10_ENKUlT_T0_E_clISt17integral_constantIbLb1EES14_IbLb0EEEEDaS10_S11_EUlS10_E_NS1_11comp_targetILNS1_3genE0ELNS1_11target_archE4294967295ELNS1_3gpuE0ELNS1_3repE0EEENS1_30default_config_static_selectorELNS0_4arch9wavefront6targetE0EEEvT1_,comdat
	.protected	_ZN7rocprim17ROCPRIM_400000_NS6detail17trampoline_kernelINS0_14default_configENS1_25partition_config_selectorILNS1_17partition_subalgoE9EiibEEZZNS1_14partition_implILS5_9ELb0ES3_jN6thrust23THRUST_200600_302600_NS10device_ptrIiEESB_PNS0_10empty_typeENS0_5tupleIJSB_SC_EEENSE_IJSB_SD_EEENS0_18inequality_wrapperINS9_8equal_toIiEEEEPmJSC_EEE10hipError_tPvRmT3_T4_T5_T6_T7_T9_mT8_P12ihipStream_tbDpT10_ENKUlT_T0_E_clISt17integral_constantIbLb1EES14_IbLb0EEEEDaS10_S11_EUlS10_E_NS1_11comp_targetILNS1_3genE0ELNS1_11target_archE4294967295ELNS1_3gpuE0ELNS1_3repE0EEENS1_30default_config_static_selectorELNS0_4arch9wavefront6targetE0EEEvT1_ ; -- Begin function _ZN7rocprim17ROCPRIM_400000_NS6detail17trampoline_kernelINS0_14default_configENS1_25partition_config_selectorILNS1_17partition_subalgoE9EiibEEZZNS1_14partition_implILS5_9ELb0ES3_jN6thrust23THRUST_200600_302600_NS10device_ptrIiEESB_PNS0_10empty_typeENS0_5tupleIJSB_SC_EEENSE_IJSB_SD_EEENS0_18inequality_wrapperINS9_8equal_toIiEEEEPmJSC_EEE10hipError_tPvRmT3_T4_T5_T6_T7_T9_mT8_P12ihipStream_tbDpT10_ENKUlT_T0_E_clISt17integral_constantIbLb1EES14_IbLb0EEEEDaS10_S11_EUlS10_E_NS1_11comp_targetILNS1_3genE0ELNS1_11target_archE4294967295ELNS1_3gpuE0ELNS1_3repE0EEENS1_30default_config_static_selectorELNS0_4arch9wavefront6targetE0EEEvT1_
	.globl	_ZN7rocprim17ROCPRIM_400000_NS6detail17trampoline_kernelINS0_14default_configENS1_25partition_config_selectorILNS1_17partition_subalgoE9EiibEEZZNS1_14partition_implILS5_9ELb0ES3_jN6thrust23THRUST_200600_302600_NS10device_ptrIiEESB_PNS0_10empty_typeENS0_5tupleIJSB_SC_EEENSE_IJSB_SD_EEENS0_18inequality_wrapperINS9_8equal_toIiEEEEPmJSC_EEE10hipError_tPvRmT3_T4_T5_T6_T7_T9_mT8_P12ihipStream_tbDpT10_ENKUlT_T0_E_clISt17integral_constantIbLb1EES14_IbLb0EEEEDaS10_S11_EUlS10_E_NS1_11comp_targetILNS1_3genE0ELNS1_11target_archE4294967295ELNS1_3gpuE0ELNS1_3repE0EEENS1_30default_config_static_selectorELNS0_4arch9wavefront6targetE0EEEvT1_
	.p2align	8
	.type	_ZN7rocprim17ROCPRIM_400000_NS6detail17trampoline_kernelINS0_14default_configENS1_25partition_config_selectorILNS1_17partition_subalgoE9EiibEEZZNS1_14partition_implILS5_9ELb0ES3_jN6thrust23THRUST_200600_302600_NS10device_ptrIiEESB_PNS0_10empty_typeENS0_5tupleIJSB_SC_EEENSE_IJSB_SD_EEENS0_18inequality_wrapperINS9_8equal_toIiEEEEPmJSC_EEE10hipError_tPvRmT3_T4_T5_T6_T7_T9_mT8_P12ihipStream_tbDpT10_ENKUlT_T0_E_clISt17integral_constantIbLb1EES14_IbLb0EEEEDaS10_S11_EUlS10_E_NS1_11comp_targetILNS1_3genE0ELNS1_11target_archE4294967295ELNS1_3gpuE0ELNS1_3repE0EEENS1_30default_config_static_selectorELNS0_4arch9wavefront6targetE0EEEvT1_,@function
_ZN7rocprim17ROCPRIM_400000_NS6detail17trampoline_kernelINS0_14default_configENS1_25partition_config_selectorILNS1_17partition_subalgoE9EiibEEZZNS1_14partition_implILS5_9ELb0ES3_jN6thrust23THRUST_200600_302600_NS10device_ptrIiEESB_PNS0_10empty_typeENS0_5tupleIJSB_SC_EEENSE_IJSB_SD_EEENS0_18inequality_wrapperINS9_8equal_toIiEEEEPmJSC_EEE10hipError_tPvRmT3_T4_T5_T6_T7_T9_mT8_P12ihipStream_tbDpT10_ENKUlT_T0_E_clISt17integral_constantIbLb1EES14_IbLb0EEEEDaS10_S11_EUlS10_E_NS1_11comp_targetILNS1_3genE0ELNS1_11target_archE4294967295ELNS1_3gpuE0ELNS1_3repE0EEENS1_30default_config_static_selectorELNS0_4arch9wavefront6targetE0EEEvT1_: ; @_ZN7rocprim17ROCPRIM_400000_NS6detail17trampoline_kernelINS0_14default_configENS1_25partition_config_selectorILNS1_17partition_subalgoE9EiibEEZZNS1_14partition_implILS5_9ELb0ES3_jN6thrust23THRUST_200600_302600_NS10device_ptrIiEESB_PNS0_10empty_typeENS0_5tupleIJSB_SC_EEENSE_IJSB_SD_EEENS0_18inequality_wrapperINS9_8equal_toIiEEEEPmJSC_EEE10hipError_tPvRmT3_T4_T5_T6_T7_T9_mT8_P12ihipStream_tbDpT10_ENKUlT_T0_E_clISt17integral_constantIbLb1EES14_IbLb0EEEEDaS10_S11_EUlS10_E_NS1_11comp_targetILNS1_3genE0ELNS1_11target_archE4294967295ELNS1_3gpuE0ELNS1_3repE0EEENS1_30default_config_static_selectorELNS0_4arch9wavefront6targetE0EEEvT1_
; %bb.0:
	.section	.rodata,"a",@progbits
	.p2align	6, 0x0
	.amdhsa_kernel _ZN7rocprim17ROCPRIM_400000_NS6detail17trampoline_kernelINS0_14default_configENS1_25partition_config_selectorILNS1_17partition_subalgoE9EiibEEZZNS1_14partition_implILS5_9ELb0ES3_jN6thrust23THRUST_200600_302600_NS10device_ptrIiEESB_PNS0_10empty_typeENS0_5tupleIJSB_SC_EEENSE_IJSB_SD_EEENS0_18inequality_wrapperINS9_8equal_toIiEEEEPmJSC_EEE10hipError_tPvRmT3_T4_T5_T6_T7_T9_mT8_P12ihipStream_tbDpT10_ENKUlT_T0_E_clISt17integral_constantIbLb1EES14_IbLb0EEEEDaS10_S11_EUlS10_E_NS1_11comp_targetILNS1_3genE0ELNS1_11target_archE4294967295ELNS1_3gpuE0ELNS1_3repE0EEENS1_30default_config_static_selectorELNS0_4arch9wavefront6targetE0EEEvT1_
		.amdhsa_group_segment_fixed_size 0
		.amdhsa_private_segment_fixed_size 0
		.amdhsa_kernarg_size 112
		.amdhsa_user_sgpr_count 15
		.amdhsa_user_sgpr_dispatch_ptr 0
		.amdhsa_user_sgpr_queue_ptr 0
		.amdhsa_user_sgpr_kernarg_segment_ptr 1
		.amdhsa_user_sgpr_dispatch_id 0
		.amdhsa_user_sgpr_private_segment_size 0
		.amdhsa_wavefront_size32 1
		.amdhsa_uses_dynamic_stack 0
		.amdhsa_enable_private_segment 0
		.amdhsa_system_sgpr_workgroup_id_x 1
		.amdhsa_system_sgpr_workgroup_id_y 0
		.amdhsa_system_sgpr_workgroup_id_z 0
		.amdhsa_system_sgpr_workgroup_info 0
		.amdhsa_system_vgpr_workitem_id 0
		.amdhsa_next_free_vgpr 1
		.amdhsa_next_free_sgpr 1
		.amdhsa_reserve_vcc 0
		.amdhsa_float_round_mode_32 0
		.amdhsa_float_round_mode_16_64 0
		.amdhsa_float_denorm_mode_32 3
		.amdhsa_float_denorm_mode_16_64 3
		.amdhsa_dx10_clamp 1
		.amdhsa_ieee_mode 1
		.amdhsa_fp16_overflow 0
		.amdhsa_workgroup_processor_mode 1
		.amdhsa_memory_ordered 1
		.amdhsa_forward_progress 0
		.amdhsa_shared_vgpr_count 0
		.amdhsa_exception_fp_ieee_invalid_op 0
		.amdhsa_exception_fp_denorm_src 0
		.amdhsa_exception_fp_ieee_div_zero 0
		.amdhsa_exception_fp_ieee_overflow 0
		.amdhsa_exception_fp_ieee_underflow 0
		.amdhsa_exception_fp_ieee_inexact 0
		.amdhsa_exception_int_div_zero 0
	.end_amdhsa_kernel
	.section	.text._ZN7rocprim17ROCPRIM_400000_NS6detail17trampoline_kernelINS0_14default_configENS1_25partition_config_selectorILNS1_17partition_subalgoE9EiibEEZZNS1_14partition_implILS5_9ELb0ES3_jN6thrust23THRUST_200600_302600_NS10device_ptrIiEESB_PNS0_10empty_typeENS0_5tupleIJSB_SC_EEENSE_IJSB_SD_EEENS0_18inequality_wrapperINS9_8equal_toIiEEEEPmJSC_EEE10hipError_tPvRmT3_T4_T5_T6_T7_T9_mT8_P12ihipStream_tbDpT10_ENKUlT_T0_E_clISt17integral_constantIbLb1EES14_IbLb0EEEEDaS10_S11_EUlS10_E_NS1_11comp_targetILNS1_3genE0ELNS1_11target_archE4294967295ELNS1_3gpuE0ELNS1_3repE0EEENS1_30default_config_static_selectorELNS0_4arch9wavefront6targetE0EEEvT1_,"axG",@progbits,_ZN7rocprim17ROCPRIM_400000_NS6detail17trampoline_kernelINS0_14default_configENS1_25partition_config_selectorILNS1_17partition_subalgoE9EiibEEZZNS1_14partition_implILS5_9ELb0ES3_jN6thrust23THRUST_200600_302600_NS10device_ptrIiEESB_PNS0_10empty_typeENS0_5tupleIJSB_SC_EEENSE_IJSB_SD_EEENS0_18inequality_wrapperINS9_8equal_toIiEEEEPmJSC_EEE10hipError_tPvRmT3_T4_T5_T6_T7_T9_mT8_P12ihipStream_tbDpT10_ENKUlT_T0_E_clISt17integral_constantIbLb1EES14_IbLb0EEEEDaS10_S11_EUlS10_E_NS1_11comp_targetILNS1_3genE0ELNS1_11target_archE4294967295ELNS1_3gpuE0ELNS1_3repE0EEENS1_30default_config_static_selectorELNS0_4arch9wavefront6targetE0EEEvT1_,comdat
.Lfunc_end1285:
	.size	_ZN7rocprim17ROCPRIM_400000_NS6detail17trampoline_kernelINS0_14default_configENS1_25partition_config_selectorILNS1_17partition_subalgoE9EiibEEZZNS1_14partition_implILS5_9ELb0ES3_jN6thrust23THRUST_200600_302600_NS10device_ptrIiEESB_PNS0_10empty_typeENS0_5tupleIJSB_SC_EEENSE_IJSB_SD_EEENS0_18inequality_wrapperINS9_8equal_toIiEEEEPmJSC_EEE10hipError_tPvRmT3_T4_T5_T6_T7_T9_mT8_P12ihipStream_tbDpT10_ENKUlT_T0_E_clISt17integral_constantIbLb1EES14_IbLb0EEEEDaS10_S11_EUlS10_E_NS1_11comp_targetILNS1_3genE0ELNS1_11target_archE4294967295ELNS1_3gpuE0ELNS1_3repE0EEENS1_30default_config_static_selectorELNS0_4arch9wavefront6targetE0EEEvT1_, .Lfunc_end1285-_ZN7rocprim17ROCPRIM_400000_NS6detail17trampoline_kernelINS0_14default_configENS1_25partition_config_selectorILNS1_17partition_subalgoE9EiibEEZZNS1_14partition_implILS5_9ELb0ES3_jN6thrust23THRUST_200600_302600_NS10device_ptrIiEESB_PNS0_10empty_typeENS0_5tupleIJSB_SC_EEENSE_IJSB_SD_EEENS0_18inequality_wrapperINS9_8equal_toIiEEEEPmJSC_EEE10hipError_tPvRmT3_T4_T5_T6_T7_T9_mT8_P12ihipStream_tbDpT10_ENKUlT_T0_E_clISt17integral_constantIbLb1EES14_IbLb0EEEEDaS10_S11_EUlS10_E_NS1_11comp_targetILNS1_3genE0ELNS1_11target_archE4294967295ELNS1_3gpuE0ELNS1_3repE0EEENS1_30default_config_static_selectorELNS0_4arch9wavefront6targetE0EEEvT1_
                                        ; -- End function
	.section	.AMDGPU.csdata,"",@progbits
; Kernel info:
; codeLenInByte = 0
; NumSgprs: 0
; NumVgprs: 0
; ScratchSize: 0
; MemoryBound: 0
; FloatMode: 240
; IeeeMode: 1
; LDSByteSize: 0 bytes/workgroup (compile time only)
; SGPRBlocks: 0
; VGPRBlocks: 0
; NumSGPRsForWavesPerEU: 1
; NumVGPRsForWavesPerEU: 1
; Occupancy: 16
; WaveLimiterHint : 0
; COMPUTE_PGM_RSRC2:SCRATCH_EN: 0
; COMPUTE_PGM_RSRC2:USER_SGPR: 15
; COMPUTE_PGM_RSRC2:TRAP_HANDLER: 0
; COMPUTE_PGM_RSRC2:TGID_X_EN: 1
; COMPUTE_PGM_RSRC2:TGID_Y_EN: 0
; COMPUTE_PGM_RSRC2:TGID_Z_EN: 0
; COMPUTE_PGM_RSRC2:TIDIG_COMP_CNT: 0
	.section	.text._ZN7rocprim17ROCPRIM_400000_NS6detail17trampoline_kernelINS0_14default_configENS1_25partition_config_selectorILNS1_17partition_subalgoE9EiibEEZZNS1_14partition_implILS5_9ELb0ES3_jN6thrust23THRUST_200600_302600_NS10device_ptrIiEESB_PNS0_10empty_typeENS0_5tupleIJSB_SC_EEENSE_IJSB_SD_EEENS0_18inequality_wrapperINS9_8equal_toIiEEEEPmJSC_EEE10hipError_tPvRmT3_T4_T5_T6_T7_T9_mT8_P12ihipStream_tbDpT10_ENKUlT_T0_E_clISt17integral_constantIbLb1EES14_IbLb0EEEEDaS10_S11_EUlS10_E_NS1_11comp_targetILNS1_3genE5ELNS1_11target_archE942ELNS1_3gpuE9ELNS1_3repE0EEENS1_30default_config_static_selectorELNS0_4arch9wavefront6targetE0EEEvT1_,"axG",@progbits,_ZN7rocprim17ROCPRIM_400000_NS6detail17trampoline_kernelINS0_14default_configENS1_25partition_config_selectorILNS1_17partition_subalgoE9EiibEEZZNS1_14partition_implILS5_9ELb0ES3_jN6thrust23THRUST_200600_302600_NS10device_ptrIiEESB_PNS0_10empty_typeENS0_5tupleIJSB_SC_EEENSE_IJSB_SD_EEENS0_18inequality_wrapperINS9_8equal_toIiEEEEPmJSC_EEE10hipError_tPvRmT3_T4_T5_T6_T7_T9_mT8_P12ihipStream_tbDpT10_ENKUlT_T0_E_clISt17integral_constantIbLb1EES14_IbLb0EEEEDaS10_S11_EUlS10_E_NS1_11comp_targetILNS1_3genE5ELNS1_11target_archE942ELNS1_3gpuE9ELNS1_3repE0EEENS1_30default_config_static_selectorELNS0_4arch9wavefront6targetE0EEEvT1_,comdat
	.protected	_ZN7rocprim17ROCPRIM_400000_NS6detail17trampoline_kernelINS0_14default_configENS1_25partition_config_selectorILNS1_17partition_subalgoE9EiibEEZZNS1_14partition_implILS5_9ELb0ES3_jN6thrust23THRUST_200600_302600_NS10device_ptrIiEESB_PNS0_10empty_typeENS0_5tupleIJSB_SC_EEENSE_IJSB_SD_EEENS0_18inequality_wrapperINS9_8equal_toIiEEEEPmJSC_EEE10hipError_tPvRmT3_T4_T5_T6_T7_T9_mT8_P12ihipStream_tbDpT10_ENKUlT_T0_E_clISt17integral_constantIbLb1EES14_IbLb0EEEEDaS10_S11_EUlS10_E_NS1_11comp_targetILNS1_3genE5ELNS1_11target_archE942ELNS1_3gpuE9ELNS1_3repE0EEENS1_30default_config_static_selectorELNS0_4arch9wavefront6targetE0EEEvT1_ ; -- Begin function _ZN7rocprim17ROCPRIM_400000_NS6detail17trampoline_kernelINS0_14default_configENS1_25partition_config_selectorILNS1_17partition_subalgoE9EiibEEZZNS1_14partition_implILS5_9ELb0ES3_jN6thrust23THRUST_200600_302600_NS10device_ptrIiEESB_PNS0_10empty_typeENS0_5tupleIJSB_SC_EEENSE_IJSB_SD_EEENS0_18inequality_wrapperINS9_8equal_toIiEEEEPmJSC_EEE10hipError_tPvRmT3_T4_T5_T6_T7_T9_mT8_P12ihipStream_tbDpT10_ENKUlT_T0_E_clISt17integral_constantIbLb1EES14_IbLb0EEEEDaS10_S11_EUlS10_E_NS1_11comp_targetILNS1_3genE5ELNS1_11target_archE942ELNS1_3gpuE9ELNS1_3repE0EEENS1_30default_config_static_selectorELNS0_4arch9wavefront6targetE0EEEvT1_
	.globl	_ZN7rocprim17ROCPRIM_400000_NS6detail17trampoline_kernelINS0_14default_configENS1_25partition_config_selectorILNS1_17partition_subalgoE9EiibEEZZNS1_14partition_implILS5_9ELb0ES3_jN6thrust23THRUST_200600_302600_NS10device_ptrIiEESB_PNS0_10empty_typeENS0_5tupleIJSB_SC_EEENSE_IJSB_SD_EEENS0_18inequality_wrapperINS9_8equal_toIiEEEEPmJSC_EEE10hipError_tPvRmT3_T4_T5_T6_T7_T9_mT8_P12ihipStream_tbDpT10_ENKUlT_T0_E_clISt17integral_constantIbLb1EES14_IbLb0EEEEDaS10_S11_EUlS10_E_NS1_11comp_targetILNS1_3genE5ELNS1_11target_archE942ELNS1_3gpuE9ELNS1_3repE0EEENS1_30default_config_static_selectorELNS0_4arch9wavefront6targetE0EEEvT1_
	.p2align	8
	.type	_ZN7rocprim17ROCPRIM_400000_NS6detail17trampoline_kernelINS0_14default_configENS1_25partition_config_selectorILNS1_17partition_subalgoE9EiibEEZZNS1_14partition_implILS5_9ELb0ES3_jN6thrust23THRUST_200600_302600_NS10device_ptrIiEESB_PNS0_10empty_typeENS0_5tupleIJSB_SC_EEENSE_IJSB_SD_EEENS0_18inequality_wrapperINS9_8equal_toIiEEEEPmJSC_EEE10hipError_tPvRmT3_T4_T5_T6_T7_T9_mT8_P12ihipStream_tbDpT10_ENKUlT_T0_E_clISt17integral_constantIbLb1EES14_IbLb0EEEEDaS10_S11_EUlS10_E_NS1_11comp_targetILNS1_3genE5ELNS1_11target_archE942ELNS1_3gpuE9ELNS1_3repE0EEENS1_30default_config_static_selectorELNS0_4arch9wavefront6targetE0EEEvT1_,@function
_ZN7rocprim17ROCPRIM_400000_NS6detail17trampoline_kernelINS0_14default_configENS1_25partition_config_selectorILNS1_17partition_subalgoE9EiibEEZZNS1_14partition_implILS5_9ELb0ES3_jN6thrust23THRUST_200600_302600_NS10device_ptrIiEESB_PNS0_10empty_typeENS0_5tupleIJSB_SC_EEENSE_IJSB_SD_EEENS0_18inequality_wrapperINS9_8equal_toIiEEEEPmJSC_EEE10hipError_tPvRmT3_T4_T5_T6_T7_T9_mT8_P12ihipStream_tbDpT10_ENKUlT_T0_E_clISt17integral_constantIbLb1EES14_IbLb0EEEEDaS10_S11_EUlS10_E_NS1_11comp_targetILNS1_3genE5ELNS1_11target_archE942ELNS1_3gpuE9ELNS1_3repE0EEENS1_30default_config_static_selectorELNS0_4arch9wavefront6targetE0EEEvT1_: ; @_ZN7rocprim17ROCPRIM_400000_NS6detail17trampoline_kernelINS0_14default_configENS1_25partition_config_selectorILNS1_17partition_subalgoE9EiibEEZZNS1_14partition_implILS5_9ELb0ES3_jN6thrust23THRUST_200600_302600_NS10device_ptrIiEESB_PNS0_10empty_typeENS0_5tupleIJSB_SC_EEENSE_IJSB_SD_EEENS0_18inequality_wrapperINS9_8equal_toIiEEEEPmJSC_EEE10hipError_tPvRmT3_T4_T5_T6_T7_T9_mT8_P12ihipStream_tbDpT10_ENKUlT_T0_E_clISt17integral_constantIbLb1EES14_IbLb0EEEEDaS10_S11_EUlS10_E_NS1_11comp_targetILNS1_3genE5ELNS1_11target_archE942ELNS1_3gpuE9ELNS1_3repE0EEENS1_30default_config_static_selectorELNS0_4arch9wavefront6targetE0EEEvT1_
; %bb.0:
	.section	.rodata,"a",@progbits
	.p2align	6, 0x0
	.amdhsa_kernel _ZN7rocprim17ROCPRIM_400000_NS6detail17trampoline_kernelINS0_14default_configENS1_25partition_config_selectorILNS1_17partition_subalgoE9EiibEEZZNS1_14partition_implILS5_9ELb0ES3_jN6thrust23THRUST_200600_302600_NS10device_ptrIiEESB_PNS0_10empty_typeENS0_5tupleIJSB_SC_EEENSE_IJSB_SD_EEENS0_18inequality_wrapperINS9_8equal_toIiEEEEPmJSC_EEE10hipError_tPvRmT3_T4_T5_T6_T7_T9_mT8_P12ihipStream_tbDpT10_ENKUlT_T0_E_clISt17integral_constantIbLb1EES14_IbLb0EEEEDaS10_S11_EUlS10_E_NS1_11comp_targetILNS1_3genE5ELNS1_11target_archE942ELNS1_3gpuE9ELNS1_3repE0EEENS1_30default_config_static_selectorELNS0_4arch9wavefront6targetE0EEEvT1_
		.amdhsa_group_segment_fixed_size 0
		.amdhsa_private_segment_fixed_size 0
		.amdhsa_kernarg_size 112
		.amdhsa_user_sgpr_count 15
		.amdhsa_user_sgpr_dispatch_ptr 0
		.amdhsa_user_sgpr_queue_ptr 0
		.amdhsa_user_sgpr_kernarg_segment_ptr 1
		.amdhsa_user_sgpr_dispatch_id 0
		.amdhsa_user_sgpr_private_segment_size 0
		.amdhsa_wavefront_size32 1
		.amdhsa_uses_dynamic_stack 0
		.amdhsa_enable_private_segment 0
		.amdhsa_system_sgpr_workgroup_id_x 1
		.amdhsa_system_sgpr_workgroup_id_y 0
		.amdhsa_system_sgpr_workgroup_id_z 0
		.amdhsa_system_sgpr_workgroup_info 0
		.amdhsa_system_vgpr_workitem_id 0
		.amdhsa_next_free_vgpr 1
		.amdhsa_next_free_sgpr 1
		.amdhsa_reserve_vcc 0
		.amdhsa_float_round_mode_32 0
		.amdhsa_float_round_mode_16_64 0
		.amdhsa_float_denorm_mode_32 3
		.amdhsa_float_denorm_mode_16_64 3
		.amdhsa_dx10_clamp 1
		.amdhsa_ieee_mode 1
		.amdhsa_fp16_overflow 0
		.amdhsa_workgroup_processor_mode 1
		.amdhsa_memory_ordered 1
		.amdhsa_forward_progress 0
		.amdhsa_shared_vgpr_count 0
		.amdhsa_exception_fp_ieee_invalid_op 0
		.amdhsa_exception_fp_denorm_src 0
		.amdhsa_exception_fp_ieee_div_zero 0
		.amdhsa_exception_fp_ieee_overflow 0
		.amdhsa_exception_fp_ieee_underflow 0
		.amdhsa_exception_fp_ieee_inexact 0
		.amdhsa_exception_int_div_zero 0
	.end_amdhsa_kernel
	.section	.text._ZN7rocprim17ROCPRIM_400000_NS6detail17trampoline_kernelINS0_14default_configENS1_25partition_config_selectorILNS1_17partition_subalgoE9EiibEEZZNS1_14partition_implILS5_9ELb0ES3_jN6thrust23THRUST_200600_302600_NS10device_ptrIiEESB_PNS0_10empty_typeENS0_5tupleIJSB_SC_EEENSE_IJSB_SD_EEENS0_18inequality_wrapperINS9_8equal_toIiEEEEPmJSC_EEE10hipError_tPvRmT3_T4_T5_T6_T7_T9_mT8_P12ihipStream_tbDpT10_ENKUlT_T0_E_clISt17integral_constantIbLb1EES14_IbLb0EEEEDaS10_S11_EUlS10_E_NS1_11comp_targetILNS1_3genE5ELNS1_11target_archE942ELNS1_3gpuE9ELNS1_3repE0EEENS1_30default_config_static_selectorELNS0_4arch9wavefront6targetE0EEEvT1_,"axG",@progbits,_ZN7rocprim17ROCPRIM_400000_NS6detail17trampoline_kernelINS0_14default_configENS1_25partition_config_selectorILNS1_17partition_subalgoE9EiibEEZZNS1_14partition_implILS5_9ELb0ES3_jN6thrust23THRUST_200600_302600_NS10device_ptrIiEESB_PNS0_10empty_typeENS0_5tupleIJSB_SC_EEENSE_IJSB_SD_EEENS0_18inequality_wrapperINS9_8equal_toIiEEEEPmJSC_EEE10hipError_tPvRmT3_T4_T5_T6_T7_T9_mT8_P12ihipStream_tbDpT10_ENKUlT_T0_E_clISt17integral_constantIbLb1EES14_IbLb0EEEEDaS10_S11_EUlS10_E_NS1_11comp_targetILNS1_3genE5ELNS1_11target_archE942ELNS1_3gpuE9ELNS1_3repE0EEENS1_30default_config_static_selectorELNS0_4arch9wavefront6targetE0EEEvT1_,comdat
.Lfunc_end1286:
	.size	_ZN7rocprim17ROCPRIM_400000_NS6detail17trampoline_kernelINS0_14default_configENS1_25partition_config_selectorILNS1_17partition_subalgoE9EiibEEZZNS1_14partition_implILS5_9ELb0ES3_jN6thrust23THRUST_200600_302600_NS10device_ptrIiEESB_PNS0_10empty_typeENS0_5tupleIJSB_SC_EEENSE_IJSB_SD_EEENS0_18inequality_wrapperINS9_8equal_toIiEEEEPmJSC_EEE10hipError_tPvRmT3_T4_T5_T6_T7_T9_mT8_P12ihipStream_tbDpT10_ENKUlT_T0_E_clISt17integral_constantIbLb1EES14_IbLb0EEEEDaS10_S11_EUlS10_E_NS1_11comp_targetILNS1_3genE5ELNS1_11target_archE942ELNS1_3gpuE9ELNS1_3repE0EEENS1_30default_config_static_selectorELNS0_4arch9wavefront6targetE0EEEvT1_, .Lfunc_end1286-_ZN7rocprim17ROCPRIM_400000_NS6detail17trampoline_kernelINS0_14default_configENS1_25partition_config_selectorILNS1_17partition_subalgoE9EiibEEZZNS1_14partition_implILS5_9ELb0ES3_jN6thrust23THRUST_200600_302600_NS10device_ptrIiEESB_PNS0_10empty_typeENS0_5tupleIJSB_SC_EEENSE_IJSB_SD_EEENS0_18inequality_wrapperINS9_8equal_toIiEEEEPmJSC_EEE10hipError_tPvRmT3_T4_T5_T6_T7_T9_mT8_P12ihipStream_tbDpT10_ENKUlT_T0_E_clISt17integral_constantIbLb1EES14_IbLb0EEEEDaS10_S11_EUlS10_E_NS1_11comp_targetILNS1_3genE5ELNS1_11target_archE942ELNS1_3gpuE9ELNS1_3repE0EEENS1_30default_config_static_selectorELNS0_4arch9wavefront6targetE0EEEvT1_
                                        ; -- End function
	.section	.AMDGPU.csdata,"",@progbits
; Kernel info:
; codeLenInByte = 0
; NumSgprs: 0
; NumVgprs: 0
; ScratchSize: 0
; MemoryBound: 0
; FloatMode: 240
; IeeeMode: 1
; LDSByteSize: 0 bytes/workgroup (compile time only)
; SGPRBlocks: 0
; VGPRBlocks: 0
; NumSGPRsForWavesPerEU: 1
; NumVGPRsForWavesPerEU: 1
; Occupancy: 16
; WaveLimiterHint : 0
; COMPUTE_PGM_RSRC2:SCRATCH_EN: 0
; COMPUTE_PGM_RSRC2:USER_SGPR: 15
; COMPUTE_PGM_RSRC2:TRAP_HANDLER: 0
; COMPUTE_PGM_RSRC2:TGID_X_EN: 1
; COMPUTE_PGM_RSRC2:TGID_Y_EN: 0
; COMPUTE_PGM_RSRC2:TGID_Z_EN: 0
; COMPUTE_PGM_RSRC2:TIDIG_COMP_CNT: 0
	.section	.text._ZN7rocprim17ROCPRIM_400000_NS6detail17trampoline_kernelINS0_14default_configENS1_25partition_config_selectorILNS1_17partition_subalgoE9EiibEEZZNS1_14partition_implILS5_9ELb0ES3_jN6thrust23THRUST_200600_302600_NS10device_ptrIiEESB_PNS0_10empty_typeENS0_5tupleIJSB_SC_EEENSE_IJSB_SD_EEENS0_18inequality_wrapperINS9_8equal_toIiEEEEPmJSC_EEE10hipError_tPvRmT3_T4_T5_T6_T7_T9_mT8_P12ihipStream_tbDpT10_ENKUlT_T0_E_clISt17integral_constantIbLb1EES14_IbLb0EEEEDaS10_S11_EUlS10_E_NS1_11comp_targetILNS1_3genE4ELNS1_11target_archE910ELNS1_3gpuE8ELNS1_3repE0EEENS1_30default_config_static_selectorELNS0_4arch9wavefront6targetE0EEEvT1_,"axG",@progbits,_ZN7rocprim17ROCPRIM_400000_NS6detail17trampoline_kernelINS0_14default_configENS1_25partition_config_selectorILNS1_17partition_subalgoE9EiibEEZZNS1_14partition_implILS5_9ELb0ES3_jN6thrust23THRUST_200600_302600_NS10device_ptrIiEESB_PNS0_10empty_typeENS0_5tupleIJSB_SC_EEENSE_IJSB_SD_EEENS0_18inequality_wrapperINS9_8equal_toIiEEEEPmJSC_EEE10hipError_tPvRmT3_T4_T5_T6_T7_T9_mT8_P12ihipStream_tbDpT10_ENKUlT_T0_E_clISt17integral_constantIbLb1EES14_IbLb0EEEEDaS10_S11_EUlS10_E_NS1_11comp_targetILNS1_3genE4ELNS1_11target_archE910ELNS1_3gpuE8ELNS1_3repE0EEENS1_30default_config_static_selectorELNS0_4arch9wavefront6targetE0EEEvT1_,comdat
	.protected	_ZN7rocprim17ROCPRIM_400000_NS6detail17trampoline_kernelINS0_14default_configENS1_25partition_config_selectorILNS1_17partition_subalgoE9EiibEEZZNS1_14partition_implILS5_9ELb0ES3_jN6thrust23THRUST_200600_302600_NS10device_ptrIiEESB_PNS0_10empty_typeENS0_5tupleIJSB_SC_EEENSE_IJSB_SD_EEENS0_18inequality_wrapperINS9_8equal_toIiEEEEPmJSC_EEE10hipError_tPvRmT3_T4_T5_T6_T7_T9_mT8_P12ihipStream_tbDpT10_ENKUlT_T0_E_clISt17integral_constantIbLb1EES14_IbLb0EEEEDaS10_S11_EUlS10_E_NS1_11comp_targetILNS1_3genE4ELNS1_11target_archE910ELNS1_3gpuE8ELNS1_3repE0EEENS1_30default_config_static_selectorELNS0_4arch9wavefront6targetE0EEEvT1_ ; -- Begin function _ZN7rocprim17ROCPRIM_400000_NS6detail17trampoline_kernelINS0_14default_configENS1_25partition_config_selectorILNS1_17partition_subalgoE9EiibEEZZNS1_14partition_implILS5_9ELb0ES3_jN6thrust23THRUST_200600_302600_NS10device_ptrIiEESB_PNS0_10empty_typeENS0_5tupleIJSB_SC_EEENSE_IJSB_SD_EEENS0_18inequality_wrapperINS9_8equal_toIiEEEEPmJSC_EEE10hipError_tPvRmT3_T4_T5_T6_T7_T9_mT8_P12ihipStream_tbDpT10_ENKUlT_T0_E_clISt17integral_constantIbLb1EES14_IbLb0EEEEDaS10_S11_EUlS10_E_NS1_11comp_targetILNS1_3genE4ELNS1_11target_archE910ELNS1_3gpuE8ELNS1_3repE0EEENS1_30default_config_static_selectorELNS0_4arch9wavefront6targetE0EEEvT1_
	.globl	_ZN7rocprim17ROCPRIM_400000_NS6detail17trampoline_kernelINS0_14default_configENS1_25partition_config_selectorILNS1_17partition_subalgoE9EiibEEZZNS1_14partition_implILS5_9ELb0ES3_jN6thrust23THRUST_200600_302600_NS10device_ptrIiEESB_PNS0_10empty_typeENS0_5tupleIJSB_SC_EEENSE_IJSB_SD_EEENS0_18inequality_wrapperINS9_8equal_toIiEEEEPmJSC_EEE10hipError_tPvRmT3_T4_T5_T6_T7_T9_mT8_P12ihipStream_tbDpT10_ENKUlT_T0_E_clISt17integral_constantIbLb1EES14_IbLb0EEEEDaS10_S11_EUlS10_E_NS1_11comp_targetILNS1_3genE4ELNS1_11target_archE910ELNS1_3gpuE8ELNS1_3repE0EEENS1_30default_config_static_selectorELNS0_4arch9wavefront6targetE0EEEvT1_
	.p2align	8
	.type	_ZN7rocprim17ROCPRIM_400000_NS6detail17trampoline_kernelINS0_14default_configENS1_25partition_config_selectorILNS1_17partition_subalgoE9EiibEEZZNS1_14partition_implILS5_9ELb0ES3_jN6thrust23THRUST_200600_302600_NS10device_ptrIiEESB_PNS0_10empty_typeENS0_5tupleIJSB_SC_EEENSE_IJSB_SD_EEENS0_18inequality_wrapperINS9_8equal_toIiEEEEPmJSC_EEE10hipError_tPvRmT3_T4_T5_T6_T7_T9_mT8_P12ihipStream_tbDpT10_ENKUlT_T0_E_clISt17integral_constantIbLb1EES14_IbLb0EEEEDaS10_S11_EUlS10_E_NS1_11comp_targetILNS1_3genE4ELNS1_11target_archE910ELNS1_3gpuE8ELNS1_3repE0EEENS1_30default_config_static_selectorELNS0_4arch9wavefront6targetE0EEEvT1_,@function
_ZN7rocprim17ROCPRIM_400000_NS6detail17trampoline_kernelINS0_14default_configENS1_25partition_config_selectorILNS1_17partition_subalgoE9EiibEEZZNS1_14partition_implILS5_9ELb0ES3_jN6thrust23THRUST_200600_302600_NS10device_ptrIiEESB_PNS0_10empty_typeENS0_5tupleIJSB_SC_EEENSE_IJSB_SD_EEENS0_18inequality_wrapperINS9_8equal_toIiEEEEPmJSC_EEE10hipError_tPvRmT3_T4_T5_T6_T7_T9_mT8_P12ihipStream_tbDpT10_ENKUlT_T0_E_clISt17integral_constantIbLb1EES14_IbLb0EEEEDaS10_S11_EUlS10_E_NS1_11comp_targetILNS1_3genE4ELNS1_11target_archE910ELNS1_3gpuE8ELNS1_3repE0EEENS1_30default_config_static_selectorELNS0_4arch9wavefront6targetE0EEEvT1_: ; @_ZN7rocprim17ROCPRIM_400000_NS6detail17trampoline_kernelINS0_14default_configENS1_25partition_config_selectorILNS1_17partition_subalgoE9EiibEEZZNS1_14partition_implILS5_9ELb0ES3_jN6thrust23THRUST_200600_302600_NS10device_ptrIiEESB_PNS0_10empty_typeENS0_5tupleIJSB_SC_EEENSE_IJSB_SD_EEENS0_18inequality_wrapperINS9_8equal_toIiEEEEPmJSC_EEE10hipError_tPvRmT3_T4_T5_T6_T7_T9_mT8_P12ihipStream_tbDpT10_ENKUlT_T0_E_clISt17integral_constantIbLb1EES14_IbLb0EEEEDaS10_S11_EUlS10_E_NS1_11comp_targetILNS1_3genE4ELNS1_11target_archE910ELNS1_3gpuE8ELNS1_3repE0EEENS1_30default_config_static_selectorELNS0_4arch9wavefront6targetE0EEEvT1_
; %bb.0:
	.section	.rodata,"a",@progbits
	.p2align	6, 0x0
	.amdhsa_kernel _ZN7rocprim17ROCPRIM_400000_NS6detail17trampoline_kernelINS0_14default_configENS1_25partition_config_selectorILNS1_17partition_subalgoE9EiibEEZZNS1_14partition_implILS5_9ELb0ES3_jN6thrust23THRUST_200600_302600_NS10device_ptrIiEESB_PNS0_10empty_typeENS0_5tupleIJSB_SC_EEENSE_IJSB_SD_EEENS0_18inequality_wrapperINS9_8equal_toIiEEEEPmJSC_EEE10hipError_tPvRmT3_T4_T5_T6_T7_T9_mT8_P12ihipStream_tbDpT10_ENKUlT_T0_E_clISt17integral_constantIbLb1EES14_IbLb0EEEEDaS10_S11_EUlS10_E_NS1_11comp_targetILNS1_3genE4ELNS1_11target_archE910ELNS1_3gpuE8ELNS1_3repE0EEENS1_30default_config_static_selectorELNS0_4arch9wavefront6targetE0EEEvT1_
		.amdhsa_group_segment_fixed_size 0
		.amdhsa_private_segment_fixed_size 0
		.amdhsa_kernarg_size 112
		.amdhsa_user_sgpr_count 15
		.amdhsa_user_sgpr_dispatch_ptr 0
		.amdhsa_user_sgpr_queue_ptr 0
		.amdhsa_user_sgpr_kernarg_segment_ptr 1
		.amdhsa_user_sgpr_dispatch_id 0
		.amdhsa_user_sgpr_private_segment_size 0
		.amdhsa_wavefront_size32 1
		.amdhsa_uses_dynamic_stack 0
		.amdhsa_enable_private_segment 0
		.amdhsa_system_sgpr_workgroup_id_x 1
		.amdhsa_system_sgpr_workgroup_id_y 0
		.amdhsa_system_sgpr_workgroup_id_z 0
		.amdhsa_system_sgpr_workgroup_info 0
		.amdhsa_system_vgpr_workitem_id 0
		.amdhsa_next_free_vgpr 1
		.amdhsa_next_free_sgpr 1
		.amdhsa_reserve_vcc 0
		.amdhsa_float_round_mode_32 0
		.amdhsa_float_round_mode_16_64 0
		.amdhsa_float_denorm_mode_32 3
		.amdhsa_float_denorm_mode_16_64 3
		.amdhsa_dx10_clamp 1
		.amdhsa_ieee_mode 1
		.amdhsa_fp16_overflow 0
		.amdhsa_workgroup_processor_mode 1
		.amdhsa_memory_ordered 1
		.amdhsa_forward_progress 0
		.amdhsa_shared_vgpr_count 0
		.amdhsa_exception_fp_ieee_invalid_op 0
		.amdhsa_exception_fp_denorm_src 0
		.amdhsa_exception_fp_ieee_div_zero 0
		.amdhsa_exception_fp_ieee_overflow 0
		.amdhsa_exception_fp_ieee_underflow 0
		.amdhsa_exception_fp_ieee_inexact 0
		.amdhsa_exception_int_div_zero 0
	.end_amdhsa_kernel
	.section	.text._ZN7rocprim17ROCPRIM_400000_NS6detail17trampoline_kernelINS0_14default_configENS1_25partition_config_selectorILNS1_17partition_subalgoE9EiibEEZZNS1_14partition_implILS5_9ELb0ES3_jN6thrust23THRUST_200600_302600_NS10device_ptrIiEESB_PNS0_10empty_typeENS0_5tupleIJSB_SC_EEENSE_IJSB_SD_EEENS0_18inequality_wrapperINS9_8equal_toIiEEEEPmJSC_EEE10hipError_tPvRmT3_T4_T5_T6_T7_T9_mT8_P12ihipStream_tbDpT10_ENKUlT_T0_E_clISt17integral_constantIbLb1EES14_IbLb0EEEEDaS10_S11_EUlS10_E_NS1_11comp_targetILNS1_3genE4ELNS1_11target_archE910ELNS1_3gpuE8ELNS1_3repE0EEENS1_30default_config_static_selectorELNS0_4arch9wavefront6targetE0EEEvT1_,"axG",@progbits,_ZN7rocprim17ROCPRIM_400000_NS6detail17trampoline_kernelINS0_14default_configENS1_25partition_config_selectorILNS1_17partition_subalgoE9EiibEEZZNS1_14partition_implILS5_9ELb0ES3_jN6thrust23THRUST_200600_302600_NS10device_ptrIiEESB_PNS0_10empty_typeENS0_5tupleIJSB_SC_EEENSE_IJSB_SD_EEENS0_18inequality_wrapperINS9_8equal_toIiEEEEPmJSC_EEE10hipError_tPvRmT3_T4_T5_T6_T7_T9_mT8_P12ihipStream_tbDpT10_ENKUlT_T0_E_clISt17integral_constantIbLb1EES14_IbLb0EEEEDaS10_S11_EUlS10_E_NS1_11comp_targetILNS1_3genE4ELNS1_11target_archE910ELNS1_3gpuE8ELNS1_3repE0EEENS1_30default_config_static_selectorELNS0_4arch9wavefront6targetE0EEEvT1_,comdat
.Lfunc_end1287:
	.size	_ZN7rocprim17ROCPRIM_400000_NS6detail17trampoline_kernelINS0_14default_configENS1_25partition_config_selectorILNS1_17partition_subalgoE9EiibEEZZNS1_14partition_implILS5_9ELb0ES3_jN6thrust23THRUST_200600_302600_NS10device_ptrIiEESB_PNS0_10empty_typeENS0_5tupleIJSB_SC_EEENSE_IJSB_SD_EEENS0_18inequality_wrapperINS9_8equal_toIiEEEEPmJSC_EEE10hipError_tPvRmT3_T4_T5_T6_T7_T9_mT8_P12ihipStream_tbDpT10_ENKUlT_T0_E_clISt17integral_constantIbLb1EES14_IbLb0EEEEDaS10_S11_EUlS10_E_NS1_11comp_targetILNS1_3genE4ELNS1_11target_archE910ELNS1_3gpuE8ELNS1_3repE0EEENS1_30default_config_static_selectorELNS0_4arch9wavefront6targetE0EEEvT1_, .Lfunc_end1287-_ZN7rocprim17ROCPRIM_400000_NS6detail17trampoline_kernelINS0_14default_configENS1_25partition_config_selectorILNS1_17partition_subalgoE9EiibEEZZNS1_14partition_implILS5_9ELb0ES3_jN6thrust23THRUST_200600_302600_NS10device_ptrIiEESB_PNS0_10empty_typeENS0_5tupleIJSB_SC_EEENSE_IJSB_SD_EEENS0_18inequality_wrapperINS9_8equal_toIiEEEEPmJSC_EEE10hipError_tPvRmT3_T4_T5_T6_T7_T9_mT8_P12ihipStream_tbDpT10_ENKUlT_T0_E_clISt17integral_constantIbLb1EES14_IbLb0EEEEDaS10_S11_EUlS10_E_NS1_11comp_targetILNS1_3genE4ELNS1_11target_archE910ELNS1_3gpuE8ELNS1_3repE0EEENS1_30default_config_static_selectorELNS0_4arch9wavefront6targetE0EEEvT1_
                                        ; -- End function
	.section	.AMDGPU.csdata,"",@progbits
; Kernel info:
; codeLenInByte = 0
; NumSgprs: 0
; NumVgprs: 0
; ScratchSize: 0
; MemoryBound: 0
; FloatMode: 240
; IeeeMode: 1
; LDSByteSize: 0 bytes/workgroup (compile time only)
; SGPRBlocks: 0
; VGPRBlocks: 0
; NumSGPRsForWavesPerEU: 1
; NumVGPRsForWavesPerEU: 1
; Occupancy: 15
; WaveLimiterHint : 0
; COMPUTE_PGM_RSRC2:SCRATCH_EN: 0
; COMPUTE_PGM_RSRC2:USER_SGPR: 15
; COMPUTE_PGM_RSRC2:TRAP_HANDLER: 0
; COMPUTE_PGM_RSRC2:TGID_X_EN: 1
; COMPUTE_PGM_RSRC2:TGID_Y_EN: 0
; COMPUTE_PGM_RSRC2:TGID_Z_EN: 0
; COMPUTE_PGM_RSRC2:TIDIG_COMP_CNT: 0
	.section	.text._ZN7rocprim17ROCPRIM_400000_NS6detail17trampoline_kernelINS0_14default_configENS1_25partition_config_selectorILNS1_17partition_subalgoE9EiibEEZZNS1_14partition_implILS5_9ELb0ES3_jN6thrust23THRUST_200600_302600_NS10device_ptrIiEESB_PNS0_10empty_typeENS0_5tupleIJSB_SC_EEENSE_IJSB_SD_EEENS0_18inequality_wrapperINS9_8equal_toIiEEEEPmJSC_EEE10hipError_tPvRmT3_T4_T5_T6_T7_T9_mT8_P12ihipStream_tbDpT10_ENKUlT_T0_E_clISt17integral_constantIbLb1EES14_IbLb0EEEEDaS10_S11_EUlS10_E_NS1_11comp_targetILNS1_3genE3ELNS1_11target_archE908ELNS1_3gpuE7ELNS1_3repE0EEENS1_30default_config_static_selectorELNS0_4arch9wavefront6targetE0EEEvT1_,"axG",@progbits,_ZN7rocprim17ROCPRIM_400000_NS6detail17trampoline_kernelINS0_14default_configENS1_25partition_config_selectorILNS1_17partition_subalgoE9EiibEEZZNS1_14partition_implILS5_9ELb0ES3_jN6thrust23THRUST_200600_302600_NS10device_ptrIiEESB_PNS0_10empty_typeENS0_5tupleIJSB_SC_EEENSE_IJSB_SD_EEENS0_18inequality_wrapperINS9_8equal_toIiEEEEPmJSC_EEE10hipError_tPvRmT3_T4_T5_T6_T7_T9_mT8_P12ihipStream_tbDpT10_ENKUlT_T0_E_clISt17integral_constantIbLb1EES14_IbLb0EEEEDaS10_S11_EUlS10_E_NS1_11comp_targetILNS1_3genE3ELNS1_11target_archE908ELNS1_3gpuE7ELNS1_3repE0EEENS1_30default_config_static_selectorELNS0_4arch9wavefront6targetE0EEEvT1_,comdat
	.protected	_ZN7rocprim17ROCPRIM_400000_NS6detail17trampoline_kernelINS0_14default_configENS1_25partition_config_selectorILNS1_17partition_subalgoE9EiibEEZZNS1_14partition_implILS5_9ELb0ES3_jN6thrust23THRUST_200600_302600_NS10device_ptrIiEESB_PNS0_10empty_typeENS0_5tupleIJSB_SC_EEENSE_IJSB_SD_EEENS0_18inequality_wrapperINS9_8equal_toIiEEEEPmJSC_EEE10hipError_tPvRmT3_T4_T5_T6_T7_T9_mT8_P12ihipStream_tbDpT10_ENKUlT_T0_E_clISt17integral_constantIbLb1EES14_IbLb0EEEEDaS10_S11_EUlS10_E_NS1_11comp_targetILNS1_3genE3ELNS1_11target_archE908ELNS1_3gpuE7ELNS1_3repE0EEENS1_30default_config_static_selectorELNS0_4arch9wavefront6targetE0EEEvT1_ ; -- Begin function _ZN7rocprim17ROCPRIM_400000_NS6detail17trampoline_kernelINS0_14default_configENS1_25partition_config_selectorILNS1_17partition_subalgoE9EiibEEZZNS1_14partition_implILS5_9ELb0ES3_jN6thrust23THRUST_200600_302600_NS10device_ptrIiEESB_PNS0_10empty_typeENS0_5tupleIJSB_SC_EEENSE_IJSB_SD_EEENS0_18inequality_wrapperINS9_8equal_toIiEEEEPmJSC_EEE10hipError_tPvRmT3_T4_T5_T6_T7_T9_mT8_P12ihipStream_tbDpT10_ENKUlT_T0_E_clISt17integral_constantIbLb1EES14_IbLb0EEEEDaS10_S11_EUlS10_E_NS1_11comp_targetILNS1_3genE3ELNS1_11target_archE908ELNS1_3gpuE7ELNS1_3repE0EEENS1_30default_config_static_selectorELNS0_4arch9wavefront6targetE0EEEvT1_
	.globl	_ZN7rocprim17ROCPRIM_400000_NS6detail17trampoline_kernelINS0_14default_configENS1_25partition_config_selectorILNS1_17partition_subalgoE9EiibEEZZNS1_14partition_implILS5_9ELb0ES3_jN6thrust23THRUST_200600_302600_NS10device_ptrIiEESB_PNS0_10empty_typeENS0_5tupleIJSB_SC_EEENSE_IJSB_SD_EEENS0_18inequality_wrapperINS9_8equal_toIiEEEEPmJSC_EEE10hipError_tPvRmT3_T4_T5_T6_T7_T9_mT8_P12ihipStream_tbDpT10_ENKUlT_T0_E_clISt17integral_constantIbLb1EES14_IbLb0EEEEDaS10_S11_EUlS10_E_NS1_11comp_targetILNS1_3genE3ELNS1_11target_archE908ELNS1_3gpuE7ELNS1_3repE0EEENS1_30default_config_static_selectorELNS0_4arch9wavefront6targetE0EEEvT1_
	.p2align	8
	.type	_ZN7rocprim17ROCPRIM_400000_NS6detail17trampoline_kernelINS0_14default_configENS1_25partition_config_selectorILNS1_17partition_subalgoE9EiibEEZZNS1_14partition_implILS5_9ELb0ES3_jN6thrust23THRUST_200600_302600_NS10device_ptrIiEESB_PNS0_10empty_typeENS0_5tupleIJSB_SC_EEENSE_IJSB_SD_EEENS0_18inequality_wrapperINS9_8equal_toIiEEEEPmJSC_EEE10hipError_tPvRmT3_T4_T5_T6_T7_T9_mT8_P12ihipStream_tbDpT10_ENKUlT_T0_E_clISt17integral_constantIbLb1EES14_IbLb0EEEEDaS10_S11_EUlS10_E_NS1_11comp_targetILNS1_3genE3ELNS1_11target_archE908ELNS1_3gpuE7ELNS1_3repE0EEENS1_30default_config_static_selectorELNS0_4arch9wavefront6targetE0EEEvT1_,@function
_ZN7rocprim17ROCPRIM_400000_NS6detail17trampoline_kernelINS0_14default_configENS1_25partition_config_selectorILNS1_17partition_subalgoE9EiibEEZZNS1_14partition_implILS5_9ELb0ES3_jN6thrust23THRUST_200600_302600_NS10device_ptrIiEESB_PNS0_10empty_typeENS0_5tupleIJSB_SC_EEENSE_IJSB_SD_EEENS0_18inequality_wrapperINS9_8equal_toIiEEEEPmJSC_EEE10hipError_tPvRmT3_T4_T5_T6_T7_T9_mT8_P12ihipStream_tbDpT10_ENKUlT_T0_E_clISt17integral_constantIbLb1EES14_IbLb0EEEEDaS10_S11_EUlS10_E_NS1_11comp_targetILNS1_3genE3ELNS1_11target_archE908ELNS1_3gpuE7ELNS1_3repE0EEENS1_30default_config_static_selectorELNS0_4arch9wavefront6targetE0EEEvT1_: ; @_ZN7rocprim17ROCPRIM_400000_NS6detail17trampoline_kernelINS0_14default_configENS1_25partition_config_selectorILNS1_17partition_subalgoE9EiibEEZZNS1_14partition_implILS5_9ELb0ES3_jN6thrust23THRUST_200600_302600_NS10device_ptrIiEESB_PNS0_10empty_typeENS0_5tupleIJSB_SC_EEENSE_IJSB_SD_EEENS0_18inequality_wrapperINS9_8equal_toIiEEEEPmJSC_EEE10hipError_tPvRmT3_T4_T5_T6_T7_T9_mT8_P12ihipStream_tbDpT10_ENKUlT_T0_E_clISt17integral_constantIbLb1EES14_IbLb0EEEEDaS10_S11_EUlS10_E_NS1_11comp_targetILNS1_3genE3ELNS1_11target_archE908ELNS1_3gpuE7ELNS1_3repE0EEENS1_30default_config_static_selectorELNS0_4arch9wavefront6targetE0EEEvT1_
; %bb.0:
	.section	.rodata,"a",@progbits
	.p2align	6, 0x0
	.amdhsa_kernel _ZN7rocprim17ROCPRIM_400000_NS6detail17trampoline_kernelINS0_14default_configENS1_25partition_config_selectorILNS1_17partition_subalgoE9EiibEEZZNS1_14partition_implILS5_9ELb0ES3_jN6thrust23THRUST_200600_302600_NS10device_ptrIiEESB_PNS0_10empty_typeENS0_5tupleIJSB_SC_EEENSE_IJSB_SD_EEENS0_18inequality_wrapperINS9_8equal_toIiEEEEPmJSC_EEE10hipError_tPvRmT3_T4_T5_T6_T7_T9_mT8_P12ihipStream_tbDpT10_ENKUlT_T0_E_clISt17integral_constantIbLb1EES14_IbLb0EEEEDaS10_S11_EUlS10_E_NS1_11comp_targetILNS1_3genE3ELNS1_11target_archE908ELNS1_3gpuE7ELNS1_3repE0EEENS1_30default_config_static_selectorELNS0_4arch9wavefront6targetE0EEEvT1_
		.amdhsa_group_segment_fixed_size 0
		.amdhsa_private_segment_fixed_size 0
		.amdhsa_kernarg_size 112
		.amdhsa_user_sgpr_count 15
		.amdhsa_user_sgpr_dispatch_ptr 0
		.amdhsa_user_sgpr_queue_ptr 0
		.amdhsa_user_sgpr_kernarg_segment_ptr 1
		.amdhsa_user_sgpr_dispatch_id 0
		.amdhsa_user_sgpr_private_segment_size 0
		.amdhsa_wavefront_size32 1
		.amdhsa_uses_dynamic_stack 0
		.amdhsa_enable_private_segment 0
		.amdhsa_system_sgpr_workgroup_id_x 1
		.amdhsa_system_sgpr_workgroup_id_y 0
		.amdhsa_system_sgpr_workgroup_id_z 0
		.amdhsa_system_sgpr_workgroup_info 0
		.amdhsa_system_vgpr_workitem_id 0
		.amdhsa_next_free_vgpr 1
		.amdhsa_next_free_sgpr 1
		.amdhsa_reserve_vcc 0
		.amdhsa_float_round_mode_32 0
		.amdhsa_float_round_mode_16_64 0
		.amdhsa_float_denorm_mode_32 3
		.amdhsa_float_denorm_mode_16_64 3
		.amdhsa_dx10_clamp 1
		.amdhsa_ieee_mode 1
		.amdhsa_fp16_overflow 0
		.amdhsa_workgroup_processor_mode 1
		.amdhsa_memory_ordered 1
		.amdhsa_forward_progress 0
		.amdhsa_shared_vgpr_count 0
		.amdhsa_exception_fp_ieee_invalid_op 0
		.amdhsa_exception_fp_denorm_src 0
		.amdhsa_exception_fp_ieee_div_zero 0
		.amdhsa_exception_fp_ieee_overflow 0
		.amdhsa_exception_fp_ieee_underflow 0
		.amdhsa_exception_fp_ieee_inexact 0
		.amdhsa_exception_int_div_zero 0
	.end_amdhsa_kernel
	.section	.text._ZN7rocprim17ROCPRIM_400000_NS6detail17trampoline_kernelINS0_14default_configENS1_25partition_config_selectorILNS1_17partition_subalgoE9EiibEEZZNS1_14partition_implILS5_9ELb0ES3_jN6thrust23THRUST_200600_302600_NS10device_ptrIiEESB_PNS0_10empty_typeENS0_5tupleIJSB_SC_EEENSE_IJSB_SD_EEENS0_18inequality_wrapperINS9_8equal_toIiEEEEPmJSC_EEE10hipError_tPvRmT3_T4_T5_T6_T7_T9_mT8_P12ihipStream_tbDpT10_ENKUlT_T0_E_clISt17integral_constantIbLb1EES14_IbLb0EEEEDaS10_S11_EUlS10_E_NS1_11comp_targetILNS1_3genE3ELNS1_11target_archE908ELNS1_3gpuE7ELNS1_3repE0EEENS1_30default_config_static_selectorELNS0_4arch9wavefront6targetE0EEEvT1_,"axG",@progbits,_ZN7rocprim17ROCPRIM_400000_NS6detail17trampoline_kernelINS0_14default_configENS1_25partition_config_selectorILNS1_17partition_subalgoE9EiibEEZZNS1_14partition_implILS5_9ELb0ES3_jN6thrust23THRUST_200600_302600_NS10device_ptrIiEESB_PNS0_10empty_typeENS0_5tupleIJSB_SC_EEENSE_IJSB_SD_EEENS0_18inequality_wrapperINS9_8equal_toIiEEEEPmJSC_EEE10hipError_tPvRmT3_T4_T5_T6_T7_T9_mT8_P12ihipStream_tbDpT10_ENKUlT_T0_E_clISt17integral_constantIbLb1EES14_IbLb0EEEEDaS10_S11_EUlS10_E_NS1_11comp_targetILNS1_3genE3ELNS1_11target_archE908ELNS1_3gpuE7ELNS1_3repE0EEENS1_30default_config_static_selectorELNS0_4arch9wavefront6targetE0EEEvT1_,comdat
.Lfunc_end1288:
	.size	_ZN7rocprim17ROCPRIM_400000_NS6detail17trampoline_kernelINS0_14default_configENS1_25partition_config_selectorILNS1_17partition_subalgoE9EiibEEZZNS1_14partition_implILS5_9ELb0ES3_jN6thrust23THRUST_200600_302600_NS10device_ptrIiEESB_PNS0_10empty_typeENS0_5tupleIJSB_SC_EEENSE_IJSB_SD_EEENS0_18inequality_wrapperINS9_8equal_toIiEEEEPmJSC_EEE10hipError_tPvRmT3_T4_T5_T6_T7_T9_mT8_P12ihipStream_tbDpT10_ENKUlT_T0_E_clISt17integral_constantIbLb1EES14_IbLb0EEEEDaS10_S11_EUlS10_E_NS1_11comp_targetILNS1_3genE3ELNS1_11target_archE908ELNS1_3gpuE7ELNS1_3repE0EEENS1_30default_config_static_selectorELNS0_4arch9wavefront6targetE0EEEvT1_, .Lfunc_end1288-_ZN7rocprim17ROCPRIM_400000_NS6detail17trampoline_kernelINS0_14default_configENS1_25partition_config_selectorILNS1_17partition_subalgoE9EiibEEZZNS1_14partition_implILS5_9ELb0ES3_jN6thrust23THRUST_200600_302600_NS10device_ptrIiEESB_PNS0_10empty_typeENS0_5tupleIJSB_SC_EEENSE_IJSB_SD_EEENS0_18inequality_wrapperINS9_8equal_toIiEEEEPmJSC_EEE10hipError_tPvRmT3_T4_T5_T6_T7_T9_mT8_P12ihipStream_tbDpT10_ENKUlT_T0_E_clISt17integral_constantIbLb1EES14_IbLb0EEEEDaS10_S11_EUlS10_E_NS1_11comp_targetILNS1_3genE3ELNS1_11target_archE908ELNS1_3gpuE7ELNS1_3repE0EEENS1_30default_config_static_selectorELNS0_4arch9wavefront6targetE0EEEvT1_
                                        ; -- End function
	.section	.AMDGPU.csdata,"",@progbits
; Kernel info:
; codeLenInByte = 0
; NumSgprs: 0
; NumVgprs: 0
; ScratchSize: 0
; MemoryBound: 0
; FloatMode: 240
; IeeeMode: 1
; LDSByteSize: 0 bytes/workgroup (compile time only)
; SGPRBlocks: 0
; VGPRBlocks: 0
; NumSGPRsForWavesPerEU: 1
; NumVGPRsForWavesPerEU: 1
; Occupancy: 16
; WaveLimiterHint : 0
; COMPUTE_PGM_RSRC2:SCRATCH_EN: 0
; COMPUTE_PGM_RSRC2:USER_SGPR: 15
; COMPUTE_PGM_RSRC2:TRAP_HANDLER: 0
; COMPUTE_PGM_RSRC2:TGID_X_EN: 1
; COMPUTE_PGM_RSRC2:TGID_Y_EN: 0
; COMPUTE_PGM_RSRC2:TGID_Z_EN: 0
; COMPUTE_PGM_RSRC2:TIDIG_COMP_CNT: 0
	.section	.text._ZN7rocprim17ROCPRIM_400000_NS6detail17trampoline_kernelINS0_14default_configENS1_25partition_config_selectorILNS1_17partition_subalgoE9EiibEEZZNS1_14partition_implILS5_9ELb0ES3_jN6thrust23THRUST_200600_302600_NS10device_ptrIiEESB_PNS0_10empty_typeENS0_5tupleIJSB_SC_EEENSE_IJSB_SD_EEENS0_18inequality_wrapperINS9_8equal_toIiEEEEPmJSC_EEE10hipError_tPvRmT3_T4_T5_T6_T7_T9_mT8_P12ihipStream_tbDpT10_ENKUlT_T0_E_clISt17integral_constantIbLb1EES14_IbLb0EEEEDaS10_S11_EUlS10_E_NS1_11comp_targetILNS1_3genE2ELNS1_11target_archE906ELNS1_3gpuE6ELNS1_3repE0EEENS1_30default_config_static_selectorELNS0_4arch9wavefront6targetE0EEEvT1_,"axG",@progbits,_ZN7rocprim17ROCPRIM_400000_NS6detail17trampoline_kernelINS0_14default_configENS1_25partition_config_selectorILNS1_17partition_subalgoE9EiibEEZZNS1_14partition_implILS5_9ELb0ES3_jN6thrust23THRUST_200600_302600_NS10device_ptrIiEESB_PNS0_10empty_typeENS0_5tupleIJSB_SC_EEENSE_IJSB_SD_EEENS0_18inequality_wrapperINS9_8equal_toIiEEEEPmJSC_EEE10hipError_tPvRmT3_T4_T5_T6_T7_T9_mT8_P12ihipStream_tbDpT10_ENKUlT_T0_E_clISt17integral_constantIbLb1EES14_IbLb0EEEEDaS10_S11_EUlS10_E_NS1_11comp_targetILNS1_3genE2ELNS1_11target_archE906ELNS1_3gpuE6ELNS1_3repE0EEENS1_30default_config_static_selectorELNS0_4arch9wavefront6targetE0EEEvT1_,comdat
	.protected	_ZN7rocprim17ROCPRIM_400000_NS6detail17trampoline_kernelINS0_14default_configENS1_25partition_config_selectorILNS1_17partition_subalgoE9EiibEEZZNS1_14partition_implILS5_9ELb0ES3_jN6thrust23THRUST_200600_302600_NS10device_ptrIiEESB_PNS0_10empty_typeENS0_5tupleIJSB_SC_EEENSE_IJSB_SD_EEENS0_18inequality_wrapperINS9_8equal_toIiEEEEPmJSC_EEE10hipError_tPvRmT3_T4_T5_T6_T7_T9_mT8_P12ihipStream_tbDpT10_ENKUlT_T0_E_clISt17integral_constantIbLb1EES14_IbLb0EEEEDaS10_S11_EUlS10_E_NS1_11comp_targetILNS1_3genE2ELNS1_11target_archE906ELNS1_3gpuE6ELNS1_3repE0EEENS1_30default_config_static_selectorELNS0_4arch9wavefront6targetE0EEEvT1_ ; -- Begin function _ZN7rocprim17ROCPRIM_400000_NS6detail17trampoline_kernelINS0_14default_configENS1_25partition_config_selectorILNS1_17partition_subalgoE9EiibEEZZNS1_14partition_implILS5_9ELb0ES3_jN6thrust23THRUST_200600_302600_NS10device_ptrIiEESB_PNS0_10empty_typeENS0_5tupleIJSB_SC_EEENSE_IJSB_SD_EEENS0_18inequality_wrapperINS9_8equal_toIiEEEEPmJSC_EEE10hipError_tPvRmT3_T4_T5_T6_T7_T9_mT8_P12ihipStream_tbDpT10_ENKUlT_T0_E_clISt17integral_constantIbLb1EES14_IbLb0EEEEDaS10_S11_EUlS10_E_NS1_11comp_targetILNS1_3genE2ELNS1_11target_archE906ELNS1_3gpuE6ELNS1_3repE0EEENS1_30default_config_static_selectorELNS0_4arch9wavefront6targetE0EEEvT1_
	.globl	_ZN7rocprim17ROCPRIM_400000_NS6detail17trampoline_kernelINS0_14default_configENS1_25partition_config_selectorILNS1_17partition_subalgoE9EiibEEZZNS1_14partition_implILS5_9ELb0ES3_jN6thrust23THRUST_200600_302600_NS10device_ptrIiEESB_PNS0_10empty_typeENS0_5tupleIJSB_SC_EEENSE_IJSB_SD_EEENS0_18inequality_wrapperINS9_8equal_toIiEEEEPmJSC_EEE10hipError_tPvRmT3_T4_T5_T6_T7_T9_mT8_P12ihipStream_tbDpT10_ENKUlT_T0_E_clISt17integral_constantIbLb1EES14_IbLb0EEEEDaS10_S11_EUlS10_E_NS1_11comp_targetILNS1_3genE2ELNS1_11target_archE906ELNS1_3gpuE6ELNS1_3repE0EEENS1_30default_config_static_selectorELNS0_4arch9wavefront6targetE0EEEvT1_
	.p2align	8
	.type	_ZN7rocprim17ROCPRIM_400000_NS6detail17trampoline_kernelINS0_14default_configENS1_25partition_config_selectorILNS1_17partition_subalgoE9EiibEEZZNS1_14partition_implILS5_9ELb0ES3_jN6thrust23THRUST_200600_302600_NS10device_ptrIiEESB_PNS0_10empty_typeENS0_5tupleIJSB_SC_EEENSE_IJSB_SD_EEENS0_18inequality_wrapperINS9_8equal_toIiEEEEPmJSC_EEE10hipError_tPvRmT3_T4_T5_T6_T7_T9_mT8_P12ihipStream_tbDpT10_ENKUlT_T0_E_clISt17integral_constantIbLb1EES14_IbLb0EEEEDaS10_S11_EUlS10_E_NS1_11comp_targetILNS1_3genE2ELNS1_11target_archE906ELNS1_3gpuE6ELNS1_3repE0EEENS1_30default_config_static_selectorELNS0_4arch9wavefront6targetE0EEEvT1_,@function
_ZN7rocprim17ROCPRIM_400000_NS6detail17trampoline_kernelINS0_14default_configENS1_25partition_config_selectorILNS1_17partition_subalgoE9EiibEEZZNS1_14partition_implILS5_9ELb0ES3_jN6thrust23THRUST_200600_302600_NS10device_ptrIiEESB_PNS0_10empty_typeENS0_5tupleIJSB_SC_EEENSE_IJSB_SD_EEENS0_18inequality_wrapperINS9_8equal_toIiEEEEPmJSC_EEE10hipError_tPvRmT3_T4_T5_T6_T7_T9_mT8_P12ihipStream_tbDpT10_ENKUlT_T0_E_clISt17integral_constantIbLb1EES14_IbLb0EEEEDaS10_S11_EUlS10_E_NS1_11comp_targetILNS1_3genE2ELNS1_11target_archE906ELNS1_3gpuE6ELNS1_3repE0EEENS1_30default_config_static_selectorELNS0_4arch9wavefront6targetE0EEEvT1_: ; @_ZN7rocprim17ROCPRIM_400000_NS6detail17trampoline_kernelINS0_14default_configENS1_25partition_config_selectorILNS1_17partition_subalgoE9EiibEEZZNS1_14partition_implILS5_9ELb0ES3_jN6thrust23THRUST_200600_302600_NS10device_ptrIiEESB_PNS0_10empty_typeENS0_5tupleIJSB_SC_EEENSE_IJSB_SD_EEENS0_18inequality_wrapperINS9_8equal_toIiEEEEPmJSC_EEE10hipError_tPvRmT3_T4_T5_T6_T7_T9_mT8_P12ihipStream_tbDpT10_ENKUlT_T0_E_clISt17integral_constantIbLb1EES14_IbLb0EEEEDaS10_S11_EUlS10_E_NS1_11comp_targetILNS1_3genE2ELNS1_11target_archE906ELNS1_3gpuE6ELNS1_3repE0EEENS1_30default_config_static_selectorELNS0_4arch9wavefront6targetE0EEEvT1_
; %bb.0:
	.section	.rodata,"a",@progbits
	.p2align	6, 0x0
	.amdhsa_kernel _ZN7rocprim17ROCPRIM_400000_NS6detail17trampoline_kernelINS0_14default_configENS1_25partition_config_selectorILNS1_17partition_subalgoE9EiibEEZZNS1_14partition_implILS5_9ELb0ES3_jN6thrust23THRUST_200600_302600_NS10device_ptrIiEESB_PNS0_10empty_typeENS0_5tupleIJSB_SC_EEENSE_IJSB_SD_EEENS0_18inequality_wrapperINS9_8equal_toIiEEEEPmJSC_EEE10hipError_tPvRmT3_T4_T5_T6_T7_T9_mT8_P12ihipStream_tbDpT10_ENKUlT_T0_E_clISt17integral_constantIbLb1EES14_IbLb0EEEEDaS10_S11_EUlS10_E_NS1_11comp_targetILNS1_3genE2ELNS1_11target_archE906ELNS1_3gpuE6ELNS1_3repE0EEENS1_30default_config_static_selectorELNS0_4arch9wavefront6targetE0EEEvT1_
		.amdhsa_group_segment_fixed_size 0
		.amdhsa_private_segment_fixed_size 0
		.amdhsa_kernarg_size 112
		.amdhsa_user_sgpr_count 15
		.amdhsa_user_sgpr_dispatch_ptr 0
		.amdhsa_user_sgpr_queue_ptr 0
		.amdhsa_user_sgpr_kernarg_segment_ptr 1
		.amdhsa_user_sgpr_dispatch_id 0
		.amdhsa_user_sgpr_private_segment_size 0
		.amdhsa_wavefront_size32 1
		.amdhsa_uses_dynamic_stack 0
		.amdhsa_enable_private_segment 0
		.amdhsa_system_sgpr_workgroup_id_x 1
		.amdhsa_system_sgpr_workgroup_id_y 0
		.amdhsa_system_sgpr_workgroup_id_z 0
		.amdhsa_system_sgpr_workgroup_info 0
		.amdhsa_system_vgpr_workitem_id 0
		.amdhsa_next_free_vgpr 1
		.amdhsa_next_free_sgpr 1
		.amdhsa_reserve_vcc 0
		.amdhsa_float_round_mode_32 0
		.amdhsa_float_round_mode_16_64 0
		.amdhsa_float_denorm_mode_32 3
		.amdhsa_float_denorm_mode_16_64 3
		.amdhsa_dx10_clamp 1
		.amdhsa_ieee_mode 1
		.amdhsa_fp16_overflow 0
		.amdhsa_workgroup_processor_mode 1
		.amdhsa_memory_ordered 1
		.amdhsa_forward_progress 0
		.amdhsa_shared_vgpr_count 0
		.amdhsa_exception_fp_ieee_invalid_op 0
		.amdhsa_exception_fp_denorm_src 0
		.amdhsa_exception_fp_ieee_div_zero 0
		.amdhsa_exception_fp_ieee_overflow 0
		.amdhsa_exception_fp_ieee_underflow 0
		.amdhsa_exception_fp_ieee_inexact 0
		.amdhsa_exception_int_div_zero 0
	.end_amdhsa_kernel
	.section	.text._ZN7rocprim17ROCPRIM_400000_NS6detail17trampoline_kernelINS0_14default_configENS1_25partition_config_selectorILNS1_17partition_subalgoE9EiibEEZZNS1_14partition_implILS5_9ELb0ES3_jN6thrust23THRUST_200600_302600_NS10device_ptrIiEESB_PNS0_10empty_typeENS0_5tupleIJSB_SC_EEENSE_IJSB_SD_EEENS0_18inequality_wrapperINS9_8equal_toIiEEEEPmJSC_EEE10hipError_tPvRmT3_T4_T5_T6_T7_T9_mT8_P12ihipStream_tbDpT10_ENKUlT_T0_E_clISt17integral_constantIbLb1EES14_IbLb0EEEEDaS10_S11_EUlS10_E_NS1_11comp_targetILNS1_3genE2ELNS1_11target_archE906ELNS1_3gpuE6ELNS1_3repE0EEENS1_30default_config_static_selectorELNS0_4arch9wavefront6targetE0EEEvT1_,"axG",@progbits,_ZN7rocprim17ROCPRIM_400000_NS6detail17trampoline_kernelINS0_14default_configENS1_25partition_config_selectorILNS1_17partition_subalgoE9EiibEEZZNS1_14partition_implILS5_9ELb0ES3_jN6thrust23THRUST_200600_302600_NS10device_ptrIiEESB_PNS0_10empty_typeENS0_5tupleIJSB_SC_EEENSE_IJSB_SD_EEENS0_18inequality_wrapperINS9_8equal_toIiEEEEPmJSC_EEE10hipError_tPvRmT3_T4_T5_T6_T7_T9_mT8_P12ihipStream_tbDpT10_ENKUlT_T0_E_clISt17integral_constantIbLb1EES14_IbLb0EEEEDaS10_S11_EUlS10_E_NS1_11comp_targetILNS1_3genE2ELNS1_11target_archE906ELNS1_3gpuE6ELNS1_3repE0EEENS1_30default_config_static_selectorELNS0_4arch9wavefront6targetE0EEEvT1_,comdat
.Lfunc_end1289:
	.size	_ZN7rocprim17ROCPRIM_400000_NS6detail17trampoline_kernelINS0_14default_configENS1_25partition_config_selectorILNS1_17partition_subalgoE9EiibEEZZNS1_14partition_implILS5_9ELb0ES3_jN6thrust23THRUST_200600_302600_NS10device_ptrIiEESB_PNS0_10empty_typeENS0_5tupleIJSB_SC_EEENSE_IJSB_SD_EEENS0_18inequality_wrapperINS9_8equal_toIiEEEEPmJSC_EEE10hipError_tPvRmT3_T4_T5_T6_T7_T9_mT8_P12ihipStream_tbDpT10_ENKUlT_T0_E_clISt17integral_constantIbLb1EES14_IbLb0EEEEDaS10_S11_EUlS10_E_NS1_11comp_targetILNS1_3genE2ELNS1_11target_archE906ELNS1_3gpuE6ELNS1_3repE0EEENS1_30default_config_static_selectorELNS0_4arch9wavefront6targetE0EEEvT1_, .Lfunc_end1289-_ZN7rocprim17ROCPRIM_400000_NS6detail17trampoline_kernelINS0_14default_configENS1_25partition_config_selectorILNS1_17partition_subalgoE9EiibEEZZNS1_14partition_implILS5_9ELb0ES3_jN6thrust23THRUST_200600_302600_NS10device_ptrIiEESB_PNS0_10empty_typeENS0_5tupleIJSB_SC_EEENSE_IJSB_SD_EEENS0_18inequality_wrapperINS9_8equal_toIiEEEEPmJSC_EEE10hipError_tPvRmT3_T4_T5_T6_T7_T9_mT8_P12ihipStream_tbDpT10_ENKUlT_T0_E_clISt17integral_constantIbLb1EES14_IbLb0EEEEDaS10_S11_EUlS10_E_NS1_11comp_targetILNS1_3genE2ELNS1_11target_archE906ELNS1_3gpuE6ELNS1_3repE0EEENS1_30default_config_static_selectorELNS0_4arch9wavefront6targetE0EEEvT1_
                                        ; -- End function
	.section	.AMDGPU.csdata,"",@progbits
; Kernel info:
; codeLenInByte = 0
; NumSgprs: 0
; NumVgprs: 0
; ScratchSize: 0
; MemoryBound: 0
; FloatMode: 240
; IeeeMode: 1
; LDSByteSize: 0 bytes/workgroup (compile time only)
; SGPRBlocks: 0
; VGPRBlocks: 0
; NumSGPRsForWavesPerEU: 1
; NumVGPRsForWavesPerEU: 1
; Occupancy: 16
; WaveLimiterHint : 0
; COMPUTE_PGM_RSRC2:SCRATCH_EN: 0
; COMPUTE_PGM_RSRC2:USER_SGPR: 15
; COMPUTE_PGM_RSRC2:TRAP_HANDLER: 0
; COMPUTE_PGM_RSRC2:TGID_X_EN: 1
; COMPUTE_PGM_RSRC2:TGID_Y_EN: 0
; COMPUTE_PGM_RSRC2:TGID_Z_EN: 0
; COMPUTE_PGM_RSRC2:TIDIG_COMP_CNT: 0
	.section	.text._ZN7rocprim17ROCPRIM_400000_NS6detail17trampoline_kernelINS0_14default_configENS1_25partition_config_selectorILNS1_17partition_subalgoE9EiibEEZZNS1_14partition_implILS5_9ELb0ES3_jN6thrust23THRUST_200600_302600_NS10device_ptrIiEESB_PNS0_10empty_typeENS0_5tupleIJSB_SC_EEENSE_IJSB_SD_EEENS0_18inequality_wrapperINS9_8equal_toIiEEEEPmJSC_EEE10hipError_tPvRmT3_T4_T5_T6_T7_T9_mT8_P12ihipStream_tbDpT10_ENKUlT_T0_E_clISt17integral_constantIbLb1EES14_IbLb0EEEEDaS10_S11_EUlS10_E_NS1_11comp_targetILNS1_3genE10ELNS1_11target_archE1200ELNS1_3gpuE4ELNS1_3repE0EEENS1_30default_config_static_selectorELNS0_4arch9wavefront6targetE0EEEvT1_,"axG",@progbits,_ZN7rocprim17ROCPRIM_400000_NS6detail17trampoline_kernelINS0_14default_configENS1_25partition_config_selectorILNS1_17partition_subalgoE9EiibEEZZNS1_14partition_implILS5_9ELb0ES3_jN6thrust23THRUST_200600_302600_NS10device_ptrIiEESB_PNS0_10empty_typeENS0_5tupleIJSB_SC_EEENSE_IJSB_SD_EEENS0_18inequality_wrapperINS9_8equal_toIiEEEEPmJSC_EEE10hipError_tPvRmT3_T4_T5_T6_T7_T9_mT8_P12ihipStream_tbDpT10_ENKUlT_T0_E_clISt17integral_constantIbLb1EES14_IbLb0EEEEDaS10_S11_EUlS10_E_NS1_11comp_targetILNS1_3genE10ELNS1_11target_archE1200ELNS1_3gpuE4ELNS1_3repE0EEENS1_30default_config_static_selectorELNS0_4arch9wavefront6targetE0EEEvT1_,comdat
	.protected	_ZN7rocprim17ROCPRIM_400000_NS6detail17trampoline_kernelINS0_14default_configENS1_25partition_config_selectorILNS1_17partition_subalgoE9EiibEEZZNS1_14partition_implILS5_9ELb0ES3_jN6thrust23THRUST_200600_302600_NS10device_ptrIiEESB_PNS0_10empty_typeENS0_5tupleIJSB_SC_EEENSE_IJSB_SD_EEENS0_18inequality_wrapperINS9_8equal_toIiEEEEPmJSC_EEE10hipError_tPvRmT3_T4_T5_T6_T7_T9_mT8_P12ihipStream_tbDpT10_ENKUlT_T0_E_clISt17integral_constantIbLb1EES14_IbLb0EEEEDaS10_S11_EUlS10_E_NS1_11comp_targetILNS1_3genE10ELNS1_11target_archE1200ELNS1_3gpuE4ELNS1_3repE0EEENS1_30default_config_static_selectorELNS0_4arch9wavefront6targetE0EEEvT1_ ; -- Begin function _ZN7rocprim17ROCPRIM_400000_NS6detail17trampoline_kernelINS0_14default_configENS1_25partition_config_selectorILNS1_17partition_subalgoE9EiibEEZZNS1_14partition_implILS5_9ELb0ES3_jN6thrust23THRUST_200600_302600_NS10device_ptrIiEESB_PNS0_10empty_typeENS0_5tupleIJSB_SC_EEENSE_IJSB_SD_EEENS0_18inequality_wrapperINS9_8equal_toIiEEEEPmJSC_EEE10hipError_tPvRmT3_T4_T5_T6_T7_T9_mT8_P12ihipStream_tbDpT10_ENKUlT_T0_E_clISt17integral_constantIbLb1EES14_IbLb0EEEEDaS10_S11_EUlS10_E_NS1_11comp_targetILNS1_3genE10ELNS1_11target_archE1200ELNS1_3gpuE4ELNS1_3repE0EEENS1_30default_config_static_selectorELNS0_4arch9wavefront6targetE0EEEvT1_
	.globl	_ZN7rocprim17ROCPRIM_400000_NS6detail17trampoline_kernelINS0_14default_configENS1_25partition_config_selectorILNS1_17partition_subalgoE9EiibEEZZNS1_14partition_implILS5_9ELb0ES3_jN6thrust23THRUST_200600_302600_NS10device_ptrIiEESB_PNS0_10empty_typeENS0_5tupleIJSB_SC_EEENSE_IJSB_SD_EEENS0_18inequality_wrapperINS9_8equal_toIiEEEEPmJSC_EEE10hipError_tPvRmT3_T4_T5_T6_T7_T9_mT8_P12ihipStream_tbDpT10_ENKUlT_T0_E_clISt17integral_constantIbLb1EES14_IbLb0EEEEDaS10_S11_EUlS10_E_NS1_11comp_targetILNS1_3genE10ELNS1_11target_archE1200ELNS1_3gpuE4ELNS1_3repE0EEENS1_30default_config_static_selectorELNS0_4arch9wavefront6targetE0EEEvT1_
	.p2align	8
	.type	_ZN7rocprim17ROCPRIM_400000_NS6detail17trampoline_kernelINS0_14default_configENS1_25partition_config_selectorILNS1_17partition_subalgoE9EiibEEZZNS1_14partition_implILS5_9ELb0ES3_jN6thrust23THRUST_200600_302600_NS10device_ptrIiEESB_PNS0_10empty_typeENS0_5tupleIJSB_SC_EEENSE_IJSB_SD_EEENS0_18inequality_wrapperINS9_8equal_toIiEEEEPmJSC_EEE10hipError_tPvRmT3_T4_T5_T6_T7_T9_mT8_P12ihipStream_tbDpT10_ENKUlT_T0_E_clISt17integral_constantIbLb1EES14_IbLb0EEEEDaS10_S11_EUlS10_E_NS1_11comp_targetILNS1_3genE10ELNS1_11target_archE1200ELNS1_3gpuE4ELNS1_3repE0EEENS1_30default_config_static_selectorELNS0_4arch9wavefront6targetE0EEEvT1_,@function
_ZN7rocprim17ROCPRIM_400000_NS6detail17trampoline_kernelINS0_14default_configENS1_25partition_config_selectorILNS1_17partition_subalgoE9EiibEEZZNS1_14partition_implILS5_9ELb0ES3_jN6thrust23THRUST_200600_302600_NS10device_ptrIiEESB_PNS0_10empty_typeENS0_5tupleIJSB_SC_EEENSE_IJSB_SD_EEENS0_18inequality_wrapperINS9_8equal_toIiEEEEPmJSC_EEE10hipError_tPvRmT3_T4_T5_T6_T7_T9_mT8_P12ihipStream_tbDpT10_ENKUlT_T0_E_clISt17integral_constantIbLb1EES14_IbLb0EEEEDaS10_S11_EUlS10_E_NS1_11comp_targetILNS1_3genE10ELNS1_11target_archE1200ELNS1_3gpuE4ELNS1_3repE0EEENS1_30default_config_static_selectorELNS0_4arch9wavefront6targetE0EEEvT1_: ; @_ZN7rocprim17ROCPRIM_400000_NS6detail17trampoline_kernelINS0_14default_configENS1_25partition_config_selectorILNS1_17partition_subalgoE9EiibEEZZNS1_14partition_implILS5_9ELb0ES3_jN6thrust23THRUST_200600_302600_NS10device_ptrIiEESB_PNS0_10empty_typeENS0_5tupleIJSB_SC_EEENSE_IJSB_SD_EEENS0_18inequality_wrapperINS9_8equal_toIiEEEEPmJSC_EEE10hipError_tPvRmT3_T4_T5_T6_T7_T9_mT8_P12ihipStream_tbDpT10_ENKUlT_T0_E_clISt17integral_constantIbLb1EES14_IbLb0EEEEDaS10_S11_EUlS10_E_NS1_11comp_targetILNS1_3genE10ELNS1_11target_archE1200ELNS1_3gpuE4ELNS1_3repE0EEENS1_30default_config_static_selectorELNS0_4arch9wavefront6targetE0EEEvT1_
; %bb.0:
	.section	.rodata,"a",@progbits
	.p2align	6, 0x0
	.amdhsa_kernel _ZN7rocprim17ROCPRIM_400000_NS6detail17trampoline_kernelINS0_14default_configENS1_25partition_config_selectorILNS1_17partition_subalgoE9EiibEEZZNS1_14partition_implILS5_9ELb0ES3_jN6thrust23THRUST_200600_302600_NS10device_ptrIiEESB_PNS0_10empty_typeENS0_5tupleIJSB_SC_EEENSE_IJSB_SD_EEENS0_18inequality_wrapperINS9_8equal_toIiEEEEPmJSC_EEE10hipError_tPvRmT3_T4_T5_T6_T7_T9_mT8_P12ihipStream_tbDpT10_ENKUlT_T0_E_clISt17integral_constantIbLb1EES14_IbLb0EEEEDaS10_S11_EUlS10_E_NS1_11comp_targetILNS1_3genE10ELNS1_11target_archE1200ELNS1_3gpuE4ELNS1_3repE0EEENS1_30default_config_static_selectorELNS0_4arch9wavefront6targetE0EEEvT1_
		.amdhsa_group_segment_fixed_size 0
		.amdhsa_private_segment_fixed_size 0
		.amdhsa_kernarg_size 112
		.amdhsa_user_sgpr_count 15
		.amdhsa_user_sgpr_dispatch_ptr 0
		.amdhsa_user_sgpr_queue_ptr 0
		.amdhsa_user_sgpr_kernarg_segment_ptr 1
		.amdhsa_user_sgpr_dispatch_id 0
		.amdhsa_user_sgpr_private_segment_size 0
		.amdhsa_wavefront_size32 1
		.amdhsa_uses_dynamic_stack 0
		.amdhsa_enable_private_segment 0
		.amdhsa_system_sgpr_workgroup_id_x 1
		.amdhsa_system_sgpr_workgroup_id_y 0
		.amdhsa_system_sgpr_workgroup_id_z 0
		.amdhsa_system_sgpr_workgroup_info 0
		.amdhsa_system_vgpr_workitem_id 0
		.amdhsa_next_free_vgpr 1
		.amdhsa_next_free_sgpr 1
		.amdhsa_reserve_vcc 0
		.amdhsa_float_round_mode_32 0
		.amdhsa_float_round_mode_16_64 0
		.amdhsa_float_denorm_mode_32 3
		.amdhsa_float_denorm_mode_16_64 3
		.amdhsa_dx10_clamp 1
		.amdhsa_ieee_mode 1
		.amdhsa_fp16_overflow 0
		.amdhsa_workgroup_processor_mode 1
		.amdhsa_memory_ordered 1
		.amdhsa_forward_progress 0
		.amdhsa_shared_vgpr_count 0
		.amdhsa_exception_fp_ieee_invalid_op 0
		.amdhsa_exception_fp_denorm_src 0
		.amdhsa_exception_fp_ieee_div_zero 0
		.amdhsa_exception_fp_ieee_overflow 0
		.amdhsa_exception_fp_ieee_underflow 0
		.amdhsa_exception_fp_ieee_inexact 0
		.amdhsa_exception_int_div_zero 0
	.end_amdhsa_kernel
	.section	.text._ZN7rocprim17ROCPRIM_400000_NS6detail17trampoline_kernelINS0_14default_configENS1_25partition_config_selectorILNS1_17partition_subalgoE9EiibEEZZNS1_14partition_implILS5_9ELb0ES3_jN6thrust23THRUST_200600_302600_NS10device_ptrIiEESB_PNS0_10empty_typeENS0_5tupleIJSB_SC_EEENSE_IJSB_SD_EEENS0_18inequality_wrapperINS9_8equal_toIiEEEEPmJSC_EEE10hipError_tPvRmT3_T4_T5_T6_T7_T9_mT8_P12ihipStream_tbDpT10_ENKUlT_T0_E_clISt17integral_constantIbLb1EES14_IbLb0EEEEDaS10_S11_EUlS10_E_NS1_11comp_targetILNS1_3genE10ELNS1_11target_archE1200ELNS1_3gpuE4ELNS1_3repE0EEENS1_30default_config_static_selectorELNS0_4arch9wavefront6targetE0EEEvT1_,"axG",@progbits,_ZN7rocprim17ROCPRIM_400000_NS6detail17trampoline_kernelINS0_14default_configENS1_25partition_config_selectorILNS1_17partition_subalgoE9EiibEEZZNS1_14partition_implILS5_9ELb0ES3_jN6thrust23THRUST_200600_302600_NS10device_ptrIiEESB_PNS0_10empty_typeENS0_5tupleIJSB_SC_EEENSE_IJSB_SD_EEENS0_18inequality_wrapperINS9_8equal_toIiEEEEPmJSC_EEE10hipError_tPvRmT3_T4_T5_T6_T7_T9_mT8_P12ihipStream_tbDpT10_ENKUlT_T0_E_clISt17integral_constantIbLb1EES14_IbLb0EEEEDaS10_S11_EUlS10_E_NS1_11comp_targetILNS1_3genE10ELNS1_11target_archE1200ELNS1_3gpuE4ELNS1_3repE0EEENS1_30default_config_static_selectorELNS0_4arch9wavefront6targetE0EEEvT1_,comdat
.Lfunc_end1290:
	.size	_ZN7rocprim17ROCPRIM_400000_NS6detail17trampoline_kernelINS0_14default_configENS1_25partition_config_selectorILNS1_17partition_subalgoE9EiibEEZZNS1_14partition_implILS5_9ELb0ES3_jN6thrust23THRUST_200600_302600_NS10device_ptrIiEESB_PNS0_10empty_typeENS0_5tupleIJSB_SC_EEENSE_IJSB_SD_EEENS0_18inequality_wrapperINS9_8equal_toIiEEEEPmJSC_EEE10hipError_tPvRmT3_T4_T5_T6_T7_T9_mT8_P12ihipStream_tbDpT10_ENKUlT_T0_E_clISt17integral_constantIbLb1EES14_IbLb0EEEEDaS10_S11_EUlS10_E_NS1_11comp_targetILNS1_3genE10ELNS1_11target_archE1200ELNS1_3gpuE4ELNS1_3repE0EEENS1_30default_config_static_selectorELNS0_4arch9wavefront6targetE0EEEvT1_, .Lfunc_end1290-_ZN7rocprim17ROCPRIM_400000_NS6detail17trampoline_kernelINS0_14default_configENS1_25partition_config_selectorILNS1_17partition_subalgoE9EiibEEZZNS1_14partition_implILS5_9ELb0ES3_jN6thrust23THRUST_200600_302600_NS10device_ptrIiEESB_PNS0_10empty_typeENS0_5tupleIJSB_SC_EEENSE_IJSB_SD_EEENS0_18inequality_wrapperINS9_8equal_toIiEEEEPmJSC_EEE10hipError_tPvRmT3_T4_T5_T6_T7_T9_mT8_P12ihipStream_tbDpT10_ENKUlT_T0_E_clISt17integral_constantIbLb1EES14_IbLb0EEEEDaS10_S11_EUlS10_E_NS1_11comp_targetILNS1_3genE10ELNS1_11target_archE1200ELNS1_3gpuE4ELNS1_3repE0EEENS1_30default_config_static_selectorELNS0_4arch9wavefront6targetE0EEEvT1_
                                        ; -- End function
	.section	.AMDGPU.csdata,"",@progbits
; Kernel info:
; codeLenInByte = 0
; NumSgprs: 0
; NumVgprs: 0
; ScratchSize: 0
; MemoryBound: 0
; FloatMode: 240
; IeeeMode: 1
; LDSByteSize: 0 bytes/workgroup (compile time only)
; SGPRBlocks: 0
; VGPRBlocks: 0
; NumSGPRsForWavesPerEU: 1
; NumVGPRsForWavesPerEU: 1
; Occupancy: 15
; WaveLimiterHint : 0
; COMPUTE_PGM_RSRC2:SCRATCH_EN: 0
; COMPUTE_PGM_RSRC2:USER_SGPR: 15
; COMPUTE_PGM_RSRC2:TRAP_HANDLER: 0
; COMPUTE_PGM_RSRC2:TGID_X_EN: 1
; COMPUTE_PGM_RSRC2:TGID_Y_EN: 0
; COMPUTE_PGM_RSRC2:TGID_Z_EN: 0
; COMPUTE_PGM_RSRC2:TIDIG_COMP_CNT: 0
	.section	.text._ZN7rocprim17ROCPRIM_400000_NS6detail17trampoline_kernelINS0_14default_configENS1_25partition_config_selectorILNS1_17partition_subalgoE9EiibEEZZNS1_14partition_implILS5_9ELb0ES3_jN6thrust23THRUST_200600_302600_NS10device_ptrIiEESB_PNS0_10empty_typeENS0_5tupleIJSB_SC_EEENSE_IJSB_SD_EEENS0_18inequality_wrapperINS9_8equal_toIiEEEEPmJSC_EEE10hipError_tPvRmT3_T4_T5_T6_T7_T9_mT8_P12ihipStream_tbDpT10_ENKUlT_T0_E_clISt17integral_constantIbLb1EES14_IbLb0EEEEDaS10_S11_EUlS10_E_NS1_11comp_targetILNS1_3genE9ELNS1_11target_archE1100ELNS1_3gpuE3ELNS1_3repE0EEENS1_30default_config_static_selectorELNS0_4arch9wavefront6targetE0EEEvT1_,"axG",@progbits,_ZN7rocprim17ROCPRIM_400000_NS6detail17trampoline_kernelINS0_14default_configENS1_25partition_config_selectorILNS1_17partition_subalgoE9EiibEEZZNS1_14partition_implILS5_9ELb0ES3_jN6thrust23THRUST_200600_302600_NS10device_ptrIiEESB_PNS0_10empty_typeENS0_5tupleIJSB_SC_EEENSE_IJSB_SD_EEENS0_18inequality_wrapperINS9_8equal_toIiEEEEPmJSC_EEE10hipError_tPvRmT3_T4_T5_T6_T7_T9_mT8_P12ihipStream_tbDpT10_ENKUlT_T0_E_clISt17integral_constantIbLb1EES14_IbLb0EEEEDaS10_S11_EUlS10_E_NS1_11comp_targetILNS1_3genE9ELNS1_11target_archE1100ELNS1_3gpuE3ELNS1_3repE0EEENS1_30default_config_static_selectorELNS0_4arch9wavefront6targetE0EEEvT1_,comdat
	.protected	_ZN7rocprim17ROCPRIM_400000_NS6detail17trampoline_kernelINS0_14default_configENS1_25partition_config_selectorILNS1_17partition_subalgoE9EiibEEZZNS1_14partition_implILS5_9ELb0ES3_jN6thrust23THRUST_200600_302600_NS10device_ptrIiEESB_PNS0_10empty_typeENS0_5tupleIJSB_SC_EEENSE_IJSB_SD_EEENS0_18inequality_wrapperINS9_8equal_toIiEEEEPmJSC_EEE10hipError_tPvRmT3_T4_T5_T6_T7_T9_mT8_P12ihipStream_tbDpT10_ENKUlT_T0_E_clISt17integral_constantIbLb1EES14_IbLb0EEEEDaS10_S11_EUlS10_E_NS1_11comp_targetILNS1_3genE9ELNS1_11target_archE1100ELNS1_3gpuE3ELNS1_3repE0EEENS1_30default_config_static_selectorELNS0_4arch9wavefront6targetE0EEEvT1_ ; -- Begin function _ZN7rocprim17ROCPRIM_400000_NS6detail17trampoline_kernelINS0_14default_configENS1_25partition_config_selectorILNS1_17partition_subalgoE9EiibEEZZNS1_14partition_implILS5_9ELb0ES3_jN6thrust23THRUST_200600_302600_NS10device_ptrIiEESB_PNS0_10empty_typeENS0_5tupleIJSB_SC_EEENSE_IJSB_SD_EEENS0_18inequality_wrapperINS9_8equal_toIiEEEEPmJSC_EEE10hipError_tPvRmT3_T4_T5_T6_T7_T9_mT8_P12ihipStream_tbDpT10_ENKUlT_T0_E_clISt17integral_constantIbLb1EES14_IbLb0EEEEDaS10_S11_EUlS10_E_NS1_11comp_targetILNS1_3genE9ELNS1_11target_archE1100ELNS1_3gpuE3ELNS1_3repE0EEENS1_30default_config_static_selectorELNS0_4arch9wavefront6targetE0EEEvT1_
	.globl	_ZN7rocprim17ROCPRIM_400000_NS6detail17trampoline_kernelINS0_14default_configENS1_25partition_config_selectorILNS1_17partition_subalgoE9EiibEEZZNS1_14partition_implILS5_9ELb0ES3_jN6thrust23THRUST_200600_302600_NS10device_ptrIiEESB_PNS0_10empty_typeENS0_5tupleIJSB_SC_EEENSE_IJSB_SD_EEENS0_18inequality_wrapperINS9_8equal_toIiEEEEPmJSC_EEE10hipError_tPvRmT3_T4_T5_T6_T7_T9_mT8_P12ihipStream_tbDpT10_ENKUlT_T0_E_clISt17integral_constantIbLb1EES14_IbLb0EEEEDaS10_S11_EUlS10_E_NS1_11comp_targetILNS1_3genE9ELNS1_11target_archE1100ELNS1_3gpuE3ELNS1_3repE0EEENS1_30default_config_static_selectorELNS0_4arch9wavefront6targetE0EEEvT1_
	.p2align	8
	.type	_ZN7rocprim17ROCPRIM_400000_NS6detail17trampoline_kernelINS0_14default_configENS1_25partition_config_selectorILNS1_17partition_subalgoE9EiibEEZZNS1_14partition_implILS5_9ELb0ES3_jN6thrust23THRUST_200600_302600_NS10device_ptrIiEESB_PNS0_10empty_typeENS0_5tupleIJSB_SC_EEENSE_IJSB_SD_EEENS0_18inequality_wrapperINS9_8equal_toIiEEEEPmJSC_EEE10hipError_tPvRmT3_T4_T5_T6_T7_T9_mT8_P12ihipStream_tbDpT10_ENKUlT_T0_E_clISt17integral_constantIbLb1EES14_IbLb0EEEEDaS10_S11_EUlS10_E_NS1_11comp_targetILNS1_3genE9ELNS1_11target_archE1100ELNS1_3gpuE3ELNS1_3repE0EEENS1_30default_config_static_selectorELNS0_4arch9wavefront6targetE0EEEvT1_,@function
_ZN7rocprim17ROCPRIM_400000_NS6detail17trampoline_kernelINS0_14default_configENS1_25partition_config_selectorILNS1_17partition_subalgoE9EiibEEZZNS1_14partition_implILS5_9ELb0ES3_jN6thrust23THRUST_200600_302600_NS10device_ptrIiEESB_PNS0_10empty_typeENS0_5tupleIJSB_SC_EEENSE_IJSB_SD_EEENS0_18inequality_wrapperINS9_8equal_toIiEEEEPmJSC_EEE10hipError_tPvRmT3_T4_T5_T6_T7_T9_mT8_P12ihipStream_tbDpT10_ENKUlT_T0_E_clISt17integral_constantIbLb1EES14_IbLb0EEEEDaS10_S11_EUlS10_E_NS1_11comp_targetILNS1_3genE9ELNS1_11target_archE1100ELNS1_3gpuE3ELNS1_3repE0EEENS1_30default_config_static_selectorELNS0_4arch9wavefront6targetE0EEEvT1_: ; @_ZN7rocprim17ROCPRIM_400000_NS6detail17trampoline_kernelINS0_14default_configENS1_25partition_config_selectorILNS1_17partition_subalgoE9EiibEEZZNS1_14partition_implILS5_9ELb0ES3_jN6thrust23THRUST_200600_302600_NS10device_ptrIiEESB_PNS0_10empty_typeENS0_5tupleIJSB_SC_EEENSE_IJSB_SD_EEENS0_18inequality_wrapperINS9_8equal_toIiEEEEPmJSC_EEE10hipError_tPvRmT3_T4_T5_T6_T7_T9_mT8_P12ihipStream_tbDpT10_ENKUlT_T0_E_clISt17integral_constantIbLb1EES14_IbLb0EEEEDaS10_S11_EUlS10_E_NS1_11comp_targetILNS1_3genE9ELNS1_11target_archE1100ELNS1_3gpuE3ELNS1_3repE0EEENS1_30default_config_static_selectorELNS0_4arch9wavefront6targetE0EEEvT1_
; %bb.0:
	s_clause 0x4
	s_load_b128 s[4:7], s[0:1], 0x8
	s_load_b32 s14, s[0:1], 0x68
	s_load_b128 s[16:19], s[0:1], 0x40
	s_load_b64 s[2:3], s[0:1], 0x50
	s_load_b64 s[8:9], s[0:1], 0x18
	s_mov_b32 s23, 0
	s_mul_i32 s22, s15, 0xc00
	v_lshrrev_b32_e32 v18, 3, v0
	v_add_nc_u32_e32 v23, 0x180, v0
	v_add_nc_u32_e32 v22, 0x300, v0
	;; [unrolled: 1-line block ×3, first 2 shown]
	v_or_b32_e32 v24, 0x600, v0
	v_add_nc_u32_e32 v20, 0x780, v0
	v_add_nc_u32_e32 v17, 0x900, v0
	;; [unrolled: 1-line block ×3, first 2 shown]
	s_waitcnt lgkmcnt(0)
	s_lshl_b64 s[12:13], s[6:7], 2
	s_mul_i32 s20, s14, 0xc00
	s_add_u32 s21, s4, s12
	s_addc_u32 s24, s5, s13
	s_add_i32 s4, s20, s6
	s_load_b64 s[10:11], s[18:19], 0x0
	s_sub_i32 s19, s2, s4
	s_add_i32 s14, s14, -1
	s_addk_i32 s19, 0xc00
	s_add_u32 s4, s6, s20
	s_addc_u32 s5, s7, 0
	s_cmp_eq_u32 s15, s14
	v_cmp_ge_u64_e64 s2, s[4:5], s[2:3]
	s_cselect_b32 s14, -1, 0
	s_lshl_b64 s[4:5], s[22:23], 2
	s_mov_b32 s22, -1
	s_delay_alu instid0(VALU_DEP_1) | instskip(NEXT) | instid1(SALU_CYCLE_1)
	s_and_b32 s20, s14, s2
	s_xor_b32 s18, s20, -1
	s_add_u32 s21, s21, s4
	s_addc_u32 s3, s24, s5
	s_and_b32 vcc_lo, exec_lo, s18
	s_cbranch_vccz .LBB1291_2
; %bb.1:
	v_lshlrev_b32_e32 v7, 2, v0
	v_lshrrev_b32_e32 v11, 3, v23
	v_lshrrev_b32_e32 v12, 3, v22
	;; [unrolled: 1-line block ×4, first 2 shown]
	v_add_co_u32 v1, s2, s21, v7
	s_delay_alu instid0(VALU_DEP_1) | instskip(SKIP_1) | instid1(VALU_DEP_3)
	v_add_co_ci_u32_e64 v2, null, s3, 0, s2
	v_lshrrev_b32_e32 v15, 3, v20
	v_add_co_u32 v3, vcc_lo, 0x1000, v1
	s_delay_alu instid0(VALU_DEP_3)
	v_add_co_ci_u32_e32 v4, vcc_lo, 0, v2, vcc_lo
	v_add_co_u32 v5, vcc_lo, 0x2000, v1
	v_add_co_ci_u32_e32 v6, vcc_lo, 0, v2, vcc_lo
	s_clause 0x7
	flat_load_b32 v8, v[1:2]
	flat_load_b32 v9, v[1:2] offset:1536
	flat_load_b32 v1, v[1:2] offset:3072
	;; [unrolled: 1-line block ×7, first 2 shown]
	v_and_b32_e32 v6, 60, v18
	v_lshrrev_b32_e32 v16, 3, v17
	v_lshrrev_b32_e32 v19, 3, v21
	v_and_b32_e32 v11, 0x7c, v11
	v_and_b32_e32 v12, 0xfc, v12
	;; [unrolled: 1-line block ×4, first 2 shown]
	v_add_nc_u32_e32 v6, v6, v7
	v_and_b32_e32 v15, 0x1fc, v15
	v_and_b32_e32 v16, 0x17c, v16
	;; [unrolled: 1-line block ×3, first 2 shown]
	v_add_nc_u32_e32 v11, v11, v7
	v_add_nc_u32_e32 v12, v12, v7
	;; [unrolled: 1-line block ×4, first 2 shown]
	s_mov_b32 s22, 0
	v_add_nc_u32_e32 v15, v15, v7
	v_add_nc_u32_e32 v16, v16, v7
	;; [unrolled: 1-line block ×3, first 2 shown]
	s_waitcnt vmcnt(7) lgkmcnt(0)
	ds_store_b32 v6, v8
	s_waitcnt vmcnt(6)
	ds_store_b32 v11, v9 offset:1536
	s_waitcnt vmcnt(5)
	ds_store_b32 v12, v1 offset:3072
	;; [unrolled: 2-line block ×7, first 2 shown]
	s_waitcnt lgkmcnt(0)
	s_barrier
.LBB1291_2:
	v_cmp_gt_u32_e64 s2, s19, v0
	s_and_not1_b32 vcc_lo, exec_lo, s22
	s_cbranch_vccnz .LBB1291_20
; %bb.3:
                                        ; implicit-def: $vgpr1_vgpr2_vgpr3_vgpr4_vgpr5_vgpr6_vgpr7_vgpr8
	s_delay_alu instid0(VALU_DEP_1)
	s_and_saveexec_b32 s22, s2
	s_cbranch_execz .LBB1291_11
; %bb.4:
	v_lshlrev_b32_e32 v1, 2, v0
	s_delay_alu instid0(VALU_DEP_1) | instskip(NEXT) | instid1(VALU_DEP_1)
	v_add_co_u32 v1, s2, s21, v1
	v_add_co_ci_u32_e64 v2, null, s3, 0, s2
	flat_load_b32 v1, v[1:2]
	s_or_b32 exec_lo, exec_lo, s22
	s_delay_alu instid0(SALU_CYCLE_1)
	s_mov_b32 s2, exec_lo
	v_cmpx_gt_u32_e64 s19, v23
	s_cbranch_execnz .LBB1291_12
.LBB1291_5:
	s_or_b32 exec_lo, exec_lo, s2
	s_delay_alu instid0(SALU_CYCLE_1)
	s_mov_b32 s2, exec_lo
	v_cmpx_gt_u32_e64 s19, v22
	s_cbranch_execz .LBB1291_13
.LBB1291_6:
	v_lshlrev_b32_e32 v3, 2, v0
	s_delay_alu instid0(VALU_DEP_1) | instskip(NEXT) | instid1(VALU_DEP_1)
	v_add_co_u32 v9, s22, s21, v3
	v_add_co_ci_u32_e64 v10, null, s3, 0, s22
	flat_load_b32 v3, v[9:10] offset:3072
	s_or_b32 exec_lo, exec_lo, s2
	s_delay_alu instid0(SALU_CYCLE_1)
	s_mov_b32 s2, exec_lo
	v_cmpx_gt_u32_e64 s19, v25
	s_cbranch_execnz .LBB1291_14
.LBB1291_7:
	s_or_b32 exec_lo, exec_lo, s2
	s_delay_alu instid0(SALU_CYCLE_1)
	s_mov_b32 s2, exec_lo
	v_cmpx_gt_u32_e64 s19, v24
	s_cbranch_execz .LBB1291_15
.LBB1291_8:
	v_lshlrev_b32_e32 v5, 2, v24
	s_delay_alu instid0(VALU_DEP_1) | instskip(NEXT) | instid1(VALU_DEP_1)
	v_add_co_u32 v9, s22, s21, v5
	v_add_co_ci_u32_e64 v10, null, s3, 0, s22
	flat_load_b32 v5, v[9:10]
	s_or_b32 exec_lo, exec_lo, s2
	s_delay_alu instid0(SALU_CYCLE_1)
	s_mov_b32 s2, exec_lo
	v_cmpx_gt_u32_e64 s19, v20
	s_cbranch_execnz .LBB1291_16
.LBB1291_9:
	s_or_b32 exec_lo, exec_lo, s2
	s_delay_alu instid0(SALU_CYCLE_1)
	s_mov_b32 s2, exec_lo
	v_cmpx_gt_u32_e64 s19, v17
	s_cbranch_execz .LBB1291_17
.LBB1291_10:
	v_lshlrev_b32_e32 v7, 2, v17
	s_delay_alu instid0(VALU_DEP_1) | instskip(NEXT) | instid1(VALU_DEP_1)
	v_add_co_u32 v9, s22, s21, v7
	v_add_co_ci_u32_e64 v10, null, s3, 0, s22
	flat_load_b32 v7, v[9:10]
	s_or_b32 exec_lo, exec_lo, s2
	s_delay_alu instid0(SALU_CYCLE_1)
	s_mov_b32 s2, exec_lo
	v_cmpx_gt_u32_e64 s19, v21
	s_cbranch_execnz .LBB1291_18
	s_branch .LBB1291_19
.LBB1291_11:
	s_or_b32 exec_lo, exec_lo, s22
	s_delay_alu instid0(SALU_CYCLE_1)
	s_mov_b32 s2, exec_lo
	v_cmpx_gt_u32_e64 s19, v23
	s_cbranch_execz .LBB1291_5
.LBB1291_12:
	v_lshlrev_b32_e32 v2, 2, v0
	s_delay_alu instid0(VALU_DEP_1) | instskip(NEXT) | instid1(VALU_DEP_1)
	v_add_co_u32 v9, s22, s21, v2
	v_add_co_ci_u32_e64 v10, null, s3, 0, s22
	flat_load_b32 v2, v[9:10] offset:1536
	s_or_b32 exec_lo, exec_lo, s2
	s_delay_alu instid0(SALU_CYCLE_1)
	s_mov_b32 s2, exec_lo
	v_cmpx_gt_u32_e64 s19, v22
	s_cbranch_execnz .LBB1291_6
.LBB1291_13:
	s_or_b32 exec_lo, exec_lo, s2
	s_delay_alu instid0(SALU_CYCLE_1)
	s_mov_b32 s2, exec_lo
	v_cmpx_gt_u32_e64 s19, v25
	s_cbranch_execz .LBB1291_7
.LBB1291_14:
	v_lshlrev_b32_e32 v4, 2, v25
	s_delay_alu instid0(VALU_DEP_1) | instskip(NEXT) | instid1(VALU_DEP_1)
	v_add_co_u32 v9, s22, s21, v4
	v_add_co_ci_u32_e64 v10, null, s3, 0, s22
	flat_load_b32 v4, v[9:10]
	s_or_b32 exec_lo, exec_lo, s2
	s_delay_alu instid0(SALU_CYCLE_1)
	s_mov_b32 s2, exec_lo
	v_cmpx_gt_u32_e64 s19, v24
	s_cbranch_execnz .LBB1291_8
.LBB1291_15:
	s_or_b32 exec_lo, exec_lo, s2
	s_delay_alu instid0(SALU_CYCLE_1)
	s_mov_b32 s2, exec_lo
	v_cmpx_gt_u32_e64 s19, v20
	s_cbranch_execz .LBB1291_9
.LBB1291_16:
	v_lshlrev_b32_e32 v6, 2, v20
	s_delay_alu instid0(VALU_DEP_1) | instskip(NEXT) | instid1(VALU_DEP_1)
	v_add_co_u32 v9, s22, s21, v6
	v_add_co_ci_u32_e64 v10, null, s3, 0, s22
	flat_load_b32 v6, v[9:10]
	s_or_b32 exec_lo, exec_lo, s2
	s_delay_alu instid0(SALU_CYCLE_1)
	s_mov_b32 s2, exec_lo
	v_cmpx_gt_u32_e64 s19, v17
	s_cbranch_execnz .LBB1291_10
.LBB1291_17:
	s_or_b32 exec_lo, exec_lo, s2
	s_delay_alu instid0(SALU_CYCLE_1)
	s_mov_b32 s2, exec_lo
	v_cmpx_gt_u32_e64 s19, v21
	s_cbranch_execz .LBB1291_19
.LBB1291_18:
	v_lshlrev_b32_e32 v8, 2, v21
	s_delay_alu instid0(VALU_DEP_1) | instskip(NEXT) | instid1(VALU_DEP_1)
	v_add_co_u32 v8, s22, s21, v8
	v_add_co_ci_u32_e64 v9, null, s3, 0, s22
	flat_load_b32 v8, v[8:9]
.LBB1291_19:
	s_or_b32 exec_lo, exec_lo, s2
	v_lshrrev_b32_e32 v9, 3, v23
	v_lshrrev_b32_e32 v10, 3, v22
	;; [unrolled: 1-line block ×4, first 2 shown]
	v_and_b32_e32 v11, 60, v18
	v_lshlrev_b32_e32 v12, 2, v0
	v_lshrrev_b32_e32 v15, 3, v20
	v_lshrrev_b32_e32 v16, 3, v17
	;; [unrolled: 1-line block ×3, first 2 shown]
	v_and_b32_e32 v9, 0x7c, v9
	v_and_b32_e32 v10, 0xfc, v10
	;; [unrolled: 1-line block ×4, first 2 shown]
	v_add_nc_u32_e32 v11, v11, v12
	v_and_b32_e32 v15, 0x1fc, v15
	v_and_b32_e32 v16, 0x1fc, v16
	v_and_b32_e32 v19, 0x1fc, v19
	v_add_nc_u32_e32 v9, v9, v12
	v_add_nc_u32_e32 v10, v10, v12
	;; [unrolled: 1-line block ×7, first 2 shown]
	s_waitcnt vmcnt(0) lgkmcnt(0)
	ds_store_b32 v11, v1
	ds_store_b32 v9, v2 offset:1536
	ds_store_b32 v10, v3 offset:3072
	;; [unrolled: 1-line block ×7, first 2 shown]
	s_waitcnt lgkmcnt(0)
	s_barrier
.LBB1291_20:
	v_lshlrev_b32_e32 v19, 3, v0
	v_lshrrev_b32_e32 v1, 2, v0
	s_waitcnt lgkmcnt(0)
	buffer_gl0_inv
	s_add_u32 s2, s8, s12
	s_addc_u32 s8, s9, s13
	s_add_u32 s2, s2, s4
	v_add_lshl_u32 v1, v1, v19, 2
	s_addc_u32 s4, s8, s5
	s_and_b32 vcc_lo, exec_lo, s18
	s_mov_b32 s5, -1
	ds_load_2addr_b32 v[15:16], v1 offset1:1
	ds_load_2addr_b32 v[13:14], v1 offset0:2 offset1:3
	ds_load_2addr_b32 v[11:12], v1 offset0:4 offset1:5
	;; [unrolled: 1-line block ×3, first 2 shown]
	s_waitcnt lgkmcnt(0)
	s_barrier
	buffer_gl0_inv
	s_cbranch_vccz .LBB1291_22
; %bb.21:
	v_lshlrev_b32_e32 v8, 2, v0
	v_lshrrev_b32_e32 v29, 3, v23
	v_lshrrev_b32_e32 v30, 3, v22
	;; [unrolled: 1-line block ×4, first 2 shown]
	v_add_co_u32 v2, s5, s2, v8
	s_delay_alu instid0(VALU_DEP_1) | instskip(SKIP_1) | instid1(VALU_DEP_3)
	v_add_co_ci_u32_e64 v3, null, s4, 0, s5
	v_lshrrev_b32_e32 v33, 3, v20
	v_add_co_u32 v4, vcc_lo, 0x1000, v2
	s_delay_alu instid0(VALU_DEP_3)
	v_add_co_ci_u32_e32 v5, vcc_lo, 0, v3, vcc_lo
	v_add_co_u32 v6, vcc_lo, 0x2000, v2
	v_add_co_ci_u32_e32 v7, vcc_lo, 0, v3, vcc_lo
	s_clause 0x7
	flat_load_b32 v26, v[2:3]
	flat_load_b32 v27, v[2:3] offset:1536
	flat_load_b32 v2, v[2:3] offset:3072
	;; [unrolled: 1-line block ×7, first 2 shown]
	v_and_b32_e32 v7, 60, v18
	v_lshrrev_b32_e32 v34, 3, v17
	v_lshrrev_b32_e32 v35, 3, v21
	v_and_b32_e32 v29, 0x7c, v29
	v_and_b32_e32 v30, 0xfc, v30
	;; [unrolled: 1-line block ×4, first 2 shown]
	v_add_nc_u32_e32 v7, v7, v8
	v_and_b32_e32 v33, 0x1fc, v33
	v_and_b32_e32 v34, 0x17c, v34
	;; [unrolled: 1-line block ×3, first 2 shown]
	v_add_nc_u32_e32 v29, v29, v8
	v_add_nc_u32_e32 v30, v30, v8
	;; [unrolled: 1-line block ×4, first 2 shown]
	s_mov_b32 s5, 0
	v_add_nc_u32_e32 v33, v33, v8
	v_add_nc_u32_e32 v34, v34, v8
	;; [unrolled: 1-line block ×3, first 2 shown]
	s_waitcnt vmcnt(7) lgkmcnt(7)
	ds_store_b32 v7, v26
	s_waitcnt vmcnt(6) lgkmcnt(7)
	ds_store_b32 v29, v27 offset:1536
	s_waitcnt vmcnt(5) lgkmcnt(7)
	ds_store_b32 v30, v2 offset:3072
	;; [unrolled: 2-line block ×7, first 2 shown]
	s_waitcnt lgkmcnt(0)
	s_barrier
.LBB1291_22:
	s_and_not1_b32 vcc_lo, exec_lo, s5
	s_cbranch_vccnz .LBB1291_40
; %bb.23:
	s_mov_b32 s5, exec_lo
                                        ; implicit-def: $vgpr2
	v_cmpx_gt_u32_e64 s19, v0
	s_cbranch_execz .LBB1291_25
; %bb.24:
	v_lshlrev_b32_e32 v2, 2, v0
	s_delay_alu instid0(VALU_DEP_1) | instskip(NEXT) | instid1(VALU_DEP_1)
	v_add_co_u32 v2, s8, s2, v2
	v_add_co_ci_u32_e64 v3, null, s4, 0, s8
	flat_load_b32 v2, v[2:3]
.LBB1291_25:
	s_or_b32 exec_lo, exec_lo, s5
	s_delay_alu instid0(SALU_CYCLE_1)
	s_mov_b32 s5, exec_lo
                                        ; implicit-def: $vgpr3
	v_cmpx_gt_u32_e64 s19, v23
	s_cbranch_execz .LBB1291_27
; %bb.26:
	v_lshlrev_b32_e32 v3, 2, v0
	s_delay_alu instid0(VALU_DEP_1) | instskip(NEXT) | instid1(VALU_DEP_1)
	v_add_co_u32 v3, s8, s2, v3
	v_add_co_ci_u32_e64 v4, null, s4, 0, s8
	flat_load_b32 v3, v[3:4] offset:1536
.LBB1291_27:
	s_or_b32 exec_lo, exec_lo, s5
	s_delay_alu instid0(SALU_CYCLE_1)
	s_mov_b32 s5, exec_lo
                                        ; implicit-def: $vgpr4
	v_cmpx_gt_u32_e64 s19, v22
	s_cbranch_execz .LBB1291_29
; %bb.28:
	v_lshlrev_b32_e32 v4, 2, v0
	s_delay_alu instid0(VALU_DEP_1) | instskip(NEXT) | instid1(VALU_DEP_1)
	v_add_co_u32 v4, s8, s2, v4
	v_add_co_ci_u32_e64 v5, null, s4, 0, s8
	flat_load_b32 v4, v[4:5] offset:3072
.LBB1291_29:
	s_or_b32 exec_lo, exec_lo, s5
	s_delay_alu instid0(SALU_CYCLE_1)
	s_mov_b32 s5, exec_lo
                                        ; implicit-def: $vgpr5
	v_cmpx_gt_u32_e64 s19, v25
	s_cbranch_execz .LBB1291_31
; %bb.30:
	v_lshlrev_b32_e32 v5, 2, v25
	s_delay_alu instid0(VALU_DEP_1) | instskip(NEXT) | instid1(VALU_DEP_1)
	v_add_co_u32 v5, s8, s2, v5
	v_add_co_ci_u32_e64 v6, null, s4, 0, s8
	flat_load_b32 v5, v[5:6]
.LBB1291_31:
	s_or_b32 exec_lo, exec_lo, s5
	s_delay_alu instid0(SALU_CYCLE_1)
	s_mov_b32 s5, exec_lo
                                        ; implicit-def: $vgpr6
	v_cmpx_gt_u32_e64 s19, v24
	s_cbranch_execz .LBB1291_33
; %bb.32:
	v_lshlrev_b32_e32 v6, 2, v24
	s_delay_alu instid0(VALU_DEP_1) | instskip(NEXT) | instid1(VALU_DEP_1)
	v_add_co_u32 v6, s8, s2, v6
	v_add_co_ci_u32_e64 v7, null, s4, 0, s8
	flat_load_b32 v6, v[6:7]
.LBB1291_33:
	s_or_b32 exec_lo, exec_lo, s5
	s_delay_alu instid0(SALU_CYCLE_1)
	s_mov_b32 s5, exec_lo
                                        ; implicit-def: $vgpr7
	v_cmpx_gt_u32_e64 s19, v20
	s_cbranch_execz .LBB1291_35
; %bb.34:
	v_lshlrev_b32_e32 v7, 2, v20
	s_delay_alu instid0(VALU_DEP_1) | instskip(NEXT) | instid1(VALU_DEP_1)
	v_add_co_u32 v7, s8, s2, v7
	v_add_co_ci_u32_e64 v8, null, s4, 0, s8
	flat_load_b32 v7, v[7:8]
.LBB1291_35:
	s_or_b32 exec_lo, exec_lo, s5
	s_delay_alu instid0(SALU_CYCLE_1)
	s_mov_b32 s5, exec_lo
                                        ; implicit-def: $vgpr8
	v_cmpx_gt_u32_e64 s19, v17
	s_cbranch_execz .LBB1291_37
; %bb.36:
	v_lshlrev_b32_e32 v8, 2, v17
	s_delay_alu instid0(VALU_DEP_1) | instskip(NEXT) | instid1(VALU_DEP_1)
	v_add_co_u32 v26, s8, s2, v8
	v_add_co_ci_u32_e64 v27, null, s4, 0, s8
	flat_load_b32 v8, v[26:27]
.LBB1291_37:
	s_or_b32 exec_lo, exec_lo, s5
	s_delay_alu instid0(SALU_CYCLE_1)
	s_mov_b32 s5, exec_lo
                                        ; implicit-def: $vgpr26
	v_cmpx_gt_u32_e64 s19, v21
	s_cbranch_execz .LBB1291_39
; %bb.38:
	v_lshlrev_b32_e32 v26, 2, v21
	s_delay_alu instid0(VALU_DEP_1) | instskip(NEXT) | instid1(VALU_DEP_1)
	v_add_co_u32 v26, s2, s2, v26
	v_add_co_ci_u32_e64 v27, null, s4, 0, s2
	flat_load_b32 v26, v[26:27]
.LBB1291_39:
	s_or_b32 exec_lo, exec_lo, s5
	v_lshrrev_b32_e32 v23, 3, v23
	v_lshrrev_b32_e32 v22, 3, v22
	;; [unrolled: 1-line block ×4, first 2 shown]
	v_and_b32_e32 v18, 60, v18
	v_lshlrev_b32_e32 v27, 2, v0
	v_lshrrev_b32_e32 v20, 3, v20
	v_lshrrev_b32_e32 v17, 3, v17
	;; [unrolled: 1-line block ×3, first 2 shown]
	v_and_b32_e32 v23, 0x7c, v23
	v_and_b32_e32 v22, 0xfc, v22
	;; [unrolled: 1-line block ×4, first 2 shown]
	v_add_nc_u32_e32 v18, v18, v27
	v_and_b32_e32 v20, 0x1fc, v20
	v_and_b32_e32 v17, 0x1fc, v17
	;; [unrolled: 1-line block ×3, first 2 shown]
	v_add_nc_u32_e32 v23, v23, v27
	v_add_nc_u32_e32 v22, v22, v27
	;; [unrolled: 1-line block ×7, first 2 shown]
	s_waitcnt vmcnt(0) lgkmcnt(0)
	ds_store_b32 v18, v2
	ds_store_b32 v23, v3 offset:1536
	ds_store_b32 v22, v4 offset:3072
	ds_store_b32 v25, v5 offset:4608
	ds_store_b32 v24, v6 offset:6144
	ds_store_b32 v20, v7 offset:7680
	ds_store_b32 v17, v8 offset:9216
	ds_store_b32 v21, v26 offset:10752
	s_waitcnt lgkmcnt(0)
	s_barrier
.LBB1291_40:
	buffer_gl0_inv
	ds_load_2addr_b32 v[7:8], v1 offset1:1
	ds_load_2addr_b32 v[5:6], v1 offset0:2 offset1:3
	ds_load_2addr_b32 v[3:4], v1 offset0:4 offset1:5
	;; [unrolled: 1-line block ×3, first 2 shown]
	s_cmp_lg_u32 s15, 0
	s_mov_b32 s12, 0
	s_cselect_b32 s9, -1, 0
	s_cmp_lg_u64 s[6:7], 0
	s_waitcnt lgkmcnt(0)
	s_cselect_b32 s2, -1, 0
	s_barrier
	s_or_b32 s2, s9, s2
	buffer_gl0_inv
	s_and_b32 vcc_lo, exec_lo, s2
	s_cbranch_vccz .LBB1291_45
; %bb.41:
	v_add_co_u32 v17, s2, -4, s21
	s_delay_alu instid0(VALU_DEP_1)
	v_add_co_ci_u32_e64 v18, null, -1, s3, s2
	v_lshlrev_b32_e32 v21, 2, v0
	s_mov_b32 s3, -1
	s_and_b32 vcc_lo, exec_lo, s18
	flat_load_b32 v20, v[17:18]
	ds_store_b32 v21, v10
	s_cbranch_vccz .LBB1291_46
; %bb.42:
	s_waitcnt vmcnt(0) lgkmcnt(1)
	v_mov_b32_e32 v17, v20
	s_mov_b32 s3, 0
	s_mov_b32 s2, exec_lo
	s_waitcnt lgkmcnt(0)
	s_barrier
	buffer_gl0_inv
	v_cmpx_ne_u32_e32 0, v0
	s_cbranch_execz .LBB1291_44
; %bb.43:
	v_add_nc_u32_e32 v17, -4, v21
	ds_load_b32 v17, v17
.LBB1291_44:
	s_or_b32 exec_lo, exec_lo, s2
	v_cmp_ne_u32_e32 vcc_lo, v9, v10
	s_waitcnt lgkmcnt(0)
	v_cmp_ne_u32_e64 s2, v17, v15
	v_cndmask_b32_e64 v18, 0, 1, vcc_lo
	v_cmp_ne_u32_e32 vcc_lo, v12, v9
	s_delay_alu instid0(VALU_DEP_2) | instskip(SKIP_2) | instid1(VALU_DEP_2)
	v_lshlrev_b16 v18, 8, v18
	v_cndmask_b32_e64 v22, 0, 1, vcc_lo
	v_cmp_ne_u32_e32 vcc_lo, v11, v12
	v_or_b32_e32 v18, v22, v18
	v_cndmask_b32_e64 v23, 0, 1, vcc_lo
	v_cmp_ne_u32_e32 vcc_lo, v13, v14
	s_delay_alu instid0(VALU_DEP_3) | instskip(NEXT) | instid1(VALU_DEP_3)
	v_lshlrev_b32_e32 v18, 16, v18
	v_lshlrev_b16 v23, 8, v23
	v_cndmask_b32_e64 v24, 0, 1, vcc_lo
	v_cmp_ne_u32_e32 vcc_lo, v14, v11
	s_delay_alu instid0(VALU_DEP_2) | instskip(SKIP_2) | instid1(VALU_DEP_2)
	v_lshlrev_b16 v24, 8, v24
	v_cndmask_b32_e64 v25, 0, 1, vcc_lo
	v_cmp_ne_u32_e32 vcc_lo, v16, v13
	v_or_b32_e32 v23, v25, v23
	v_cndmask_b32_e64 v26, 0, 1, vcc_lo
	v_cmp_ne_u32_e32 vcc_lo, v15, v16
	s_delay_alu instid0(VALU_DEP_3) | instskip(NEXT) | instid1(VALU_DEP_3)
	v_and_b32_e32 v23, 0xffff, v23
	v_or_b32_e32 v24, v26, v24
	v_cndmask_b32_e64 v27, 0, 1, vcc_lo
	s_delay_alu instid0(VALU_DEP_3) | instskip(NEXT) | instid1(VALU_DEP_3)
	v_or_b32_e32 v18, v23, v18
	v_lshlrev_b32_e32 v22, 16, v24
	s_delay_alu instid0(VALU_DEP_3) | instskip(NEXT) | instid1(VALU_DEP_1)
	v_lshlrev_b16 v26, 8, v27
	v_and_b32_e32 v24, 0xffff, v26
	s_delay_alu instid0(VALU_DEP_1)
	v_or_b32_e32 v17, v24, v22
	s_and_b32 vcc_lo, exec_lo, s3
	s_cbranch_vccnz .LBB1291_47
	s_branch .LBB1291_50
.LBB1291_45:
                                        ; implicit-def: $sgpr2
                                        ; implicit-def: $vgpr18
	s_branch .LBB1291_51
.LBB1291_46:
                                        ; implicit-def: $sgpr2
                                        ; implicit-def: $vgpr18
	s_and_b32 vcc_lo, exec_lo, s3
	s_cbranch_vccz .LBB1291_50
.LBB1291_47:
	s_mov_b32 s2, exec_lo
	s_waitcnt vmcnt(0) lgkmcnt(0)
	s_barrier
	buffer_gl0_inv
	v_cmpx_ne_u32_e32 0, v0
	s_cbranch_execz .LBB1291_49
; %bb.48:
	v_add_nc_u32_e32 v17, -4, v21
	ds_load_b32 v20, v17
.LBB1291_49:
	s_or_b32 exec_lo, exec_lo, s2
	v_or_b32_e32 v17, 7, v19
	v_or_b32_e32 v18, 6, v19
	;; [unrolled: 1-line block ×3, first 2 shown]
	v_cmp_ne_u32_e32 vcc_lo, v9, v10
	v_cmp_ne_u32_e64 s3, v12, v9
	v_cmp_gt_u32_e64 s2, s19, v17
	v_cmp_gt_u32_e64 s5, s19, v18
	v_cmp_ne_u32_e64 s4, v11, v12
	v_cmp_gt_u32_e64 s6, s19, v21
	v_or_b32_e32 v18, 3, v19
	s_and_b32 s2, s2, vcc_lo
	v_or_b32_e32 v22, 4, v19
	v_cndmask_b32_e64 v17, 0, 1, s2
	s_and_b32 s2, s5, s3
	v_cmp_gt_u32_e32 vcc_lo, s19, v18
	v_cndmask_b32_e64 v21, 0, 1, s2
	s_and_b32 s2, s6, s4
	v_or_b32_e32 v18, 2, v19
	v_cndmask_b32_e64 v23, 0, 1, s2
	v_cmp_ne_u32_e64 s2, v13, v14
	v_cmp_gt_u32_e64 s3, s19, v22
	v_or_b32_e32 v22, 1, v19
	v_cmp_ne_u32_e64 s4, v14, v11
	v_cmp_ne_u32_e64 s6, v15, v16
	s_and_b32 s2, vcc_lo, s2
	v_cmp_gt_u32_e32 vcc_lo, s19, v18
	v_cndmask_b32_e64 v24, 0, 1, s2
	v_cmp_ne_u32_e64 s2, v16, v13
	v_cmp_gt_u32_e64 s5, s19, v22
	s_and_b32 s3, s3, s4
	v_lshlrev_b16 v23, 8, v23
	v_cndmask_b32_e64 v18, 0, 1, s3
	s_and_b32 s2, vcc_lo, s2
	v_lshlrev_b16 v24, 8, v24
	v_cndmask_b32_e64 v22, 0, 1, s2
	s_and_b32 s2, s5, s6
	v_lshlrev_b16 v17, 8, v17
	v_cndmask_b32_e64 v25, 0, 1, s2
	v_or_b32_e32 v18, v18, v23
	v_or_b32_e32 v22, v22, v24
	v_cmp_gt_u32_e32 vcc_lo, s19, v19
	v_or_b32_e32 v17, v21, v17
	v_lshlrev_b16 v24, 8, v25
	v_and_b32_e32 v18, 0xffff, v18
	v_lshlrev_b32_e32 v21, 16, v22
	s_waitcnt lgkmcnt(0)
	v_cmp_ne_u32_e64 s2, v20, v15
	v_lshlrev_b32_e32 v23, 16, v17
	v_and_b32_e32 v22, 0xffff, v24
	s_delay_alu instid0(VALU_DEP_3) | instskip(NEXT) | instid1(VALU_DEP_2)
	s_and_b32 s2, vcc_lo, s2
	v_or_b32_e32 v18, v18, v23
	s_delay_alu instid0(VALU_DEP_2)
	v_or_b32_e32 v17, v22, v21
.LBB1291_50:
	s_mov_b32 s12, -1
	s_cbranch_execnz .LBB1291_59
.LBB1291_51:
	s_waitcnt vmcnt(0) lgkmcnt(1)
	v_lshlrev_b32_e32 v20, 2, v0
	v_cmp_ne_u32_e64 s3, v9, v10
	v_cmp_ne_u32_e64 s4, v12, v9
	;; [unrolled: 1-line block ×7, first 2 shown]
	s_and_b32 vcc_lo, exec_lo, s18
	ds_store_b32 v20, v10
	s_cbranch_vccz .LBB1291_55
; %bb.52:
	v_cndmask_b32_e64 v17, 0, 1, s3
	v_cndmask_b32_e64 v21, 0, 1, s5
	;; [unrolled: 1-line block ×7, first 2 shown]
	v_lshlrev_b16 v21, 8, v21
	v_lshlrev_b16 v17, 8, v17
	;; [unrolled: 1-line block ×4, first 2 shown]
	s_mov_b32 s3, 0
	v_or_b32_e32 v21, v22, v21
	v_or_b32_e32 v17, v18, v17
	;; [unrolled: 1-line block ×4, first 2 shown]
	s_mov_b32 s4, exec_lo
	v_and_b32_e32 v21, 0xffff, v21
	v_lshlrev_b32_e32 v17, 16, v17
	v_lshlrev_b32_e32 v23, 16, v18
	v_and_b32_e32 v22, 0xffff, v22
	s_waitcnt lgkmcnt(0)
	s_barrier
	v_or_b32_e32 v18, v21, v17
	buffer_gl0_inv
	v_or_b32_e32 v17, v22, v23
                                        ; implicit-def: $sgpr2
	v_cmpx_ne_u32_e32 0, v0
	s_xor_b32 s4, exec_lo, s4
	s_cbranch_execz .LBB1291_54
; %bb.53:
	v_add_nc_u32_e32 v21, -4, v20
	s_or_b32 s12, s12, exec_lo
	ds_load_b32 v21, v21
	s_waitcnt lgkmcnt(0)
	v_cmp_ne_u32_e32 vcc_lo, v21, v15
	s_and_b32 s2, vcc_lo, exec_lo
.LBB1291_54:
	s_or_b32 exec_lo, exec_lo, s4
	s_delay_alu instid0(SALU_CYCLE_1)
	s_and_b32 vcc_lo, exec_lo, s3
	s_cbranch_vccnz .LBB1291_56
	s_branch .LBB1291_59
.LBB1291_55:
                                        ; implicit-def: $sgpr2
                                        ; implicit-def: $vgpr18
	s_cbranch_execz .LBB1291_59
.LBB1291_56:
	v_or_b32_e32 v17, 7, v19
	v_or_b32_e32 v18, 6, v19
	v_cmp_ne_u32_e32 vcc_lo, v9, v10
	v_cmp_ne_u32_e64 s3, v12, v9
	v_or_b32_e32 v21, 5, v19
	v_cmp_gt_u32_e64 s2, s19, v17
	v_cmp_gt_u32_e64 s4, s19, v18
	v_or_b32_e32 v17, 4, v19
	v_or_b32_e32 v22, 3, v19
	v_cmp_gt_u32_e64 s5, s19, v21
	s_and_b32 s2, s2, vcc_lo
	v_cmp_ne_u32_e32 vcc_lo, v11, v12
	v_cndmask_b32_e64 v18, 0, 1, s2
	s_and_b32 s2, s4, s3
	v_cmp_ne_u32_e64 s3, v14, v11
	v_cndmask_b32_e64 v21, 0, 1, s2
	v_cmp_gt_u32_e64 s2, s19, v17
	v_or_b32_e32 v23, 1, v19
	s_and_b32 s4, s5, vcc_lo
	v_cmp_gt_u32_e32 vcc_lo, s19, v22
	v_cndmask_b32_e64 v17, 0, 1, s4
	s_and_b32 s2, s2, s3
	v_or_b32_e32 v25, 2, v19
	v_cndmask_b32_e64 v24, 0, 1, s2
	v_cmp_ne_u32_e64 s2, v13, v14
	v_cmp_gt_u32_e64 s3, s19, v23
	v_cmp_ne_u32_e64 s4, v15, v16
	v_cmp_gt_u32_e64 s5, s19, v25
	v_cmp_ne_u32_e64 s6, v16, v13
	s_and_b32 s2, vcc_lo, s2
	v_lshlrev_b16 v17, 8, v17
	v_cndmask_b32_e64 v22, 0, 1, s2
	s_and_b32 s2, s3, s4
	v_lshlrev_b16 v18, 8, v18
	v_cndmask_b32_e64 v23, 0, 1, s2
	s_and_b32 s2, s5, s6
	v_lshlrev_b16 v22, 8, v22
	v_cndmask_b32_e64 v25, 0, 1, s2
	v_or_b32_e32 v17, v24, v17
	v_lshlrev_b16 v23, 8, v23
	v_or_b32_e32 v18, v21, v18
	s_mov_b32 s3, exec_lo
	v_or_b32_e32 v21, v25, v22
	v_and_b32_e32 v17, 0xffff, v17
	v_or_b32_e32 v22, 1, v23
	v_lshlrev_b32_e32 v18, 16, v18
	s_waitcnt lgkmcnt(0)
	v_lshlrev_b32_e32 v21, 16, v21
	s_barrier
	v_and_b32_e32 v22, 0xffff, v22
	v_or_b32_e32 v18, v17, v18
	buffer_gl0_inv
                                        ; implicit-def: $sgpr2
	v_or_b32_e32 v17, v22, v21
	v_cmpx_ne_u32_e32 0, v0
	s_cbranch_execz .LBB1291_58
; %bb.57:
	v_add_nc_u32_e32 v20, -4, v20
	v_cmp_gt_u32_e32 vcc_lo, s19, v19
	s_or_b32 s12, s12, exec_lo
	ds_load_b32 v20, v20
	s_waitcnt lgkmcnt(0)
	v_cmp_ne_u32_e64 s2, v20, v15
	s_delay_alu instid0(VALU_DEP_1) | instskip(NEXT) | instid1(SALU_CYCLE_1)
	s_and_b32 s2, vcc_lo, s2
	s_and_b32 s2, s2, exec_lo
.LBB1291_58:
	s_or_b32 exec_lo, exec_lo, s3
.LBB1291_59:
	s_and_saveexec_b32 s3, s12
	s_cbranch_execz .LBB1291_61
; %bb.60:
	s_waitcnt vmcnt(0) lgkmcnt(1)
	v_and_b32_e32 v20, 0xffffff00, v17
	v_cndmask_b32_e64 v21, 0, 1, s2
	s_delay_alu instid0(VALU_DEP_1) | instskip(NEXT) | instid1(VALU_DEP_1)
	v_or_b32_e32 v20, v21, v20
	v_and_b32_e32 v20, 0xffff, v20
	s_delay_alu instid0(VALU_DEP_1)
	v_and_or_b32 v17, 0xffff0000, v17, v20
.LBB1291_61:
	s_or_b32 exec_lo, exec_lo, s3
	s_load_b64 s[12:13], s[0:1], 0x60
	s_and_not1_b32 vcc_lo, exec_lo, s20
	s_cbranch_vccnz .LBB1291_63
; %bb.62:
	v_cmp_gt_u32_e32 vcc_lo, s19, v19
	v_or_b32_e32 v21, 1, v19
	v_and_b32_e32 v22, 0xffffff00, v18
	v_or_b32_e32 v23, 2, v19
	s_waitcnt vmcnt(0) lgkmcnt(0)
	v_cndmask_b32_e32 v20, 0, v17, vcc_lo
	v_cmp_gt_u32_e32 vcc_lo, s19, v21
	v_or_b32_e32 v21, 4, v19
	v_cmp_gt_u32_e64 s2, s19, v23
	v_or_b32_e32 v23, 3, v19
	v_and_b32_e32 v20, 0xff, v20
	s_delay_alu instid0(VALU_DEP_2) | instskip(NEXT) | instid1(VALU_DEP_2)
	v_cmp_gt_u32_e64 s3, s19, v23
	v_cndmask_b32_e32 v20, v20, v17, vcc_lo
	v_cmp_gt_u32_e32 vcc_lo, s19, v21
	s_delay_alu instid0(VALU_DEP_2) | instskip(SKIP_1) | instid1(VALU_DEP_2)
	v_dual_cndmask_b32 v21, v22, v18 :: v_dual_and_b32 v20, 0xffff, v20
	v_or_b32_e32 v22, 5, v19
	v_cndmask_b32_e64 v20, v20, v17, s2
	s_delay_alu instid0(VALU_DEP_3) | instskip(NEXT) | instid1(VALU_DEP_3)
	v_and_b32_e32 v21, 0xffff00ff, v21
	v_cmp_gt_u32_e64 s2, s19, v22
	v_or_b32_e32 v22, 6, v19
	v_or_b32_e32 v19, 7, v19
	v_and_b32_e32 v20, 0xffffff, v20
	s_delay_alu instid0(VALU_DEP_4) | instskip(NEXT) | instid1(VALU_DEP_2)
	v_cndmask_b32_e64 v21, v21, v18, s2
	v_cndmask_b32_e64 v20, v20, v17, s3
	s_delay_alu instid0(VALU_DEP_2) | instskip(NEXT) | instid1(VALU_DEP_2)
	v_and_b32_e32 v21, 0xff00ffff, v21
	v_cndmask_b32_e32 v20, v20, v17, vcc_lo
	v_cmp_gt_u32_e32 vcc_lo, s19, v22
	s_delay_alu instid0(VALU_DEP_2) | instskip(NEXT) | instid1(VALU_DEP_1)
	v_cndmask_b32_e64 v20, v20, v17, s2
	v_dual_cndmask_b32 v21, v21, v18 :: v_dual_cndmask_b32 v20, v20, v17
	s_delay_alu instid0(VALU_DEP_1) | instskip(SKIP_1) | instid1(VALU_DEP_2)
	v_and_b32_e32 v21, 0xffffff, v21
	v_cmp_gt_u32_e32 vcc_lo, s19, v19
	v_dual_cndmask_b32 v18, v21, v18 :: v_dual_cndmask_b32 v17, v20, v17
.LBB1291_63:
	s_delay_alu instid0(VALU_DEP_1) | instskip(NEXT) | instid1(VALU_DEP_2)
	v_and_b32_e32 v28, 0xff, v17
	v_alignbit_b32 v19, v18, v17, 24
	v_bfe_u32 v30, v17, 8, 8
	v_bfe_u32 v32, v17, 16, 8
	v_and_b32_e32 v36, 0xff, v18
	v_bfe_u32 v38, v18, 8, 8
	v_and_b32_e32 v34, 0xff, v19
	v_add_nc_u32_e32 v19, v30, v28
	s_waitcnt vmcnt(0) lgkmcnt(0)
	v_and_b32_e32 v20, 0x1e0, v0
	v_mbcnt_lo_u32_b32 v41, -1, 0
	v_bfe_u32 v40, v18, 16, 8
	v_lshrrev_b32_e32 v39, 24, v18
	v_add3_u32 v19, v19, v32, v34
	v_min_u32_e32 v20, 0x160, v20
	v_and_b32_e32 v21, 15, v41
	v_lshrrev_b32_e32 v42, 5, v0
	s_and_b32 vcc_lo, exec_lo, s9
	v_add3_u32 v19, v19, v36, v38
	v_or_b32_e32 v20, 31, v20
	v_cmp_eq_u32_e64 s4, 0, v21
	v_cmp_lt_u32_e64 s5, 1, v21
	v_cmp_lt_u32_e64 s3, 3, v21
	v_add3_u32 v43, v19, v40, v39
	v_and_b32_e32 v19, 16, v41
	v_cmp_lt_u32_e64 s2, 7, v21
	v_cmp_eq_u32_e64 s6, v20, v0
	s_mov_b32 s8, -1
	s_delay_alu instid0(VALU_DEP_3)
	v_cmp_eq_u32_e64 s7, 0, v19
	s_barrier
	buffer_gl0_inv
	s_cbranch_vccz .LBB1291_94
; %bb.64:
	v_mov_b32_dpp v19, v43 row_shr:1 row_mask:0xf bank_mask:0xf
	s_delay_alu instid0(VALU_DEP_1) | instskip(NEXT) | instid1(VALU_DEP_1)
	v_cndmask_b32_e64 v19, v19, 0, s4
	v_add_nc_u32_e32 v19, v19, v43
	s_delay_alu instid0(VALU_DEP_1) | instskip(NEXT) | instid1(VALU_DEP_1)
	v_mov_b32_dpp v20, v19 row_shr:2 row_mask:0xf bank_mask:0xf
	v_cndmask_b32_e64 v20, 0, v20, s5
	s_delay_alu instid0(VALU_DEP_1) | instskip(NEXT) | instid1(VALU_DEP_1)
	v_add_nc_u32_e32 v19, v19, v20
	v_mov_b32_dpp v20, v19 row_shr:4 row_mask:0xf bank_mask:0xf
	s_delay_alu instid0(VALU_DEP_1) | instskip(NEXT) | instid1(VALU_DEP_1)
	v_cndmask_b32_e64 v20, 0, v20, s3
	v_add_nc_u32_e32 v19, v19, v20
	s_delay_alu instid0(VALU_DEP_1) | instskip(NEXT) | instid1(VALU_DEP_1)
	v_mov_b32_dpp v20, v19 row_shr:8 row_mask:0xf bank_mask:0xf
	v_cndmask_b32_e64 v20, 0, v20, s2
	s_delay_alu instid0(VALU_DEP_1) | instskip(SKIP_3) | instid1(VALU_DEP_1)
	v_add_nc_u32_e32 v19, v19, v20
	ds_swizzle_b32 v20, v19 offset:swizzle(BROADCAST,32,15)
	s_waitcnt lgkmcnt(0)
	v_cndmask_b32_e64 v20, v20, 0, s7
	v_add_nc_u32_e32 v19, v19, v20
	s_and_saveexec_b32 s8, s6
	s_cbranch_execz .LBB1291_66
; %bb.65:
	v_lshlrev_b32_e32 v20, 2, v42
	ds_store_b32 v20, v19
.LBB1291_66:
	s_or_b32 exec_lo, exec_lo, s8
	s_delay_alu instid0(SALU_CYCLE_1)
	s_mov_b32 s8, exec_lo
	s_waitcnt lgkmcnt(0)
	s_barrier
	buffer_gl0_inv
	v_cmpx_gt_u32_e32 12, v0
	s_cbranch_execz .LBB1291_68
; %bb.67:
	v_lshlrev_b32_e32 v20, 2, v0
	ds_load_b32 v21, v20
	s_waitcnt lgkmcnt(0)
	v_mov_b32_dpp v22, v21 row_shr:1 row_mask:0xf bank_mask:0xf
	s_delay_alu instid0(VALU_DEP_1) | instskip(NEXT) | instid1(VALU_DEP_1)
	v_cndmask_b32_e64 v22, v22, 0, s4
	v_add_nc_u32_e32 v21, v22, v21
	s_delay_alu instid0(VALU_DEP_1) | instskip(NEXT) | instid1(VALU_DEP_1)
	v_mov_b32_dpp v22, v21 row_shr:2 row_mask:0xf bank_mask:0xf
	v_cndmask_b32_e64 v22, 0, v22, s5
	s_delay_alu instid0(VALU_DEP_1) | instskip(NEXT) | instid1(VALU_DEP_1)
	v_add_nc_u32_e32 v21, v21, v22
	v_mov_b32_dpp v22, v21 row_shr:4 row_mask:0xf bank_mask:0xf
	s_delay_alu instid0(VALU_DEP_1) | instskip(NEXT) | instid1(VALU_DEP_1)
	v_cndmask_b32_e64 v22, 0, v22, s3
	v_add_nc_u32_e32 v21, v21, v22
	s_delay_alu instid0(VALU_DEP_1) | instskip(NEXT) | instid1(VALU_DEP_1)
	v_mov_b32_dpp v22, v21 row_shr:8 row_mask:0xf bank_mask:0xf
	v_cndmask_b32_e64 v22, 0, v22, s2
	s_delay_alu instid0(VALU_DEP_1)
	v_add_nc_u32_e32 v21, v21, v22
	ds_store_b32 v20, v21
.LBB1291_68:
	s_or_b32 exec_lo, exec_lo, s8
	v_cmp_gt_u32_e32 vcc_lo, 32, v0
	s_mov_b32 s9, exec_lo
	s_waitcnt lgkmcnt(0)
	s_barrier
	buffer_gl0_inv
                                        ; implicit-def: $vgpr27
	v_cmpx_lt_u32_e32 31, v0
	s_cbranch_execz .LBB1291_70
; %bb.69:
	v_lshl_add_u32 v20, v42, 2, -4
	ds_load_b32 v27, v20
	s_waitcnt lgkmcnt(0)
	v_add_nc_u32_e32 v19, v27, v19
.LBB1291_70:
	s_or_b32 exec_lo, exec_lo, s9
	v_add_nc_u32_e32 v20, -1, v41
	s_delay_alu instid0(VALU_DEP_1) | instskip(NEXT) | instid1(VALU_DEP_1)
	v_cmp_gt_i32_e64 s8, 0, v20
	v_cndmask_b32_e64 v20, v20, v41, s8
	v_cmp_eq_u32_e64 s8, 0, v41
	s_delay_alu instid0(VALU_DEP_2)
	v_lshlrev_b32_e32 v20, 2, v20
	ds_bpermute_b32 v29, v20, v19
	s_and_saveexec_b32 s9, vcc_lo
	s_cbranch_execz .LBB1291_93
; %bb.71:
	v_mov_b32_e32 v23, 0
	ds_load_b32 v19, v23 offset:44
	s_and_saveexec_b32 s19, s8
	s_cbranch_execz .LBB1291_73
; %bb.72:
	s_add_i32 s20, s15, 32
	s_mov_b32 s21, 0
	v_mov_b32_e32 v20, 1
	s_lshl_b64 s[20:21], s[20:21], 3
	s_delay_alu instid0(SALU_CYCLE_1)
	s_add_u32 s20, s12, s20
	s_addc_u32 s21, s13, s21
	s_waitcnt lgkmcnt(0)
	global_store_b64 v23, v[19:20], s[20:21]
.LBB1291_73:
	s_or_b32 exec_lo, exec_lo, s19
	v_xad_u32 v21, v41, -1, s15
	s_mov_b32 s20, 0
	s_mov_b32 s19, exec_lo
	s_delay_alu instid0(VALU_DEP_1) | instskip(NEXT) | instid1(VALU_DEP_1)
	v_add_nc_u32_e32 v22, 32, v21
	v_lshlrev_b64 v[22:23], 3, v[22:23]
	s_delay_alu instid0(VALU_DEP_1) | instskip(NEXT) | instid1(VALU_DEP_2)
	v_add_co_u32 v25, vcc_lo, s12, v22
	v_add_co_ci_u32_e32 v26, vcc_lo, s13, v23, vcc_lo
	global_load_b64 v[23:24], v[25:26], off glc
	s_waitcnt vmcnt(0)
	v_and_b32_e32 v20, 0xff, v24
	s_delay_alu instid0(VALU_DEP_1)
	v_cmpx_eq_u16_e32 0, v20
	s_cbranch_execz .LBB1291_79
; %bb.74:
	s_mov_b32 s21, 1
	.p2align	6
.LBB1291_75:                            ; =>This Loop Header: Depth=1
                                        ;     Child Loop BB1291_76 Depth 2
	s_delay_alu instid0(SALU_CYCLE_1)
	s_max_u32 s22, s21, 1
.LBB1291_76:                            ;   Parent Loop BB1291_75 Depth=1
                                        ; =>  This Inner Loop Header: Depth=2
	s_delay_alu instid0(SALU_CYCLE_1)
	s_add_i32 s22, s22, -1
	s_sleep 1
	s_cmp_eq_u32 s22, 0
	s_cbranch_scc0 .LBB1291_76
; %bb.77:                               ;   in Loop: Header=BB1291_75 Depth=1
	global_load_b64 v[23:24], v[25:26], off glc
	s_cmp_lt_u32 s21, 32
	s_cselect_b32 s22, -1, 0
	s_delay_alu instid0(SALU_CYCLE_1) | instskip(SKIP_3) | instid1(VALU_DEP_1)
	s_cmp_lg_u32 s22, 0
	s_addc_u32 s21, s21, 0
	s_waitcnt vmcnt(0)
	v_and_b32_e32 v20, 0xff, v24
	v_cmp_ne_u16_e32 vcc_lo, 0, v20
	s_or_b32 s20, vcc_lo, s20
	s_delay_alu instid0(SALU_CYCLE_1)
	s_and_not1_b32 exec_lo, exec_lo, s20
	s_cbranch_execnz .LBB1291_75
; %bb.78:
	s_or_b32 exec_lo, exec_lo, s20
.LBB1291_79:
	s_delay_alu instid0(SALU_CYCLE_1)
	s_or_b32 exec_lo, exec_lo, s19
	v_cmp_ne_u32_e32 vcc_lo, 31, v41
	v_lshlrev_b32_e64 v33, v41, -1
	v_add_nc_u32_e32 v37, 2, v41
	v_add_nc_u32_e32 v45, 4, v41
	;; [unrolled: 1-line block ×3, first 2 shown]
	v_add_co_ci_u32_e32 v20, vcc_lo, 0, v41, vcc_lo
	v_add_nc_u32_e32 v49, 16, v41
	s_delay_alu instid0(VALU_DEP_2)
	v_lshlrev_b32_e32 v31, 2, v20
	v_and_b32_e32 v20, 0xff, v24
	ds_bpermute_b32 v22, v31, v23
	v_cmp_eq_u16_e32 vcc_lo, 2, v20
	v_and_or_b32 v20, vcc_lo, v33, 0x80000000
	v_cmp_gt_u32_e32 vcc_lo, 30, v41
	s_delay_alu instid0(VALU_DEP_2) | instskip(SKIP_1) | instid1(VALU_DEP_2)
	v_ctz_i32_b32_e32 v20, v20
	v_cndmask_b32_e64 v25, 0, 1, vcc_lo
	v_cmp_lt_u32_e32 vcc_lo, v41, v20
	s_waitcnt lgkmcnt(0)
	s_delay_alu instid0(VALU_DEP_2) | instskip(NEXT) | instid1(VALU_DEP_1)
	v_dual_cndmask_b32 v22, 0, v22 :: v_dual_lshlrev_b32 v25, 1, v25
	v_add_lshl_u32 v35, v25, v41, 2
	v_cmp_gt_u32_e32 vcc_lo, 28, v41
	s_delay_alu instid0(VALU_DEP_3) | instskip(SKIP_4) | instid1(VALU_DEP_1)
	v_add_nc_u32_e32 v22, v22, v23
	v_cndmask_b32_e64 v25, 0, 1, vcc_lo
	v_cmp_le_u32_e32 vcc_lo, v37, v20
	ds_bpermute_b32 v23, v35, v22
	v_lshlrev_b32_e32 v25, 2, v25
	v_add_lshl_u32 v44, v25, v41, 2
	s_waitcnt lgkmcnt(0)
	v_cndmask_b32_e32 v23, 0, v23, vcc_lo
	v_cmp_gt_u32_e32 vcc_lo, 24, v41
	s_delay_alu instid0(VALU_DEP_2) | instskip(SKIP_4) | instid1(VALU_DEP_1)
	v_add_nc_u32_e32 v22, v22, v23
	v_cndmask_b32_e64 v25, 0, 1, vcc_lo
	v_cmp_le_u32_e32 vcc_lo, v45, v20
	ds_bpermute_b32 v23, v44, v22
	v_lshlrev_b32_e32 v25, 3, v25
	v_add_lshl_u32 v46, v25, v41, 2
	s_waitcnt lgkmcnt(0)
	v_cndmask_b32_e32 v23, 0, v23, vcc_lo
	v_cmp_gt_u32_e32 vcc_lo, 16, v41
	s_delay_alu instid0(VALU_DEP_2) | instskip(SKIP_4) | instid1(VALU_DEP_1)
	v_add_nc_u32_e32 v22, v22, v23
	v_cndmask_b32_e64 v25, 0, 1, vcc_lo
	v_cmp_le_u32_e32 vcc_lo, v47, v20
	ds_bpermute_b32 v23, v46, v22
	v_lshlrev_b32_e32 v25, 4, v25
	v_add_lshl_u32 v48, v25, v41, 2
	s_waitcnt lgkmcnt(0)
	v_cndmask_b32_e32 v23, 0, v23, vcc_lo
	v_cmp_le_u32_e32 vcc_lo, v49, v20
	s_delay_alu instid0(VALU_DEP_2) | instskip(SKIP_3) | instid1(VALU_DEP_1)
	v_add_nc_u32_e32 v22, v22, v23
	ds_bpermute_b32 v23, v48, v22
	s_waitcnt lgkmcnt(0)
	v_cndmask_b32_e32 v20, 0, v23, vcc_lo
	v_dual_mov_b32 v22, 0 :: v_dual_add_nc_u32 v23, v22, v20
	s_branch .LBB1291_81
.LBB1291_80:                            ;   in Loop: Header=BB1291_81 Depth=1
	s_or_b32 exec_lo, exec_lo, s19
	ds_bpermute_b32 v26, v31, v23
	v_and_b32_e32 v25, 0xff, v24
	v_subrev_nc_u32_e32 v21, 32, v21
	s_delay_alu instid0(VALU_DEP_2) | instskip(SKIP_1) | instid1(VALU_DEP_1)
	v_cmp_eq_u16_e32 vcc_lo, 2, v25
	v_and_or_b32 v25, vcc_lo, v33, 0x80000000
	v_ctz_i32_b32_e32 v25, v25
	s_delay_alu instid0(VALU_DEP_1) | instskip(SKIP_3) | instid1(VALU_DEP_2)
	v_cmp_lt_u32_e32 vcc_lo, v41, v25
	s_waitcnt lgkmcnt(0)
	v_cndmask_b32_e32 v26, 0, v26, vcc_lo
	v_cmp_le_u32_e32 vcc_lo, v37, v25
	v_add_nc_u32_e32 v23, v26, v23
	ds_bpermute_b32 v26, v35, v23
	s_waitcnt lgkmcnt(0)
	v_cndmask_b32_e32 v26, 0, v26, vcc_lo
	v_cmp_le_u32_e32 vcc_lo, v45, v25
	s_delay_alu instid0(VALU_DEP_2) | instskip(SKIP_4) | instid1(VALU_DEP_2)
	v_add_nc_u32_e32 v23, v23, v26
	ds_bpermute_b32 v26, v44, v23
	s_waitcnt lgkmcnt(0)
	v_cndmask_b32_e32 v26, 0, v26, vcc_lo
	v_cmp_le_u32_e32 vcc_lo, v47, v25
	v_add_nc_u32_e32 v23, v23, v26
	ds_bpermute_b32 v26, v46, v23
	s_waitcnt lgkmcnt(0)
	v_cndmask_b32_e32 v26, 0, v26, vcc_lo
	v_cmp_le_u32_e32 vcc_lo, v49, v25
	s_delay_alu instid0(VALU_DEP_2) | instskip(SKIP_3) | instid1(VALU_DEP_1)
	v_add_nc_u32_e32 v23, v23, v26
	ds_bpermute_b32 v26, v48, v23
	s_waitcnt lgkmcnt(0)
	v_cndmask_b32_e32 v25, 0, v26, vcc_lo
	v_add3_u32 v23, v25, v20, v23
.LBB1291_81:                            ; =>This Loop Header: Depth=1
                                        ;     Child Loop BB1291_84 Depth 2
                                        ;       Child Loop BB1291_85 Depth 3
	v_and_b32_e32 v20, 0xff, v24
	s_delay_alu instid0(VALU_DEP_1) | instskip(SKIP_2) | instid1(VALU_DEP_1)
	v_cmp_ne_u16_e32 vcc_lo, 2, v20
	v_cndmask_b32_e64 v20, 0, 1, vcc_lo
	;;#ASMSTART
	;;#ASMEND
	v_cmp_ne_u32_e32 vcc_lo, 0, v20
	v_mov_b32_e32 v20, v23
	s_cmp_lg_u32 vcc_lo, exec_lo
	s_cbranch_scc1 .LBB1291_88
; %bb.82:                               ;   in Loop: Header=BB1291_81 Depth=1
	v_lshlrev_b64 v[23:24], 3, v[21:22]
	s_mov_b32 s19, exec_lo
	s_delay_alu instid0(VALU_DEP_1) | instskip(NEXT) | instid1(VALU_DEP_2)
	v_add_co_u32 v25, vcc_lo, s12, v23
	v_add_co_ci_u32_e32 v26, vcc_lo, s13, v24, vcc_lo
	global_load_b64 v[23:24], v[25:26], off glc
	s_waitcnt vmcnt(0)
	v_and_b32_e32 v50, 0xff, v24
	s_delay_alu instid0(VALU_DEP_1)
	v_cmpx_eq_u16_e32 0, v50
	s_cbranch_execz .LBB1291_80
; %bb.83:                               ;   in Loop: Header=BB1291_81 Depth=1
	s_mov_b32 s21, 1
	s_mov_b32 s20, 0
	.p2align	6
.LBB1291_84:                            ;   Parent Loop BB1291_81 Depth=1
                                        ; =>  This Loop Header: Depth=2
                                        ;       Child Loop BB1291_85 Depth 3
	s_max_u32 s22, s21, 1
.LBB1291_85:                            ;   Parent Loop BB1291_81 Depth=1
                                        ;     Parent Loop BB1291_84 Depth=2
                                        ; =>    This Inner Loop Header: Depth=3
	s_delay_alu instid0(SALU_CYCLE_1)
	s_add_i32 s22, s22, -1
	s_sleep 1
	s_cmp_eq_u32 s22, 0
	s_cbranch_scc0 .LBB1291_85
; %bb.86:                               ;   in Loop: Header=BB1291_84 Depth=2
	global_load_b64 v[23:24], v[25:26], off glc
	s_cmp_lt_u32 s21, 32
	s_cselect_b32 s22, -1, 0
	s_delay_alu instid0(SALU_CYCLE_1) | instskip(SKIP_3) | instid1(VALU_DEP_1)
	s_cmp_lg_u32 s22, 0
	s_addc_u32 s21, s21, 0
	s_waitcnt vmcnt(0)
	v_and_b32_e32 v50, 0xff, v24
	v_cmp_ne_u16_e32 vcc_lo, 0, v50
	s_or_b32 s20, vcc_lo, s20
	s_delay_alu instid0(SALU_CYCLE_1)
	s_and_not1_b32 exec_lo, exec_lo, s20
	s_cbranch_execnz .LBB1291_84
; %bb.87:                               ;   in Loop: Header=BB1291_81 Depth=1
	s_or_b32 exec_lo, exec_lo, s20
	s_branch .LBB1291_80
.LBB1291_88:                            ;   in Loop: Header=BB1291_81 Depth=1
                                        ; implicit-def: $vgpr23
                                        ; implicit-def: $vgpr24
	s_cbranch_execz .LBB1291_81
; %bb.89:
	s_and_saveexec_b32 s19, s8
	s_cbranch_execz .LBB1291_91
; %bb.90:
	s_add_i32 s20, s15, 32
	s_mov_b32 s21, 0
	v_dual_mov_b32 v22, 2 :: v_dual_add_nc_u32 v21, v20, v19
	s_lshl_b64 s[20:21], s[20:21], 3
	v_mov_b32_e32 v23, 0
	s_add_u32 s20, s12, s20
	s_addc_u32 s21, s13, s21
	global_store_b64 v23, v[21:22], s[20:21]
	ds_store_b64 v23, v[19:20] offset:12672
.LBB1291_91:
	s_or_b32 exec_lo, exec_lo, s19
	v_cmp_eq_u32_e32 vcc_lo, 0, v0
	s_and_b32 exec_lo, exec_lo, vcc_lo
	s_cbranch_execz .LBB1291_93
; %bb.92:
	v_mov_b32_e32 v19, 0
	ds_store_b32 v19, v20 offset:44
.LBB1291_93:
	s_or_b32 exec_lo, exec_lo, s9
	v_mov_b32_e32 v19, 0
	s_waitcnt lgkmcnt(0)
	s_waitcnt_vscnt null, 0x0
	s_barrier
	buffer_gl0_inv
	v_cndmask_b32_e64 v21, v29, v27, s8
	ds_load_b32 v20, v19 offset:44
	v_cmp_ne_u32_e32 vcc_lo, 0, v0
	s_waitcnt lgkmcnt(0)
	s_barrier
	buffer_gl0_inv
	v_cndmask_b32_e32 v21, 0, v21, vcc_lo
	s_delay_alu instid0(VALU_DEP_1) | instskip(SKIP_2) | instid1(VALU_DEP_1)
	v_add_nc_u32_e32 v37, v20, v21
	ds_load_b64 v[19:20], v19 offset:12672
	v_add_nc_u32_e32 v35, v37, v28
	v_add_nc_u32_e32 v33, v35, v30
	s_delay_alu instid0(VALU_DEP_1) | instskip(NEXT) | instid1(VALU_DEP_1)
	v_add_nc_u32_e32 v31, v33, v32
	v_add_nc_u32_e32 v29, v31, v34
	s_delay_alu instid0(VALU_DEP_1) | instskip(NEXT) | instid1(VALU_DEP_1)
	v_add_nc_u32_e32 v27, v29, v36
	v_add_nc_u32_e32 v25, v27, v38
	s_delay_alu instid0(VALU_DEP_1)
	v_add_nc_u32_e32 v23, v25, v40
	v_lshrrev_b64 v[21:22], 24, v[17:18]
	s_branch .LBB1291_104
.LBB1291_94:
                                        ; implicit-def: $vgpr23
                                        ; implicit-def: $vgpr25
                                        ; implicit-def: $vgpr27
                                        ; implicit-def: $vgpr29
                                        ; implicit-def: $vgpr31
                                        ; implicit-def: $vgpr33
                                        ; implicit-def: $vgpr35
                                        ; implicit-def: $vgpr37
                                        ; implicit-def: $vgpr20
	v_lshrrev_b64 v[21:22], 24, v[17:18]
	s_and_b32 vcc_lo, exec_lo, s8
	s_cbranch_vccz .LBB1291_104
; %bb.95:
	s_waitcnt lgkmcnt(0)
	v_mov_b32_dpp v19, v43 row_shr:1 row_mask:0xf bank_mask:0xf
	s_delay_alu instid0(VALU_DEP_1) | instskip(NEXT) | instid1(VALU_DEP_1)
	v_cndmask_b32_e64 v19, v19, 0, s4
	v_add_nc_u32_e32 v19, v19, v43
	s_delay_alu instid0(VALU_DEP_1) | instskip(NEXT) | instid1(VALU_DEP_1)
	v_mov_b32_dpp v20, v19 row_shr:2 row_mask:0xf bank_mask:0xf
	v_cndmask_b32_e64 v20, 0, v20, s5
	s_delay_alu instid0(VALU_DEP_1) | instskip(NEXT) | instid1(VALU_DEP_1)
	v_add_nc_u32_e32 v19, v19, v20
	v_mov_b32_dpp v20, v19 row_shr:4 row_mask:0xf bank_mask:0xf
	s_delay_alu instid0(VALU_DEP_1) | instskip(NEXT) | instid1(VALU_DEP_1)
	v_cndmask_b32_e64 v20, 0, v20, s3
	v_add_nc_u32_e32 v19, v19, v20
	s_delay_alu instid0(VALU_DEP_1) | instskip(NEXT) | instid1(VALU_DEP_1)
	v_mov_b32_dpp v20, v19 row_shr:8 row_mask:0xf bank_mask:0xf
	v_cndmask_b32_e64 v20, 0, v20, s2
	s_delay_alu instid0(VALU_DEP_1) | instskip(SKIP_3) | instid1(VALU_DEP_1)
	v_add_nc_u32_e32 v19, v19, v20
	ds_swizzle_b32 v20, v19 offset:swizzle(BROADCAST,32,15)
	s_waitcnt lgkmcnt(0)
	v_cndmask_b32_e64 v20, v20, 0, s7
	v_add_nc_u32_e32 v19, v19, v20
	s_and_saveexec_b32 s7, s6
	s_cbranch_execz .LBB1291_97
; %bb.96:
	v_lshlrev_b32_e32 v20, 2, v42
	ds_store_b32 v20, v19
.LBB1291_97:
	s_or_b32 exec_lo, exec_lo, s7
	s_delay_alu instid0(SALU_CYCLE_1)
	s_mov_b32 s6, exec_lo
	s_waitcnt lgkmcnt(0)
	s_barrier
	buffer_gl0_inv
	v_cmpx_gt_u32_e32 12, v0
	s_cbranch_execz .LBB1291_99
; %bb.98:
	v_lshlrev_b32_e32 v20, 2, v0
	ds_load_b32 v22, v20
	s_waitcnt lgkmcnt(0)
	v_mov_b32_dpp v23, v22 row_shr:1 row_mask:0xf bank_mask:0xf
	s_delay_alu instid0(VALU_DEP_1) | instskip(NEXT) | instid1(VALU_DEP_1)
	v_cndmask_b32_e64 v23, v23, 0, s4
	v_add_nc_u32_e32 v22, v23, v22
	s_delay_alu instid0(VALU_DEP_1) | instskip(NEXT) | instid1(VALU_DEP_1)
	v_mov_b32_dpp v23, v22 row_shr:2 row_mask:0xf bank_mask:0xf
	v_cndmask_b32_e64 v23, 0, v23, s5
	s_delay_alu instid0(VALU_DEP_1) | instskip(NEXT) | instid1(VALU_DEP_1)
	v_add_nc_u32_e32 v22, v22, v23
	v_mov_b32_dpp v23, v22 row_shr:4 row_mask:0xf bank_mask:0xf
	s_delay_alu instid0(VALU_DEP_1) | instskip(NEXT) | instid1(VALU_DEP_1)
	v_cndmask_b32_e64 v23, 0, v23, s3
	v_add_nc_u32_e32 v22, v22, v23
	s_delay_alu instid0(VALU_DEP_1) | instskip(NEXT) | instid1(VALU_DEP_1)
	v_mov_b32_dpp v23, v22 row_shr:8 row_mask:0xf bank_mask:0xf
	v_cndmask_b32_e64 v23, 0, v23, s2
	s_delay_alu instid0(VALU_DEP_1)
	v_add_nc_u32_e32 v22, v22, v23
	ds_store_b32 v20, v22
.LBB1291_99:
	s_or_b32 exec_lo, exec_lo, s6
	v_mov_b32_e32 v20, 0
	v_mov_b32_e32 v22, 0
	s_mov_b32 s2, exec_lo
	s_waitcnt lgkmcnt(0)
	s_barrier
	buffer_gl0_inv
	v_cmpx_lt_u32_e32 31, v0
	s_cbranch_execz .LBB1291_101
; %bb.100:
	v_lshl_add_u32 v22, v42, 2, -4
	ds_load_b32 v22, v22
.LBB1291_101:
	s_or_b32 exec_lo, exec_lo, s2
	v_add_nc_u32_e32 v23, -1, v41
	s_waitcnt lgkmcnt(0)
	v_add_nc_u32_e32 v19, v22, v19
	s_delay_alu instid0(VALU_DEP_2) | instskip(SKIP_2) | instid1(VALU_DEP_2)
	v_cmp_gt_i32_e32 vcc_lo, 0, v23
	v_cndmask_b32_e32 v23, v23, v41, vcc_lo
	v_cmp_eq_u32_e32 vcc_lo, 0, v0
	v_lshlrev_b32_e32 v23, 2, v23
	ds_bpermute_b32 v23, v23, v19
	ds_load_b32 v19, v20 offset:44
	s_and_saveexec_b32 s2, vcc_lo
	s_cbranch_execz .LBB1291_103
; %bb.102:
	v_mov_b32_e32 v24, 0
	v_mov_b32_e32 v20, 2
	s_waitcnt lgkmcnt(0)
	global_store_b64 v24, v[19:20], s[12:13] offset:256
.LBB1291_103:
	s_or_b32 exec_lo, exec_lo, s2
	v_cmp_eq_u32_e64 s2, 0, v41
	s_waitcnt lgkmcnt(0)
	s_waitcnt_vscnt null, 0x0
	s_barrier
	buffer_gl0_inv
	v_cndmask_b32_e64 v20, v23, v22, s2
	s_delay_alu instid0(VALU_DEP_1) | instskip(NEXT) | instid1(VALU_DEP_1)
	v_cndmask_b32_e64 v37, v20, 0, vcc_lo
	v_dual_mov_b32 v20, 0 :: v_dual_add_nc_u32 v35, v37, v28
	s_delay_alu instid0(VALU_DEP_1) | instskip(NEXT) | instid1(VALU_DEP_1)
	v_add_nc_u32_e32 v33, v35, v30
	v_add_nc_u32_e32 v31, v33, v32
	s_delay_alu instid0(VALU_DEP_1) | instskip(NEXT) | instid1(VALU_DEP_1)
	v_add_nc_u32_e32 v29, v31, v34
	v_add_nc_u32_e32 v27, v29, v36
	;; [unrolled: 3-line block ×3, first 2 shown]
.LBB1291_104:
	s_load_b128 s[4:7], s[0:1], 0x28
	s_waitcnt lgkmcnt(0)
	v_add_nc_u32_e32 v43, v20, v19
	v_cmp_gt_u32_e64 s0, 0x181, v19
	v_lshrrev_b32_e32 v42, 8, v17
	v_lshrrev_b32_e32 v41, 16, v17
	;; [unrolled: 1-line block ×4, first 2 shown]
	v_cmp_lt_u32_e64 s1, v37, v43
	s_and_b32 vcc_lo, exec_lo, s0
	s_mov_b32 s2, -1
	s_cbranch_vccz .LBB1291_130
; %bb.105:
	s_lshl_b64 s[2:3], s[10:11], 2
	s_delay_alu instid0(SALU_CYCLE_1) | instskip(SKIP_2) | instid1(SALU_CYCLE_1)
	s_add_u32 s2, s4, s2
	s_addc_u32 s3, s5, s3
	s_or_b32 s8, s18, s1
	s_and_saveexec_b32 s1, s8
	s_cbranch_execz .LBB1291_108
; %bb.106:
	v_and_b32_e32 v24, 1, v17
	s_delay_alu instid0(VALU_DEP_1)
	v_cmp_eq_u32_e32 vcc_lo, 1, v24
	s_and_b32 exec_lo, exec_lo, vcc_lo
	s_cbranch_execz .LBB1291_108
; %bb.107:
	v_mov_b32_e32 v38, 0
	s_delay_alu instid0(VALU_DEP_1) | instskip(NEXT) | instid1(VALU_DEP_1)
	v_lshlrev_b64 v[44:45], 2, v[37:38]
	v_add_co_u32 v44, vcc_lo, s2, v44
	s_delay_alu instid0(VALU_DEP_2)
	v_add_co_ci_u32_e32 v45, vcc_lo, s3, v45, vcc_lo
	global_store_b32 v[44:45], v15, off
.LBB1291_108:
	s_or_b32 exec_lo, exec_lo, s1
	v_cmp_lt_u32_e32 vcc_lo, v35, v43
	s_or_b32 s8, s18, vcc_lo
	s_delay_alu instid0(SALU_CYCLE_1)
	s_and_saveexec_b32 s1, s8
	s_cbranch_execz .LBB1291_111
; %bb.109:
	v_and_b32_e32 v24, 1, v42
	s_delay_alu instid0(VALU_DEP_1)
	v_cmp_eq_u32_e32 vcc_lo, 1, v24
	s_and_b32 exec_lo, exec_lo, vcc_lo
	s_cbranch_execz .LBB1291_111
; %bb.110:
	v_mov_b32_e32 v36, 0
	s_delay_alu instid0(VALU_DEP_1) | instskip(NEXT) | instid1(VALU_DEP_1)
	v_lshlrev_b64 v[44:45], 2, v[35:36]
	v_add_co_u32 v44, vcc_lo, s2, v44
	s_delay_alu instid0(VALU_DEP_2)
	v_add_co_ci_u32_e32 v45, vcc_lo, s3, v45, vcc_lo
	global_store_b32 v[44:45], v16, off
.LBB1291_111:
	s_or_b32 exec_lo, exec_lo, s1
	v_cmp_lt_u32_e32 vcc_lo, v33, v43
	s_or_b32 s8, s18, vcc_lo
	s_delay_alu instid0(SALU_CYCLE_1)
	;; [unrolled: 21-line block ×7, first 2 shown]
	s_and_saveexec_b32 s1, s8
	s_cbranch_execz .LBB1291_129
; %bb.127:
	v_and_b32_e32 v24, 1, v39
	s_delay_alu instid0(VALU_DEP_1)
	v_cmp_eq_u32_e32 vcc_lo, 1, v24
	s_and_b32 exec_lo, exec_lo, vcc_lo
	s_cbranch_execz .LBB1291_129
; %bb.128:
	v_mov_b32_e32 v24, 0
	s_delay_alu instid0(VALU_DEP_1) | instskip(NEXT) | instid1(VALU_DEP_1)
	v_lshlrev_b64 v[44:45], 2, v[23:24]
	v_add_co_u32 v44, vcc_lo, s2, v44
	s_delay_alu instid0(VALU_DEP_2)
	v_add_co_ci_u32_e32 v45, vcc_lo, s3, v45, vcc_lo
	global_store_b32 v[44:45], v10, off
.LBB1291_129:
	s_or_b32 exec_lo, exec_lo, s1
	s_mov_b32 s2, 0
.LBB1291_130:
	v_and_b32_e32 v17, 1, v17
	s_and_b32 vcc_lo, exec_lo, s2
	s_delay_alu instid0(VALU_DEP_1)
	v_cmp_eq_u32_e64 s1, 1, v17
	s_cbranch_vccz .LBB1291_151
; %bb.131:
	s_delay_alu instid0(VALU_DEP_1)
	s_and_saveexec_b32 s2, s1
	s_cbranch_execz .LBB1291_133
; %bb.132:
	v_sub_nc_u32_e32 v24, v37, v20
	s_delay_alu instid0(VALU_DEP_1)
	v_lshlrev_b32_e32 v24, 2, v24
	ds_store_b32 v24, v15
.LBB1291_133:
	s_or_b32 exec_lo, exec_lo, s2
	v_and_b32_e32 v15, 1, v42
	s_mov_b32 s1, exec_lo
	s_delay_alu instid0(VALU_DEP_1)
	v_cmpx_eq_u32_e32 1, v15
	s_cbranch_execz .LBB1291_135
; %bb.134:
	v_sub_nc_u32_e32 v15, v35, v20
	s_delay_alu instid0(VALU_DEP_1)
	v_lshlrev_b32_e32 v15, 2, v15
	ds_store_b32 v15, v16
.LBB1291_135:
	s_or_b32 exec_lo, exec_lo, s1
	v_and_b32_e32 v15, 1, v41
	s_mov_b32 s1, exec_lo
	s_delay_alu instid0(VALU_DEP_1)
	v_cmpx_eq_u32_e32 1, v15
	;; [unrolled: 12-line block ×7, first 2 shown]
	s_cbranch_execz .LBB1291_147
; %bb.146:
	v_sub_nc_u32_e32 v9, v23, v20
	s_delay_alu instid0(VALU_DEP_1)
	v_lshlrev_b32_e32 v9, 2, v9
	ds_store_b32 v9, v10
.LBB1291_147:
	s_or_b32 exec_lo, exec_lo, s1
	s_delay_alu instid0(SALU_CYCLE_1)
	s_mov_b32 s2, exec_lo
	s_waitcnt lgkmcnt(0)
	s_waitcnt_vscnt null, 0x0
	s_barrier
	buffer_gl0_inv
	v_cmpx_lt_u32_e64 v0, v19
	s_cbranch_execz .LBB1291_150
; %bb.148:
	v_dual_mov_b32 v10, 0 :: v_dual_mov_b32 v9, v20
	s_lshl_b64 s[8:9], s[10:11], 2
	v_lshlrev_b32_e32 v11, 2, v0
	s_add_u32 s1, s4, s8
	s_addc_u32 s3, s5, s9
	v_lshlrev_b64 v[12:13], 2, v[9:10]
	v_mov_b32_e32 v9, v0
	s_delay_alu instid0(VALU_DEP_2) | instskip(NEXT) | instid1(VALU_DEP_3)
	v_add_co_u32 v12, vcc_lo, s1, v12
	v_add_co_ci_u32_e32 v13, vcc_lo, s3, v13, vcc_lo
	s_mov_b32 s3, 0
	.p2align	6
.LBB1291_149:                           ; =>This Inner Loop Header: Depth=1
	ds_load_b32 v16, v11
	v_lshlrev_b64 v[14:15], 2, v[9:10]
	v_add_nc_u32_e32 v9, 0x180, v9
	v_add_nc_u32_e32 v11, 0x600, v11
	s_delay_alu instid0(VALU_DEP_2) | instskip(NEXT) | instid1(VALU_DEP_4)
	v_cmp_ge_u32_e32 vcc_lo, v9, v19
	v_add_co_u32 v14, s1, v12, v14
	s_delay_alu instid0(VALU_DEP_1)
	v_add_co_ci_u32_e64 v15, s1, v13, v15, s1
	s_or_b32 s3, vcc_lo, s3
	s_waitcnt lgkmcnt(0)
	global_store_b32 v[14:15], v16, off
	s_and_not1_b32 exec_lo, exec_lo, s3
	s_cbranch_execnz .LBB1291_149
.LBB1291_150:
	s_or_b32 exec_lo, exec_lo, s2
.LBB1291_151:
	s_delay_alu instid0(SALU_CYCLE_1)
	s_and_b32 vcc_lo, exec_lo, s0
	s_mov_b32 s0, -1
	s_waitcnt_vscnt null, 0x0
	s_barrier
	buffer_gl0_inv
	s_cbranch_vccz .LBB1291_179
; %bb.152:
	v_cmp_lt_u32_e32 vcc_lo, v37, v43
	s_lshl_b64 s[0:1], s[10:11], 2
	s_delay_alu instid0(SALU_CYCLE_1) | instskip(SKIP_2) | instid1(SALU_CYCLE_1)
	s_add_u32 s0, s6, s0
	s_addc_u32 s1, s7, s1
	s_or_b32 s3, s18, vcc_lo
	s_and_saveexec_b32 s2, s3
	s_cbranch_execz .LBB1291_155
; %bb.153:
	v_cmp_eq_u32_e32 vcc_lo, 1, v17
	s_and_b32 exec_lo, exec_lo, vcc_lo
	s_cbranch_execz .LBB1291_155
; %bb.154:
	v_mov_b32_e32 v38, 0
	s_delay_alu instid0(VALU_DEP_1) | instskip(NEXT) | instid1(VALU_DEP_1)
	v_lshlrev_b64 v[9:10], 2, v[37:38]
	v_add_co_u32 v9, vcc_lo, s0, v9
	s_delay_alu instid0(VALU_DEP_2)
	v_add_co_ci_u32_e32 v10, vcc_lo, s1, v10, vcc_lo
	global_store_b32 v[9:10], v7, off
.LBB1291_155:
	s_or_b32 exec_lo, exec_lo, s2
	v_cmp_lt_u32_e32 vcc_lo, v35, v43
	s_or_b32 s3, s18, vcc_lo
	s_delay_alu instid0(SALU_CYCLE_1)
	s_and_saveexec_b32 s2, s3
	s_cbranch_execz .LBB1291_158
; %bb.156:
	v_and_b32_e32 v9, 1, v42
	s_delay_alu instid0(VALU_DEP_1)
	v_cmp_eq_u32_e32 vcc_lo, 1, v9
	s_and_b32 exec_lo, exec_lo, vcc_lo
	s_cbranch_execz .LBB1291_158
; %bb.157:
	v_mov_b32_e32 v36, 0
	s_delay_alu instid0(VALU_DEP_1) | instskip(NEXT) | instid1(VALU_DEP_1)
	v_lshlrev_b64 v[9:10], 2, v[35:36]
	v_add_co_u32 v9, vcc_lo, s0, v9
	s_delay_alu instid0(VALU_DEP_2)
	v_add_co_ci_u32_e32 v10, vcc_lo, s1, v10, vcc_lo
	global_store_b32 v[9:10], v8, off
.LBB1291_158:
	s_or_b32 exec_lo, exec_lo, s2
	v_cmp_lt_u32_e32 vcc_lo, v33, v43
	s_or_b32 s3, s18, vcc_lo
	s_delay_alu instid0(SALU_CYCLE_1)
	s_and_saveexec_b32 s2, s3
	s_cbranch_execz .LBB1291_161
; %bb.159:
	v_and_b32_e32 v9, 1, v41
	s_delay_alu instid0(VALU_DEP_1)
	v_cmp_eq_u32_e32 vcc_lo, 1, v9
	s_and_b32 exec_lo, exec_lo, vcc_lo
	s_cbranch_execz .LBB1291_161
; %bb.160:
	v_mov_b32_e32 v34, 0
	s_delay_alu instid0(VALU_DEP_1) | instskip(NEXT) | instid1(VALU_DEP_1)
	v_lshlrev_b64 v[9:10], 2, v[33:34]
	v_add_co_u32 v9, vcc_lo, s0, v9
	s_delay_alu instid0(VALU_DEP_2)
	v_add_co_ci_u32_e32 v10, vcc_lo, s1, v10, vcc_lo
	global_store_b32 v[9:10], v5, off
.LBB1291_161:
	s_or_b32 exec_lo, exec_lo, s2
	v_cmp_lt_u32_e32 vcc_lo, v31, v43
	s_or_b32 s3, s18, vcc_lo
	s_delay_alu instid0(SALU_CYCLE_1)
	s_and_saveexec_b32 s2, s3
	s_cbranch_execz .LBB1291_164
; %bb.162:
	v_and_b32_e32 v9, 1, v21
	s_delay_alu instid0(VALU_DEP_1)
	v_cmp_eq_u32_e32 vcc_lo, 1, v9
	s_and_b32 exec_lo, exec_lo, vcc_lo
	s_cbranch_execz .LBB1291_164
; %bb.163:
	v_mov_b32_e32 v32, 0
	s_delay_alu instid0(VALU_DEP_1) | instskip(NEXT) | instid1(VALU_DEP_1)
	v_lshlrev_b64 v[9:10], 2, v[31:32]
	v_add_co_u32 v9, vcc_lo, s0, v9
	s_delay_alu instid0(VALU_DEP_2)
	v_add_co_ci_u32_e32 v10, vcc_lo, s1, v10, vcc_lo
	global_store_b32 v[9:10], v6, off
.LBB1291_164:
	s_or_b32 exec_lo, exec_lo, s2
	v_cmp_lt_u32_e32 vcc_lo, v29, v43
	s_or_b32 s3, s18, vcc_lo
	s_delay_alu instid0(SALU_CYCLE_1)
	s_and_saveexec_b32 s2, s3
	s_cbranch_execz .LBB1291_167
; %bb.165:
	v_and_b32_e32 v9, 1, v18
	s_delay_alu instid0(VALU_DEP_1)
	v_cmp_eq_u32_e32 vcc_lo, 1, v9
	s_and_b32 exec_lo, exec_lo, vcc_lo
	s_cbranch_execz .LBB1291_167
; %bb.166:
	v_mov_b32_e32 v30, 0
	s_delay_alu instid0(VALU_DEP_1) | instskip(NEXT) | instid1(VALU_DEP_1)
	v_lshlrev_b64 v[9:10], 2, v[29:30]
	v_add_co_u32 v9, vcc_lo, s0, v9
	s_delay_alu instid0(VALU_DEP_2)
	v_add_co_ci_u32_e32 v10, vcc_lo, s1, v10, vcc_lo
	global_store_b32 v[9:10], v3, off
.LBB1291_167:
	s_or_b32 exec_lo, exec_lo, s2
	v_cmp_lt_u32_e32 vcc_lo, v27, v43
	s_or_b32 s3, s18, vcc_lo
	s_delay_alu instid0(SALU_CYCLE_1)
	s_and_saveexec_b32 s2, s3
	s_cbranch_execz .LBB1291_170
; %bb.168:
	v_and_b32_e32 v9, 1, v40
	s_delay_alu instid0(VALU_DEP_1)
	v_cmp_eq_u32_e32 vcc_lo, 1, v9
	s_and_b32 exec_lo, exec_lo, vcc_lo
	s_cbranch_execz .LBB1291_170
; %bb.169:
	v_mov_b32_e32 v28, 0
	s_delay_alu instid0(VALU_DEP_1) | instskip(NEXT) | instid1(VALU_DEP_1)
	v_lshlrev_b64 v[9:10], 2, v[27:28]
	v_add_co_u32 v9, vcc_lo, s0, v9
	s_delay_alu instid0(VALU_DEP_2)
	v_add_co_ci_u32_e32 v10, vcc_lo, s1, v10, vcc_lo
	global_store_b32 v[9:10], v4, off
.LBB1291_170:
	s_or_b32 exec_lo, exec_lo, s2
	v_cmp_lt_u32_e32 vcc_lo, v25, v43
	s_or_b32 s3, s18, vcc_lo
	s_delay_alu instid0(SALU_CYCLE_1)
	s_and_saveexec_b32 s2, s3
	s_cbranch_execz .LBB1291_173
; %bb.171:
	v_and_b32_e32 v9, 1, v22
	s_delay_alu instid0(VALU_DEP_1)
	v_cmp_eq_u32_e32 vcc_lo, 1, v9
	s_and_b32 exec_lo, exec_lo, vcc_lo
	s_cbranch_execz .LBB1291_173
; %bb.172:
	v_mov_b32_e32 v26, 0
	s_delay_alu instid0(VALU_DEP_1) | instskip(NEXT) | instid1(VALU_DEP_1)
	v_lshlrev_b64 v[9:10], 2, v[25:26]
	v_add_co_u32 v9, vcc_lo, s0, v9
	s_delay_alu instid0(VALU_DEP_2)
	v_add_co_ci_u32_e32 v10, vcc_lo, s1, v10, vcc_lo
	global_store_b32 v[9:10], v1, off
.LBB1291_173:
	s_or_b32 exec_lo, exec_lo, s2
	v_cmp_lt_u32_e32 vcc_lo, v23, v43
	s_or_b32 s3, s18, vcc_lo
	s_delay_alu instid0(SALU_CYCLE_1)
	s_and_saveexec_b32 s2, s3
	s_cbranch_execz .LBB1291_176
; %bb.174:
	v_and_b32_e32 v9, 1, v39
	s_delay_alu instid0(VALU_DEP_1)
	v_cmp_eq_u32_e32 vcc_lo, 1, v9
	s_and_b32 exec_lo, exec_lo, vcc_lo
	s_cbranch_execz .LBB1291_176
; %bb.175:
	v_mov_b32_e32 v24, 0
	s_delay_alu instid0(VALU_DEP_1) | instskip(NEXT) | instid1(VALU_DEP_1)
	v_lshlrev_b64 v[9:10], 2, v[23:24]
	v_add_co_u32 v9, vcc_lo, s0, v9
	s_delay_alu instid0(VALU_DEP_2)
	v_add_co_ci_u32_e32 v10, vcc_lo, s1, v10, vcc_lo
	global_store_b32 v[9:10], v2, off
.LBB1291_176:
	s_or_b32 exec_lo, exec_lo, s2
.LBB1291_177:
	v_cmp_eq_u32_e32 vcc_lo, 0, v0
	s_and_b32 s0, vcc_lo, s14
	s_delay_alu instid0(SALU_CYCLE_1)
	s_and_saveexec_b32 s1, s0
	s_cbranch_execz .LBB1291_200
.LBB1291_178:
	v_add_co_u32 v0, s0, s10, v19
	s_delay_alu instid0(VALU_DEP_1) | instskip(SKIP_1) | instid1(VALU_DEP_3)
	v_add_co_ci_u32_e64 v1, null, s11, 0, s0
	v_mov_b32_e32 v2, 0
	v_add_co_u32 v0, vcc_lo, v0, v20
	s_delay_alu instid0(VALU_DEP_3)
	v_add_co_ci_u32_e32 v1, vcc_lo, 0, v1, vcc_lo
	global_store_b64 v2, v[0:1], s[16:17]
	s_nop 0
	s_sendmsg sendmsg(MSG_DEALLOC_VGPRS)
	s_endpgm
.LBB1291_179:
	s_and_b32 vcc_lo, exec_lo, s0
	s_cbranch_vccz .LBB1291_177
; %bb.180:
	s_mov_b32 s0, exec_lo
	v_cmpx_eq_u32_e32 1, v17
	s_cbranch_execz .LBB1291_182
; %bb.181:
	v_sub_nc_u32_e32 v9, v37, v20
	s_delay_alu instid0(VALU_DEP_1)
	v_lshlrev_b32_e32 v9, 2, v9
	ds_store_b32 v9, v7
.LBB1291_182:
	s_or_b32 exec_lo, exec_lo, s0
	v_and_b32_e32 v7, 1, v42
	s_mov_b32 s0, exec_lo
	s_delay_alu instid0(VALU_DEP_1)
	v_cmpx_eq_u32_e32 1, v7
	s_cbranch_execz .LBB1291_184
; %bb.183:
	v_sub_nc_u32_e32 v7, v35, v20
	s_delay_alu instid0(VALU_DEP_1)
	v_lshlrev_b32_e32 v7, 2, v7
	ds_store_b32 v7, v8
.LBB1291_184:
	s_or_b32 exec_lo, exec_lo, s0
	v_and_b32_e32 v7, 1, v41
	s_mov_b32 s0, exec_lo
	s_delay_alu instid0(VALU_DEP_1)
	v_cmpx_eq_u32_e32 1, v7
	s_cbranch_execz .LBB1291_186
; %bb.185:
	v_sub_nc_u32_e32 v7, v33, v20
	s_delay_alu instid0(VALU_DEP_1)
	v_lshlrev_b32_e32 v7, 2, v7
	ds_store_b32 v7, v5
.LBB1291_186:
	s_or_b32 exec_lo, exec_lo, s0
	v_and_b32_e32 v5, 1, v21
	s_mov_b32 s0, exec_lo
	s_delay_alu instid0(VALU_DEP_1)
	v_cmpx_eq_u32_e32 1, v5
	s_cbranch_execz .LBB1291_188
; %bb.187:
	v_sub_nc_u32_e32 v5, v31, v20
	s_delay_alu instid0(VALU_DEP_1)
	v_lshlrev_b32_e32 v5, 2, v5
	ds_store_b32 v5, v6
.LBB1291_188:
	s_or_b32 exec_lo, exec_lo, s0
	v_and_b32_e32 v5, 1, v18
	s_mov_b32 s0, exec_lo
	s_delay_alu instid0(VALU_DEP_1)
	v_cmpx_eq_u32_e32 1, v5
	s_cbranch_execz .LBB1291_190
; %bb.189:
	v_sub_nc_u32_e32 v5, v29, v20
	s_delay_alu instid0(VALU_DEP_1)
	v_lshlrev_b32_e32 v5, 2, v5
	ds_store_b32 v5, v3
.LBB1291_190:
	s_or_b32 exec_lo, exec_lo, s0
	v_and_b32_e32 v3, 1, v40
	s_mov_b32 s0, exec_lo
	s_delay_alu instid0(VALU_DEP_1)
	v_cmpx_eq_u32_e32 1, v3
	s_cbranch_execz .LBB1291_192
; %bb.191:
	v_sub_nc_u32_e32 v3, v27, v20
	s_delay_alu instid0(VALU_DEP_1)
	v_lshlrev_b32_e32 v3, 2, v3
	ds_store_b32 v3, v4
.LBB1291_192:
	s_or_b32 exec_lo, exec_lo, s0
	v_and_b32_e32 v3, 1, v22
	s_mov_b32 s0, exec_lo
	s_delay_alu instid0(VALU_DEP_1)
	v_cmpx_eq_u32_e32 1, v3
	s_cbranch_execz .LBB1291_194
; %bb.193:
	v_sub_nc_u32_e32 v3, v25, v20
	s_delay_alu instid0(VALU_DEP_1)
	v_lshlrev_b32_e32 v3, 2, v3
	ds_store_b32 v3, v1
.LBB1291_194:
	s_or_b32 exec_lo, exec_lo, s0
	v_and_b32_e32 v1, 1, v39
	s_mov_b32 s0, exec_lo
	s_delay_alu instid0(VALU_DEP_1)
	v_cmpx_eq_u32_e32 1, v1
	s_cbranch_execz .LBB1291_196
; %bb.195:
	v_sub_nc_u32_e32 v1, v23, v20
	s_delay_alu instid0(VALU_DEP_1)
	v_lshlrev_b32_e32 v1, 2, v1
	ds_store_b32 v1, v2
.LBB1291_196:
	s_or_b32 exec_lo, exec_lo, s0
	s_delay_alu instid0(SALU_CYCLE_1)
	s_mov_b32 s1, exec_lo
	s_waitcnt lgkmcnt(0)
	s_waitcnt_vscnt null, 0x0
	s_barrier
	buffer_gl0_inv
	v_cmpx_lt_u32_e64 v0, v19
	s_cbranch_execz .LBB1291_199
; %bb.197:
	v_dual_mov_b32 v2, 0 :: v_dual_mov_b32 v1, v20
	s_lshl_b64 s[2:3], s[10:11], 2
	v_lshlrev_b32_e32 v3, 2, v0
	s_add_u32 s0, s6, s2
	s_addc_u32 s2, s7, s3
	v_lshlrev_b64 v[4:5], 2, v[1:2]
	v_mov_b32_e32 v1, v0
	s_delay_alu instid0(VALU_DEP_2) | instskip(NEXT) | instid1(VALU_DEP_3)
	v_add_co_u32 v4, vcc_lo, s0, v4
	v_add_co_ci_u32_e32 v5, vcc_lo, s2, v5, vcc_lo
	s_mov_b32 s2, 0
	.p2align	6
.LBB1291_198:                           ; =>This Inner Loop Header: Depth=1
	ds_load_b32 v8, v3
	v_lshlrev_b64 v[6:7], 2, v[1:2]
	v_add_nc_u32_e32 v1, 0x180, v1
	v_add_nc_u32_e32 v3, 0x600, v3
	s_delay_alu instid0(VALU_DEP_2) | instskip(NEXT) | instid1(VALU_DEP_4)
	v_cmp_ge_u32_e32 vcc_lo, v1, v19
	v_add_co_u32 v6, s0, v4, v6
	s_delay_alu instid0(VALU_DEP_1)
	v_add_co_ci_u32_e64 v7, s0, v5, v7, s0
	s_or_b32 s2, vcc_lo, s2
	s_waitcnt lgkmcnt(0)
	global_store_b32 v[6:7], v8, off
	s_and_not1_b32 exec_lo, exec_lo, s2
	s_cbranch_execnz .LBB1291_198
.LBB1291_199:
	s_or_b32 exec_lo, exec_lo, s1
	v_cmp_eq_u32_e32 vcc_lo, 0, v0
	s_and_b32 s0, vcc_lo, s14
	s_delay_alu instid0(SALU_CYCLE_1)
	s_and_saveexec_b32 s1, s0
	s_cbranch_execnz .LBB1291_178
.LBB1291_200:
	s_nop 0
	s_sendmsg sendmsg(MSG_DEALLOC_VGPRS)
	s_endpgm
	.section	.rodata,"a",@progbits
	.p2align	6, 0x0
	.amdhsa_kernel _ZN7rocprim17ROCPRIM_400000_NS6detail17trampoline_kernelINS0_14default_configENS1_25partition_config_selectorILNS1_17partition_subalgoE9EiibEEZZNS1_14partition_implILS5_9ELb0ES3_jN6thrust23THRUST_200600_302600_NS10device_ptrIiEESB_PNS0_10empty_typeENS0_5tupleIJSB_SC_EEENSE_IJSB_SD_EEENS0_18inequality_wrapperINS9_8equal_toIiEEEEPmJSC_EEE10hipError_tPvRmT3_T4_T5_T6_T7_T9_mT8_P12ihipStream_tbDpT10_ENKUlT_T0_E_clISt17integral_constantIbLb1EES14_IbLb0EEEEDaS10_S11_EUlS10_E_NS1_11comp_targetILNS1_3genE9ELNS1_11target_archE1100ELNS1_3gpuE3ELNS1_3repE0EEENS1_30default_config_static_selectorELNS0_4arch9wavefront6targetE0EEEvT1_
		.amdhsa_group_segment_fixed_size 12680
		.amdhsa_private_segment_fixed_size 0
		.amdhsa_kernarg_size 112
		.amdhsa_user_sgpr_count 15
		.amdhsa_user_sgpr_dispatch_ptr 0
		.amdhsa_user_sgpr_queue_ptr 0
		.amdhsa_user_sgpr_kernarg_segment_ptr 1
		.amdhsa_user_sgpr_dispatch_id 0
		.amdhsa_user_sgpr_private_segment_size 0
		.amdhsa_wavefront_size32 1
		.amdhsa_uses_dynamic_stack 0
		.amdhsa_enable_private_segment 0
		.amdhsa_system_sgpr_workgroup_id_x 1
		.amdhsa_system_sgpr_workgroup_id_y 0
		.amdhsa_system_sgpr_workgroup_id_z 0
		.amdhsa_system_sgpr_workgroup_info 0
		.amdhsa_system_vgpr_workitem_id 0
		.amdhsa_next_free_vgpr 51
		.amdhsa_next_free_sgpr 25
		.amdhsa_reserve_vcc 1
		.amdhsa_float_round_mode_32 0
		.amdhsa_float_round_mode_16_64 0
		.amdhsa_float_denorm_mode_32 3
		.amdhsa_float_denorm_mode_16_64 3
		.amdhsa_dx10_clamp 1
		.amdhsa_ieee_mode 1
		.amdhsa_fp16_overflow 0
		.amdhsa_workgroup_processor_mode 1
		.amdhsa_memory_ordered 1
		.amdhsa_forward_progress 0
		.amdhsa_shared_vgpr_count 0
		.amdhsa_exception_fp_ieee_invalid_op 0
		.amdhsa_exception_fp_denorm_src 0
		.amdhsa_exception_fp_ieee_div_zero 0
		.amdhsa_exception_fp_ieee_overflow 0
		.amdhsa_exception_fp_ieee_underflow 0
		.amdhsa_exception_fp_ieee_inexact 0
		.amdhsa_exception_int_div_zero 0
	.end_amdhsa_kernel
	.section	.text._ZN7rocprim17ROCPRIM_400000_NS6detail17trampoline_kernelINS0_14default_configENS1_25partition_config_selectorILNS1_17partition_subalgoE9EiibEEZZNS1_14partition_implILS5_9ELb0ES3_jN6thrust23THRUST_200600_302600_NS10device_ptrIiEESB_PNS0_10empty_typeENS0_5tupleIJSB_SC_EEENSE_IJSB_SD_EEENS0_18inequality_wrapperINS9_8equal_toIiEEEEPmJSC_EEE10hipError_tPvRmT3_T4_T5_T6_T7_T9_mT8_P12ihipStream_tbDpT10_ENKUlT_T0_E_clISt17integral_constantIbLb1EES14_IbLb0EEEEDaS10_S11_EUlS10_E_NS1_11comp_targetILNS1_3genE9ELNS1_11target_archE1100ELNS1_3gpuE3ELNS1_3repE0EEENS1_30default_config_static_selectorELNS0_4arch9wavefront6targetE0EEEvT1_,"axG",@progbits,_ZN7rocprim17ROCPRIM_400000_NS6detail17trampoline_kernelINS0_14default_configENS1_25partition_config_selectorILNS1_17partition_subalgoE9EiibEEZZNS1_14partition_implILS5_9ELb0ES3_jN6thrust23THRUST_200600_302600_NS10device_ptrIiEESB_PNS0_10empty_typeENS0_5tupleIJSB_SC_EEENSE_IJSB_SD_EEENS0_18inequality_wrapperINS9_8equal_toIiEEEEPmJSC_EEE10hipError_tPvRmT3_T4_T5_T6_T7_T9_mT8_P12ihipStream_tbDpT10_ENKUlT_T0_E_clISt17integral_constantIbLb1EES14_IbLb0EEEEDaS10_S11_EUlS10_E_NS1_11comp_targetILNS1_3genE9ELNS1_11target_archE1100ELNS1_3gpuE3ELNS1_3repE0EEENS1_30default_config_static_selectorELNS0_4arch9wavefront6targetE0EEEvT1_,comdat
.Lfunc_end1291:
	.size	_ZN7rocprim17ROCPRIM_400000_NS6detail17trampoline_kernelINS0_14default_configENS1_25partition_config_selectorILNS1_17partition_subalgoE9EiibEEZZNS1_14partition_implILS5_9ELb0ES3_jN6thrust23THRUST_200600_302600_NS10device_ptrIiEESB_PNS0_10empty_typeENS0_5tupleIJSB_SC_EEENSE_IJSB_SD_EEENS0_18inequality_wrapperINS9_8equal_toIiEEEEPmJSC_EEE10hipError_tPvRmT3_T4_T5_T6_T7_T9_mT8_P12ihipStream_tbDpT10_ENKUlT_T0_E_clISt17integral_constantIbLb1EES14_IbLb0EEEEDaS10_S11_EUlS10_E_NS1_11comp_targetILNS1_3genE9ELNS1_11target_archE1100ELNS1_3gpuE3ELNS1_3repE0EEENS1_30default_config_static_selectorELNS0_4arch9wavefront6targetE0EEEvT1_, .Lfunc_end1291-_ZN7rocprim17ROCPRIM_400000_NS6detail17trampoline_kernelINS0_14default_configENS1_25partition_config_selectorILNS1_17partition_subalgoE9EiibEEZZNS1_14partition_implILS5_9ELb0ES3_jN6thrust23THRUST_200600_302600_NS10device_ptrIiEESB_PNS0_10empty_typeENS0_5tupleIJSB_SC_EEENSE_IJSB_SD_EEENS0_18inequality_wrapperINS9_8equal_toIiEEEEPmJSC_EEE10hipError_tPvRmT3_T4_T5_T6_T7_T9_mT8_P12ihipStream_tbDpT10_ENKUlT_T0_E_clISt17integral_constantIbLb1EES14_IbLb0EEEEDaS10_S11_EUlS10_E_NS1_11comp_targetILNS1_3genE9ELNS1_11target_archE1100ELNS1_3gpuE3ELNS1_3repE0EEENS1_30default_config_static_selectorELNS0_4arch9wavefront6targetE0EEEvT1_
                                        ; -- End function
	.section	.AMDGPU.csdata,"",@progbits
; Kernel info:
; codeLenInByte = 9320
; NumSgprs: 27
; NumVgprs: 51
; ScratchSize: 0
; MemoryBound: 0
; FloatMode: 240
; IeeeMode: 1
; LDSByteSize: 12680 bytes/workgroup (compile time only)
; SGPRBlocks: 3
; VGPRBlocks: 6
; NumSGPRsForWavesPerEU: 27
; NumVGPRsForWavesPerEU: 51
; Occupancy: 15
; WaveLimiterHint : 1
; COMPUTE_PGM_RSRC2:SCRATCH_EN: 0
; COMPUTE_PGM_RSRC2:USER_SGPR: 15
; COMPUTE_PGM_RSRC2:TRAP_HANDLER: 0
; COMPUTE_PGM_RSRC2:TGID_X_EN: 1
; COMPUTE_PGM_RSRC2:TGID_Y_EN: 0
; COMPUTE_PGM_RSRC2:TGID_Z_EN: 0
; COMPUTE_PGM_RSRC2:TIDIG_COMP_CNT: 0
	.section	.text._ZN7rocprim17ROCPRIM_400000_NS6detail17trampoline_kernelINS0_14default_configENS1_25partition_config_selectorILNS1_17partition_subalgoE9EiibEEZZNS1_14partition_implILS5_9ELb0ES3_jN6thrust23THRUST_200600_302600_NS10device_ptrIiEESB_PNS0_10empty_typeENS0_5tupleIJSB_SC_EEENSE_IJSB_SD_EEENS0_18inequality_wrapperINS9_8equal_toIiEEEEPmJSC_EEE10hipError_tPvRmT3_T4_T5_T6_T7_T9_mT8_P12ihipStream_tbDpT10_ENKUlT_T0_E_clISt17integral_constantIbLb1EES14_IbLb0EEEEDaS10_S11_EUlS10_E_NS1_11comp_targetILNS1_3genE8ELNS1_11target_archE1030ELNS1_3gpuE2ELNS1_3repE0EEENS1_30default_config_static_selectorELNS0_4arch9wavefront6targetE0EEEvT1_,"axG",@progbits,_ZN7rocprim17ROCPRIM_400000_NS6detail17trampoline_kernelINS0_14default_configENS1_25partition_config_selectorILNS1_17partition_subalgoE9EiibEEZZNS1_14partition_implILS5_9ELb0ES3_jN6thrust23THRUST_200600_302600_NS10device_ptrIiEESB_PNS0_10empty_typeENS0_5tupleIJSB_SC_EEENSE_IJSB_SD_EEENS0_18inequality_wrapperINS9_8equal_toIiEEEEPmJSC_EEE10hipError_tPvRmT3_T4_T5_T6_T7_T9_mT8_P12ihipStream_tbDpT10_ENKUlT_T0_E_clISt17integral_constantIbLb1EES14_IbLb0EEEEDaS10_S11_EUlS10_E_NS1_11comp_targetILNS1_3genE8ELNS1_11target_archE1030ELNS1_3gpuE2ELNS1_3repE0EEENS1_30default_config_static_selectorELNS0_4arch9wavefront6targetE0EEEvT1_,comdat
	.protected	_ZN7rocprim17ROCPRIM_400000_NS6detail17trampoline_kernelINS0_14default_configENS1_25partition_config_selectorILNS1_17partition_subalgoE9EiibEEZZNS1_14partition_implILS5_9ELb0ES3_jN6thrust23THRUST_200600_302600_NS10device_ptrIiEESB_PNS0_10empty_typeENS0_5tupleIJSB_SC_EEENSE_IJSB_SD_EEENS0_18inequality_wrapperINS9_8equal_toIiEEEEPmJSC_EEE10hipError_tPvRmT3_T4_T5_T6_T7_T9_mT8_P12ihipStream_tbDpT10_ENKUlT_T0_E_clISt17integral_constantIbLb1EES14_IbLb0EEEEDaS10_S11_EUlS10_E_NS1_11comp_targetILNS1_3genE8ELNS1_11target_archE1030ELNS1_3gpuE2ELNS1_3repE0EEENS1_30default_config_static_selectorELNS0_4arch9wavefront6targetE0EEEvT1_ ; -- Begin function _ZN7rocprim17ROCPRIM_400000_NS6detail17trampoline_kernelINS0_14default_configENS1_25partition_config_selectorILNS1_17partition_subalgoE9EiibEEZZNS1_14partition_implILS5_9ELb0ES3_jN6thrust23THRUST_200600_302600_NS10device_ptrIiEESB_PNS0_10empty_typeENS0_5tupleIJSB_SC_EEENSE_IJSB_SD_EEENS0_18inequality_wrapperINS9_8equal_toIiEEEEPmJSC_EEE10hipError_tPvRmT3_T4_T5_T6_T7_T9_mT8_P12ihipStream_tbDpT10_ENKUlT_T0_E_clISt17integral_constantIbLb1EES14_IbLb0EEEEDaS10_S11_EUlS10_E_NS1_11comp_targetILNS1_3genE8ELNS1_11target_archE1030ELNS1_3gpuE2ELNS1_3repE0EEENS1_30default_config_static_selectorELNS0_4arch9wavefront6targetE0EEEvT1_
	.globl	_ZN7rocprim17ROCPRIM_400000_NS6detail17trampoline_kernelINS0_14default_configENS1_25partition_config_selectorILNS1_17partition_subalgoE9EiibEEZZNS1_14partition_implILS5_9ELb0ES3_jN6thrust23THRUST_200600_302600_NS10device_ptrIiEESB_PNS0_10empty_typeENS0_5tupleIJSB_SC_EEENSE_IJSB_SD_EEENS0_18inequality_wrapperINS9_8equal_toIiEEEEPmJSC_EEE10hipError_tPvRmT3_T4_T5_T6_T7_T9_mT8_P12ihipStream_tbDpT10_ENKUlT_T0_E_clISt17integral_constantIbLb1EES14_IbLb0EEEEDaS10_S11_EUlS10_E_NS1_11comp_targetILNS1_3genE8ELNS1_11target_archE1030ELNS1_3gpuE2ELNS1_3repE0EEENS1_30default_config_static_selectorELNS0_4arch9wavefront6targetE0EEEvT1_
	.p2align	8
	.type	_ZN7rocprim17ROCPRIM_400000_NS6detail17trampoline_kernelINS0_14default_configENS1_25partition_config_selectorILNS1_17partition_subalgoE9EiibEEZZNS1_14partition_implILS5_9ELb0ES3_jN6thrust23THRUST_200600_302600_NS10device_ptrIiEESB_PNS0_10empty_typeENS0_5tupleIJSB_SC_EEENSE_IJSB_SD_EEENS0_18inequality_wrapperINS9_8equal_toIiEEEEPmJSC_EEE10hipError_tPvRmT3_T4_T5_T6_T7_T9_mT8_P12ihipStream_tbDpT10_ENKUlT_T0_E_clISt17integral_constantIbLb1EES14_IbLb0EEEEDaS10_S11_EUlS10_E_NS1_11comp_targetILNS1_3genE8ELNS1_11target_archE1030ELNS1_3gpuE2ELNS1_3repE0EEENS1_30default_config_static_selectorELNS0_4arch9wavefront6targetE0EEEvT1_,@function
_ZN7rocprim17ROCPRIM_400000_NS6detail17trampoline_kernelINS0_14default_configENS1_25partition_config_selectorILNS1_17partition_subalgoE9EiibEEZZNS1_14partition_implILS5_9ELb0ES3_jN6thrust23THRUST_200600_302600_NS10device_ptrIiEESB_PNS0_10empty_typeENS0_5tupleIJSB_SC_EEENSE_IJSB_SD_EEENS0_18inequality_wrapperINS9_8equal_toIiEEEEPmJSC_EEE10hipError_tPvRmT3_T4_T5_T6_T7_T9_mT8_P12ihipStream_tbDpT10_ENKUlT_T0_E_clISt17integral_constantIbLb1EES14_IbLb0EEEEDaS10_S11_EUlS10_E_NS1_11comp_targetILNS1_3genE8ELNS1_11target_archE1030ELNS1_3gpuE2ELNS1_3repE0EEENS1_30default_config_static_selectorELNS0_4arch9wavefront6targetE0EEEvT1_: ; @_ZN7rocprim17ROCPRIM_400000_NS6detail17trampoline_kernelINS0_14default_configENS1_25partition_config_selectorILNS1_17partition_subalgoE9EiibEEZZNS1_14partition_implILS5_9ELb0ES3_jN6thrust23THRUST_200600_302600_NS10device_ptrIiEESB_PNS0_10empty_typeENS0_5tupleIJSB_SC_EEENSE_IJSB_SD_EEENS0_18inequality_wrapperINS9_8equal_toIiEEEEPmJSC_EEE10hipError_tPvRmT3_T4_T5_T6_T7_T9_mT8_P12ihipStream_tbDpT10_ENKUlT_T0_E_clISt17integral_constantIbLb1EES14_IbLb0EEEEDaS10_S11_EUlS10_E_NS1_11comp_targetILNS1_3genE8ELNS1_11target_archE1030ELNS1_3gpuE2ELNS1_3repE0EEENS1_30default_config_static_selectorELNS0_4arch9wavefront6targetE0EEEvT1_
; %bb.0:
	.section	.rodata,"a",@progbits
	.p2align	6, 0x0
	.amdhsa_kernel _ZN7rocprim17ROCPRIM_400000_NS6detail17trampoline_kernelINS0_14default_configENS1_25partition_config_selectorILNS1_17partition_subalgoE9EiibEEZZNS1_14partition_implILS5_9ELb0ES3_jN6thrust23THRUST_200600_302600_NS10device_ptrIiEESB_PNS0_10empty_typeENS0_5tupleIJSB_SC_EEENSE_IJSB_SD_EEENS0_18inequality_wrapperINS9_8equal_toIiEEEEPmJSC_EEE10hipError_tPvRmT3_T4_T5_T6_T7_T9_mT8_P12ihipStream_tbDpT10_ENKUlT_T0_E_clISt17integral_constantIbLb1EES14_IbLb0EEEEDaS10_S11_EUlS10_E_NS1_11comp_targetILNS1_3genE8ELNS1_11target_archE1030ELNS1_3gpuE2ELNS1_3repE0EEENS1_30default_config_static_selectorELNS0_4arch9wavefront6targetE0EEEvT1_
		.amdhsa_group_segment_fixed_size 0
		.amdhsa_private_segment_fixed_size 0
		.amdhsa_kernarg_size 112
		.amdhsa_user_sgpr_count 15
		.amdhsa_user_sgpr_dispatch_ptr 0
		.amdhsa_user_sgpr_queue_ptr 0
		.amdhsa_user_sgpr_kernarg_segment_ptr 1
		.amdhsa_user_sgpr_dispatch_id 0
		.amdhsa_user_sgpr_private_segment_size 0
		.amdhsa_wavefront_size32 1
		.amdhsa_uses_dynamic_stack 0
		.amdhsa_enable_private_segment 0
		.amdhsa_system_sgpr_workgroup_id_x 1
		.amdhsa_system_sgpr_workgroup_id_y 0
		.amdhsa_system_sgpr_workgroup_id_z 0
		.amdhsa_system_sgpr_workgroup_info 0
		.amdhsa_system_vgpr_workitem_id 0
		.amdhsa_next_free_vgpr 1
		.amdhsa_next_free_sgpr 1
		.amdhsa_reserve_vcc 0
		.amdhsa_float_round_mode_32 0
		.amdhsa_float_round_mode_16_64 0
		.amdhsa_float_denorm_mode_32 3
		.amdhsa_float_denorm_mode_16_64 3
		.amdhsa_dx10_clamp 1
		.amdhsa_ieee_mode 1
		.amdhsa_fp16_overflow 0
		.amdhsa_workgroup_processor_mode 1
		.amdhsa_memory_ordered 1
		.amdhsa_forward_progress 0
		.amdhsa_shared_vgpr_count 0
		.amdhsa_exception_fp_ieee_invalid_op 0
		.amdhsa_exception_fp_denorm_src 0
		.amdhsa_exception_fp_ieee_div_zero 0
		.amdhsa_exception_fp_ieee_overflow 0
		.amdhsa_exception_fp_ieee_underflow 0
		.amdhsa_exception_fp_ieee_inexact 0
		.amdhsa_exception_int_div_zero 0
	.end_amdhsa_kernel
	.section	.text._ZN7rocprim17ROCPRIM_400000_NS6detail17trampoline_kernelINS0_14default_configENS1_25partition_config_selectorILNS1_17partition_subalgoE9EiibEEZZNS1_14partition_implILS5_9ELb0ES3_jN6thrust23THRUST_200600_302600_NS10device_ptrIiEESB_PNS0_10empty_typeENS0_5tupleIJSB_SC_EEENSE_IJSB_SD_EEENS0_18inequality_wrapperINS9_8equal_toIiEEEEPmJSC_EEE10hipError_tPvRmT3_T4_T5_T6_T7_T9_mT8_P12ihipStream_tbDpT10_ENKUlT_T0_E_clISt17integral_constantIbLb1EES14_IbLb0EEEEDaS10_S11_EUlS10_E_NS1_11comp_targetILNS1_3genE8ELNS1_11target_archE1030ELNS1_3gpuE2ELNS1_3repE0EEENS1_30default_config_static_selectorELNS0_4arch9wavefront6targetE0EEEvT1_,"axG",@progbits,_ZN7rocprim17ROCPRIM_400000_NS6detail17trampoline_kernelINS0_14default_configENS1_25partition_config_selectorILNS1_17partition_subalgoE9EiibEEZZNS1_14partition_implILS5_9ELb0ES3_jN6thrust23THRUST_200600_302600_NS10device_ptrIiEESB_PNS0_10empty_typeENS0_5tupleIJSB_SC_EEENSE_IJSB_SD_EEENS0_18inequality_wrapperINS9_8equal_toIiEEEEPmJSC_EEE10hipError_tPvRmT3_T4_T5_T6_T7_T9_mT8_P12ihipStream_tbDpT10_ENKUlT_T0_E_clISt17integral_constantIbLb1EES14_IbLb0EEEEDaS10_S11_EUlS10_E_NS1_11comp_targetILNS1_3genE8ELNS1_11target_archE1030ELNS1_3gpuE2ELNS1_3repE0EEENS1_30default_config_static_selectorELNS0_4arch9wavefront6targetE0EEEvT1_,comdat
.Lfunc_end1292:
	.size	_ZN7rocprim17ROCPRIM_400000_NS6detail17trampoline_kernelINS0_14default_configENS1_25partition_config_selectorILNS1_17partition_subalgoE9EiibEEZZNS1_14partition_implILS5_9ELb0ES3_jN6thrust23THRUST_200600_302600_NS10device_ptrIiEESB_PNS0_10empty_typeENS0_5tupleIJSB_SC_EEENSE_IJSB_SD_EEENS0_18inequality_wrapperINS9_8equal_toIiEEEEPmJSC_EEE10hipError_tPvRmT3_T4_T5_T6_T7_T9_mT8_P12ihipStream_tbDpT10_ENKUlT_T0_E_clISt17integral_constantIbLb1EES14_IbLb0EEEEDaS10_S11_EUlS10_E_NS1_11comp_targetILNS1_3genE8ELNS1_11target_archE1030ELNS1_3gpuE2ELNS1_3repE0EEENS1_30default_config_static_selectorELNS0_4arch9wavefront6targetE0EEEvT1_, .Lfunc_end1292-_ZN7rocprim17ROCPRIM_400000_NS6detail17trampoline_kernelINS0_14default_configENS1_25partition_config_selectorILNS1_17partition_subalgoE9EiibEEZZNS1_14partition_implILS5_9ELb0ES3_jN6thrust23THRUST_200600_302600_NS10device_ptrIiEESB_PNS0_10empty_typeENS0_5tupleIJSB_SC_EEENSE_IJSB_SD_EEENS0_18inequality_wrapperINS9_8equal_toIiEEEEPmJSC_EEE10hipError_tPvRmT3_T4_T5_T6_T7_T9_mT8_P12ihipStream_tbDpT10_ENKUlT_T0_E_clISt17integral_constantIbLb1EES14_IbLb0EEEEDaS10_S11_EUlS10_E_NS1_11comp_targetILNS1_3genE8ELNS1_11target_archE1030ELNS1_3gpuE2ELNS1_3repE0EEENS1_30default_config_static_selectorELNS0_4arch9wavefront6targetE0EEEvT1_
                                        ; -- End function
	.section	.AMDGPU.csdata,"",@progbits
; Kernel info:
; codeLenInByte = 0
; NumSgprs: 0
; NumVgprs: 0
; ScratchSize: 0
; MemoryBound: 0
; FloatMode: 240
; IeeeMode: 1
; LDSByteSize: 0 bytes/workgroup (compile time only)
; SGPRBlocks: 0
; VGPRBlocks: 0
; NumSGPRsForWavesPerEU: 1
; NumVGPRsForWavesPerEU: 1
; Occupancy: 16
; WaveLimiterHint : 0
; COMPUTE_PGM_RSRC2:SCRATCH_EN: 0
; COMPUTE_PGM_RSRC2:USER_SGPR: 15
; COMPUTE_PGM_RSRC2:TRAP_HANDLER: 0
; COMPUTE_PGM_RSRC2:TGID_X_EN: 1
; COMPUTE_PGM_RSRC2:TGID_Y_EN: 0
; COMPUTE_PGM_RSRC2:TGID_Z_EN: 0
; COMPUTE_PGM_RSRC2:TIDIG_COMP_CNT: 0
	.section	.text._ZN7rocprim17ROCPRIM_400000_NS6detail17trampoline_kernelINS0_14default_configENS1_25partition_config_selectorILNS1_17partition_subalgoE9EiibEEZZNS1_14partition_implILS5_9ELb0ES3_jN6thrust23THRUST_200600_302600_NS10device_ptrIiEESB_PNS0_10empty_typeENS0_5tupleIJSB_SC_EEENSE_IJSB_SD_EEENS0_18inequality_wrapperINS9_8equal_toIiEEEEPmJSC_EEE10hipError_tPvRmT3_T4_T5_T6_T7_T9_mT8_P12ihipStream_tbDpT10_ENKUlT_T0_E_clISt17integral_constantIbLb0EES14_IbLb1EEEEDaS10_S11_EUlS10_E_NS1_11comp_targetILNS1_3genE0ELNS1_11target_archE4294967295ELNS1_3gpuE0ELNS1_3repE0EEENS1_30default_config_static_selectorELNS0_4arch9wavefront6targetE0EEEvT1_,"axG",@progbits,_ZN7rocprim17ROCPRIM_400000_NS6detail17trampoline_kernelINS0_14default_configENS1_25partition_config_selectorILNS1_17partition_subalgoE9EiibEEZZNS1_14partition_implILS5_9ELb0ES3_jN6thrust23THRUST_200600_302600_NS10device_ptrIiEESB_PNS0_10empty_typeENS0_5tupleIJSB_SC_EEENSE_IJSB_SD_EEENS0_18inequality_wrapperINS9_8equal_toIiEEEEPmJSC_EEE10hipError_tPvRmT3_T4_T5_T6_T7_T9_mT8_P12ihipStream_tbDpT10_ENKUlT_T0_E_clISt17integral_constantIbLb0EES14_IbLb1EEEEDaS10_S11_EUlS10_E_NS1_11comp_targetILNS1_3genE0ELNS1_11target_archE4294967295ELNS1_3gpuE0ELNS1_3repE0EEENS1_30default_config_static_selectorELNS0_4arch9wavefront6targetE0EEEvT1_,comdat
	.protected	_ZN7rocprim17ROCPRIM_400000_NS6detail17trampoline_kernelINS0_14default_configENS1_25partition_config_selectorILNS1_17partition_subalgoE9EiibEEZZNS1_14partition_implILS5_9ELb0ES3_jN6thrust23THRUST_200600_302600_NS10device_ptrIiEESB_PNS0_10empty_typeENS0_5tupleIJSB_SC_EEENSE_IJSB_SD_EEENS0_18inequality_wrapperINS9_8equal_toIiEEEEPmJSC_EEE10hipError_tPvRmT3_T4_T5_T6_T7_T9_mT8_P12ihipStream_tbDpT10_ENKUlT_T0_E_clISt17integral_constantIbLb0EES14_IbLb1EEEEDaS10_S11_EUlS10_E_NS1_11comp_targetILNS1_3genE0ELNS1_11target_archE4294967295ELNS1_3gpuE0ELNS1_3repE0EEENS1_30default_config_static_selectorELNS0_4arch9wavefront6targetE0EEEvT1_ ; -- Begin function _ZN7rocprim17ROCPRIM_400000_NS6detail17trampoline_kernelINS0_14default_configENS1_25partition_config_selectorILNS1_17partition_subalgoE9EiibEEZZNS1_14partition_implILS5_9ELb0ES3_jN6thrust23THRUST_200600_302600_NS10device_ptrIiEESB_PNS0_10empty_typeENS0_5tupleIJSB_SC_EEENSE_IJSB_SD_EEENS0_18inequality_wrapperINS9_8equal_toIiEEEEPmJSC_EEE10hipError_tPvRmT3_T4_T5_T6_T7_T9_mT8_P12ihipStream_tbDpT10_ENKUlT_T0_E_clISt17integral_constantIbLb0EES14_IbLb1EEEEDaS10_S11_EUlS10_E_NS1_11comp_targetILNS1_3genE0ELNS1_11target_archE4294967295ELNS1_3gpuE0ELNS1_3repE0EEENS1_30default_config_static_selectorELNS0_4arch9wavefront6targetE0EEEvT1_
	.globl	_ZN7rocprim17ROCPRIM_400000_NS6detail17trampoline_kernelINS0_14default_configENS1_25partition_config_selectorILNS1_17partition_subalgoE9EiibEEZZNS1_14partition_implILS5_9ELb0ES3_jN6thrust23THRUST_200600_302600_NS10device_ptrIiEESB_PNS0_10empty_typeENS0_5tupleIJSB_SC_EEENSE_IJSB_SD_EEENS0_18inequality_wrapperINS9_8equal_toIiEEEEPmJSC_EEE10hipError_tPvRmT3_T4_T5_T6_T7_T9_mT8_P12ihipStream_tbDpT10_ENKUlT_T0_E_clISt17integral_constantIbLb0EES14_IbLb1EEEEDaS10_S11_EUlS10_E_NS1_11comp_targetILNS1_3genE0ELNS1_11target_archE4294967295ELNS1_3gpuE0ELNS1_3repE0EEENS1_30default_config_static_selectorELNS0_4arch9wavefront6targetE0EEEvT1_
	.p2align	8
	.type	_ZN7rocprim17ROCPRIM_400000_NS6detail17trampoline_kernelINS0_14default_configENS1_25partition_config_selectorILNS1_17partition_subalgoE9EiibEEZZNS1_14partition_implILS5_9ELb0ES3_jN6thrust23THRUST_200600_302600_NS10device_ptrIiEESB_PNS0_10empty_typeENS0_5tupleIJSB_SC_EEENSE_IJSB_SD_EEENS0_18inequality_wrapperINS9_8equal_toIiEEEEPmJSC_EEE10hipError_tPvRmT3_T4_T5_T6_T7_T9_mT8_P12ihipStream_tbDpT10_ENKUlT_T0_E_clISt17integral_constantIbLb0EES14_IbLb1EEEEDaS10_S11_EUlS10_E_NS1_11comp_targetILNS1_3genE0ELNS1_11target_archE4294967295ELNS1_3gpuE0ELNS1_3repE0EEENS1_30default_config_static_selectorELNS0_4arch9wavefront6targetE0EEEvT1_,@function
_ZN7rocprim17ROCPRIM_400000_NS6detail17trampoline_kernelINS0_14default_configENS1_25partition_config_selectorILNS1_17partition_subalgoE9EiibEEZZNS1_14partition_implILS5_9ELb0ES3_jN6thrust23THRUST_200600_302600_NS10device_ptrIiEESB_PNS0_10empty_typeENS0_5tupleIJSB_SC_EEENSE_IJSB_SD_EEENS0_18inequality_wrapperINS9_8equal_toIiEEEEPmJSC_EEE10hipError_tPvRmT3_T4_T5_T6_T7_T9_mT8_P12ihipStream_tbDpT10_ENKUlT_T0_E_clISt17integral_constantIbLb0EES14_IbLb1EEEEDaS10_S11_EUlS10_E_NS1_11comp_targetILNS1_3genE0ELNS1_11target_archE4294967295ELNS1_3gpuE0ELNS1_3repE0EEENS1_30default_config_static_selectorELNS0_4arch9wavefront6targetE0EEEvT1_: ; @_ZN7rocprim17ROCPRIM_400000_NS6detail17trampoline_kernelINS0_14default_configENS1_25partition_config_selectorILNS1_17partition_subalgoE9EiibEEZZNS1_14partition_implILS5_9ELb0ES3_jN6thrust23THRUST_200600_302600_NS10device_ptrIiEESB_PNS0_10empty_typeENS0_5tupleIJSB_SC_EEENSE_IJSB_SD_EEENS0_18inequality_wrapperINS9_8equal_toIiEEEEPmJSC_EEE10hipError_tPvRmT3_T4_T5_T6_T7_T9_mT8_P12ihipStream_tbDpT10_ENKUlT_T0_E_clISt17integral_constantIbLb0EES14_IbLb1EEEEDaS10_S11_EUlS10_E_NS1_11comp_targetILNS1_3genE0ELNS1_11target_archE4294967295ELNS1_3gpuE0ELNS1_3repE0EEENS1_30default_config_static_selectorELNS0_4arch9wavefront6targetE0EEEvT1_
; %bb.0:
	.section	.rodata,"a",@progbits
	.p2align	6, 0x0
	.amdhsa_kernel _ZN7rocprim17ROCPRIM_400000_NS6detail17trampoline_kernelINS0_14default_configENS1_25partition_config_selectorILNS1_17partition_subalgoE9EiibEEZZNS1_14partition_implILS5_9ELb0ES3_jN6thrust23THRUST_200600_302600_NS10device_ptrIiEESB_PNS0_10empty_typeENS0_5tupleIJSB_SC_EEENSE_IJSB_SD_EEENS0_18inequality_wrapperINS9_8equal_toIiEEEEPmJSC_EEE10hipError_tPvRmT3_T4_T5_T6_T7_T9_mT8_P12ihipStream_tbDpT10_ENKUlT_T0_E_clISt17integral_constantIbLb0EES14_IbLb1EEEEDaS10_S11_EUlS10_E_NS1_11comp_targetILNS1_3genE0ELNS1_11target_archE4294967295ELNS1_3gpuE0ELNS1_3repE0EEENS1_30default_config_static_selectorELNS0_4arch9wavefront6targetE0EEEvT1_
		.amdhsa_group_segment_fixed_size 0
		.amdhsa_private_segment_fixed_size 0
		.amdhsa_kernarg_size 128
		.amdhsa_user_sgpr_count 15
		.amdhsa_user_sgpr_dispatch_ptr 0
		.amdhsa_user_sgpr_queue_ptr 0
		.amdhsa_user_sgpr_kernarg_segment_ptr 1
		.amdhsa_user_sgpr_dispatch_id 0
		.amdhsa_user_sgpr_private_segment_size 0
		.amdhsa_wavefront_size32 1
		.amdhsa_uses_dynamic_stack 0
		.amdhsa_enable_private_segment 0
		.amdhsa_system_sgpr_workgroup_id_x 1
		.amdhsa_system_sgpr_workgroup_id_y 0
		.amdhsa_system_sgpr_workgroup_id_z 0
		.amdhsa_system_sgpr_workgroup_info 0
		.amdhsa_system_vgpr_workitem_id 0
		.amdhsa_next_free_vgpr 1
		.amdhsa_next_free_sgpr 1
		.amdhsa_reserve_vcc 0
		.amdhsa_float_round_mode_32 0
		.amdhsa_float_round_mode_16_64 0
		.amdhsa_float_denorm_mode_32 3
		.amdhsa_float_denorm_mode_16_64 3
		.amdhsa_dx10_clamp 1
		.amdhsa_ieee_mode 1
		.amdhsa_fp16_overflow 0
		.amdhsa_workgroup_processor_mode 1
		.amdhsa_memory_ordered 1
		.amdhsa_forward_progress 0
		.amdhsa_shared_vgpr_count 0
		.amdhsa_exception_fp_ieee_invalid_op 0
		.amdhsa_exception_fp_denorm_src 0
		.amdhsa_exception_fp_ieee_div_zero 0
		.amdhsa_exception_fp_ieee_overflow 0
		.amdhsa_exception_fp_ieee_underflow 0
		.amdhsa_exception_fp_ieee_inexact 0
		.amdhsa_exception_int_div_zero 0
	.end_amdhsa_kernel
	.section	.text._ZN7rocprim17ROCPRIM_400000_NS6detail17trampoline_kernelINS0_14default_configENS1_25partition_config_selectorILNS1_17partition_subalgoE9EiibEEZZNS1_14partition_implILS5_9ELb0ES3_jN6thrust23THRUST_200600_302600_NS10device_ptrIiEESB_PNS0_10empty_typeENS0_5tupleIJSB_SC_EEENSE_IJSB_SD_EEENS0_18inequality_wrapperINS9_8equal_toIiEEEEPmJSC_EEE10hipError_tPvRmT3_T4_T5_T6_T7_T9_mT8_P12ihipStream_tbDpT10_ENKUlT_T0_E_clISt17integral_constantIbLb0EES14_IbLb1EEEEDaS10_S11_EUlS10_E_NS1_11comp_targetILNS1_3genE0ELNS1_11target_archE4294967295ELNS1_3gpuE0ELNS1_3repE0EEENS1_30default_config_static_selectorELNS0_4arch9wavefront6targetE0EEEvT1_,"axG",@progbits,_ZN7rocprim17ROCPRIM_400000_NS6detail17trampoline_kernelINS0_14default_configENS1_25partition_config_selectorILNS1_17partition_subalgoE9EiibEEZZNS1_14partition_implILS5_9ELb0ES3_jN6thrust23THRUST_200600_302600_NS10device_ptrIiEESB_PNS0_10empty_typeENS0_5tupleIJSB_SC_EEENSE_IJSB_SD_EEENS0_18inequality_wrapperINS9_8equal_toIiEEEEPmJSC_EEE10hipError_tPvRmT3_T4_T5_T6_T7_T9_mT8_P12ihipStream_tbDpT10_ENKUlT_T0_E_clISt17integral_constantIbLb0EES14_IbLb1EEEEDaS10_S11_EUlS10_E_NS1_11comp_targetILNS1_3genE0ELNS1_11target_archE4294967295ELNS1_3gpuE0ELNS1_3repE0EEENS1_30default_config_static_selectorELNS0_4arch9wavefront6targetE0EEEvT1_,comdat
.Lfunc_end1293:
	.size	_ZN7rocprim17ROCPRIM_400000_NS6detail17trampoline_kernelINS0_14default_configENS1_25partition_config_selectorILNS1_17partition_subalgoE9EiibEEZZNS1_14partition_implILS5_9ELb0ES3_jN6thrust23THRUST_200600_302600_NS10device_ptrIiEESB_PNS0_10empty_typeENS0_5tupleIJSB_SC_EEENSE_IJSB_SD_EEENS0_18inequality_wrapperINS9_8equal_toIiEEEEPmJSC_EEE10hipError_tPvRmT3_T4_T5_T6_T7_T9_mT8_P12ihipStream_tbDpT10_ENKUlT_T0_E_clISt17integral_constantIbLb0EES14_IbLb1EEEEDaS10_S11_EUlS10_E_NS1_11comp_targetILNS1_3genE0ELNS1_11target_archE4294967295ELNS1_3gpuE0ELNS1_3repE0EEENS1_30default_config_static_selectorELNS0_4arch9wavefront6targetE0EEEvT1_, .Lfunc_end1293-_ZN7rocprim17ROCPRIM_400000_NS6detail17trampoline_kernelINS0_14default_configENS1_25partition_config_selectorILNS1_17partition_subalgoE9EiibEEZZNS1_14partition_implILS5_9ELb0ES3_jN6thrust23THRUST_200600_302600_NS10device_ptrIiEESB_PNS0_10empty_typeENS0_5tupleIJSB_SC_EEENSE_IJSB_SD_EEENS0_18inequality_wrapperINS9_8equal_toIiEEEEPmJSC_EEE10hipError_tPvRmT3_T4_T5_T6_T7_T9_mT8_P12ihipStream_tbDpT10_ENKUlT_T0_E_clISt17integral_constantIbLb0EES14_IbLb1EEEEDaS10_S11_EUlS10_E_NS1_11comp_targetILNS1_3genE0ELNS1_11target_archE4294967295ELNS1_3gpuE0ELNS1_3repE0EEENS1_30default_config_static_selectorELNS0_4arch9wavefront6targetE0EEEvT1_
                                        ; -- End function
	.section	.AMDGPU.csdata,"",@progbits
; Kernel info:
; codeLenInByte = 0
; NumSgprs: 0
; NumVgprs: 0
; ScratchSize: 0
; MemoryBound: 0
; FloatMode: 240
; IeeeMode: 1
; LDSByteSize: 0 bytes/workgroup (compile time only)
; SGPRBlocks: 0
; VGPRBlocks: 0
; NumSGPRsForWavesPerEU: 1
; NumVGPRsForWavesPerEU: 1
; Occupancy: 16
; WaveLimiterHint : 0
; COMPUTE_PGM_RSRC2:SCRATCH_EN: 0
; COMPUTE_PGM_RSRC2:USER_SGPR: 15
; COMPUTE_PGM_RSRC2:TRAP_HANDLER: 0
; COMPUTE_PGM_RSRC2:TGID_X_EN: 1
; COMPUTE_PGM_RSRC2:TGID_Y_EN: 0
; COMPUTE_PGM_RSRC2:TGID_Z_EN: 0
; COMPUTE_PGM_RSRC2:TIDIG_COMP_CNT: 0
	.section	.text._ZN7rocprim17ROCPRIM_400000_NS6detail17trampoline_kernelINS0_14default_configENS1_25partition_config_selectorILNS1_17partition_subalgoE9EiibEEZZNS1_14partition_implILS5_9ELb0ES3_jN6thrust23THRUST_200600_302600_NS10device_ptrIiEESB_PNS0_10empty_typeENS0_5tupleIJSB_SC_EEENSE_IJSB_SD_EEENS0_18inequality_wrapperINS9_8equal_toIiEEEEPmJSC_EEE10hipError_tPvRmT3_T4_T5_T6_T7_T9_mT8_P12ihipStream_tbDpT10_ENKUlT_T0_E_clISt17integral_constantIbLb0EES14_IbLb1EEEEDaS10_S11_EUlS10_E_NS1_11comp_targetILNS1_3genE5ELNS1_11target_archE942ELNS1_3gpuE9ELNS1_3repE0EEENS1_30default_config_static_selectorELNS0_4arch9wavefront6targetE0EEEvT1_,"axG",@progbits,_ZN7rocprim17ROCPRIM_400000_NS6detail17trampoline_kernelINS0_14default_configENS1_25partition_config_selectorILNS1_17partition_subalgoE9EiibEEZZNS1_14partition_implILS5_9ELb0ES3_jN6thrust23THRUST_200600_302600_NS10device_ptrIiEESB_PNS0_10empty_typeENS0_5tupleIJSB_SC_EEENSE_IJSB_SD_EEENS0_18inequality_wrapperINS9_8equal_toIiEEEEPmJSC_EEE10hipError_tPvRmT3_T4_T5_T6_T7_T9_mT8_P12ihipStream_tbDpT10_ENKUlT_T0_E_clISt17integral_constantIbLb0EES14_IbLb1EEEEDaS10_S11_EUlS10_E_NS1_11comp_targetILNS1_3genE5ELNS1_11target_archE942ELNS1_3gpuE9ELNS1_3repE0EEENS1_30default_config_static_selectorELNS0_4arch9wavefront6targetE0EEEvT1_,comdat
	.protected	_ZN7rocprim17ROCPRIM_400000_NS6detail17trampoline_kernelINS0_14default_configENS1_25partition_config_selectorILNS1_17partition_subalgoE9EiibEEZZNS1_14partition_implILS5_9ELb0ES3_jN6thrust23THRUST_200600_302600_NS10device_ptrIiEESB_PNS0_10empty_typeENS0_5tupleIJSB_SC_EEENSE_IJSB_SD_EEENS0_18inequality_wrapperINS9_8equal_toIiEEEEPmJSC_EEE10hipError_tPvRmT3_T4_T5_T6_T7_T9_mT8_P12ihipStream_tbDpT10_ENKUlT_T0_E_clISt17integral_constantIbLb0EES14_IbLb1EEEEDaS10_S11_EUlS10_E_NS1_11comp_targetILNS1_3genE5ELNS1_11target_archE942ELNS1_3gpuE9ELNS1_3repE0EEENS1_30default_config_static_selectorELNS0_4arch9wavefront6targetE0EEEvT1_ ; -- Begin function _ZN7rocprim17ROCPRIM_400000_NS6detail17trampoline_kernelINS0_14default_configENS1_25partition_config_selectorILNS1_17partition_subalgoE9EiibEEZZNS1_14partition_implILS5_9ELb0ES3_jN6thrust23THRUST_200600_302600_NS10device_ptrIiEESB_PNS0_10empty_typeENS0_5tupleIJSB_SC_EEENSE_IJSB_SD_EEENS0_18inequality_wrapperINS9_8equal_toIiEEEEPmJSC_EEE10hipError_tPvRmT3_T4_T5_T6_T7_T9_mT8_P12ihipStream_tbDpT10_ENKUlT_T0_E_clISt17integral_constantIbLb0EES14_IbLb1EEEEDaS10_S11_EUlS10_E_NS1_11comp_targetILNS1_3genE5ELNS1_11target_archE942ELNS1_3gpuE9ELNS1_3repE0EEENS1_30default_config_static_selectorELNS0_4arch9wavefront6targetE0EEEvT1_
	.globl	_ZN7rocprim17ROCPRIM_400000_NS6detail17trampoline_kernelINS0_14default_configENS1_25partition_config_selectorILNS1_17partition_subalgoE9EiibEEZZNS1_14partition_implILS5_9ELb0ES3_jN6thrust23THRUST_200600_302600_NS10device_ptrIiEESB_PNS0_10empty_typeENS0_5tupleIJSB_SC_EEENSE_IJSB_SD_EEENS0_18inequality_wrapperINS9_8equal_toIiEEEEPmJSC_EEE10hipError_tPvRmT3_T4_T5_T6_T7_T9_mT8_P12ihipStream_tbDpT10_ENKUlT_T0_E_clISt17integral_constantIbLb0EES14_IbLb1EEEEDaS10_S11_EUlS10_E_NS1_11comp_targetILNS1_3genE5ELNS1_11target_archE942ELNS1_3gpuE9ELNS1_3repE0EEENS1_30default_config_static_selectorELNS0_4arch9wavefront6targetE0EEEvT1_
	.p2align	8
	.type	_ZN7rocprim17ROCPRIM_400000_NS6detail17trampoline_kernelINS0_14default_configENS1_25partition_config_selectorILNS1_17partition_subalgoE9EiibEEZZNS1_14partition_implILS5_9ELb0ES3_jN6thrust23THRUST_200600_302600_NS10device_ptrIiEESB_PNS0_10empty_typeENS0_5tupleIJSB_SC_EEENSE_IJSB_SD_EEENS0_18inequality_wrapperINS9_8equal_toIiEEEEPmJSC_EEE10hipError_tPvRmT3_T4_T5_T6_T7_T9_mT8_P12ihipStream_tbDpT10_ENKUlT_T0_E_clISt17integral_constantIbLb0EES14_IbLb1EEEEDaS10_S11_EUlS10_E_NS1_11comp_targetILNS1_3genE5ELNS1_11target_archE942ELNS1_3gpuE9ELNS1_3repE0EEENS1_30default_config_static_selectorELNS0_4arch9wavefront6targetE0EEEvT1_,@function
_ZN7rocprim17ROCPRIM_400000_NS6detail17trampoline_kernelINS0_14default_configENS1_25partition_config_selectorILNS1_17partition_subalgoE9EiibEEZZNS1_14partition_implILS5_9ELb0ES3_jN6thrust23THRUST_200600_302600_NS10device_ptrIiEESB_PNS0_10empty_typeENS0_5tupleIJSB_SC_EEENSE_IJSB_SD_EEENS0_18inequality_wrapperINS9_8equal_toIiEEEEPmJSC_EEE10hipError_tPvRmT3_T4_T5_T6_T7_T9_mT8_P12ihipStream_tbDpT10_ENKUlT_T0_E_clISt17integral_constantIbLb0EES14_IbLb1EEEEDaS10_S11_EUlS10_E_NS1_11comp_targetILNS1_3genE5ELNS1_11target_archE942ELNS1_3gpuE9ELNS1_3repE0EEENS1_30default_config_static_selectorELNS0_4arch9wavefront6targetE0EEEvT1_: ; @_ZN7rocprim17ROCPRIM_400000_NS6detail17trampoline_kernelINS0_14default_configENS1_25partition_config_selectorILNS1_17partition_subalgoE9EiibEEZZNS1_14partition_implILS5_9ELb0ES3_jN6thrust23THRUST_200600_302600_NS10device_ptrIiEESB_PNS0_10empty_typeENS0_5tupleIJSB_SC_EEENSE_IJSB_SD_EEENS0_18inequality_wrapperINS9_8equal_toIiEEEEPmJSC_EEE10hipError_tPvRmT3_T4_T5_T6_T7_T9_mT8_P12ihipStream_tbDpT10_ENKUlT_T0_E_clISt17integral_constantIbLb0EES14_IbLb1EEEEDaS10_S11_EUlS10_E_NS1_11comp_targetILNS1_3genE5ELNS1_11target_archE942ELNS1_3gpuE9ELNS1_3repE0EEENS1_30default_config_static_selectorELNS0_4arch9wavefront6targetE0EEEvT1_
; %bb.0:
	.section	.rodata,"a",@progbits
	.p2align	6, 0x0
	.amdhsa_kernel _ZN7rocprim17ROCPRIM_400000_NS6detail17trampoline_kernelINS0_14default_configENS1_25partition_config_selectorILNS1_17partition_subalgoE9EiibEEZZNS1_14partition_implILS5_9ELb0ES3_jN6thrust23THRUST_200600_302600_NS10device_ptrIiEESB_PNS0_10empty_typeENS0_5tupleIJSB_SC_EEENSE_IJSB_SD_EEENS0_18inequality_wrapperINS9_8equal_toIiEEEEPmJSC_EEE10hipError_tPvRmT3_T4_T5_T6_T7_T9_mT8_P12ihipStream_tbDpT10_ENKUlT_T0_E_clISt17integral_constantIbLb0EES14_IbLb1EEEEDaS10_S11_EUlS10_E_NS1_11comp_targetILNS1_3genE5ELNS1_11target_archE942ELNS1_3gpuE9ELNS1_3repE0EEENS1_30default_config_static_selectorELNS0_4arch9wavefront6targetE0EEEvT1_
		.amdhsa_group_segment_fixed_size 0
		.amdhsa_private_segment_fixed_size 0
		.amdhsa_kernarg_size 128
		.amdhsa_user_sgpr_count 15
		.amdhsa_user_sgpr_dispatch_ptr 0
		.amdhsa_user_sgpr_queue_ptr 0
		.amdhsa_user_sgpr_kernarg_segment_ptr 1
		.amdhsa_user_sgpr_dispatch_id 0
		.amdhsa_user_sgpr_private_segment_size 0
		.amdhsa_wavefront_size32 1
		.amdhsa_uses_dynamic_stack 0
		.amdhsa_enable_private_segment 0
		.amdhsa_system_sgpr_workgroup_id_x 1
		.amdhsa_system_sgpr_workgroup_id_y 0
		.amdhsa_system_sgpr_workgroup_id_z 0
		.amdhsa_system_sgpr_workgroup_info 0
		.amdhsa_system_vgpr_workitem_id 0
		.amdhsa_next_free_vgpr 1
		.amdhsa_next_free_sgpr 1
		.amdhsa_reserve_vcc 0
		.amdhsa_float_round_mode_32 0
		.amdhsa_float_round_mode_16_64 0
		.amdhsa_float_denorm_mode_32 3
		.amdhsa_float_denorm_mode_16_64 3
		.amdhsa_dx10_clamp 1
		.amdhsa_ieee_mode 1
		.amdhsa_fp16_overflow 0
		.amdhsa_workgroup_processor_mode 1
		.amdhsa_memory_ordered 1
		.amdhsa_forward_progress 0
		.amdhsa_shared_vgpr_count 0
		.amdhsa_exception_fp_ieee_invalid_op 0
		.amdhsa_exception_fp_denorm_src 0
		.amdhsa_exception_fp_ieee_div_zero 0
		.amdhsa_exception_fp_ieee_overflow 0
		.amdhsa_exception_fp_ieee_underflow 0
		.amdhsa_exception_fp_ieee_inexact 0
		.amdhsa_exception_int_div_zero 0
	.end_amdhsa_kernel
	.section	.text._ZN7rocprim17ROCPRIM_400000_NS6detail17trampoline_kernelINS0_14default_configENS1_25partition_config_selectorILNS1_17partition_subalgoE9EiibEEZZNS1_14partition_implILS5_9ELb0ES3_jN6thrust23THRUST_200600_302600_NS10device_ptrIiEESB_PNS0_10empty_typeENS0_5tupleIJSB_SC_EEENSE_IJSB_SD_EEENS0_18inequality_wrapperINS9_8equal_toIiEEEEPmJSC_EEE10hipError_tPvRmT3_T4_T5_T6_T7_T9_mT8_P12ihipStream_tbDpT10_ENKUlT_T0_E_clISt17integral_constantIbLb0EES14_IbLb1EEEEDaS10_S11_EUlS10_E_NS1_11comp_targetILNS1_3genE5ELNS1_11target_archE942ELNS1_3gpuE9ELNS1_3repE0EEENS1_30default_config_static_selectorELNS0_4arch9wavefront6targetE0EEEvT1_,"axG",@progbits,_ZN7rocprim17ROCPRIM_400000_NS6detail17trampoline_kernelINS0_14default_configENS1_25partition_config_selectorILNS1_17partition_subalgoE9EiibEEZZNS1_14partition_implILS5_9ELb0ES3_jN6thrust23THRUST_200600_302600_NS10device_ptrIiEESB_PNS0_10empty_typeENS0_5tupleIJSB_SC_EEENSE_IJSB_SD_EEENS0_18inequality_wrapperINS9_8equal_toIiEEEEPmJSC_EEE10hipError_tPvRmT3_T4_T5_T6_T7_T9_mT8_P12ihipStream_tbDpT10_ENKUlT_T0_E_clISt17integral_constantIbLb0EES14_IbLb1EEEEDaS10_S11_EUlS10_E_NS1_11comp_targetILNS1_3genE5ELNS1_11target_archE942ELNS1_3gpuE9ELNS1_3repE0EEENS1_30default_config_static_selectorELNS0_4arch9wavefront6targetE0EEEvT1_,comdat
.Lfunc_end1294:
	.size	_ZN7rocprim17ROCPRIM_400000_NS6detail17trampoline_kernelINS0_14default_configENS1_25partition_config_selectorILNS1_17partition_subalgoE9EiibEEZZNS1_14partition_implILS5_9ELb0ES3_jN6thrust23THRUST_200600_302600_NS10device_ptrIiEESB_PNS0_10empty_typeENS0_5tupleIJSB_SC_EEENSE_IJSB_SD_EEENS0_18inequality_wrapperINS9_8equal_toIiEEEEPmJSC_EEE10hipError_tPvRmT3_T4_T5_T6_T7_T9_mT8_P12ihipStream_tbDpT10_ENKUlT_T0_E_clISt17integral_constantIbLb0EES14_IbLb1EEEEDaS10_S11_EUlS10_E_NS1_11comp_targetILNS1_3genE5ELNS1_11target_archE942ELNS1_3gpuE9ELNS1_3repE0EEENS1_30default_config_static_selectorELNS0_4arch9wavefront6targetE0EEEvT1_, .Lfunc_end1294-_ZN7rocprim17ROCPRIM_400000_NS6detail17trampoline_kernelINS0_14default_configENS1_25partition_config_selectorILNS1_17partition_subalgoE9EiibEEZZNS1_14partition_implILS5_9ELb0ES3_jN6thrust23THRUST_200600_302600_NS10device_ptrIiEESB_PNS0_10empty_typeENS0_5tupleIJSB_SC_EEENSE_IJSB_SD_EEENS0_18inequality_wrapperINS9_8equal_toIiEEEEPmJSC_EEE10hipError_tPvRmT3_T4_T5_T6_T7_T9_mT8_P12ihipStream_tbDpT10_ENKUlT_T0_E_clISt17integral_constantIbLb0EES14_IbLb1EEEEDaS10_S11_EUlS10_E_NS1_11comp_targetILNS1_3genE5ELNS1_11target_archE942ELNS1_3gpuE9ELNS1_3repE0EEENS1_30default_config_static_selectorELNS0_4arch9wavefront6targetE0EEEvT1_
                                        ; -- End function
	.section	.AMDGPU.csdata,"",@progbits
; Kernel info:
; codeLenInByte = 0
; NumSgprs: 0
; NumVgprs: 0
; ScratchSize: 0
; MemoryBound: 0
; FloatMode: 240
; IeeeMode: 1
; LDSByteSize: 0 bytes/workgroup (compile time only)
; SGPRBlocks: 0
; VGPRBlocks: 0
; NumSGPRsForWavesPerEU: 1
; NumVGPRsForWavesPerEU: 1
; Occupancy: 16
; WaveLimiterHint : 0
; COMPUTE_PGM_RSRC2:SCRATCH_EN: 0
; COMPUTE_PGM_RSRC2:USER_SGPR: 15
; COMPUTE_PGM_RSRC2:TRAP_HANDLER: 0
; COMPUTE_PGM_RSRC2:TGID_X_EN: 1
; COMPUTE_PGM_RSRC2:TGID_Y_EN: 0
; COMPUTE_PGM_RSRC2:TGID_Z_EN: 0
; COMPUTE_PGM_RSRC2:TIDIG_COMP_CNT: 0
	.section	.text._ZN7rocprim17ROCPRIM_400000_NS6detail17trampoline_kernelINS0_14default_configENS1_25partition_config_selectorILNS1_17partition_subalgoE9EiibEEZZNS1_14partition_implILS5_9ELb0ES3_jN6thrust23THRUST_200600_302600_NS10device_ptrIiEESB_PNS0_10empty_typeENS0_5tupleIJSB_SC_EEENSE_IJSB_SD_EEENS0_18inequality_wrapperINS9_8equal_toIiEEEEPmJSC_EEE10hipError_tPvRmT3_T4_T5_T6_T7_T9_mT8_P12ihipStream_tbDpT10_ENKUlT_T0_E_clISt17integral_constantIbLb0EES14_IbLb1EEEEDaS10_S11_EUlS10_E_NS1_11comp_targetILNS1_3genE4ELNS1_11target_archE910ELNS1_3gpuE8ELNS1_3repE0EEENS1_30default_config_static_selectorELNS0_4arch9wavefront6targetE0EEEvT1_,"axG",@progbits,_ZN7rocprim17ROCPRIM_400000_NS6detail17trampoline_kernelINS0_14default_configENS1_25partition_config_selectorILNS1_17partition_subalgoE9EiibEEZZNS1_14partition_implILS5_9ELb0ES3_jN6thrust23THRUST_200600_302600_NS10device_ptrIiEESB_PNS0_10empty_typeENS0_5tupleIJSB_SC_EEENSE_IJSB_SD_EEENS0_18inequality_wrapperINS9_8equal_toIiEEEEPmJSC_EEE10hipError_tPvRmT3_T4_T5_T6_T7_T9_mT8_P12ihipStream_tbDpT10_ENKUlT_T0_E_clISt17integral_constantIbLb0EES14_IbLb1EEEEDaS10_S11_EUlS10_E_NS1_11comp_targetILNS1_3genE4ELNS1_11target_archE910ELNS1_3gpuE8ELNS1_3repE0EEENS1_30default_config_static_selectorELNS0_4arch9wavefront6targetE0EEEvT1_,comdat
	.protected	_ZN7rocprim17ROCPRIM_400000_NS6detail17trampoline_kernelINS0_14default_configENS1_25partition_config_selectorILNS1_17partition_subalgoE9EiibEEZZNS1_14partition_implILS5_9ELb0ES3_jN6thrust23THRUST_200600_302600_NS10device_ptrIiEESB_PNS0_10empty_typeENS0_5tupleIJSB_SC_EEENSE_IJSB_SD_EEENS0_18inequality_wrapperINS9_8equal_toIiEEEEPmJSC_EEE10hipError_tPvRmT3_T4_T5_T6_T7_T9_mT8_P12ihipStream_tbDpT10_ENKUlT_T0_E_clISt17integral_constantIbLb0EES14_IbLb1EEEEDaS10_S11_EUlS10_E_NS1_11comp_targetILNS1_3genE4ELNS1_11target_archE910ELNS1_3gpuE8ELNS1_3repE0EEENS1_30default_config_static_selectorELNS0_4arch9wavefront6targetE0EEEvT1_ ; -- Begin function _ZN7rocprim17ROCPRIM_400000_NS6detail17trampoline_kernelINS0_14default_configENS1_25partition_config_selectorILNS1_17partition_subalgoE9EiibEEZZNS1_14partition_implILS5_9ELb0ES3_jN6thrust23THRUST_200600_302600_NS10device_ptrIiEESB_PNS0_10empty_typeENS0_5tupleIJSB_SC_EEENSE_IJSB_SD_EEENS0_18inequality_wrapperINS9_8equal_toIiEEEEPmJSC_EEE10hipError_tPvRmT3_T4_T5_T6_T7_T9_mT8_P12ihipStream_tbDpT10_ENKUlT_T0_E_clISt17integral_constantIbLb0EES14_IbLb1EEEEDaS10_S11_EUlS10_E_NS1_11comp_targetILNS1_3genE4ELNS1_11target_archE910ELNS1_3gpuE8ELNS1_3repE0EEENS1_30default_config_static_selectorELNS0_4arch9wavefront6targetE0EEEvT1_
	.globl	_ZN7rocprim17ROCPRIM_400000_NS6detail17trampoline_kernelINS0_14default_configENS1_25partition_config_selectorILNS1_17partition_subalgoE9EiibEEZZNS1_14partition_implILS5_9ELb0ES3_jN6thrust23THRUST_200600_302600_NS10device_ptrIiEESB_PNS0_10empty_typeENS0_5tupleIJSB_SC_EEENSE_IJSB_SD_EEENS0_18inequality_wrapperINS9_8equal_toIiEEEEPmJSC_EEE10hipError_tPvRmT3_T4_T5_T6_T7_T9_mT8_P12ihipStream_tbDpT10_ENKUlT_T0_E_clISt17integral_constantIbLb0EES14_IbLb1EEEEDaS10_S11_EUlS10_E_NS1_11comp_targetILNS1_3genE4ELNS1_11target_archE910ELNS1_3gpuE8ELNS1_3repE0EEENS1_30default_config_static_selectorELNS0_4arch9wavefront6targetE0EEEvT1_
	.p2align	8
	.type	_ZN7rocprim17ROCPRIM_400000_NS6detail17trampoline_kernelINS0_14default_configENS1_25partition_config_selectorILNS1_17partition_subalgoE9EiibEEZZNS1_14partition_implILS5_9ELb0ES3_jN6thrust23THRUST_200600_302600_NS10device_ptrIiEESB_PNS0_10empty_typeENS0_5tupleIJSB_SC_EEENSE_IJSB_SD_EEENS0_18inequality_wrapperINS9_8equal_toIiEEEEPmJSC_EEE10hipError_tPvRmT3_T4_T5_T6_T7_T9_mT8_P12ihipStream_tbDpT10_ENKUlT_T0_E_clISt17integral_constantIbLb0EES14_IbLb1EEEEDaS10_S11_EUlS10_E_NS1_11comp_targetILNS1_3genE4ELNS1_11target_archE910ELNS1_3gpuE8ELNS1_3repE0EEENS1_30default_config_static_selectorELNS0_4arch9wavefront6targetE0EEEvT1_,@function
_ZN7rocprim17ROCPRIM_400000_NS6detail17trampoline_kernelINS0_14default_configENS1_25partition_config_selectorILNS1_17partition_subalgoE9EiibEEZZNS1_14partition_implILS5_9ELb0ES3_jN6thrust23THRUST_200600_302600_NS10device_ptrIiEESB_PNS0_10empty_typeENS0_5tupleIJSB_SC_EEENSE_IJSB_SD_EEENS0_18inequality_wrapperINS9_8equal_toIiEEEEPmJSC_EEE10hipError_tPvRmT3_T4_T5_T6_T7_T9_mT8_P12ihipStream_tbDpT10_ENKUlT_T0_E_clISt17integral_constantIbLb0EES14_IbLb1EEEEDaS10_S11_EUlS10_E_NS1_11comp_targetILNS1_3genE4ELNS1_11target_archE910ELNS1_3gpuE8ELNS1_3repE0EEENS1_30default_config_static_selectorELNS0_4arch9wavefront6targetE0EEEvT1_: ; @_ZN7rocprim17ROCPRIM_400000_NS6detail17trampoline_kernelINS0_14default_configENS1_25partition_config_selectorILNS1_17partition_subalgoE9EiibEEZZNS1_14partition_implILS5_9ELb0ES3_jN6thrust23THRUST_200600_302600_NS10device_ptrIiEESB_PNS0_10empty_typeENS0_5tupleIJSB_SC_EEENSE_IJSB_SD_EEENS0_18inequality_wrapperINS9_8equal_toIiEEEEPmJSC_EEE10hipError_tPvRmT3_T4_T5_T6_T7_T9_mT8_P12ihipStream_tbDpT10_ENKUlT_T0_E_clISt17integral_constantIbLb0EES14_IbLb1EEEEDaS10_S11_EUlS10_E_NS1_11comp_targetILNS1_3genE4ELNS1_11target_archE910ELNS1_3gpuE8ELNS1_3repE0EEENS1_30default_config_static_selectorELNS0_4arch9wavefront6targetE0EEEvT1_
; %bb.0:
	.section	.rodata,"a",@progbits
	.p2align	6, 0x0
	.amdhsa_kernel _ZN7rocprim17ROCPRIM_400000_NS6detail17trampoline_kernelINS0_14default_configENS1_25partition_config_selectorILNS1_17partition_subalgoE9EiibEEZZNS1_14partition_implILS5_9ELb0ES3_jN6thrust23THRUST_200600_302600_NS10device_ptrIiEESB_PNS0_10empty_typeENS0_5tupleIJSB_SC_EEENSE_IJSB_SD_EEENS0_18inequality_wrapperINS9_8equal_toIiEEEEPmJSC_EEE10hipError_tPvRmT3_T4_T5_T6_T7_T9_mT8_P12ihipStream_tbDpT10_ENKUlT_T0_E_clISt17integral_constantIbLb0EES14_IbLb1EEEEDaS10_S11_EUlS10_E_NS1_11comp_targetILNS1_3genE4ELNS1_11target_archE910ELNS1_3gpuE8ELNS1_3repE0EEENS1_30default_config_static_selectorELNS0_4arch9wavefront6targetE0EEEvT1_
		.amdhsa_group_segment_fixed_size 0
		.amdhsa_private_segment_fixed_size 0
		.amdhsa_kernarg_size 128
		.amdhsa_user_sgpr_count 15
		.amdhsa_user_sgpr_dispatch_ptr 0
		.amdhsa_user_sgpr_queue_ptr 0
		.amdhsa_user_sgpr_kernarg_segment_ptr 1
		.amdhsa_user_sgpr_dispatch_id 0
		.amdhsa_user_sgpr_private_segment_size 0
		.amdhsa_wavefront_size32 1
		.amdhsa_uses_dynamic_stack 0
		.amdhsa_enable_private_segment 0
		.amdhsa_system_sgpr_workgroup_id_x 1
		.amdhsa_system_sgpr_workgroup_id_y 0
		.amdhsa_system_sgpr_workgroup_id_z 0
		.amdhsa_system_sgpr_workgroup_info 0
		.amdhsa_system_vgpr_workitem_id 0
		.amdhsa_next_free_vgpr 1
		.amdhsa_next_free_sgpr 1
		.amdhsa_reserve_vcc 0
		.amdhsa_float_round_mode_32 0
		.amdhsa_float_round_mode_16_64 0
		.amdhsa_float_denorm_mode_32 3
		.amdhsa_float_denorm_mode_16_64 3
		.amdhsa_dx10_clamp 1
		.amdhsa_ieee_mode 1
		.amdhsa_fp16_overflow 0
		.amdhsa_workgroup_processor_mode 1
		.amdhsa_memory_ordered 1
		.amdhsa_forward_progress 0
		.amdhsa_shared_vgpr_count 0
		.amdhsa_exception_fp_ieee_invalid_op 0
		.amdhsa_exception_fp_denorm_src 0
		.amdhsa_exception_fp_ieee_div_zero 0
		.amdhsa_exception_fp_ieee_overflow 0
		.amdhsa_exception_fp_ieee_underflow 0
		.amdhsa_exception_fp_ieee_inexact 0
		.amdhsa_exception_int_div_zero 0
	.end_amdhsa_kernel
	.section	.text._ZN7rocprim17ROCPRIM_400000_NS6detail17trampoline_kernelINS0_14default_configENS1_25partition_config_selectorILNS1_17partition_subalgoE9EiibEEZZNS1_14partition_implILS5_9ELb0ES3_jN6thrust23THRUST_200600_302600_NS10device_ptrIiEESB_PNS0_10empty_typeENS0_5tupleIJSB_SC_EEENSE_IJSB_SD_EEENS0_18inequality_wrapperINS9_8equal_toIiEEEEPmJSC_EEE10hipError_tPvRmT3_T4_T5_T6_T7_T9_mT8_P12ihipStream_tbDpT10_ENKUlT_T0_E_clISt17integral_constantIbLb0EES14_IbLb1EEEEDaS10_S11_EUlS10_E_NS1_11comp_targetILNS1_3genE4ELNS1_11target_archE910ELNS1_3gpuE8ELNS1_3repE0EEENS1_30default_config_static_selectorELNS0_4arch9wavefront6targetE0EEEvT1_,"axG",@progbits,_ZN7rocprim17ROCPRIM_400000_NS6detail17trampoline_kernelINS0_14default_configENS1_25partition_config_selectorILNS1_17partition_subalgoE9EiibEEZZNS1_14partition_implILS5_9ELb0ES3_jN6thrust23THRUST_200600_302600_NS10device_ptrIiEESB_PNS0_10empty_typeENS0_5tupleIJSB_SC_EEENSE_IJSB_SD_EEENS0_18inequality_wrapperINS9_8equal_toIiEEEEPmJSC_EEE10hipError_tPvRmT3_T4_T5_T6_T7_T9_mT8_P12ihipStream_tbDpT10_ENKUlT_T0_E_clISt17integral_constantIbLb0EES14_IbLb1EEEEDaS10_S11_EUlS10_E_NS1_11comp_targetILNS1_3genE4ELNS1_11target_archE910ELNS1_3gpuE8ELNS1_3repE0EEENS1_30default_config_static_selectorELNS0_4arch9wavefront6targetE0EEEvT1_,comdat
.Lfunc_end1295:
	.size	_ZN7rocprim17ROCPRIM_400000_NS6detail17trampoline_kernelINS0_14default_configENS1_25partition_config_selectorILNS1_17partition_subalgoE9EiibEEZZNS1_14partition_implILS5_9ELb0ES3_jN6thrust23THRUST_200600_302600_NS10device_ptrIiEESB_PNS0_10empty_typeENS0_5tupleIJSB_SC_EEENSE_IJSB_SD_EEENS0_18inequality_wrapperINS9_8equal_toIiEEEEPmJSC_EEE10hipError_tPvRmT3_T4_T5_T6_T7_T9_mT8_P12ihipStream_tbDpT10_ENKUlT_T0_E_clISt17integral_constantIbLb0EES14_IbLb1EEEEDaS10_S11_EUlS10_E_NS1_11comp_targetILNS1_3genE4ELNS1_11target_archE910ELNS1_3gpuE8ELNS1_3repE0EEENS1_30default_config_static_selectorELNS0_4arch9wavefront6targetE0EEEvT1_, .Lfunc_end1295-_ZN7rocprim17ROCPRIM_400000_NS6detail17trampoline_kernelINS0_14default_configENS1_25partition_config_selectorILNS1_17partition_subalgoE9EiibEEZZNS1_14partition_implILS5_9ELb0ES3_jN6thrust23THRUST_200600_302600_NS10device_ptrIiEESB_PNS0_10empty_typeENS0_5tupleIJSB_SC_EEENSE_IJSB_SD_EEENS0_18inequality_wrapperINS9_8equal_toIiEEEEPmJSC_EEE10hipError_tPvRmT3_T4_T5_T6_T7_T9_mT8_P12ihipStream_tbDpT10_ENKUlT_T0_E_clISt17integral_constantIbLb0EES14_IbLb1EEEEDaS10_S11_EUlS10_E_NS1_11comp_targetILNS1_3genE4ELNS1_11target_archE910ELNS1_3gpuE8ELNS1_3repE0EEENS1_30default_config_static_selectorELNS0_4arch9wavefront6targetE0EEEvT1_
                                        ; -- End function
	.section	.AMDGPU.csdata,"",@progbits
; Kernel info:
; codeLenInByte = 0
; NumSgprs: 0
; NumVgprs: 0
; ScratchSize: 0
; MemoryBound: 0
; FloatMode: 240
; IeeeMode: 1
; LDSByteSize: 0 bytes/workgroup (compile time only)
; SGPRBlocks: 0
; VGPRBlocks: 0
; NumSGPRsForWavesPerEU: 1
; NumVGPRsForWavesPerEU: 1
; Occupancy: 15
; WaveLimiterHint : 0
; COMPUTE_PGM_RSRC2:SCRATCH_EN: 0
; COMPUTE_PGM_RSRC2:USER_SGPR: 15
; COMPUTE_PGM_RSRC2:TRAP_HANDLER: 0
; COMPUTE_PGM_RSRC2:TGID_X_EN: 1
; COMPUTE_PGM_RSRC2:TGID_Y_EN: 0
; COMPUTE_PGM_RSRC2:TGID_Z_EN: 0
; COMPUTE_PGM_RSRC2:TIDIG_COMP_CNT: 0
	.section	.text._ZN7rocprim17ROCPRIM_400000_NS6detail17trampoline_kernelINS0_14default_configENS1_25partition_config_selectorILNS1_17partition_subalgoE9EiibEEZZNS1_14partition_implILS5_9ELb0ES3_jN6thrust23THRUST_200600_302600_NS10device_ptrIiEESB_PNS0_10empty_typeENS0_5tupleIJSB_SC_EEENSE_IJSB_SD_EEENS0_18inequality_wrapperINS9_8equal_toIiEEEEPmJSC_EEE10hipError_tPvRmT3_T4_T5_T6_T7_T9_mT8_P12ihipStream_tbDpT10_ENKUlT_T0_E_clISt17integral_constantIbLb0EES14_IbLb1EEEEDaS10_S11_EUlS10_E_NS1_11comp_targetILNS1_3genE3ELNS1_11target_archE908ELNS1_3gpuE7ELNS1_3repE0EEENS1_30default_config_static_selectorELNS0_4arch9wavefront6targetE0EEEvT1_,"axG",@progbits,_ZN7rocprim17ROCPRIM_400000_NS6detail17trampoline_kernelINS0_14default_configENS1_25partition_config_selectorILNS1_17partition_subalgoE9EiibEEZZNS1_14partition_implILS5_9ELb0ES3_jN6thrust23THRUST_200600_302600_NS10device_ptrIiEESB_PNS0_10empty_typeENS0_5tupleIJSB_SC_EEENSE_IJSB_SD_EEENS0_18inequality_wrapperINS9_8equal_toIiEEEEPmJSC_EEE10hipError_tPvRmT3_T4_T5_T6_T7_T9_mT8_P12ihipStream_tbDpT10_ENKUlT_T0_E_clISt17integral_constantIbLb0EES14_IbLb1EEEEDaS10_S11_EUlS10_E_NS1_11comp_targetILNS1_3genE3ELNS1_11target_archE908ELNS1_3gpuE7ELNS1_3repE0EEENS1_30default_config_static_selectorELNS0_4arch9wavefront6targetE0EEEvT1_,comdat
	.protected	_ZN7rocprim17ROCPRIM_400000_NS6detail17trampoline_kernelINS0_14default_configENS1_25partition_config_selectorILNS1_17partition_subalgoE9EiibEEZZNS1_14partition_implILS5_9ELb0ES3_jN6thrust23THRUST_200600_302600_NS10device_ptrIiEESB_PNS0_10empty_typeENS0_5tupleIJSB_SC_EEENSE_IJSB_SD_EEENS0_18inequality_wrapperINS9_8equal_toIiEEEEPmJSC_EEE10hipError_tPvRmT3_T4_T5_T6_T7_T9_mT8_P12ihipStream_tbDpT10_ENKUlT_T0_E_clISt17integral_constantIbLb0EES14_IbLb1EEEEDaS10_S11_EUlS10_E_NS1_11comp_targetILNS1_3genE3ELNS1_11target_archE908ELNS1_3gpuE7ELNS1_3repE0EEENS1_30default_config_static_selectorELNS0_4arch9wavefront6targetE0EEEvT1_ ; -- Begin function _ZN7rocprim17ROCPRIM_400000_NS6detail17trampoline_kernelINS0_14default_configENS1_25partition_config_selectorILNS1_17partition_subalgoE9EiibEEZZNS1_14partition_implILS5_9ELb0ES3_jN6thrust23THRUST_200600_302600_NS10device_ptrIiEESB_PNS0_10empty_typeENS0_5tupleIJSB_SC_EEENSE_IJSB_SD_EEENS0_18inequality_wrapperINS9_8equal_toIiEEEEPmJSC_EEE10hipError_tPvRmT3_T4_T5_T6_T7_T9_mT8_P12ihipStream_tbDpT10_ENKUlT_T0_E_clISt17integral_constantIbLb0EES14_IbLb1EEEEDaS10_S11_EUlS10_E_NS1_11comp_targetILNS1_3genE3ELNS1_11target_archE908ELNS1_3gpuE7ELNS1_3repE0EEENS1_30default_config_static_selectorELNS0_4arch9wavefront6targetE0EEEvT1_
	.globl	_ZN7rocprim17ROCPRIM_400000_NS6detail17trampoline_kernelINS0_14default_configENS1_25partition_config_selectorILNS1_17partition_subalgoE9EiibEEZZNS1_14partition_implILS5_9ELb0ES3_jN6thrust23THRUST_200600_302600_NS10device_ptrIiEESB_PNS0_10empty_typeENS0_5tupleIJSB_SC_EEENSE_IJSB_SD_EEENS0_18inequality_wrapperINS9_8equal_toIiEEEEPmJSC_EEE10hipError_tPvRmT3_T4_T5_T6_T7_T9_mT8_P12ihipStream_tbDpT10_ENKUlT_T0_E_clISt17integral_constantIbLb0EES14_IbLb1EEEEDaS10_S11_EUlS10_E_NS1_11comp_targetILNS1_3genE3ELNS1_11target_archE908ELNS1_3gpuE7ELNS1_3repE0EEENS1_30default_config_static_selectorELNS0_4arch9wavefront6targetE0EEEvT1_
	.p2align	8
	.type	_ZN7rocprim17ROCPRIM_400000_NS6detail17trampoline_kernelINS0_14default_configENS1_25partition_config_selectorILNS1_17partition_subalgoE9EiibEEZZNS1_14partition_implILS5_9ELb0ES3_jN6thrust23THRUST_200600_302600_NS10device_ptrIiEESB_PNS0_10empty_typeENS0_5tupleIJSB_SC_EEENSE_IJSB_SD_EEENS0_18inequality_wrapperINS9_8equal_toIiEEEEPmJSC_EEE10hipError_tPvRmT3_T4_T5_T6_T7_T9_mT8_P12ihipStream_tbDpT10_ENKUlT_T0_E_clISt17integral_constantIbLb0EES14_IbLb1EEEEDaS10_S11_EUlS10_E_NS1_11comp_targetILNS1_3genE3ELNS1_11target_archE908ELNS1_3gpuE7ELNS1_3repE0EEENS1_30default_config_static_selectorELNS0_4arch9wavefront6targetE0EEEvT1_,@function
_ZN7rocprim17ROCPRIM_400000_NS6detail17trampoline_kernelINS0_14default_configENS1_25partition_config_selectorILNS1_17partition_subalgoE9EiibEEZZNS1_14partition_implILS5_9ELb0ES3_jN6thrust23THRUST_200600_302600_NS10device_ptrIiEESB_PNS0_10empty_typeENS0_5tupleIJSB_SC_EEENSE_IJSB_SD_EEENS0_18inequality_wrapperINS9_8equal_toIiEEEEPmJSC_EEE10hipError_tPvRmT3_T4_T5_T6_T7_T9_mT8_P12ihipStream_tbDpT10_ENKUlT_T0_E_clISt17integral_constantIbLb0EES14_IbLb1EEEEDaS10_S11_EUlS10_E_NS1_11comp_targetILNS1_3genE3ELNS1_11target_archE908ELNS1_3gpuE7ELNS1_3repE0EEENS1_30default_config_static_selectorELNS0_4arch9wavefront6targetE0EEEvT1_: ; @_ZN7rocprim17ROCPRIM_400000_NS6detail17trampoline_kernelINS0_14default_configENS1_25partition_config_selectorILNS1_17partition_subalgoE9EiibEEZZNS1_14partition_implILS5_9ELb0ES3_jN6thrust23THRUST_200600_302600_NS10device_ptrIiEESB_PNS0_10empty_typeENS0_5tupleIJSB_SC_EEENSE_IJSB_SD_EEENS0_18inequality_wrapperINS9_8equal_toIiEEEEPmJSC_EEE10hipError_tPvRmT3_T4_T5_T6_T7_T9_mT8_P12ihipStream_tbDpT10_ENKUlT_T0_E_clISt17integral_constantIbLb0EES14_IbLb1EEEEDaS10_S11_EUlS10_E_NS1_11comp_targetILNS1_3genE3ELNS1_11target_archE908ELNS1_3gpuE7ELNS1_3repE0EEENS1_30default_config_static_selectorELNS0_4arch9wavefront6targetE0EEEvT1_
; %bb.0:
	.section	.rodata,"a",@progbits
	.p2align	6, 0x0
	.amdhsa_kernel _ZN7rocprim17ROCPRIM_400000_NS6detail17trampoline_kernelINS0_14default_configENS1_25partition_config_selectorILNS1_17partition_subalgoE9EiibEEZZNS1_14partition_implILS5_9ELb0ES3_jN6thrust23THRUST_200600_302600_NS10device_ptrIiEESB_PNS0_10empty_typeENS0_5tupleIJSB_SC_EEENSE_IJSB_SD_EEENS0_18inequality_wrapperINS9_8equal_toIiEEEEPmJSC_EEE10hipError_tPvRmT3_T4_T5_T6_T7_T9_mT8_P12ihipStream_tbDpT10_ENKUlT_T0_E_clISt17integral_constantIbLb0EES14_IbLb1EEEEDaS10_S11_EUlS10_E_NS1_11comp_targetILNS1_3genE3ELNS1_11target_archE908ELNS1_3gpuE7ELNS1_3repE0EEENS1_30default_config_static_selectorELNS0_4arch9wavefront6targetE0EEEvT1_
		.amdhsa_group_segment_fixed_size 0
		.amdhsa_private_segment_fixed_size 0
		.amdhsa_kernarg_size 128
		.amdhsa_user_sgpr_count 15
		.amdhsa_user_sgpr_dispatch_ptr 0
		.amdhsa_user_sgpr_queue_ptr 0
		.amdhsa_user_sgpr_kernarg_segment_ptr 1
		.amdhsa_user_sgpr_dispatch_id 0
		.amdhsa_user_sgpr_private_segment_size 0
		.amdhsa_wavefront_size32 1
		.amdhsa_uses_dynamic_stack 0
		.amdhsa_enable_private_segment 0
		.amdhsa_system_sgpr_workgroup_id_x 1
		.amdhsa_system_sgpr_workgroup_id_y 0
		.amdhsa_system_sgpr_workgroup_id_z 0
		.amdhsa_system_sgpr_workgroup_info 0
		.amdhsa_system_vgpr_workitem_id 0
		.amdhsa_next_free_vgpr 1
		.amdhsa_next_free_sgpr 1
		.amdhsa_reserve_vcc 0
		.amdhsa_float_round_mode_32 0
		.amdhsa_float_round_mode_16_64 0
		.amdhsa_float_denorm_mode_32 3
		.amdhsa_float_denorm_mode_16_64 3
		.amdhsa_dx10_clamp 1
		.amdhsa_ieee_mode 1
		.amdhsa_fp16_overflow 0
		.amdhsa_workgroup_processor_mode 1
		.amdhsa_memory_ordered 1
		.amdhsa_forward_progress 0
		.amdhsa_shared_vgpr_count 0
		.amdhsa_exception_fp_ieee_invalid_op 0
		.amdhsa_exception_fp_denorm_src 0
		.amdhsa_exception_fp_ieee_div_zero 0
		.amdhsa_exception_fp_ieee_overflow 0
		.amdhsa_exception_fp_ieee_underflow 0
		.amdhsa_exception_fp_ieee_inexact 0
		.amdhsa_exception_int_div_zero 0
	.end_amdhsa_kernel
	.section	.text._ZN7rocprim17ROCPRIM_400000_NS6detail17trampoline_kernelINS0_14default_configENS1_25partition_config_selectorILNS1_17partition_subalgoE9EiibEEZZNS1_14partition_implILS5_9ELb0ES3_jN6thrust23THRUST_200600_302600_NS10device_ptrIiEESB_PNS0_10empty_typeENS0_5tupleIJSB_SC_EEENSE_IJSB_SD_EEENS0_18inequality_wrapperINS9_8equal_toIiEEEEPmJSC_EEE10hipError_tPvRmT3_T4_T5_T6_T7_T9_mT8_P12ihipStream_tbDpT10_ENKUlT_T0_E_clISt17integral_constantIbLb0EES14_IbLb1EEEEDaS10_S11_EUlS10_E_NS1_11comp_targetILNS1_3genE3ELNS1_11target_archE908ELNS1_3gpuE7ELNS1_3repE0EEENS1_30default_config_static_selectorELNS0_4arch9wavefront6targetE0EEEvT1_,"axG",@progbits,_ZN7rocprim17ROCPRIM_400000_NS6detail17trampoline_kernelINS0_14default_configENS1_25partition_config_selectorILNS1_17partition_subalgoE9EiibEEZZNS1_14partition_implILS5_9ELb0ES3_jN6thrust23THRUST_200600_302600_NS10device_ptrIiEESB_PNS0_10empty_typeENS0_5tupleIJSB_SC_EEENSE_IJSB_SD_EEENS0_18inequality_wrapperINS9_8equal_toIiEEEEPmJSC_EEE10hipError_tPvRmT3_T4_T5_T6_T7_T9_mT8_P12ihipStream_tbDpT10_ENKUlT_T0_E_clISt17integral_constantIbLb0EES14_IbLb1EEEEDaS10_S11_EUlS10_E_NS1_11comp_targetILNS1_3genE3ELNS1_11target_archE908ELNS1_3gpuE7ELNS1_3repE0EEENS1_30default_config_static_selectorELNS0_4arch9wavefront6targetE0EEEvT1_,comdat
.Lfunc_end1296:
	.size	_ZN7rocprim17ROCPRIM_400000_NS6detail17trampoline_kernelINS0_14default_configENS1_25partition_config_selectorILNS1_17partition_subalgoE9EiibEEZZNS1_14partition_implILS5_9ELb0ES3_jN6thrust23THRUST_200600_302600_NS10device_ptrIiEESB_PNS0_10empty_typeENS0_5tupleIJSB_SC_EEENSE_IJSB_SD_EEENS0_18inequality_wrapperINS9_8equal_toIiEEEEPmJSC_EEE10hipError_tPvRmT3_T4_T5_T6_T7_T9_mT8_P12ihipStream_tbDpT10_ENKUlT_T0_E_clISt17integral_constantIbLb0EES14_IbLb1EEEEDaS10_S11_EUlS10_E_NS1_11comp_targetILNS1_3genE3ELNS1_11target_archE908ELNS1_3gpuE7ELNS1_3repE0EEENS1_30default_config_static_selectorELNS0_4arch9wavefront6targetE0EEEvT1_, .Lfunc_end1296-_ZN7rocprim17ROCPRIM_400000_NS6detail17trampoline_kernelINS0_14default_configENS1_25partition_config_selectorILNS1_17partition_subalgoE9EiibEEZZNS1_14partition_implILS5_9ELb0ES3_jN6thrust23THRUST_200600_302600_NS10device_ptrIiEESB_PNS0_10empty_typeENS0_5tupleIJSB_SC_EEENSE_IJSB_SD_EEENS0_18inequality_wrapperINS9_8equal_toIiEEEEPmJSC_EEE10hipError_tPvRmT3_T4_T5_T6_T7_T9_mT8_P12ihipStream_tbDpT10_ENKUlT_T0_E_clISt17integral_constantIbLb0EES14_IbLb1EEEEDaS10_S11_EUlS10_E_NS1_11comp_targetILNS1_3genE3ELNS1_11target_archE908ELNS1_3gpuE7ELNS1_3repE0EEENS1_30default_config_static_selectorELNS0_4arch9wavefront6targetE0EEEvT1_
                                        ; -- End function
	.section	.AMDGPU.csdata,"",@progbits
; Kernel info:
; codeLenInByte = 0
; NumSgprs: 0
; NumVgprs: 0
; ScratchSize: 0
; MemoryBound: 0
; FloatMode: 240
; IeeeMode: 1
; LDSByteSize: 0 bytes/workgroup (compile time only)
; SGPRBlocks: 0
; VGPRBlocks: 0
; NumSGPRsForWavesPerEU: 1
; NumVGPRsForWavesPerEU: 1
; Occupancy: 16
; WaveLimiterHint : 0
; COMPUTE_PGM_RSRC2:SCRATCH_EN: 0
; COMPUTE_PGM_RSRC2:USER_SGPR: 15
; COMPUTE_PGM_RSRC2:TRAP_HANDLER: 0
; COMPUTE_PGM_RSRC2:TGID_X_EN: 1
; COMPUTE_PGM_RSRC2:TGID_Y_EN: 0
; COMPUTE_PGM_RSRC2:TGID_Z_EN: 0
; COMPUTE_PGM_RSRC2:TIDIG_COMP_CNT: 0
	.section	.text._ZN7rocprim17ROCPRIM_400000_NS6detail17trampoline_kernelINS0_14default_configENS1_25partition_config_selectorILNS1_17partition_subalgoE9EiibEEZZNS1_14partition_implILS5_9ELb0ES3_jN6thrust23THRUST_200600_302600_NS10device_ptrIiEESB_PNS0_10empty_typeENS0_5tupleIJSB_SC_EEENSE_IJSB_SD_EEENS0_18inequality_wrapperINS9_8equal_toIiEEEEPmJSC_EEE10hipError_tPvRmT3_T4_T5_T6_T7_T9_mT8_P12ihipStream_tbDpT10_ENKUlT_T0_E_clISt17integral_constantIbLb0EES14_IbLb1EEEEDaS10_S11_EUlS10_E_NS1_11comp_targetILNS1_3genE2ELNS1_11target_archE906ELNS1_3gpuE6ELNS1_3repE0EEENS1_30default_config_static_selectorELNS0_4arch9wavefront6targetE0EEEvT1_,"axG",@progbits,_ZN7rocprim17ROCPRIM_400000_NS6detail17trampoline_kernelINS0_14default_configENS1_25partition_config_selectorILNS1_17partition_subalgoE9EiibEEZZNS1_14partition_implILS5_9ELb0ES3_jN6thrust23THRUST_200600_302600_NS10device_ptrIiEESB_PNS0_10empty_typeENS0_5tupleIJSB_SC_EEENSE_IJSB_SD_EEENS0_18inequality_wrapperINS9_8equal_toIiEEEEPmJSC_EEE10hipError_tPvRmT3_T4_T5_T6_T7_T9_mT8_P12ihipStream_tbDpT10_ENKUlT_T0_E_clISt17integral_constantIbLb0EES14_IbLb1EEEEDaS10_S11_EUlS10_E_NS1_11comp_targetILNS1_3genE2ELNS1_11target_archE906ELNS1_3gpuE6ELNS1_3repE0EEENS1_30default_config_static_selectorELNS0_4arch9wavefront6targetE0EEEvT1_,comdat
	.protected	_ZN7rocprim17ROCPRIM_400000_NS6detail17trampoline_kernelINS0_14default_configENS1_25partition_config_selectorILNS1_17partition_subalgoE9EiibEEZZNS1_14partition_implILS5_9ELb0ES3_jN6thrust23THRUST_200600_302600_NS10device_ptrIiEESB_PNS0_10empty_typeENS0_5tupleIJSB_SC_EEENSE_IJSB_SD_EEENS0_18inequality_wrapperINS9_8equal_toIiEEEEPmJSC_EEE10hipError_tPvRmT3_T4_T5_T6_T7_T9_mT8_P12ihipStream_tbDpT10_ENKUlT_T0_E_clISt17integral_constantIbLb0EES14_IbLb1EEEEDaS10_S11_EUlS10_E_NS1_11comp_targetILNS1_3genE2ELNS1_11target_archE906ELNS1_3gpuE6ELNS1_3repE0EEENS1_30default_config_static_selectorELNS0_4arch9wavefront6targetE0EEEvT1_ ; -- Begin function _ZN7rocprim17ROCPRIM_400000_NS6detail17trampoline_kernelINS0_14default_configENS1_25partition_config_selectorILNS1_17partition_subalgoE9EiibEEZZNS1_14partition_implILS5_9ELb0ES3_jN6thrust23THRUST_200600_302600_NS10device_ptrIiEESB_PNS0_10empty_typeENS0_5tupleIJSB_SC_EEENSE_IJSB_SD_EEENS0_18inequality_wrapperINS9_8equal_toIiEEEEPmJSC_EEE10hipError_tPvRmT3_T4_T5_T6_T7_T9_mT8_P12ihipStream_tbDpT10_ENKUlT_T0_E_clISt17integral_constantIbLb0EES14_IbLb1EEEEDaS10_S11_EUlS10_E_NS1_11comp_targetILNS1_3genE2ELNS1_11target_archE906ELNS1_3gpuE6ELNS1_3repE0EEENS1_30default_config_static_selectorELNS0_4arch9wavefront6targetE0EEEvT1_
	.globl	_ZN7rocprim17ROCPRIM_400000_NS6detail17trampoline_kernelINS0_14default_configENS1_25partition_config_selectorILNS1_17partition_subalgoE9EiibEEZZNS1_14partition_implILS5_9ELb0ES3_jN6thrust23THRUST_200600_302600_NS10device_ptrIiEESB_PNS0_10empty_typeENS0_5tupleIJSB_SC_EEENSE_IJSB_SD_EEENS0_18inequality_wrapperINS9_8equal_toIiEEEEPmJSC_EEE10hipError_tPvRmT3_T4_T5_T6_T7_T9_mT8_P12ihipStream_tbDpT10_ENKUlT_T0_E_clISt17integral_constantIbLb0EES14_IbLb1EEEEDaS10_S11_EUlS10_E_NS1_11comp_targetILNS1_3genE2ELNS1_11target_archE906ELNS1_3gpuE6ELNS1_3repE0EEENS1_30default_config_static_selectorELNS0_4arch9wavefront6targetE0EEEvT1_
	.p2align	8
	.type	_ZN7rocprim17ROCPRIM_400000_NS6detail17trampoline_kernelINS0_14default_configENS1_25partition_config_selectorILNS1_17partition_subalgoE9EiibEEZZNS1_14partition_implILS5_9ELb0ES3_jN6thrust23THRUST_200600_302600_NS10device_ptrIiEESB_PNS0_10empty_typeENS0_5tupleIJSB_SC_EEENSE_IJSB_SD_EEENS0_18inequality_wrapperINS9_8equal_toIiEEEEPmJSC_EEE10hipError_tPvRmT3_T4_T5_T6_T7_T9_mT8_P12ihipStream_tbDpT10_ENKUlT_T0_E_clISt17integral_constantIbLb0EES14_IbLb1EEEEDaS10_S11_EUlS10_E_NS1_11comp_targetILNS1_3genE2ELNS1_11target_archE906ELNS1_3gpuE6ELNS1_3repE0EEENS1_30default_config_static_selectorELNS0_4arch9wavefront6targetE0EEEvT1_,@function
_ZN7rocprim17ROCPRIM_400000_NS6detail17trampoline_kernelINS0_14default_configENS1_25partition_config_selectorILNS1_17partition_subalgoE9EiibEEZZNS1_14partition_implILS5_9ELb0ES3_jN6thrust23THRUST_200600_302600_NS10device_ptrIiEESB_PNS0_10empty_typeENS0_5tupleIJSB_SC_EEENSE_IJSB_SD_EEENS0_18inequality_wrapperINS9_8equal_toIiEEEEPmJSC_EEE10hipError_tPvRmT3_T4_T5_T6_T7_T9_mT8_P12ihipStream_tbDpT10_ENKUlT_T0_E_clISt17integral_constantIbLb0EES14_IbLb1EEEEDaS10_S11_EUlS10_E_NS1_11comp_targetILNS1_3genE2ELNS1_11target_archE906ELNS1_3gpuE6ELNS1_3repE0EEENS1_30default_config_static_selectorELNS0_4arch9wavefront6targetE0EEEvT1_: ; @_ZN7rocprim17ROCPRIM_400000_NS6detail17trampoline_kernelINS0_14default_configENS1_25partition_config_selectorILNS1_17partition_subalgoE9EiibEEZZNS1_14partition_implILS5_9ELb0ES3_jN6thrust23THRUST_200600_302600_NS10device_ptrIiEESB_PNS0_10empty_typeENS0_5tupleIJSB_SC_EEENSE_IJSB_SD_EEENS0_18inequality_wrapperINS9_8equal_toIiEEEEPmJSC_EEE10hipError_tPvRmT3_T4_T5_T6_T7_T9_mT8_P12ihipStream_tbDpT10_ENKUlT_T0_E_clISt17integral_constantIbLb0EES14_IbLb1EEEEDaS10_S11_EUlS10_E_NS1_11comp_targetILNS1_3genE2ELNS1_11target_archE906ELNS1_3gpuE6ELNS1_3repE0EEENS1_30default_config_static_selectorELNS0_4arch9wavefront6targetE0EEEvT1_
; %bb.0:
	.section	.rodata,"a",@progbits
	.p2align	6, 0x0
	.amdhsa_kernel _ZN7rocprim17ROCPRIM_400000_NS6detail17trampoline_kernelINS0_14default_configENS1_25partition_config_selectorILNS1_17partition_subalgoE9EiibEEZZNS1_14partition_implILS5_9ELb0ES3_jN6thrust23THRUST_200600_302600_NS10device_ptrIiEESB_PNS0_10empty_typeENS0_5tupleIJSB_SC_EEENSE_IJSB_SD_EEENS0_18inequality_wrapperINS9_8equal_toIiEEEEPmJSC_EEE10hipError_tPvRmT3_T4_T5_T6_T7_T9_mT8_P12ihipStream_tbDpT10_ENKUlT_T0_E_clISt17integral_constantIbLb0EES14_IbLb1EEEEDaS10_S11_EUlS10_E_NS1_11comp_targetILNS1_3genE2ELNS1_11target_archE906ELNS1_3gpuE6ELNS1_3repE0EEENS1_30default_config_static_selectorELNS0_4arch9wavefront6targetE0EEEvT1_
		.amdhsa_group_segment_fixed_size 0
		.amdhsa_private_segment_fixed_size 0
		.amdhsa_kernarg_size 128
		.amdhsa_user_sgpr_count 15
		.amdhsa_user_sgpr_dispatch_ptr 0
		.amdhsa_user_sgpr_queue_ptr 0
		.amdhsa_user_sgpr_kernarg_segment_ptr 1
		.amdhsa_user_sgpr_dispatch_id 0
		.amdhsa_user_sgpr_private_segment_size 0
		.amdhsa_wavefront_size32 1
		.amdhsa_uses_dynamic_stack 0
		.amdhsa_enable_private_segment 0
		.amdhsa_system_sgpr_workgroup_id_x 1
		.amdhsa_system_sgpr_workgroup_id_y 0
		.amdhsa_system_sgpr_workgroup_id_z 0
		.amdhsa_system_sgpr_workgroup_info 0
		.amdhsa_system_vgpr_workitem_id 0
		.amdhsa_next_free_vgpr 1
		.amdhsa_next_free_sgpr 1
		.amdhsa_reserve_vcc 0
		.amdhsa_float_round_mode_32 0
		.amdhsa_float_round_mode_16_64 0
		.amdhsa_float_denorm_mode_32 3
		.amdhsa_float_denorm_mode_16_64 3
		.amdhsa_dx10_clamp 1
		.amdhsa_ieee_mode 1
		.amdhsa_fp16_overflow 0
		.amdhsa_workgroup_processor_mode 1
		.amdhsa_memory_ordered 1
		.amdhsa_forward_progress 0
		.amdhsa_shared_vgpr_count 0
		.amdhsa_exception_fp_ieee_invalid_op 0
		.amdhsa_exception_fp_denorm_src 0
		.amdhsa_exception_fp_ieee_div_zero 0
		.amdhsa_exception_fp_ieee_overflow 0
		.amdhsa_exception_fp_ieee_underflow 0
		.amdhsa_exception_fp_ieee_inexact 0
		.amdhsa_exception_int_div_zero 0
	.end_amdhsa_kernel
	.section	.text._ZN7rocprim17ROCPRIM_400000_NS6detail17trampoline_kernelINS0_14default_configENS1_25partition_config_selectorILNS1_17partition_subalgoE9EiibEEZZNS1_14partition_implILS5_9ELb0ES3_jN6thrust23THRUST_200600_302600_NS10device_ptrIiEESB_PNS0_10empty_typeENS0_5tupleIJSB_SC_EEENSE_IJSB_SD_EEENS0_18inequality_wrapperINS9_8equal_toIiEEEEPmJSC_EEE10hipError_tPvRmT3_T4_T5_T6_T7_T9_mT8_P12ihipStream_tbDpT10_ENKUlT_T0_E_clISt17integral_constantIbLb0EES14_IbLb1EEEEDaS10_S11_EUlS10_E_NS1_11comp_targetILNS1_3genE2ELNS1_11target_archE906ELNS1_3gpuE6ELNS1_3repE0EEENS1_30default_config_static_selectorELNS0_4arch9wavefront6targetE0EEEvT1_,"axG",@progbits,_ZN7rocprim17ROCPRIM_400000_NS6detail17trampoline_kernelINS0_14default_configENS1_25partition_config_selectorILNS1_17partition_subalgoE9EiibEEZZNS1_14partition_implILS5_9ELb0ES3_jN6thrust23THRUST_200600_302600_NS10device_ptrIiEESB_PNS0_10empty_typeENS0_5tupleIJSB_SC_EEENSE_IJSB_SD_EEENS0_18inequality_wrapperINS9_8equal_toIiEEEEPmJSC_EEE10hipError_tPvRmT3_T4_T5_T6_T7_T9_mT8_P12ihipStream_tbDpT10_ENKUlT_T0_E_clISt17integral_constantIbLb0EES14_IbLb1EEEEDaS10_S11_EUlS10_E_NS1_11comp_targetILNS1_3genE2ELNS1_11target_archE906ELNS1_3gpuE6ELNS1_3repE0EEENS1_30default_config_static_selectorELNS0_4arch9wavefront6targetE0EEEvT1_,comdat
.Lfunc_end1297:
	.size	_ZN7rocprim17ROCPRIM_400000_NS6detail17trampoline_kernelINS0_14default_configENS1_25partition_config_selectorILNS1_17partition_subalgoE9EiibEEZZNS1_14partition_implILS5_9ELb0ES3_jN6thrust23THRUST_200600_302600_NS10device_ptrIiEESB_PNS0_10empty_typeENS0_5tupleIJSB_SC_EEENSE_IJSB_SD_EEENS0_18inequality_wrapperINS9_8equal_toIiEEEEPmJSC_EEE10hipError_tPvRmT3_T4_T5_T6_T7_T9_mT8_P12ihipStream_tbDpT10_ENKUlT_T0_E_clISt17integral_constantIbLb0EES14_IbLb1EEEEDaS10_S11_EUlS10_E_NS1_11comp_targetILNS1_3genE2ELNS1_11target_archE906ELNS1_3gpuE6ELNS1_3repE0EEENS1_30default_config_static_selectorELNS0_4arch9wavefront6targetE0EEEvT1_, .Lfunc_end1297-_ZN7rocprim17ROCPRIM_400000_NS6detail17trampoline_kernelINS0_14default_configENS1_25partition_config_selectorILNS1_17partition_subalgoE9EiibEEZZNS1_14partition_implILS5_9ELb0ES3_jN6thrust23THRUST_200600_302600_NS10device_ptrIiEESB_PNS0_10empty_typeENS0_5tupleIJSB_SC_EEENSE_IJSB_SD_EEENS0_18inequality_wrapperINS9_8equal_toIiEEEEPmJSC_EEE10hipError_tPvRmT3_T4_T5_T6_T7_T9_mT8_P12ihipStream_tbDpT10_ENKUlT_T0_E_clISt17integral_constantIbLb0EES14_IbLb1EEEEDaS10_S11_EUlS10_E_NS1_11comp_targetILNS1_3genE2ELNS1_11target_archE906ELNS1_3gpuE6ELNS1_3repE0EEENS1_30default_config_static_selectorELNS0_4arch9wavefront6targetE0EEEvT1_
                                        ; -- End function
	.section	.AMDGPU.csdata,"",@progbits
; Kernel info:
; codeLenInByte = 0
; NumSgprs: 0
; NumVgprs: 0
; ScratchSize: 0
; MemoryBound: 0
; FloatMode: 240
; IeeeMode: 1
; LDSByteSize: 0 bytes/workgroup (compile time only)
; SGPRBlocks: 0
; VGPRBlocks: 0
; NumSGPRsForWavesPerEU: 1
; NumVGPRsForWavesPerEU: 1
; Occupancy: 16
; WaveLimiterHint : 0
; COMPUTE_PGM_RSRC2:SCRATCH_EN: 0
; COMPUTE_PGM_RSRC2:USER_SGPR: 15
; COMPUTE_PGM_RSRC2:TRAP_HANDLER: 0
; COMPUTE_PGM_RSRC2:TGID_X_EN: 1
; COMPUTE_PGM_RSRC2:TGID_Y_EN: 0
; COMPUTE_PGM_RSRC2:TGID_Z_EN: 0
; COMPUTE_PGM_RSRC2:TIDIG_COMP_CNT: 0
	.section	.text._ZN7rocprim17ROCPRIM_400000_NS6detail17trampoline_kernelINS0_14default_configENS1_25partition_config_selectorILNS1_17partition_subalgoE9EiibEEZZNS1_14partition_implILS5_9ELb0ES3_jN6thrust23THRUST_200600_302600_NS10device_ptrIiEESB_PNS0_10empty_typeENS0_5tupleIJSB_SC_EEENSE_IJSB_SD_EEENS0_18inequality_wrapperINS9_8equal_toIiEEEEPmJSC_EEE10hipError_tPvRmT3_T4_T5_T6_T7_T9_mT8_P12ihipStream_tbDpT10_ENKUlT_T0_E_clISt17integral_constantIbLb0EES14_IbLb1EEEEDaS10_S11_EUlS10_E_NS1_11comp_targetILNS1_3genE10ELNS1_11target_archE1200ELNS1_3gpuE4ELNS1_3repE0EEENS1_30default_config_static_selectorELNS0_4arch9wavefront6targetE0EEEvT1_,"axG",@progbits,_ZN7rocprim17ROCPRIM_400000_NS6detail17trampoline_kernelINS0_14default_configENS1_25partition_config_selectorILNS1_17partition_subalgoE9EiibEEZZNS1_14partition_implILS5_9ELb0ES3_jN6thrust23THRUST_200600_302600_NS10device_ptrIiEESB_PNS0_10empty_typeENS0_5tupleIJSB_SC_EEENSE_IJSB_SD_EEENS0_18inequality_wrapperINS9_8equal_toIiEEEEPmJSC_EEE10hipError_tPvRmT3_T4_T5_T6_T7_T9_mT8_P12ihipStream_tbDpT10_ENKUlT_T0_E_clISt17integral_constantIbLb0EES14_IbLb1EEEEDaS10_S11_EUlS10_E_NS1_11comp_targetILNS1_3genE10ELNS1_11target_archE1200ELNS1_3gpuE4ELNS1_3repE0EEENS1_30default_config_static_selectorELNS0_4arch9wavefront6targetE0EEEvT1_,comdat
	.protected	_ZN7rocprim17ROCPRIM_400000_NS6detail17trampoline_kernelINS0_14default_configENS1_25partition_config_selectorILNS1_17partition_subalgoE9EiibEEZZNS1_14partition_implILS5_9ELb0ES3_jN6thrust23THRUST_200600_302600_NS10device_ptrIiEESB_PNS0_10empty_typeENS0_5tupleIJSB_SC_EEENSE_IJSB_SD_EEENS0_18inequality_wrapperINS9_8equal_toIiEEEEPmJSC_EEE10hipError_tPvRmT3_T4_T5_T6_T7_T9_mT8_P12ihipStream_tbDpT10_ENKUlT_T0_E_clISt17integral_constantIbLb0EES14_IbLb1EEEEDaS10_S11_EUlS10_E_NS1_11comp_targetILNS1_3genE10ELNS1_11target_archE1200ELNS1_3gpuE4ELNS1_3repE0EEENS1_30default_config_static_selectorELNS0_4arch9wavefront6targetE0EEEvT1_ ; -- Begin function _ZN7rocprim17ROCPRIM_400000_NS6detail17trampoline_kernelINS0_14default_configENS1_25partition_config_selectorILNS1_17partition_subalgoE9EiibEEZZNS1_14partition_implILS5_9ELb0ES3_jN6thrust23THRUST_200600_302600_NS10device_ptrIiEESB_PNS0_10empty_typeENS0_5tupleIJSB_SC_EEENSE_IJSB_SD_EEENS0_18inequality_wrapperINS9_8equal_toIiEEEEPmJSC_EEE10hipError_tPvRmT3_T4_T5_T6_T7_T9_mT8_P12ihipStream_tbDpT10_ENKUlT_T0_E_clISt17integral_constantIbLb0EES14_IbLb1EEEEDaS10_S11_EUlS10_E_NS1_11comp_targetILNS1_3genE10ELNS1_11target_archE1200ELNS1_3gpuE4ELNS1_3repE0EEENS1_30default_config_static_selectorELNS0_4arch9wavefront6targetE0EEEvT1_
	.globl	_ZN7rocprim17ROCPRIM_400000_NS6detail17trampoline_kernelINS0_14default_configENS1_25partition_config_selectorILNS1_17partition_subalgoE9EiibEEZZNS1_14partition_implILS5_9ELb0ES3_jN6thrust23THRUST_200600_302600_NS10device_ptrIiEESB_PNS0_10empty_typeENS0_5tupleIJSB_SC_EEENSE_IJSB_SD_EEENS0_18inequality_wrapperINS9_8equal_toIiEEEEPmJSC_EEE10hipError_tPvRmT3_T4_T5_T6_T7_T9_mT8_P12ihipStream_tbDpT10_ENKUlT_T0_E_clISt17integral_constantIbLb0EES14_IbLb1EEEEDaS10_S11_EUlS10_E_NS1_11comp_targetILNS1_3genE10ELNS1_11target_archE1200ELNS1_3gpuE4ELNS1_3repE0EEENS1_30default_config_static_selectorELNS0_4arch9wavefront6targetE0EEEvT1_
	.p2align	8
	.type	_ZN7rocprim17ROCPRIM_400000_NS6detail17trampoline_kernelINS0_14default_configENS1_25partition_config_selectorILNS1_17partition_subalgoE9EiibEEZZNS1_14partition_implILS5_9ELb0ES3_jN6thrust23THRUST_200600_302600_NS10device_ptrIiEESB_PNS0_10empty_typeENS0_5tupleIJSB_SC_EEENSE_IJSB_SD_EEENS0_18inequality_wrapperINS9_8equal_toIiEEEEPmJSC_EEE10hipError_tPvRmT3_T4_T5_T6_T7_T9_mT8_P12ihipStream_tbDpT10_ENKUlT_T0_E_clISt17integral_constantIbLb0EES14_IbLb1EEEEDaS10_S11_EUlS10_E_NS1_11comp_targetILNS1_3genE10ELNS1_11target_archE1200ELNS1_3gpuE4ELNS1_3repE0EEENS1_30default_config_static_selectorELNS0_4arch9wavefront6targetE0EEEvT1_,@function
_ZN7rocprim17ROCPRIM_400000_NS6detail17trampoline_kernelINS0_14default_configENS1_25partition_config_selectorILNS1_17partition_subalgoE9EiibEEZZNS1_14partition_implILS5_9ELb0ES3_jN6thrust23THRUST_200600_302600_NS10device_ptrIiEESB_PNS0_10empty_typeENS0_5tupleIJSB_SC_EEENSE_IJSB_SD_EEENS0_18inequality_wrapperINS9_8equal_toIiEEEEPmJSC_EEE10hipError_tPvRmT3_T4_T5_T6_T7_T9_mT8_P12ihipStream_tbDpT10_ENKUlT_T0_E_clISt17integral_constantIbLb0EES14_IbLb1EEEEDaS10_S11_EUlS10_E_NS1_11comp_targetILNS1_3genE10ELNS1_11target_archE1200ELNS1_3gpuE4ELNS1_3repE0EEENS1_30default_config_static_selectorELNS0_4arch9wavefront6targetE0EEEvT1_: ; @_ZN7rocprim17ROCPRIM_400000_NS6detail17trampoline_kernelINS0_14default_configENS1_25partition_config_selectorILNS1_17partition_subalgoE9EiibEEZZNS1_14partition_implILS5_9ELb0ES3_jN6thrust23THRUST_200600_302600_NS10device_ptrIiEESB_PNS0_10empty_typeENS0_5tupleIJSB_SC_EEENSE_IJSB_SD_EEENS0_18inequality_wrapperINS9_8equal_toIiEEEEPmJSC_EEE10hipError_tPvRmT3_T4_T5_T6_T7_T9_mT8_P12ihipStream_tbDpT10_ENKUlT_T0_E_clISt17integral_constantIbLb0EES14_IbLb1EEEEDaS10_S11_EUlS10_E_NS1_11comp_targetILNS1_3genE10ELNS1_11target_archE1200ELNS1_3gpuE4ELNS1_3repE0EEENS1_30default_config_static_selectorELNS0_4arch9wavefront6targetE0EEEvT1_
; %bb.0:
	.section	.rodata,"a",@progbits
	.p2align	6, 0x0
	.amdhsa_kernel _ZN7rocprim17ROCPRIM_400000_NS6detail17trampoline_kernelINS0_14default_configENS1_25partition_config_selectorILNS1_17partition_subalgoE9EiibEEZZNS1_14partition_implILS5_9ELb0ES3_jN6thrust23THRUST_200600_302600_NS10device_ptrIiEESB_PNS0_10empty_typeENS0_5tupleIJSB_SC_EEENSE_IJSB_SD_EEENS0_18inequality_wrapperINS9_8equal_toIiEEEEPmJSC_EEE10hipError_tPvRmT3_T4_T5_T6_T7_T9_mT8_P12ihipStream_tbDpT10_ENKUlT_T0_E_clISt17integral_constantIbLb0EES14_IbLb1EEEEDaS10_S11_EUlS10_E_NS1_11comp_targetILNS1_3genE10ELNS1_11target_archE1200ELNS1_3gpuE4ELNS1_3repE0EEENS1_30default_config_static_selectorELNS0_4arch9wavefront6targetE0EEEvT1_
		.amdhsa_group_segment_fixed_size 0
		.amdhsa_private_segment_fixed_size 0
		.amdhsa_kernarg_size 128
		.amdhsa_user_sgpr_count 15
		.amdhsa_user_sgpr_dispatch_ptr 0
		.amdhsa_user_sgpr_queue_ptr 0
		.amdhsa_user_sgpr_kernarg_segment_ptr 1
		.amdhsa_user_sgpr_dispatch_id 0
		.amdhsa_user_sgpr_private_segment_size 0
		.amdhsa_wavefront_size32 1
		.amdhsa_uses_dynamic_stack 0
		.amdhsa_enable_private_segment 0
		.amdhsa_system_sgpr_workgroup_id_x 1
		.amdhsa_system_sgpr_workgroup_id_y 0
		.amdhsa_system_sgpr_workgroup_id_z 0
		.amdhsa_system_sgpr_workgroup_info 0
		.amdhsa_system_vgpr_workitem_id 0
		.amdhsa_next_free_vgpr 1
		.amdhsa_next_free_sgpr 1
		.amdhsa_reserve_vcc 0
		.amdhsa_float_round_mode_32 0
		.amdhsa_float_round_mode_16_64 0
		.amdhsa_float_denorm_mode_32 3
		.amdhsa_float_denorm_mode_16_64 3
		.amdhsa_dx10_clamp 1
		.amdhsa_ieee_mode 1
		.amdhsa_fp16_overflow 0
		.amdhsa_workgroup_processor_mode 1
		.amdhsa_memory_ordered 1
		.amdhsa_forward_progress 0
		.amdhsa_shared_vgpr_count 0
		.amdhsa_exception_fp_ieee_invalid_op 0
		.amdhsa_exception_fp_denorm_src 0
		.amdhsa_exception_fp_ieee_div_zero 0
		.amdhsa_exception_fp_ieee_overflow 0
		.amdhsa_exception_fp_ieee_underflow 0
		.amdhsa_exception_fp_ieee_inexact 0
		.amdhsa_exception_int_div_zero 0
	.end_amdhsa_kernel
	.section	.text._ZN7rocprim17ROCPRIM_400000_NS6detail17trampoline_kernelINS0_14default_configENS1_25partition_config_selectorILNS1_17partition_subalgoE9EiibEEZZNS1_14partition_implILS5_9ELb0ES3_jN6thrust23THRUST_200600_302600_NS10device_ptrIiEESB_PNS0_10empty_typeENS0_5tupleIJSB_SC_EEENSE_IJSB_SD_EEENS0_18inequality_wrapperINS9_8equal_toIiEEEEPmJSC_EEE10hipError_tPvRmT3_T4_T5_T6_T7_T9_mT8_P12ihipStream_tbDpT10_ENKUlT_T0_E_clISt17integral_constantIbLb0EES14_IbLb1EEEEDaS10_S11_EUlS10_E_NS1_11comp_targetILNS1_3genE10ELNS1_11target_archE1200ELNS1_3gpuE4ELNS1_3repE0EEENS1_30default_config_static_selectorELNS0_4arch9wavefront6targetE0EEEvT1_,"axG",@progbits,_ZN7rocprim17ROCPRIM_400000_NS6detail17trampoline_kernelINS0_14default_configENS1_25partition_config_selectorILNS1_17partition_subalgoE9EiibEEZZNS1_14partition_implILS5_9ELb0ES3_jN6thrust23THRUST_200600_302600_NS10device_ptrIiEESB_PNS0_10empty_typeENS0_5tupleIJSB_SC_EEENSE_IJSB_SD_EEENS0_18inequality_wrapperINS9_8equal_toIiEEEEPmJSC_EEE10hipError_tPvRmT3_T4_T5_T6_T7_T9_mT8_P12ihipStream_tbDpT10_ENKUlT_T0_E_clISt17integral_constantIbLb0EES14_IbLb1EEEEDaS10_S11_EUlS10_E_NS1_11comp_targetILNS1_3genE10ELNS1_11target_archE1200ELNS1_3gpuE4ELNS1_3repE0EEENS1_30default_config_static_selectorELNS0_4arch9wavefront6targetE0EEEvT1_,comdat
.Lfunc_end1298:
	.size	_ZN7rocprim17ROCPRIM_400000_NS6detail17trampoline_kernelINS0_14default_configENS1_25partition_config_selectorILNS1_17partition_subalgoE9EiibEEZZNS1_14partition_implILS5_9ELb0ES3_jN6thrust23THRUST_200600_302600_NS10device_ptrIiEESB_PNS0_10empty_typeENS0_5tupleIJSB_SC_EEENSE_IJSB_SD_EEENS0_18inequality_wrapperINS9_8equal_toIiEEEEPmJSC_EEE10hipError_tPvRmT3_T4_T5_T6_T7_T9_mT8_P12ihipStream_tbDpT10_ENKUlT_T0_E_clISt17integral_constantIbLb0EES14_IbLb1EEEEDaS10_S11_EUlS10_E_NS1_11comp_targetILNS1_3genE10ELNS1_11target_archE1200ELNS1_3gpuE4ELNS1_3repE0EEENS1_30default_config_static_selectorELNS0_4arch9wavefront6targetE0EEEvT1_, .Lfunc_end1298-_ZN7rocprim17ROCPRIM_400000_NS6detail17trampoline_kernelINS0_14default_configENS1_25partition_config_selectorILNS1_17partition_subalgoE9EiibEEZZNS1_14partition_implILS5_9ELb0ES3_jN6thrust23THRUST_200600_302600_NS10device_ptrIiEESB_PNS0_10empty_typeENS0_5tupleIJSB_SC_EEENSE_IJSB_SD_EEENS0_18inequality_wrapperINS9_8equal_toIiEEEEPmJSC_EEE10hipError_tPvRmT3_T4_T5_T6_T7_T9_mT8_P12ihipStream_tbDpT10_ENKUlT_T0_E_clISt17integral_constantIbLb0EES14_IbLb1EEEEDaS10_S11_EUlS10_E_NS1_11comp_targetILNS1_3genE10ELNS1_11target_archE1200ELNS1_3gpuE4ELNS1_3repE0EEENS1_30default_config_static_selectorELNS0_4arch9wavefront6targetE0EEEvT1_
                                        ; -- End function
	.section	.AMDGPU.csdata,"",@progbits
; Kernel info:
; codeLenInByte = 0
; NumSgprs: 0
; NumVgprs: 0
; ScratchSize: 0
; MemoryBound: 0
; FloatMode: 240
; IeeeMode: 1
; LDSByteSize: 0 bytes/workgroup (compile time only)
; SGPRBlocks: 0
; VGPRBlocks: 0
; NumSGPRsForWavesPerEU: 1
; NumVGPRsForWavesPerEU: 1
; Occupancy: 15
; WaveLimiterHint : 0
; COMPUTE_PGM_RSRC2:SCRATCH_EN: 0
; COMPUTE_PGM_RSRC2:USER_SGPR: 15
; COMPUTE_PGM_RSRC2:TRAP_HANDLER: 0
; COMPUTE_PGM_RSRC2:TGID_X_EN: 1
; COMPUTE_PGM_RSRC2:TGID_Y_EN: 0
; COMPUTE_PGM_RSRC2:TGID_Z_EN: 0
; COMPUTE_PGM_RSRC2:TIDIG_COMP_CNT: 0
	.section	.text._ZN7rocprim17ROCPRIM_400000_NS6detail17trampoline_kernelINS0_14default_configENS1_25partition_config_selectorILNS1_17partition_subalgoE9EiibEEZZNS1_14partition_implILS5_9ELb0ES3_jN6thrust23THRUST_200600_302600_NS10device_ptrIiEESB_PNS0_10empty_typeENS0_5tupleIJSB_SC_EEENSE_IJSB_SD_EEENS0_18inequality_wrapperINS9_8equal_toIiEEEEPmJSC_EEE10hipError_tPvRmT3_T4_T5_T6_T7_T9_mT8_P12ihipStream_tbDpT10_ENKUlT_T0_E_clISt17integral_constantIbLb0EES14_IbLb1EEEEDaS10_S11_EUlS10_E_NS1_11comp_targetILNS1_3genE9ELNS1_11target_archE1100ELNS1_3gpuE3ELNS1_3repE0EEENS1_30default_config_static_selectorELNS0_4arch9wavefront6targetE0EEEvT1_,"axG",@progbits,_ZN7rocprim17ROCPRIM_400000_NS6detail17trampoline_kernelINS0_14default_configENS1_25partition_config_selectorILNS1_17partition_subalgoE9EiibEEZZNS1_14partition_implILS5_9ELb0ES3_jN6thrust23THRUST_200600_302600_NS10device_ptrIiEESB_PNS0_10empty_typeENS0_5tupleIJSB_SC_EEENSE_IJSB_SD_EEENS0_18inequality_wrapperINS9_8equal_toIiEEEEPmJSC_EEE10hipError_tPvRmT3_T4_T5_T6_T7_T9_mT8_P12ihipStream_tbDpT10_ENKUlT_T0_E_clISt17integral_constantIbLb0EES14_IbLb1EEEEDaS10_S11_EUlS10_E_NS1_11comp_targetILNS1_3genE9ELNS1_11target_archE1100ELNS1_3gpuE3ELNS1_3repE0EEENS1_30default_config_static_selectorELNS0_4arch9wavefront6targetE0EEEvT1_,comdat
	.protected	_ZN7rocprim17ROCPRIM_400000_NS6detail17trampoline_kernelINS0_14default_configENS1_25partition_config_selectorILNS1_17partition_subalgoE9EiibEEZZNS1_14partition_implILS5_9ELb0ES3_jN6thrust23THRUST_200600_302600_NS10device_ptrIiEESB_PNS0_10empty_typeENS0_5tupleIJSB_SC_EEENSE_IJSB_SD_EEENS0_18inequality_wrapperINS9_8equal_toIiEEEEPmJSC_EEE10hipError_tPvRmT3_T4_T5_T6_T7_T9_mT8_P12ihipStream_tbDpT10_ENKUlT_T0_E_clISt17integral_constantIbLb0EES14_IbLb1EEEEDaS10_S11_EUlS10_E_NS1_11comp_targetILNS1_3genE9ELNS1_11target_archE1100ELNS1_3gpuE3ELNS1_3repE0EEENS1_30default_config_static_selectorELNS0_4arch9wavefront6targetE0EEEvT1_ ; -- Begin function _ZN7rocprim17ROCPRIM_400000_NS6detail17trampoline_kernelINS0_14default_configENS1_25partition_config_selectorILNS1_17partition_subalgoE9EiibEEZZNS1_14partition_implILS5_9ELb0ES3_jN6thrust23THRUST_200600_302600_NS10device_ptrIiEESB_PNS0_10empty_typeENS0_5tupleIJSB_SC_EEENSE_IJSB_SD_EEENS0_18inequality_wrapperINS9_8equal_toIiEEEEPmJSC_EEE10hipError_tPvRmT3_T4_T5_T6_T7_T9_mT8_P12ihipStream_tbDpT10_ENKUlT_T0_E_clISt17integral_constantIbLb0EES14_IbLb1EEEEDaS10_S11_EUlS10_E_NS1_11comp_targetILNS1_3genE9ELNS1_11target_archE1100ELNS1_3gpuE3ELNS1_3repE0EEENS1_30default_config_static_selectorELNS0_4arch9wavefront6targetE0EEEvT1_
	.globl	_ZN7rocprim17ROCPRIM_400000_NS6detail17trampoline_kernelINS0_14default_configENS1_25partition_config_selectorILNS1_17partition_subalgoE9EiibEEZZNS1_14partition_implILS5_9ELb0ES3_jN6thrust23THRUST_200600_302600_NS10device_ptrIiEESB_PNS0_10empty_typeENS0_5tupleIJSB_SC_EEENSE_IJSB_SD_EEENS0_18inequality_wrapperINS9_8equal_toIiEEEEPmJSC_EEE10hipError_tPvRmT3_T4_T5_T6_T7_T9_mT8_P12ihipStream_tbDpT10_ENKUlT_T0_E_clISt17integral_constantIbLb0EES14_IbLb1EEEEDaS10_S11_EUlS10_E_NS1_11comp_targetILNS1_3genE9ELNS1_11target_archE1100ELNS1_3gpuE3ELNS1_3repE0EEENS1_30default_config_static_selectorELNS0_4arch9wavefront6targetE0EEEvT1_
	.p2align	8
	.type	_ZN7rocprim17ROCPRIM_400000_NS6detail17trampoline_kernelINS0_14default_configENS1_25partition_config_selectorILNS1_17partition_subalgoE9EiibEEZZNS1_14partition_implILS5_9ELb0ES3_jN6thrust23THRUST_200600_302600_NS10device_ptrIiEESB_PNS0_10empty_typeENS0_5tupleIJSB_SC_EEENSE_IJSB_SD_EEENS0_18inequality_wrapperINS9_8equal_toIiEEEEPmJSC_EEE10hipError_tPvRmT3_T4_T5_T6_T7_T9_mT8_P12ihipStream_tbDpT10_ENKUlT_T0_E_clISt17integral_constantIbLb0EES14_IbLb1EEEEDaS10_S11_EUlS10_E_NS1_11comp_targetILNS1_3genE9ELNS1_11target_archE1100ELNS1_3gpuE3ELNS1_3repE0EEENS1_30default_config_static_selectorELNS0_4arch9wavefront6targetE0EEEvT1_,@function
_ZN7rocprim17ROCPRIM_400000_NS6detail17trampoline_kernelINS0_14default_configENS1_25partition_config_selectorILNS1_17partition_subalgoE9EiibEEZZNS1_14partition_implILS5_9ELb0ES3_jN6thrust23THRUST_200600_302600_NS10device_ptrIiEESB_PNS0_10empty_typeENS0_5tupleIJSB_SC_EEENSE_IJSB_SD_EEENS0_18inequality_wrapperINS9_8equal_toIiEEEEPmJSC_EEE10hipError_tPvRmT3_T4_T5_T6_T7_T9_mT8_P12ihipStream_tbDpT10_ENKUlT_T0_E_clISt17integral_constantIbLb0EES14_IbLb1EEEEDaS10_S11_EUlS10_E_NS1_11comp_targetILNS1_3genE9ELNS1_11target_archE1100ELNS1_3gpuE3ELNS1_3repE0EEENS1_30default_config_static_selectorELNS0_4arch9wavefront6targetE0EEEvT1_: ; @_ZN7rocprim17ROCPRIM_400000_NS6detail17trampoline_kernelINS0_14default_configENS1_25partition_config_selectorILNS1_17partition_subalgoE9EiibEEZZNS1_14partition_implILS5_9ELb0ES3_jN6thrust23THRUST_200600_302600_NS10device_ptrIiEESB_PNS0_10empty_typeENS0_5tupleIJSB_SC_EEENSE_IJSB_SD_EEENS0_18inequality_wrapperINS9_8equal_toIiEEEEPmJSC_EEE10hipError_tPvRmT3_T4_T5_T6_T7_T9_mT8_P12ihipStream_tbDpT10_ENKUlT_T0_E_clISt17integral_constantIbLb0EES14_IbLb1EEEEDaS10_S11_EUlS10_E_NS1_11comp_targetILNS1_3genE9ELNS1_11target_archE1100ELNS1_3gpuE3ELNS1_3repE0EEENS1_30default_config_static_selectorELNS0_4arch9wavefront6targetE0EEEvT1_
; %bb.0:
	s_clause 0x4
	s_load_b128 s[4:7], s[0:1], 0x8
	s_load_b64 s[8:9], s[0:1], 0x18
	s_load_b128 s[12:15], s[0:1], 0x40
	s_load_b64 s[10:11], s[0:1], 0x50
	s_load_b64 s[20:21], s[0:1], 0x60
	v_cmp_ne_u32_e64 s3, 0, v0
	v_cmp_eq_u32_e64 s2, 0, v0
	s_delay_alu instid0(VALU_DEP_1)
	s_and_saveexec_b32 s16, s2
	s_cbranch_execz .LBB1299_4
; %bb.1:
	s_mov_b32 s18, exec_lo
	s_mov_b32 s17, exec_lo
	v_mbcnt_lo_u32_b32 v1, s18, 0
                                        ; implicit-def: $vgpr2
	s_delay_alu instid0(VALU_DEP_1)
	v_cmpx_eq_u32_e32 0, v1
	s_cbranch_execz .LBB1299_3
; %bb.2:
	s_load_b64 s[22:23], s[0:1], 0x70
	s_bcnt1_i32_b32 s18, s18
	s_delay_alu instid0(SALU_CYCLE_1)
	v_dual_mov_b32 v2, 0 :: v_dual_mov_b32 v3, s18
	s_waitcnt lgkmcnt(0)
	global_atomic_add_u32 v2, v2, v3, s[22:23] glc
.LBB1299_3:
	s_or_b32 exec_lo, exec_lo, s17
	s_waitcnt vmcnt(0)
	v_readfirstlane_b32 s17, v2
	s_delay_alu instid0(VALU_DEP_1)
	v_dual_mov_b32 v2, 0 :: v_dual_add_nc_u32 v1, s17, v1
	ds_store_b32 v2, v1
.LBB1299_4:
	s_or_b32 exec_lo, exec_lo, s16
	v_dual_mov_b32 v1, 0 :: v_dual_add_nc_u32 v22, 0x300, v0
	s_clause 0x1
	s_load_b128 s[16:19], s[0:1], 0x28
	s_load_b32 s0, s[0:1], 0x68
	s_waitcnt lgkmcnt(0)
	s_barrier
	buffer_gl0_inv
	ds_load_b32 v3, v1
	s_waitcnt lgkmcnt(0)
	s_barrier
	buffer_gl0_inv
	global_load_b64 v[1:2], v1, s[14:15]
	s_lshl_b64 s[14:15], s[6:7], 2
	s_mov_b32 s1, 0
	s_add_u32 s27, s4, s14
	s_addc_u32 s28, s5, s15
	v_lshrrev_b32_e32 v20, 3, v0
	v_add_nc_u32_e32 v25, 0x180, v0
	v_add_nc_u32_e32 v21, 0x480, v0
	v_or_b32_e32 v23, 0x600, v0
	v_add_nc_u32_e32 v18, 0x780, v0
	v_add_nc_u32_e32 v17, 0x900, v0
	;; [unrolled: 1-line block ×3, first 2 shown]
	s_mul_i32 s22, s0, 0xc00
	s_add_i32 s0, s0, -1
	s_add_i32 s4, s22, s6
	s_delay_alu instid0(SALU_CYCLE_1) | instskip(SKIP_4) | instid1(SALU_CYCLE_1)
	s_sub_i32 s25, s10, s4
	v_readfirstlane_b32 s24, v3
	s_addk_i32 s25, 0xc00
	s_add_u32 s4, s6, s22
	s_addc_u32 s5, s7, 0
	v_cmp_ge_u64_e64 s4, s[4:5], s[10:11]
	s_cmp_eq_u32 s24, s0
	s_mul_i32 s0, s24, 0xc00
	s_cselect_b32 s22, -1, 0
	s_delay_alu instid0(VALU_DEP_1) | instid1(SALU_CYCLE_1)
	s_and_b32 s26, s4, s22
	s_lshl_b64 s[4:5], s[0:1], 2
	s_xor_b32 s23, s26, -1
	s_add_u32 s27, s27, s4
	s_addc_u32 s1, s28, s5
	s_and_b32 vcc_lo, exec_lo, s23
	s_mov_b32 s28, -1
	s_waitcnt vmcnt(0)
	v_readfirstlane_b32 s10, v1
	v_readfirstlane_b32 s11, v2
	s_cbranch_vccz .LBB1299_6
; %bb.5:
	v_lshlrev_b32_e32 v7, 2, v0
	v_lshrrev_b32_e32 v11, 3, v25
	v_lshrrev_b32_e32 v12, 3, v22
	;; [unrolled: 1-line block ×4, first 2 shown]
	v_add_co_u32 v1, s0, s27, v7
	s_delay_alu instid0(VALU_DEP_1) | instskip(SKIP_1) | instid1(VALU_DEP_3)
	v_add_co_ci_u32_e64 v2, null, s1, 0, s0
	v_lshrrev_b32_e32 v15, 3, v18
	v_add_co_u32 v3, vcc_lo, 0x1000, v1
	s_delay_alu instid0(VALU_DEP_3)
	v_add_co_ci_u32_e32 v4, vcc_lo, 0, v2, vcc_lo
	v_add_co_u32 v5, vcc_lo, 0x2000, v1
	v_add_co_ci_u32_e32 v6, vcc_lo, 0, v2, vcc_lo
	s_clause 0x7
	flat_load_b32 v8, v[1:2]
	flat_load_b32 v9, v[1:2] offset:1536
	flat_load_b32 v1, v[1:2] offset:3072
	;; [unrolled: 1-line block ×7, first 2 shown]
	v_and_b32_e32 v6, 60, v20
	v_lshrrev_b32_e32 v16, 3, v17
	v_lshrrev_b32_e32 v19, 3, v24
	v_and_b32_e32 v11, 0x7c, v11
	v_and_b32_e32 v12, 0xfc, v12
	;; [unrolled: 1-line block ×4, first 2 shown]
	v_add_nc_u32_e32 v6, v6, v7
	v_and_b32_e32 v15, 0x1fc, v15
	v_and_b32_e32 v16, 0x17c, v16
	;; [unrolled: 1-line block ×3, first 2 shown]
	v_add_nc_u32_e32 v11, v11, v7
	v_add_nc_u32_e32 v12, v12, v7
	;; [unrolled: 1-line block ×4, first 2 shown]
	s_mov_b32 s28, 0
	v_add_nc_u32_e32 v15, v15, v7
	v_add_nc_u32_e32 v16, v16, v7
	;; [unrolled: 1-line block ×3, first 2 shown]
	s_waitcnt vmcnt(7) lgkmcnt(7)
	ds_store_b32 v6, v8
	s_waitcnt vmcnt(6) lgkmcnt(7)
	ds_store_b32 v11, v9 offset:1536
	s_waitcnt vmcnt(5) lgkmcnt(7)
	ds_store_b32 v12, v1 offset:3072
	;; [unrolled: 2-line block ×7, first 2 shown]
	s_waitcnt lgkmcnt(0)
	s_barrier
.LBB1299_6:
	v_cmp_gt_u32_e64 s0, s25, v0
	s_and_not1_b32 vcc_lo, exec_lo, s28
	s_cbranch_vccnz .LBB1299_24
; %bb.7:
                                        ; implicit-def: $vgpr1_vgpr2_vgpr3_vgpr4_vgpr5_vgpr6_vgpr7_vgpr8
	s_delay_alu instid0(VALU_DEP_1)
	s_and_saveexec_b32 s28, s0
	s_cbranch_execz .LBB1299_15
; %bb.8:
	v_lshlrev_b32_e32 v1, 2, v0
	s_delay_alu instid0(VALU_DEP_1) | instskip(NEXT) | instid1(VALU_DEP_1)
	v_add_co_u32 v1, s0, s27, v1
	v_add_co_ci_u32_e64 v2, null, s1, 0, s0
	flat_load_b32 v1, v[1:2]
	s_or_b32 exec_lo, exec_lo, s28
	s_delay_alu instid0(SALU_CYCLE_1)
	s_mov_b32 s0, exec_lo
	v_cmpx_gt_u32_e64 s25, v25
	s_cbranch_execnz .LBB1299_16
.LBB1299_9:
	s_or_b32 exec_lo, exec_lo, s0
	s_delay_alu instid0(SALU_CYCLE_1)
	s_mov_b32 s0, exec_lo
	v_cmpx_gt_u32_e64 s25, v22
	s_cbranch_execz .LBB1299_17
.LBB1299_10:
	v_lshlrev_b32_e32 v3, 2, v0
	s_delay_alu instid0(VALU_DEP_1) | instskip(NEXT) | instid1(VALU_DEP_1)
	v_add_co_u32 v9, s28, s27, v3
	v_add_co_ci_u32_e64 v10, null, s1, 0, s28
	flat_load_b32 v3, v[9:10] offset:3072
	s_or_b32 exec_lo, exec_lo, s0
	s_delay_alu instid0(SALU_CYCLE_1)
	s_mov_b32 s0, exec_lo
	v_cmpx_gt_u32_e64 s25, v21
	s_cbranch_execnz .LBB1299_18
.LBB1299_11:
	s_or_b32 exec_lo, exec_lo, s0
	s_delay_alu instid0(SALU_CYCLE_1)
	s_mov_b32 s0, exec_lo
	v_cmpx_gt_u32_e64 s25, v23
	s_cbranch_execz .LBB1299_19
.LBB1299_12:
	v_lshlrev_b32_e32 v5, 2, v23
	s_delay_alu instid0(VALU_DEP_1) | instskip(NEXT) | instid1(VALU_DEP_1)
	v_add_co_u32 v9, s28, s27, v5
	v_add_co_ci_u32_e64 v10, null, s1, 0, s28
	flat_load_b32 v5, v[9:10]
	s_or_b32 exec_lo, exec_lo, s0
	s_delay_alu instid0(SALU_CYCLE_1)
	s_mov_b32 s0, exec_lo
	v_cmpx_gt_u32_e64 s25, v18
	s_cbranch_execnz .LBB1299_20
.LBB1299_13:
	s_or_b32 exec_lo, exec_lo, s0
	s_delay_alu instid0(SALU_CYCLE_1)
	s_mov_b32 s0, exec_lo
	v_cmpx_gt_u32_e64 s25, v17
	s_cbranch_execz .LBB1299_21
.LBB1299_14:
	v_lshlrev_b32_e32 v7, 2, v17
	s_delay_alu instid0(VALU_DEP_1) | instskip(NEXT) | instid1(VALU_DEP_1)
	v_add_co_u32 v9, s28, s27, v7
	v_add_co_ci_u32_e64 v10, null, s1, 0, s28
	flat_load_b32 v7, v[9:10]
	s_or_b32 exec_lo, exec_lo, s0
	s_delay_alu instid0(SALU_CYCLE_1)
	s_mov_b32 s0, exec_lo
	v_cmpx_gt_u32_e64 s25, v24
	s_cbranch_execnz .LBB1299_22
	s_branch .LBB1299_23
.LBB1299_15:
	s_or_b32 exec_lo, exec_lo, s28
	s_delay_alu instid0(SALU_CYCLE_1)
	s_mov_b32 s0, exec_lo
	v_cmpx_gt_u32_e64 s25, v25
	s_cbranch_execz .LBB1299_9
.LBB1299_16:
	v_lshlrev_b32_e32 v2, 2, v0
	s_delay_alu instid0(VALU_DEP_1) | instskip(NEXT) | instid1(VALU_DEP_1)
	v_add_co_u32 v9, s28, s27, v2
	v_add_co_ci_u32_e64 v10, null, s1, 0, s28
	flat_load_b32 v2, v[9:10] offset:1536
	s_or_b32 exec_lo, exec_lo, s0
	s_delay_alu instid0(SALU_CYCLE_1)
	s_mov_b32 s0, exec_lo
	v_cmpx_gt_u32_e64 s25, v22
	s_cbranch_execnz .LBB1299_10
.LBB1299_17:
	s_or_b32 exec_lo, exec_lo, s0
	s_delay_alu instid0(SALU_CYCLE_1)
	s_mov_b32 s0, exec_lo
	v_cmpx_gt_u32_e64 s25, v21
	s_cbranch_execz .LBB1299_11
.LBB1299_18:
	v_lshlrev_b32_e32 v4, 2, v21
	s_delay_alu instid0(VALU_DEP_1) | instskip(NEXT) | instid1(VALU_DEP_1)
	v_add_co_u32 v9, s28, s27, v4
	v_add_co_ci_u32_e64 v10, null, s1, 0, s28
	flat_load_b32 v4, v[9:10]
	s_or_b32 exec_lo, exec_lo, s0
	s_delay_alu instid0(SALU_CYCLE_1)
	s_mov_b32 s0, exec_lo
	v_cmpx_gt_u32_e64 s25, v23
	s_cbranch_execnz .LBB1299_12
.LBB1299_19:
	s_or_b32 exec_lo, exec_lo, s0
	s_delay_alu instid0(SALU_CYCLE_1)
	s_mov_b32 s0, exec_lo
	v_cmpx_gt_u32_e64 s25, v18
	s_cbranch_execz .LBB1299_13
.LBB1299_20:
	v_lshlrev_b32_e32 v6, 2, v18
	s_delay_alu instid0(VALU_DEP_1) | instskip(NEXT) | instid1(VALU_DEP_1)
	v_add_co_u32 v9, s28, s27, v6
	v_add_co_ci_u32_e64 v10, null, s1, 0, s28
	flat_load_b32 v6, v[9:10]
	s_or_b32 exec_lo, exec_lo, s0
	s_delay_alu instid0(SALU_CYCLE_1)
	s_mov_b32 s0, exec_lo
	v_cmpx_gt_u32_e64 s25, v17
	s_cbranch_execnz .LBB1299_14
.LBB1299_21:
	s_or_b32 exec_lo, exec_lo, s0
	s_delay_alu instid0(SALU_CYCLE_1)
	s_mov_b32 s0, exec_lo
	v_cmpx_gt_u32_e64 s25, v24
	s_cbranch_execz .LBB1299_23
.LBB1299_22:
	v_lshlrev_b32_e32 v8, 2, v24
	s_delay_alu instid0(VALU_DEP_1) | instskip(NEXT) | instid1(VALU_DEP_1)
	v_add_co_u32 v8, s28, s27, v8
	v_add_co_ci_u32_e64 v9, null, s1, 0, s28
	flat_load_b32 v8, v[8:9]
.LBB1299_23:
	s_or_b32 exec_lo, exec_lo, s0
	v_lshrrev_b32_e32 v9, 3, v25
	v_lshrrev_b32_e32 v10, 3, v22
	;; [unrolled: 1-line block ×4, first 2 shown]
	v_and_b32_e32 v11, 60, v20
	v_lshlrev_b32_e32 v12, 2, v0
	v_lshrrev_b32_e32 v15, 3, v18
	v_lshrrev_b32_e32 v16, 3, v17
	;; [unrolled: 1-line block ×3, first 2 shown]
	v_and_b32_e32 v9, 0x7c, v9
	v_and_b32_e32 v10, 0xfc, v10
	v_and_b32_e32 v13, 0xfc, v13
	v_and_b32_e32 v14, 0xfc, v14
	v_add_nc_u32_e32 v11, v11, v12
	v_and_b32_e32 v15, 0x1fc, v15
	v_and_b32_e32 v16, 0x1fc, v16
	;; [unrolled: 1-line block ×3, first 2 shown]
	v_add_nc_u32_e32 v9, v9, v12
	v_add_nc_u32_e32 v10, v10, v12
	;; [unrolled: 1-line block ×7, first 2 shown]
	s_waitcnt vmcnt(0) lgkmcnt(0)
	ds_store_b32 v11, v1
	ds_store_b32 v9, v2 offset:1536
	ds_store_b32 v10, v3 offset:3072
	;; [unrolled: 1-line block ×7, first 2 shown]
	s_waitcnt lgkmcnt(0)
	s_barrier
.LBB1299_24:
	v_lshlrev_b32_e32 v19, 3, v0
	v_lshrrev_b32_e32 v1, 2, v0
	buffer_gl0_inv
	s_add_u32 s0, s8, s14
	s_addc_u32 s8, s9, s15
	s_add_u32 s0, s0, s4
	v_add_lshl_u32 v1, v1, v19, 2
	s_addc_u32 s4, s8, s5
	s_and_b32 vcc_lo, exec_lo, s23
	s_mov_b32 s5, -1
	ds_load_2addr_b32 v[15:16], v1 offset1:1
	ds_load_2addr_b32 v[13:14], v1 offset0:2 offset1:3
	ds_load_2addr_b32 v[11:12], v1 offset0:4 offset1:5
	;; [unrolled: 1-line block ×3, first 2 shown]
	s_waitcnt lgkmcnt(0)
	s_barrier
	buffer_gl0_inv
	s_cbranch_vccz .LBB1299_26
; %bb.25:
	v_lshlrev_b32_e32 v8, 2, v0
	v_lshrrev_b32_e32 v29, 3, v25
	v_lshrrev_b32_e32 v30, 3, v22
	;; [unrolled: 1-line block ×4, first 2 shown]
	v_add_co_u32 v2, s5, s0, v8
	s_delay_alu instid0(VALU_DEP_1) | instskip(SKIP_1) | instid1(VALU_DEP_3)
	v_add_co_ci_u32_e64 v3, null, s4, 0, s5
	v_lshrrev_b32_e32 v33, 3, v18
	v_add_co_u32 v4, vcc_lo, 0x1000, v2
	s_delay_alu instid0(VALU_DEP_3)
	v_add_co_ci_u32_e32 v5, vcc_lo, 0, v3, vcc_lo
	v_add_co_u32 v6, vcc_lo, 0x2000, v2
	v_add_co_ci_u32_e32 v7, vcc_lo, 0, v3, vcc_lo
	s_clause 0x7
	flat_load_b32 v26, v[2:3]
	flat_load_b32 v27, v[2:3] offset:1536
	flat_load_b32 v2, v[2:3] offset:3072
	;; [unrolled: 1-line block ×7, first 2 shown]
	v_and_b32_e32 v7, 60, v20
	v_lshrrev_b32_e32 v34, 3, v17
	v_lshrrev_b32_e32 v35, 3, v24
	v_and_b32_e32 v29, 0x7c, v29
	v_and_b32_e32 v30, 0xfc, v30
	;; [unrolled: 1-line block ×4, first 2 shown]
	v_add_nc_u32_e32 v7, v7, v8
	v_and_b32_e32 v33, 0x1fc, v33
	v_and_b32_e32 v34, 0x17c, v34
	;; [unrolled: 1-line block ×3, first 2 shown]
	v_add_nc_u32_e32 v29, v29, v8
	v_add_nc_u32_e32 v30, v30, v8
	;; [unrolled: 1-line block ×4, first 2 shown]
	s_mov_b32 s5, 0
	v_add_nc_u32_e32 v33, v33, v8
	v_add_nc_u32_e32 v34, v34, v8
	;; [unrolled: 1-line block ×3, first 2 shown]
	s_waitcnt vmcnt(7) lgkmcnt(7)
	ds_store_b32 v7, v26
	s_waitcnt vmcnt(6) lgkmcnt(7)
	ds_store_b32 v29, v27 offset:1536
	s_waitcnt vmcnt(5) lgkmcnt(7)
	ds_store_b32 v30, v2 offset:3072
	;; [unrolled: 2-line block ×7, first 2 shown]
	s_waitcnt lgkmcnt(0)
	s_barrier
.LBB1299_26:
	s_and_not1_b32 vcc_lo, exec_lo, s5
	s_cbranch_vccnz .LBB1299_44
; %bb.27:
	s_mov_b32 s5, exec_lo
                                        ; implicit-def: $vgpr2
	v_cmpx_gt_u32_e64 s25, v0
	s_cbranch_execz .LBB1299_29
; %bb.28:
	v_lshlrev_b32_e32 v2, 2, v0
	s_delay_alu instid0(VALU_DEP_1) | instskip(NEXT) | instid1(VALU_DEP_1)
	v_add_co_u32 v2, s8, s0, v2
	v_add_co_ci_u32_e64 v3, null, s4, 0, s8
	flat_load_b32 v2, v[2:3]
.LBB1299_29:
	s_or_b32 exec_lo, exec_lo, s5
	s_delay_alu instid0(SALU_CYCLE_1)
	s_mov_b32 s5, exec_lo
                                        ; implicit-def: $vgpr3
	v_cmpx_gt_u32_e64 s25, v25
	s_cbranch_execz .LBB1299_31
; %bb.30:
	v_lshlrev_b32_e32 v3, 2, v0
	s_delay_alu instid0(VALU_DEP_1) | instskip(NEXT) | instid1(VALU_DEP_1)
	v_add_co_u32 v3, s8, s0, v3
	v_add_co_ci_u32_e64 v4, null, s4, 0, s8
	flat_load_b32 v3, v[3:4] offset:1536
.LBB1299_31:
	s_or_b32 exec_lo, exec_lo, s5
	s_delay_alu instid0(SALU_CYCLE_1)
	s_mov_b32 s5, exec_lo
                                        ; implicit-def: $vgpr4
	v_cmpx_gt_u32_e64 s25, v22
	s_cbranch_execz .LBB1299_33
; %bb.32:
	v_lshlrev_b32_e32 v4, 2, v0
	s_delay_alu instid0(VALU_DEP_1) | instskip(NEXT) | instid1(VALU_DEP_1)
	v_add_co_u32 v4, s8, s0, v4
	v_add_co_ci_u32_e64 v5, null, s4, 0, s8
	flat_load_b32 v4, v[4:5] offset:3072
.LBB1299_33:
	s_or_b32 exec_lo, exec_lo, s5
	s_delay_alu instid0(SALU_CYCLE_1)
	s_mov_b32 s5, exec_lo
                                        ; implicit-def: $vgpr5
	v_cmpx_gt_u32_e64 s25, v21
	s_cbranch_execz .LBB1299_35
; %bb.34:
	v_lshlrev_b32_e32 v5, 2, v21
	s_delay_alu instid0(VALU_DEP_1) | instskip(NEXT) | instid1(VALU_DEP_1)
	v_add_co_u32 v5, s8, s0, v5
	v_add_co_ci_u32_e64 v6, null, s4, 0, s8
	flat_load_b32 v5, v[5:6]
.LBB1299_35:
	s_or_b32 exec_lo, exec_lo, s5
	s_delay_alu instid0(SALU_CYCLE_1)
	s_mov_b32 s5, exec_lo
                                        ; implicit-def: $vgpr6
	v_cmpx_gt_u32_e64 s25, v23
	s_cbranch_execz .LBB1299_37
; %bb.36:
	v_lshlrev_b32_e32 v6, 2, v23
	s_delay_alu instid0(VALU_DEP_1) | instskip(NEXT) | instid1(VALU_DEP_1)
	v_add_co_u32 v6, s8, s0, v6
	v_add_co_ci_u32_e64 v7, null, s4, 0, s8
	flat_load_b32 v6, v[6:7]
.LBB1299_37:
	s_or_b32 exec_lo, exec_lo, s5
	s_delay_alu instid0(SALU_CYCLE_1)
	s_mov_b32 s5, exec_lo
                                        ; implicit-def: $vgpr7
	v_cmpx_gt_u32_e64 s25, v18
	s_cbranch_execz .LBB1299_39
; %bb.38:
	v_lshlrev_b32_e32 v7, 2, v18
	s_delay_alu instid0(VALU_DEP_1) | instskip(NEXT) | instid1(VALU_DEP_1)
	v_add_co_u32 v7, s8, s0, v7
	v_add_co_ci_u32_e64 v8, null, s4, 0, s8
	flat_load_b32 v7, v[7:8]
.LBB1299_39:
	s_or_b32 exec_lo, exec_lo, s5
	s_delay_alu instid0(SALU_CYCLE_1)
	s_mov_b32 s5, exec_lo
                                        ; implicit-def: $vgpr8
	v_cmpx_gt_u32_e64 s25, v17
	s_cbranch_execz .LBB1299_41
; %bb.40:
	v_lshlrev_b32_e32 v8, 2, v17
	s_delay_alu instid0(VALU_DEP_1) | instskip(NEXT) | instid1(VALU_DEP_1)
	v_add_co_u32 v26, s8, s0, v8
	v_add_co_ci_u32_e64 v27, null, s4, 0, s8
	flat_load_b32 v8, v[26:27]
.LBB1299_41:
	s_or_b32 exec_lo, exec_lo, s5
	s_delay_alu instid0(SALU_CYCLE_1)
	s_mov_b32 s5, exec_lo
                                        ; implicit-def: $vgpr26
	v_cmpx_gt_u32_e64 s25, v24
	s_cbranch_execz .LBB1299_43
; %bb.42:
	v_lshlrev_b32_e32 v26, 2, v24
	s_delay_alu instid0(VALU_DEP_1) | instskip(NEXT) | instid1(VALU_DEP_1)
	v_add_co_u32 v26, s0, s0, v26
	v_add_co_ci_u32_e64 v27, null, s4, 0, s0
	flat_load_b32 v26, v[26:27]
.LBB1299_43:
	s_or_b32 exec_lo, exec_lo, s5
	v_lshrrev_b32_e32 v25, 3, v25
	v_lshrrev_b32_e32 v22, 3, v22
	;; [unrolled: 1-line block ×4, first 2 shown]
	v_and_b32_e32 v20, 60, v20
	v_lshlrev_b32_e32 v27, 2, v0
	v_lshrrev_b32_e32 v18, 3, v18
	v_lshrrev_b32_e32 v17, 3, v17
	;; [unrolled: 1-line block ×3, first 2 shown]
	v_and_b32_e32 v25, 0x7c, v25
	v_and_b32_e32 v22, 0xfc, v22
	;; [unrolled: 1-line block ×4, first 2 shown]
	v_add_nc_u32_e32 v20, v20, v27
	v_and_b32_e32 v18, 0x1fc, v18
	v_and_b32_e32 v17, 0x1fc, v17
	;; [unrolled: 1-line block ×3, first 2 shown]
	v_add_nc_u32_e32 v25, v25, v27
	v_add_nc_u32_e32 v22, v22, v27
	v_add_nc_u32_e32 v21, v21, v27
	v_add_nc_u32_e32 v23, v23, v27
	v_add_nc_u32_e32 v18, v18, v27
	v_add_nc_u32_e32 v17, v17, v27
	v_add_nc_u32_e32 v24, v24, v27
	s_waitcnt vmcnt(0) lgkmcnt(0)
	ds_store_b32 v20, v2
	ds_store_b32 v25, v3 offset:1536
	ds_store_b32 v22, v4 offset:3072
	;; [unrolled: 1-line block ×7, first 2 shown]
	s_waitcnt lgkmcnt(0)
	s_barrier
.LBB1299_44:
	buffer_gl0_inv
	ds_load_2addr_b32 v[7:8], v1 offset1:1
	ds_load_2addr_b32 v[5:6], v1 offset0:2 offset1:3
	ds_load_2addr_b32 v[3:4], v1 offset0:4 offset1:5
	ds_load_2addr_b32 v[1:2], v1 offset0:6 offset1:7
	s_cmp_lg_u32 s24, 0
	s_mov_b32 s14, 0
	s_cselect_b32 s9, -1, 0
	s_cmp_lg_u64 s[6:7], 0
	s_waitcnt lgkmcnt(0)
	s_cselect_b32 s0, -1, 0
	s_barrier
	s_or_b32 s0, s0, s9
	buffer_gl0_inv
	s_and_b32 vcc_lo, exec_lo, s0
	s_cbranch_vccz .LBB1299_49
; %bb.45:
	v_add_co_u32 v17, s0, -4, s27
	s_delay_alu instid0(VALU_DEP_1)
	v_add_co_ci_u32_e64 v18, null, -1, s1, s0
	v_lshlrev_b32_e32 v21, 2, v0
	s_mov_b32 s1, -1
	s_and_b32 vcc_lo, exec_lo, s23
	flat_load_b32 v20, v[17:18]
	ds_store_b32 v21, v10
	s_cbranch_vccz .LBB1299_50
; %bb.46:
	s_waitcnt vmcnt(0) lgkmcnt(1)
	v_mov_b32_e32 v17, v20
	s_waitcnt lgkmcnt(0)
	s_barrier
	buffer_gl0_inv
	s_and_saveexec_b32 s0, s3
	s_cbranch_execz .LBB1299_48
; %bb.47:
	v_add_nc_u32_e32 v17, -4, v21
	ds_load_b32 v17, v17
.LBB1299_48:
	s_or_b32 exec_lo, exec_lo, s0
	v_cmp_ne_u32_e32 vcc_lo, v9, v10
	s_waitcnt lgkmcnt(0)
	v_cmp_ne_u32_e64 s0, v17, v15
	v_cndmask_b32_e64 v18, 0, 1, vcc_lo
	v_cmp_ne_u32_e32 vcc_lo, v12, v9
	s_delay_alu instid0(VALU_DEP_2) | instskip(SKIP_2) | instid1(VALU_DEP_2)
	v_lshlrev_b16 v18, 8, v18
	v_cndmask_b32_e64 v22, 0, 1, vcc_lo
	v_cmp_ne_u32_e32 vcc_lo, v11, v12
	v_or_b32_e32 v18, v22, v18
	v_cndmask_b32_e64 v23, 0, 1, vcc_lo
	v_cmp_ne_u32_e32 vcc_lo, v13, v14
	s_delay_alu instid0(VALU_DEP_3) | instskip(NEXT) | instid1(VALU_DEP_3)
	v_lshlrev_b32_e32 v18, 16, v18
	v_lshlrev_b16 v23, 8, v23
	v_cndmask_b32_e64 v24, 0, 1, vcc_lo
	v_cmp_ne_u32_e32 vcc_lo, v14, v11
	s_delay_alu instid0(VALU_DEP_2) | instskip(SKIP_2) | instid1(VALU_DEP_2)
	v_lshlrev_b16 v24, 8, v24
	v_cndmask_b32_e64 v25, 0, 1, vcc_lo
	v_cmp_ne_u32_e32 vcc_lo, v16, v13
	v_or_b32_e32 v23, v25, v23
	v_cndmask_b32_e64 v26, 0, 1, vcc_lo
	v_cmp_ne_u32_e32 vcc_lo, v15, v16
	s_delay_alu instid0(VALU_DEP_3) | instskip(NEXT) | instid1(VALU_DEP_3)
	v_and_b32_e32 v23, 0xffff, v23
	v_or_b32_e32 v24, v26, v24
	v_cndmask_b32_e64 v27, 0, 1, vcc_lo
	s_delay_alu instid0(VALU_DEP_3) | instskip(NEXT) | instid1(VALU_DEP_3)
	v_or_b32_e32 v18, v23, v18
	v_lshlrev_b32_e32 v22, 16, v24
	s_delay_alu instid0(VALU_DEP_3) | instskip(NEXT) | instid1(VALU_DEP_1)
	v_lshlrev_b16 v26, 8, v27
	v_and_b32_e32 v24, 0xffff, v26
	s_delay_alu instid0(VALU_DEP_1)
	v_or_b32_e32 v17, v24, v22
	s_branch .LBB1299_54
.LBB1299_49:
                                        ; implicit-def: $sgpr0
                                        ; implicit-def: $vgpr18
	s_branch .LBB1299_55
.LBB1299_50:
                                        ; implicit-def: $sgpr0
                                        ; implicit-def: $vgpr18
	s_and_b32 vcc_lo, exec_lo, s1
	s_cbranch_vccz .LBB1299_54
; %bb.51:
	s_waitcnt vmcnt(0) lgkmcnt(0)
	s_barrier
	buffer_gl0_inv
	s_and_saveexec_b32 s0, s3
	s_cbranch_execz .LBB1299_53
; %bb.52:
	v_add_nc_u32_e32 v17, -4, v21
	ds_load_b32 v20, v17
.LBB1299_53:
	s_or_b32 exec_lo, exec_lo, s0
	v_or_b32_e32 v17, 7, v19
	v_or_b32_e32 v18, 6, v19
	v_or_b32_e32 v21, 5, v19
	v_cmp_ne_u32_e32 vcc_lo, v9, v10
	v_cmp_ne_u32_e64 s1, v12, v9
	v_cmp_gt_u32_e64 s0, s25, v17
	v_cmp_gt_u32_e64 s5, s25, v18
	v_cmp_ne_u32_e64 s4, v11, v12
	v_cmp_gt_u32_e64 s6, s25, v21
	v_or_b32_e32 v18, 3, v19
	s_and_b32 s0, s0, vcc_lo
	v_or_b32_e32 v22, 4, v19
	v_cndmask_b32_e64 v17, 0, 1, s0
	s_and_b32 s0, s5, s1
	v_cmp_gt_u32_e32 vcc_lo, s25, v18
	v_cndmask_b32_e64 v21, 0, 1, s0
	s_and_b32 s0, s6, s4
	v_or_b32_e32 v18, 2, v19
	v_cndmask_b32_e64 v23, 0, 1, s0
	v_cmp_ne_u32_e64 s0, v13, v14
	v_cmp_gt_u32_e64 s1, s25, v22
	v_or_b32_e32 v22, 1, v19
	v_cmp_ne_u32_e64 s4, v14, v11
	v_cmp_ne_u32_e64 s6, v15, v16
	s_and_b32 s0, vcc_lo, s0
	v_cmp_gt_u32_e32 vcc_lo, s25, v18
	v_cndmask_b32_e64 v24, 0, 1, s0
	v_cmp_ne_u32_e64 s0, v16, v13
	v_cmp_gt_u32_e64 s5, s25, v22
	s_and_b32 s1, s1, s4
	v_lshlrev_b16 v23, 8, v23
	v_cndmask_b32_e64 v18, 0, 1, s1
	s_and_b32 s0, vcc_lo, s0
	v_lshlrev_b16 v24, 8, v24
	v_cndmask_b32_e64 v22, 0, 1, s0
	s_and_b32 s0, s5, s6
	v_lshlrev_b16 v17, 8, v17
	v_cndmask_b32_e64 v25, 0, 1, s0
	v_or_b32_e32 v18, v18, v23
	v_or_b32_e32 v22, v22, v24
	v_cmp_gt_u32_e32 vcc_lo, s25, v19
	v_or_b32_e32 v17, v21, v17
	v_lshlrev_b16 v24, 8, v25
	v_and_b32_e32 v18, 0xffff, v18
	v_lshlrev_b32_e32 v21, 16, v22
	s_waitcnt lgkmcnt(0)
	v_cmp_ne_u32_e64 s0, v20, v15
	v_lshlrev_b32_e32 v23, 16, v17
	v_and_b32_e32 v22, 0xffff, v24
	s_delay_alu instid0(VALU_DEP_3) | instskip(NEXT) | instid1(VALU_DEP_2)
	s_and_b32 s0, vcc_lo, s0
	v_or_b32_e32 v18, v18, v23
	s_delay_alu instid0(VALU_DEP_2)
	v_or_b32_e32 v17, v22, v21
.LBB1299_54:
	s_mov_b32 s14, -1
	s_cbranch_execnz .LBB1299_63
.LBB1299_55:
	s_waitcnt vmcnt(0) lgkmcnt(1)
	v_lshlrev_b32_e32 v20, 2, v0
	v_cmp_ne_u32_e64 s1, v9, v10
	v_cmp_ne_u32_e64 s4, v12, v9
	;; [unrolled: 1-line block ×7, first 2 shown]
	s_and_b32 vcc_lo, exec_lo, s23
	ds_store_b32 v20, v10
	s_cbranch_vccz .LBB1299_59
; %bb.56:
	v_cndmask_b32_e64 v17, 0, 1, s1
	v_cndmask_b32_e64 v21, 0, 1, s5
	;; [unrolled: 1-line block ×7, first 2 shown]
	v_lshlrev_b16 v21, 8, v21
	v_lshlrev_b16 v17, 8, v17
	;; [unrolled: 1-line block ×4, first 2 shown]
	s_waitcnt lgkmcnt(0)
	v_or_b32_e32 v21, v22, v21
	v_or_b32_e32 v17, v18, v17
	;; [unrolled: 1-line block ×4, first 2 shown]
	s_barrier
	v_and_b32_e32 v21, 0xffff, v21
	v_lshlrev_b32_e32 v17, 16, v17
	v_lshlrev_b32_e32 v23, 16, v18
	v_and_b32_e32 v22, 0xffff, v22
	buffer_gl0_inv
                                        ; implicit-def: $sgpr0
	v_or_b32_e32 v18, v21, v17
	v_or_b32_e32 v17, v22, v23
	s_and_saveexec_b32 s1, s3
	s_delay_alu instid0(SALU_CYCLE_1)
	s_xor_b32 s1, exec_lo, s1
	s_cbranch_execz .LBB1299_58
; %bb.57:
	v_add_nc_u32_e32 v21, -4, v20
	s_or_b32 s14, s14, exec_lo
	ds_load_b32 v21, v21
	s_waitcnt lgkmcnt(0)
	v_cmp_ne_u32_e32 vcc_lo, v21, v15
	s_and_b32 s0, vcc_lo, exec_lo
.LBB1299_58:
	s_or_b32 exec_lo, exec_lo, s1
	s_branch .LBB1299_63
.LBB1299_59:
                                        ; implicit-def: $sgpr0
                                        ; implicit-def: $vgpr18
	s_cbranch_execz .LBB1299_63
; %bb.60:
	v_or_b32_e32 v17, 7, v19
	v_or_b32_e32 v18, 6, v19
	v_cmp_ne_u32_e32 vcc_lo, v9, v10
	v_cmp_ne_u32_e64 s1, v12, v9
	v_or_b32_e32 v21, 5, v19
	v_cmp_gt_u32_e64 s0, s25, v17
	v_cmp_gt_u32_e64 s4, s25, v18
	v_or_b32_e32 v17, 4, v19
	v_or_b32_e32 v22, 3, v19
	v_cmp_gt_u32_e64 s5, s25, v21
	s_and_b32 s0, s0, vcc_lo
	v_cmp_ne_u32_e32 vcc_lo, v11, v12
	v_cndmask_b32_e64 v18, 0, 1, s0
	s_and_b32 s0, s4, s1
	v_cmp_ne_u32_e64 s1, v14, v11
	v_cndmask_b32_e64 v21, 0, 1, s0
	v_cmp_gt_u32_e64 s0, s25, v17
	v_or_b32_e32 v23, 1, v19
	s_and_b32 s4, s5, vcc_lo
	v_cmp_gt_u32_e32 vcc_lo, s25, v22
	v_cndmask_b32_e64 v17, 0, 1, s4
	s_and_b32 s0, s0, s1
	v_or_b32_e32 v25, 2, v19
	v_cndmask_b32_e64 v24, 0, 1, s0
	v_cmp_ne_u32_e64 s0, v13, v14
	v_cmp_gt_u32_e64 s1, s25, v23
	v_cmp_ne_u32_e64 s4, v15, v16
	v_cmp_gt_u32_e64 s5, s25, v25
	v_cmp_ne_u32_e64 s6, v16, v13
	s_and_b32 s0, vcc_lo, s0
	v_lshlrev_b16 v17, 8, v17
	v_cndmask_b32_e64 v22, 0, 1, s0
	s_and_b32 s0, s1, s4
	v_lshlrev_b16 v18, 8, v18
	v_cndmask_b32_e64 v23, 0, 1, s0
	s_and_b32 s0, s5, s6
	v_lshlrev_b16 v22, 8, v22
	v_cndmask_b32_e64 v25, 0, 1, s0
	v_or_b32_e32 v17, v24, v17
	v_lshlrev_b16 v23, 8, v23
	v_or_b32_e32 v18, v21, v18
	s_waitcnt lgkmcnt(0)
	v_or_b32_e32 v21, v25, v22
	v_and_b32_e32 v17, 0xffff, v17
	v_or_b32_e32 v22, 1, v23
	v_lshlrev_b32_e32 v18, 16, v18
	s_barrier
	v_lshlrev_b32_e32 v21, 16, v21
	buffer_gl0_inv
	v_and_b32_e32 v22, 0xffff, v22
	v_or_b32_e32 v18, v17, v18
                                        ; implicit-def: $sgpr0
	s_delay_alu instid0(VALU_DEP_2)
	v_or_b32_e32 v17, v22, v21
	s_and_saveexec_b32 s1, s3
	s_cbranch_execz .LBB1299_62
; %bb.61:
	v_add_nc_u32_e32 v20, -4, v20
	v_cmp_gt_u32_e32 vcc_lo, s25, v19
	s_or_b32 s14, s14, exec_lo
	ds_load_b32 v20, v20
	s_waitcnt lgkmcnt(0)
	v_cmp_ne_u32_e64 s0, v20, v15
	s_delay_alu instid0(VALU_DEP_1) | instskip(NEXT) | instid1(SALU_CYCLE_1)
	s_and_b32 s0, vcc_lo, s0
	s_and_b32 s0, s0, exec_lo
.LBB1299_62:
	s_or_b32 exec_lo, exec_lo, s1
.LBB1299_63:
	s_and_saveexec_b32 s1, s14
	s_cbranch_execz .LBB1299_65
; %bb.64:
	s_waitcnt vmcnt(0) lgkmcnt(1)
	v_and_b32_e32 v20, 0xffffff00, v17
	v_cndmask_b32_e64 v21, 0, 1, s0
	s_delay_alu instid0(VALU_DEP_1) | instskip(NEXT) | instid1(VALU_DEP_1)
	v_or_b32_e32 v20, v21, v20
	v_and_b32_e32 v20, 0xffff, v20
	s_delay_alu instid0(VALU_DEP_1)
	v_and_or_b32 v17, 0xffff0000, v17, v20
.LBB1299_65:
	s_or_b32 exec_lo, exec_lo, s1
	s_delay_alu instid0(SALU_CYCLE_1)
	s_and_not1_b32 vcc_lo, exec_lo, s26
	s_cbranch_vccnz .LBB1299_67
; %bb.66:
	v_cmp_gt_u32_e32 vcc_lo, s25, v19
	v_or_b32_e32 v21, 1, v19
	v_and_b32_e32 v22, 0xffffff00, v18
	v_or_b32_e32 v23, 2, v19
	s_waitcnt vmcnt(0) lgkmcnt(1)
	v_cndmask_b32_e32 v20, 0, v17, vcc_lo
	v_cmp_gt_u32_e32 vcc_lo, s25, v21
	v_or_b32_e32 v21, 4, v19
	v_cmp_gt_u32_e64 s0, s25, v23
	v_or_b32_e32 v23, 3, v19
	v_and_b32_e32 v20, 0xff, v20
	s_delay_alu instid0(VALU_DEP_2) | instskip(NEXT) | instid1(VALU_DEP_2)
	v_cmp_gt_u32_e64 s1, s25, v23
	v_cndmask_b32_e32 v20, v20, v17, vcc_lo
	v_cmp_gt_u32_e32 vcc_lo, s25, v21
	s_delay_alu instid0(VALU_DEP_2) | instskip(SKIP_1) | instid1(VALU_DEP_2)
	v_dual_cndmask_b32 v21, v22, v18 :: v_dual_and_b32 v20, 0xffff, v20
	v_or_b32_e32 v22, 5, v19
	v_cndmask_b32_e64 v20, v20, v17, s0
	s_delay_alu instid0(VALU_DEP_3) | instskip(NEXT) | instid1(VALU_DEP_3)
	v_and_b32_e32 v21, 0xffff00ff, v21
	v_cmp_gt_u32_e64 s0, s25, v22
	v_or_b32_e32 v22, 6, v19
	v_or_b32_e32 v19, 7, v19
	v_and_b32_e32 v20, 0xffffff, v20
	s_delay_alu instid0(VALU_DEP_4) | instskip(NEXT) | instid1(VALU_DEP_2)
	v_cndmask_b32_e64 v21, v21, v18, s0
	v_cndmask_b32_e64 v20, v20, v17, s1
	s_delay_alu instid0(VALU_DEP_2) | instskip(NEXT) | instid1(VALU_DEP_2)
	v_and_b32_e32 v21, 0xff00ffff, v21
	v_cndmask_b32_e32 v20, v20, v17, vcc_lo
	v_cmp_gt_u32_e32 vcc_lo, s25, v22
	s_delay_alu instid0(VALU_DEP_2) | instskip(NEXT) | instid1(VALU_DEP_1)
	v_cndmask_b32_e64 v20, v20, v17, s0
	v_dual_cndmask_b32 v21, v21, v18 :: v_dual_cndmask_b32 v20, v20, v17
	s_delay_alu instid0(VALU_DEP_1) | instskip(SKIP_1) | instid1(VALU_DEP_2)
	v_and_b32_e32 v21, 0xffffff, v21
	v_cmp_gt_u32_e32 vcc_lo, s25, v19
	v_dual_cndmask_b32 v18, v21, v18 :: v_dual_cndmask_b32 v17, v20, v17
.LBB1299_67:
	s_delay_alu instid0(VALU_DEP_1) | instskip(NEXT) | instid1(VALU_DEP_2)
	v_and_b32_e32 v28, 0xff, v17
	v_alignbit_b32 v19, v18, v17, 24
	v_bfe_u32 v30, v17, 8, 8
	v_bfe_u32 v32, v17, 16, 8
	v_and_b32_e32 v36, 0xff, v18
	v_bfe_u32 v38, v18, 8, 8
	v_and_b32_e32 v34, 0xff, v19
	v_add_nc_u32_e32 v19, v30, v28
	s_waitcnt vmcnt(0) lgkmcnt(1)
	v_and_b32_e32 v20, 0x1e0, v0
	v_mbcnt_lo_u32_b32 v41, -1, 0
	v_bfe_u32 v40, v18, 16, 8
	v_lshrrev_b32_e32 v39, 24, v18
	v_add3_u32 v19, v19, v32, v34
	v_min_u32_e32 v20, 0x160, v20
	v_and_b32_e32 v21, 15, v41
	v_lshrrev_b32_e32 v42, 5, v0
	s_and_b32 vcc_lo, exec_lo, s9
	v_add3_u32 v19, v19, v36, v38
	v_or_b32_e32 v20, 31, v20
	v_cmp_eq_u32_e64 s3, 0, v21
	v_cmp_lt_u32_e64 s4, 1, v21
	v_cmp_lt_u32_e64 s1, 3, v21
	v_add3_u32 v43, v19, v40, v39
	v_and_b32_e32 v19, 16, v41
	v_cmp_lt_u32_e64 s0, 7, v21
	v_cmp_eq_u32_e64 s5, v20, v0
	s_mov_b32 s7, -1
	s_waitcnt lgkmcnt(0)
	v_cmp_eq_u32_e64 s6, 0, v19
	s_barrier
	buffer_gl0_inv
	s_cbranch_vccz .LBB1299_93
; %bb.68:
	v_mov_b32_dpp v19, v43 row_shr:1 row_mask:0xf bank_mask:0xf
	s_delay_alu instid0(VALU_DEP_1) | instskip(NEXT) | instid1(VALU_DEP_1)
	v_cndmask_b32_e64 v19, v19, 0, s3
	v_add_nc_u32_e32 v19, v19, v43
	s_delay_alu instid0(VALU_DEP_1) | instskip(NEXT) | instid1(VALU_DEP_1)
	v_mov_b32_dpp v20, v19 row_shr:2 row_mask:0xf bank_mask:0xf
	v_cndmask_b32_e64 v20, 0, v20, s4
	s_delay_alu instid0(VALU_DEP_1) | instskip(NEXT) | instid1(VALU_DEP_1)
	v_add_nc_u32_e32 v19, v19, v20
	v_mov_b32_dpp v20, v19 row_shr:4 row_mask:0xf bank_mask:0xf
	s_delay_alu instid0(VALU_DEP_1) | instskip(NEXT) | instid1(VALU_DEP_1)
	v_cndmask_b32_e64 v20, 0, v20, s1
	v_add_nc_u32_e32 v19, v19, v20
	s_delay_alu instid0(VALU_DEP_1) | instskip(NEXT) | instid1(VALU_DEP_1)
	v_mov_b32_dpp v20, v19 row_shr:8 row_mask:0xf bank_mask:0xf
	v_cndmask_b32_e64 v20, 0, v20, s0
	s_delay_alu instid0(VALU_DEP_1) | instskip(SKIP_3) | instid1(VALU_DEP_1)
	v_add_nc_u32_e32 v19, v19, v20
	ds_swizzle_b32 v20, v19 offset:swizzle(BROADCAST,32,15)
	s_waitcnt lgkmcnt(0)
	v_cndmask_b32_e64 v20, v20, 0, s6
	v_add_nc_u32_e32 v19, v19, v20
	s_and_saveexec_b32 s7, s5
	s_cbranch_execz .LBB1299_70
; %bb.69:
	v_lshlrev_b32_e32 v20, 2, v42
	ds_store_b32 v20, v19
.LBB1299_70:
	s_or_b32 exec_lo, exec_lo, s7
	s_delay_alu instid0(SALU_CYCLE_1)
	s_mov_b32 s7, exec_lo
	s_waitcnt lgkmcnt(0)
	s_barrier
	buffer_gl0_inv
	v_cmpx_gt_u32_e32 12, v0
	s_cbranch_execz .LBB1299_72
; %bb.71:
	v_lshlrev_b32_e32 v20, 2, v0
	ds_load_b32 v21, v20
	s_waitcnt lgkmcnt(0)
	v_mov_b32_dpp v22, v21 row_shr:1 row_mask:0xf bank_mask:0xf
	s_delay_alu instid0(VALU_DEP_1) | instskip(NEXT) | instid1(VALU_DEP_1)
	v_cndmask_b32_e64 v22, v22, 0, s3
	v_add_nc_u32_e32 v21, v22, v21
	s_delay_alu instid0(VALU_DEP_1) | instskip(NEXT) | instid1(VALU_DEP_1)
	v_mov_b32_dpp v22, v21 row_shr:2 row_mask:0xf bank_mask:0xf
	v_cndmask_b32_e64 v22, 0, v22, s4
	s_delay_alu instid0(VALU_DEP_1) | instskip(NEXT) | instid1(VALU_DEP_1)
	v_add_nc_u32_e32 v21, v21, v22
	v_mov_b32_dpp v22, v21 row_shr:4 row_mask:0xf bank_mask:0xf
	s_delay_alu instid0(VALU_DEP_1) | instskip(NEXT) | instid1(VALU_DEP_1)
	v_cndmask_b32_e64 v22, 0, v22, s1
	v_add_nc_u32_e32 v21, v21, v22
	s_delay_alu instid0(VALU_DEP_1) | instskip(NEXT) | instid1(VALU_DEP_1)
	v_mov_b32_dpp v22, v21 row_shr:8 row_mask:0xf bank_mask:0xf
	v_cndmask_b32_e64 v22, 0, v22, s0
	s_delay_alu instid0(VALU_DEP_1)
	v_add_nc_u32_e32 v21, v21, v22
	ds_store_b32 v20, v21
.LBB1299_72:
	s_or_b32 exec_lo, exec_lo, s7
	v_cmp_gt_u32_e32 vcc_lo, 32, v0
	s_mov_b32 s8, exec_lo
	s_waitcnt lgkmcnt(0)
	s_barrier
	buffer_gl0_inv
                                        ; implicit-def: $vgpr27
	v_cmpx_lt_u32_e32 31, v0
	s_cbranch_execz .LBB1299_74
; %bb.73:
	v_lshl_add_u32 v20, v42, 2, -4
	ds_load_b32 v27, v20
	s_waitcnt lgkmcnt(0)
	v_add_nc_u32_e32 v19, v27, v19
.LBB1299_74:
	s_or_b32 exec_lo, exec_lo, s8
	v_add_nc_u32_e32 v20, -1, v41
	s_delay_alu instid0(VALU_DEP_1) | instskip(NEXT) | instid1(VALU_DEP_1)
	v_cmp_gt_i32_e64 s7, 0, v20
	v_cndmask_b32_e64 v20, v20, v41, s7
	v_cmp_eq_u32_e64 s7, 0, v41
	s_delay_alu instid0(VALU_DEP_2)
	v_lshlrev_b32_e32 v20, 2, v20
	ds_bpermute_b32 v29, v20, v19
	s_and_saveexec_b32 s8, vcc_lo
	s_cbranch_execz .LBB1299_92
; %bb.75:
	v_mov_b32_e32 v23, 0
	ds_load_b32 v19, v23 offset:44
	s_and_saveexec_b32 s9, s7
	s_cbranch_execz .LBB1299_77
; %bb.76:
	s_add_i32 s14, s24, 32
	s_mov_b32 s15, 0
	v_mov_b32_e32 v20, 1
	s_lshl_b64 s[14:15], s[14:15], 3
	s_delay_alu instid0(SALU_CYCLE_1)
	s_add_u32 s14, s20, s14
	s_addc_u32 s15, s21, s15
	s_waitcnt lgkmcnt(0)
	global_store_b64 v23, v[19:20], s[14:15]
.LBB1299_77:
	s_or_b32 exec_lo, exec_lo, s9
	v_xad_u32 v21, v41, -1, s24
	s_mov_b32 s14, 0
	s_mov_b32 s9, exec_lo
	s_delay_alu instid0(VALU_DEP_1) | instskip(NEXT) | instid1(VALU_DEP_1)
	v_add_nc_u32_e32 v22, 32, v21
	v_lshlrev_b64 v[22:23], 3, v[22:23]
	s_delay_alu instid0(VALU_DEP_1) | instskip(NEXT) | instid1(VALU_DEP_2)
	v_add_co_u32 v25, vcc_lo, s20, v22
	v_add_co_ci_u32_e32 v26, vcc_lo, s21, v23, vcc_lo
	global_load_b64 v[23:24], v[25:26], off glc
	s_waitcnt vmcnt(0)
	v_and_b32_e32 v20, 0xff, v24
	s_delay_alu instid0(VALU_DEP_1)
	v_cmpx_eq_u16_e32 0, v20
	s_cbranch_execz .LBB1299_80
.LBB1299_78:                            ; =>This Inner Loop Header: Depth=1
	global_load_b64 v[23:24], v[25:26], off glc
	s_waitcnt vmcnt(0)
	v_and_b32_e32 v20, 0xff, v24
	s_delay_alu instid0(VALU_DEP_1) | instskip(SKIP_1) | instid1(SALU_CYCLE_1)
	v_cmp_ne_u16_e32 vcc_lo, 0, v20
	s_or_b32 s14, vcc_lo, s14
	s_and_not1_b32 exec_lo, exec_lo, s14
	s_cbranch_execnz .LBB1299_78
; %bb.79:
	s_or_b32 exec_lo, exec_lo, s14
.LBB1299_80:
	s_delay_alu instid0(SALU_CYCLE_1)
	s_or_b32 exec_lo, exec_lo, s9
	v_cmp_ne_u32_e32 vcc_lo, 31, v41
	v_lshlrev_b32_e64 v33, v41, -1
	v_add_nc_u32_e32 v37, 2, v41
	v_add_nc_u32_e32 v45, 4, v41
	;; [unrolled: 1-line block ×3, first 2 shown]
	v_add_co_ci_u32_e32 v20, vcc_lo, 0, v41, vcc_lo
	v_add_nc_u32_e32 v49, 16, v41
	s_delay_alu instid0(VALU_DEP_2)
	v_lshlrev_b32_e32 v31, 2, v20
	v_and_b32_e32 v20, 0xff, v24
	ds_bpermute_b32 v22, v31, v23
	v_cmp_eq_u16_e32 vcc_lo, 2, v20
	v_and_or_b32 v20, vcc_lo, v33, 0x80000000
	v_cmp_gt_u32_e32 vcc_lo, 30, v41
	s_delay_alu instid0(VALU_DEP_2) | instskip(SKIP_1) | instid1(VALU_DEP_2)
	v_ctz_i32_b32_e32 v20, v20
	v_cndmask_b32_e64 v25, 0, 1, vcc_lo
	v_cmp_lt_u32_e32 vcc_lo, v41, v20
	s_waitcnt lgkmcnt(0)
	s_delay_alu instid0(VALU_DEP_2) | instskip(NEXT) | instid1(VALU_DEP_1)
	v_dual_cndmask_b32 v22, 0, v22 :: v_dual_lshlrev_b32 v25, 1, v25
	v_add_lshl_u32 v35, v25, v41, 2
	v_cmp_gt_u32_e32 vcc_lo, 28, v41
	s_delay_alu instid0(VALU_DEP_3) | instskip(SKIP_4) | instid1(VALU_DEP_1)
	v_add_nc_u32_e32 v22, v22, v23
	v_cndmask_b32_e64 v25, 0, 1, vcc_lo
	v_cmp_le_u32_e32 vcc_lo, v37, v20
	ds_bpermute_b32 v23, v35, v22
	v_lshlrev_b32_e32 v25, 2, v25
	v_add_lshl_u32 v44, v25, v41, 2
	s_waitcnt lgkmcnt(0)
	v_cndmask_b32_e32 v23, 0, v23, vcc_lo
	v_cmp_gt_u32_e32 vcc_lo, 24, v41
	s_delay_alu instid0(VALU_DEP_2) | instskip(SKIP_4) | instid1(VALU_DEP_1)
	v_add_nc_u32_e32 v22, v22, v23
	v_cndmask_b32_e64 v25, 0, 1, vcc_lo
	v_cmp_le_u32_e32 vcc_lo, v45, v20
	ds_bpermute_b32 v23, v44, v22
	v_lshlrev_b32_e32 v25, 3, v25
	v_add_lshl_u32 v46, v25, v41, 2
	s_waitcnt lgkmcnt(0)
	v_cndmask_b32_e32 v23, 0, v23, vcc_lo
	v_cmp_gt_u32_e32 vcc_lo, 16, v41
	s_delay_alu instid0(VALU_DEP_2) | instskip(SKIP_4) | instid1(VALU_DEP_1)
	v_add_nc_u32_e32 v22, v22, v23
	v_cndmask_b32_e64 v25, 0, 1, vcc_lo
	v_cmp_le_u32_e32 vcc_lo, v47, v20
	ds_bpermute_b32 v23, v46, v22
	v_lshlrev_b32_e32 v25, 4, v25
	v_add_lshl_u32 v48, v25, v41, 2
	s_waitcnt lgkmcnt(0)
	v_cndmask_b32_e32 v23, 0, v23, vcc_lo
	v_cmp_le_u32_e32 vcc_lo, v49, v20
	s_delay_alu instid0(VALU_DEP_2) | instskip(SKIP_3) | instid1(VALU_DEP_1)
	v_add_nc_u32_e32 v22, v22, v23
	ds_bpermute_b32 v23, v48, v22
	s_waitcnt lgkmcnt(0)
	v_cndmask_b32_e32 v20, 0, v23, vcc_lo
	v_dual_mov_b32 v22, 0 :: v_dual_add_nc_u32 v23, v22, v20
	s_branch .LBB1299_82
.LBB1299_81:                            ;   in Loop: Header=BB1299_82 Depth=1
	s_or_b32 exec_lo, exec_lo, s9
	ds_bpermute_b32 v26, v31, v23
	v_and_b32_e32 v25, 0xff, v24
	v_subrev_nc_u32_e32 v21, 32, v21
	s_delay_alu instid0(VALU_DEP_2) | instskip(SKIP_1) | instid1(VALU_DEP_1)
	v_cmp_eq_u16_e32 vcc_lo, 2, v25
	v_and_or_b32 v25, vcc_lo, v33, 0x80000000
	v_ctz_i32_b32_e32 v25, v25
	s_delay_alu instid0(VALU_DEP_1) | instskip(SKIP_3) | instid1(VALU_DEP_2)
	v_cmp_lt_u32_e32 vcc_lo, v41, v25
	s_waitcnt lgkmcnt(0)
	v_cndmask_b32_e32 v26, 0, v26, vcc_lo
	v_cmp_le_u32_e32 vcc_lo, v37, v25
	v_add_nc_u32_e32 v23, v26, v23
	ds_bpermute_b32 v26, v35, v23
	s_waitcnt lgkmcnt(0)
	v_cndmask_b32_e32 v26, 0, v26, vcc_lo
	v_cmp_le_u32_e32 vcc_lo, v45, v25
	s_delay_alu instid0(VALU_DEP_2) | instskip(SKIP_4) | instid1(VALU_DEP_2)
	v_add_nc_u32_e32 v23, v23, v26
	ds_bpermute_b32 v26, v44, v23
	s_waitcnt lgkmcnt(0)
	v_cndmask_b32_e32 v26, 0, v26, vcc_lo
	v_cmp_le_u32_e32 vcc_lo, v47, v25
	v_add_nc_u32_e32 v23, v23, v26
	ds_bpermute_b32 v26, v46, v23
	s_waitcnt lgkmcnt(0)
	v_cndmask_b32_e32 v26, 0, v26, vcc_lo
	v_cmp_le_u32_e32 vcc_lo, v49, v25
	s_delay_alu instid0(VALU_DEP_2) | instskip(SKIP_3) | instid1(VALU_DEP_1)
	v_add_nc_u32_e32 v23, v23, v26
	ds_bpermute_b32 v26, v48, v23
	s_waitcnt lgkmcnt(0)
	v_cndmask_b32_e32 v25, 0, v26, vcc_lo
	v_add3_u32 v23, v25, v20, v23
.LBB1299_82:                            ; =>This Loop Header: Depth=1
                                        ;     Child Loop BB1299_85 Depth 2
	v_and_b32_e32 v20, 0xff, v24
	s_delay_alu instid0(VALU_DEP_1) | instskip(SKIP_2) | instid1(VALU_DEP_1)
	v_cmp_ne_u16_e32 vcc_lo, 2, v20
	v_cndmask_b32_e64 v20, 0, 1, vcc_lo
	;;#ASMSTART
	;;#ASMEND
	v_cmp_ne_u32_e32 vcc_lo, 0, v20
	v_mov_b32_e32 v20, v23
	s_cmp_lg_u32 vcc_lo, exec_lo
	s_cbranch_scc1 .LBB1299_87
; %bb.83:                               ;   in Loop: Header=BB1299_82 Depth=1
	v_lshlrev_b64 v[23:24], 3, v[21:22]
	s_mov_b32 s9, exec_lo
	s_delay_alu instid0(VALU_DEP_1) | instskip(NEXT) | instid1(VALU_DEP_2)
	v_add_co_u32 v25, vcc_lo, s20, v23
	v_add_co_ci_u32_e32 v26, vcc_lo, s21, v24, vcc_lo
	global_load_b64 v[23:24], v[25:26], off glc
	s_waitcnt vmcnt(0)
	v_and_b32_e32 v50, 0xff, v24
	s_delay_alu instid0(VALU_DEP_1)
	v_cmpx_eq_u16_e32 0, v50
	s_cbranch_execz .LBB1299_81
; %bb.84:                               ;   in Loop: Header=BB1299_82 Depth=1
	s_mov_b32 s14, 0
.LBB1299_85:                            ;   Parent Loop BB1299_82 Depth=1
                                        ; =>  This Inner Loop Header: Depth=2
	global_load_b64 v[23:24], v[25:26], off glc
	s_waitcnt vmcnt(0)
	v_and_b32_e32 v50, 0xff, v24
	s_delay_alu instid0(VALU_DEP_1) | instskip(SKIP_1) | instid1(SALU_CYCLE_1)
	v_cmp_ne_u16_e32 vcc_lo, 0, v50
	s_or_b32 s14, vcc_lo, s14
	s_and_not1_b32 exec_lo, exec_lo, s14
	s_cbranch_execnz .LBB1299_85
; %bb.86:                               ;   in Loop: Header=BB1299_82 Depth=1
	s_or_b32 exec_lo, exec_lo, s14
	s_branch .LBB1299_81
.LBB1299_87:                            ;   in Loop: Header=BB1299_82 Depth=1
                                        ; implicit-def: $vgpr23
                                        ; implicit-def: $vgpr24
	s_cbranch_execz .LBB1299_82
; %bb.88:
	s_and_saveexec_b32 s9, s7
	s_cbranch_execz .LBB1299_90
; %bb.89:
	s_add_i32 s14, s24, 32
	s_mov_b32 s15, 0
	v_dual_mov_b32 v22, 2 :: v_dual_add_nc_u32 v21, v20, v19
	s_lshl_b64 s[14:15], s[14:15], 3
	v_mov_b32_e32 v23, 0
	s_add_u32 s14, s20, s14
	s_addc_u32 s15, s21, s15
	global_store_b64 v23, v[21:22], s[14:15]
	ds_store_b64 v23, v[19:20] offset:12672
.LBB1299_90:
	s_or_b32 exec_lo, exec_lo, s9
	s_delay_alu instid0(SALU_CYCLE_1)
	s_and_b32 exec_lo, exec_lo, s2
	s_cbranch_execz .LBB1299_92
; %bb.91:
	v_mov_b32_e32 v19, 0
	ds_store_b32 v19, v20 offset:44
.LBB1299_92:
	s_or_b32 exec_lo, exec_lo, s8
	v_mov_b32_e32 v19, 0
	s_waitcnt lgkmcnt(0)
	s_waitcnt_vscnt null, 0x0
	s_barrier
	buffer_gl0_inv
	v_cndmask_b32_e64 v21, v29, v27, s7
	ds_load_b32 v20, v19 offset:44
	s_waitcnt lgkmcnt(0)
	s_barrier
	buffer_gl0_inv
	v_cndmask_b32_e64 v21, v21, 0, s2
	s_delay_alu instid0(VALU_DEP_1) | instskip(SKIP_2) | instid1(VALU_DEP_1)
	v_add_nc_u32_e32 v37, v20, v21
	ds_load_b64 v[19:20], v19 offset:12672
	v_add_nc_u32_e32 v35, v37, v28
	v_add_nc_u32_e32 v33, v35, v30
	s_delay_alu instid0(VALU_DEP_1) | instskip(NEXT) | instid1(VALU_DEP_1)
	v_add_nc_u32_e32 v31, v33, v32
	v_add_nc_u32_e32 v29, v31, v34
	s_delay_alu instid0(VALU_DEP_1) | instskip(NEXT) | instid1(VALU_DEP_1)
	v_add_nc_u32_e32 v27, v29, v36
	v_add_nc_u32_e32 v25, v27, v38
	s_delay_alu instid0(VALU_DEP_1)
	v_add_nc_u32_e32 v23, v25, v40
	v_lshrrev_b64 v[21:22], 24, v[17:18]
	s_branch .LBB1299_103
.LBB1299_93:
                                        ; implicit-def: $vgpr23
                                        ; implicit-def: $vgpr25
                                        ; implicit-def: $vgpr27
                                        ; implicit-def: $vgpr29
                                        ; implicit-def: $vgpr31
                                        ; implicit-def: $vgpr33
                                        ; implicit-def: $vgpr35
                                        ; implicit-def: $vgpr37
                                        ; implicit-def: $vgpr20
	v_lshrrev_b64 v[21:22], 24, v[17:18]
	s_and_b32 vcc_lo, exec_lo, s7
	s_cbranch_vccz .LBB1299_103
; %bb.94:
	s_waitcnt lgkmcnt(0)
	v_mov_b32_dpp v19, v43 row_shr:1 row_mask:0xf bank_mask:0xf
	s_delay_alu instid0(VALU_DEP_1) | instskip(NEXT) | instid1(VALU_DEP_1)
	v_cndmask_b32_e64 v19, v19, 0, s3
	v_add_nc_u32_e32 v19, v19, v43
	s_delay_alu instid0(VALU_DEP_1) | instskip(NEXT) | instid1(VALU_DEP_1)
	v_mov_b32_dpp v20, v19 row_shr:2 row_mask:0xf bank_mask:0xf
	v_cndmask_b32_e64 v20, 0, v20, s4
	s_delay_alu instid0(VALU_DEP_1) | instskip(NEXT) | instid1(VALU_DEP_1)
	v_add_nc_u32_e32 v19, v19, v20
	v_mov_b32_dpp v20, v19 row_shr:4 row_mask:0xf bank_mask:0xf
	s_delay_alu instid0(VALU_DEP_1) | instskip(NEXT) | instid1(VALU_DEP_1)
	v_cndmask_b32_e64 v20, 0, v20, s1
	v_add_nc_u32_e32 v19, v19, v20
	s_delay_alu instid0(VALU_DEP_1) | instskip(NEXT) | instid1(VALU_DEP_1)
	v_mov_b32_dpp v20, v19 row_shr:8 row_mask:0xf bank_mask:0xf
	v_cndmask_b32_e64 v20, 0, v20, s0
	s_delay_alu instid0(VALU_DEP_1) | instskip(SKIP_3) | instid1(VALU_DEP_1)
	v_add_nc_u32_e32 v19, v19, v20
	ds_swizzle_b32 v20, v19 offset:swizzle(BROADCAST,32,15)
	s_waitcnt lgkmcnt(0)
	v_cndmask_b32_e64 v20, v20, 0, s6
	v_add_nc_u32_e32 v19, v19, v20
	s_and_saveexec_b32 s6, s5
	s_cbranch_execz .LBB1299_96
; %bb.95:
	v_lshlrev_b32_e32 v20, 2, v42
	ds_store_b32 v20, v19
.LBB1299_96:
	s_or_b32 exec_lo, exec_lo, s6
	s_delay_alu instid0(SALU_CYCLE_1)
	s_mov_b32 s5, exec_lo
	s_waitcnt lgkmcnt(0)
	s_barrier
	buffer_gl0_inv
	v_cmpx_gt_u32_e32 12, v0
	s_cbranch_execz .LBB1299_98
; %bb.97:
	v_lshlrev_b32_e32 v20, 2, v0
	ds_load_b32 v22, v20
	s_waitcnt lgkmcnt(0)
	v_mov_b32_dpp v23, v22 row_shr:1 row_mask:0xf bank_mask:0xf
	s_delay_alu instid0(VALU_DEP_1) | instskip(NEXT) | instid1(VALU_DEP_1)
	v_cndmask_b32_e64 v23, v23, 0, s3
	v_add_nc_u32_e32 v22, v23, v22
	s_delay_alu instid0(VALU_DEP_1) | instskip(NEXT) | instid1(VALU_DEP_1)
	v_mov_b32_dpp v23, v22 row_shr:2 row_mask:0xf bank_mask:0xf
	v_cndmask_b32_e64 v23, 0, v23, s4
	s_delay_alu instid0(VALU_DEP_1) | instskip(NEXT) | instid1(VALU_DEP_1)
	v_add_nc_u32_e32 v22, v22, v23
	v_mov_b32_dpp v23, v22 row_shr:4 row_mask:0xf bank_mask:0xf
	s_delay_alu instid0(VALU_DEP_1) | instskip(NEXT) | instid1(VALU_DEP_1)
	v_cndmask_b32_e64 v23, 0, v23, s1
	v_add_nc_u32_e32 v22, v22, v23
	s_delay_alu instid0(VALU_DEP_1) | instskip(NEXT) | instid1(VALU_DEP_1)
	v_mov_b32_dpp v23, v22 row_shr:8 row_mask:0xf bank_mask:0xf
	v_cndmask_b32_e64 v23, 0, v23, s0
	s_delay_alu instid0(VALU_DEP_1)
	v_add_nc_u32_e32 v22, v22, v23
	ds_store_b32 v20, v22
.LBB1299_98:
	s_or_b32 exec_lo, exec_lo, s5
	v_mov_b32_e32 v20, 0
	v_mov_b32_e32 v22, 0
	s_mov_b32 s0, exec_lo
	s_waitcnt lgkmcnt(0)
	s_barrier
	buffer_gl0_inv
	v_cmpx_lt_u32_e32 31, v0
	s_cbranch_execz .LBB1299_100
; %bb.99:
	v_lshl_add_u32 v22, v42, 2, -4
	ds_load_b32 v22, v22
.LBB1299_100:
	s_or_b32 exec_lo, exec_lo, s0
	v_add_nc_u32_e32 v23, -1, v41
	s_waitcnt lgkmcnt(0)
	v_add_nc_u32_e32 v19, v22, v19
	s_delay_alu instid0(VALU_DEP_2) | instskip(SKIP_1) | instid1(VALU_DEP_1)
	v_cmp_gt_i32_e32 vcc_lo, 0, v23
	v_cndmask_b32_e32 v23, v23, v41, vcc_lo
	v_lshlrev_b32_e32 v23, 2, v23
	ds_bpermute_b32 v23, v23, v19
	ds_load_b32 v19, v20 offset:44
	s_and_saveexec_b32 s0, s2
	s_cbranch_execz .LBB1299_102
; %bb.101:
	v_mov_b32_e32 v24, 0
	v_mov_b32_e32 v20, 2
	s_waitcnt lgkmcnt(0)
	global_store_b64 v24, v[19:20], s[20:21] offset:256
.LBB1299_102:
	s_or_b32 exec_lo, exec_lo, s0
	v_cmp_eq_u32_e32 vcc_lo, 0, v41
	s_waitcnt lgkmcnt(0)
	s_waitcnt_vscnt null, 0x0
	s_barrier
	buffer_gl0_inv
	v_cndmask_b32_e32 v20, v23, v22, vcc_lo
	s_delay_alu instid0(VALU_DEP_1) | instskip(NEXT) | instid1(VALU_DEP_1)
	v_cndmask_b32_e64 v37, v20, 0, s2
	v_dual_mov_b32 v20, 0 :: v_dual_add_nc_u32 v35, v37, v28
	s_delay_alu instid0(VALU_DEP_1) | instskip(NEXT) | instid1(VALU_DEP_1)
	v_add_nc_u32_e32 v33, v35, v30
	v_add_nc_u32_e32 v31, v33, v32
	s_delay_alu instid0(VALU_DEP_1) | instskip(NEXT) | instid1(VALU_DEP_1)
	v_add_nc_u32_e32 v29, v31, v34
	v_add_nc_u32_e32 v27, v29, v36
	;; [unrolled: 3-line block ×3, first 2 shown]
.LBB1299_103:
	s_waitcnt lgkmcnt(0)
	v_add_nc_u32_e32 v43, v20, v19
	v_cmp_gt_u32_e64 s0, 0x181, v19
	v_lshrrev_b32_e32 v42, 8, v17
	v_lshrrev_b32_e32 v41, 16, v17
	;; [unrolled: 1-line block ×4, first 2 shown]
	v_cmp_lt_u32_e64 s1, v37, v43
	s_and_b32 vcc_lo, exec_lo, s0
	s_mov_b32 s3, -1
	s_cbranch_vccz .LBB1299_129
; %bb.104:
	s_lshl_b64 s[4:5], s[10:11], 2
	s_delay_alu instid0(SALU_CYCLE_1) | instskip(SKIP_2) | instid1(SALU_CYCLE_1)
	s_add_u32 s3, s16, s4
	s_addc_u32 s4, s17, s5
	s_or_b32 s5, s23, s1
	s_and_saveexec_b32 s1, s5
	s_cbranch_execz .LBB1299_107
; %bb.105:
	v_and_b32_e32 v24, 1, v17
	s_delay_alu instid0(VALU_DEP_1)
	v_cmp_eq_u32_e32 vcc_lo, 1, v24
	s_and_b32 exec_lo, exec_lo, vcc_lo
	s_cbranch_execz .LBB1299_107
; %bb.106:
	v_mov_b32_e32 v38, 0
	s_delay_alu instid0(VALU_DEP_1) | instskip(NEXT) | instid1(VALU_DEP_1)
	v_lshlrev_b64 v[44:45], 2, v[37:38]
	v_add_co_u32 v44, vcc_lo, s3, v44
	s_delay_alu instid0(VALU_DEP_2)
	v_add_co_ci_u32_e32 v45, vcc_lo, s4, v45, vcc_lo
	global_store_b32 v[44:45], v15, off
.LBB1299_107:
	s_or_b32 exec_lo, exec_lo, s1
	v_cmp_lt_u32_e32 vcc_lo, v35, v43
	s_or_b32 s5, s23, vcc_lo
	s_delay_alu instid0(SALU_CYCLE_1)
	s_and_saveexec_b32 s1, s5
	s_cbranch_execz .LBB1299_110
; %bb.108:
	v_and_b32_e32 v24, 1, v42
	s_delay_alu instid0(VALU_DEP_1)
	v_cmp_eq_u32_e32 vcc_lo, 1, v24
	s_and_b32 exec_lo, exec_lo, vcc_lo
	s_cbranch_execz .LBB1299_110
; %bb.109:
	v_mov_b32_e32 v36, 0
	s_delay_alu instid0(VALU_DEP_1) | instskip(NEXT) | instid1(VALU_DEP_1)
	v_lshlrev_b64 v[44:45], 2, v[35:36]
	v_add_co_u32 v44, vcc_lo, s3, v44
	s_delay_alu instid0(VALU_DEP_2)
	v_add_co_ci_u32_e32 v45, vcc_lo, s4, v45, vcc_lo
	global_store_b32 v[44:45], v16, off
.LBB1299_110:
	s_or_b32 exec_lo, exec_lo, s1
	v_cmp_lt_u32_e32 vcc_lo, v33, v43
	s_or_b32 s5, s23, vcc_lo
	s_delay_alu instid0(SALU_CYCLE_1)
	;; [unrolled: 21-line block ×7, first 2 shown]
	s_and_saveexec_b32 s1, s5
	s_cbranch_execz .LBB1299_128
; %bb.126:
	v_and_b32_e32 v24, 1, v39
	s_delay_alu instid0(VALU_DEP_1)
	v_cmp_eq_u32_e32 vcc_lo, 1, v24
	s_and_b32 exec_lo, exec_lo, vcc_lo
	s_cbranch_execz .LBB1299_128
; %bb.127:
	v_mov_b32_e32 v24, 0
	s_delay_alu instid0(VALU_DEP_1) | instskip(NEXT) | instid1(VALU_DEP_1)
	v_lshlrev_b64 v[44:45], 2, v[23:24]
	v_add_co_u32 v44, vcc_lo, s3, v44
	s_delay_alu instid0(VALU_DEP_2)
	v_add_co_ci_u32_e32 v45, vcc_lo, s4, v45, vcc_lo
	global_store_b32 v[44:45], v10, off
.LBB1299_128:
	s_or_b32 exec_lo, exec_lo, s1
	s_mov_b32 s3, 0
.LBB1299_129:
	v_and_b32_e32 v17, 1, v17
	s_and_b32 vcc_lo, exec_lo, s3
	s_delay_alu instid0(VALU_DEP_1)
	v_cmp_eq_u32_e64 s1, 1, v17
	s_cbranch_vccz .LBB1299_150
; %bb.130:
	s_delay_alu instid0(VALU_DEP_1)
	s_and_saveexec_b32 s3, s1
	s_cbranch_execz .LBB1299_132
; %bb.131:
	v_sub_nc_u32_e32 v24, v37, v20
	s_delay_alu instid0(VALU_DEP_1)
	v_lshlrev_b32_e32 v24, 2, v24
	ds_store_b32 v24, v15
.LBB1299_132:
	s_or_b32 exec_lo, exec_lo, s3
	v_and_b32_e32 v15, 1, v42
	s_mov_b32 s1, exec_lo
	s_delay_alu instid0(VALU_DEP_1)
	v_cmpx_eq_u32_e32 1, v15
	s_cbranch_execz .LBB1299_134
; %bb.133:
	v_sub_nc_u32_e32 v15, v35, v20
	s_delay_alu instid0(VALU_DEP_1)
	v_lshlrev_b32_e32 v15, 2, v15
	ds_store_b32 v15, v16
.LBB1299_134:
	s_or_b32 exec_lo, exec_lo, s1
	v_and_b32_e32 v15, 1, v41
	s_mov_b32 s1, exec_lo
	s_delay_alu instid0(VALU_DEP_1)
	v_cmpx_eq_u32_e32 1, v15
	;; [unrolled: 12-line block ×7, first 2 shown]
	s_cbranch_execz .LBB1299_146
; %bb.145:
	v_sub_nc_u32_e32 v9, v23, v20
	s_delay_alu instid0(VALU_DEP_1)
	v_lshlrev_b32_e32 v9, 2, v9
	ds_store_b32 v9, v10
.LBB1299_146:
	s_or_b32 exec_lo, exec_lo, s1
	s_delay_alu instid0(SALU_CYCLE_1)
	s_mov_b32 s3, exec_lo
	s_waitcnt lgkmcnt(0)
	s_waitcnt_vscnt null, 0x0
	s_barrier
	buffer_gl0_inv
	v_cmpx_lt_u32_e64 v0, v19
	s_cbranch_execz .LBB1299_149
; %bb.147:
	v_dual_mov_b32 v10, 0 :: v_dual_mov_b32 v9, v20
	s_lshl_b64 s[4:5], s[10:11], 2
	v_lshlrev_b32_e32 v11, 2, v0
	s_add_u32 s1, s16, s4
	s_addc_u32 s4, s17, s5
	v_lshlrev_b64 v[12:13], 2, v[9:10]
	v_mov_b32_e32 v9, v0
	s_delay_alu instid0(VALU_DEP_2) | instskip(NEXT) | instid1(VALU_DEP_3)
	v_add_co_u32 v12, vcc_lo, s1, v12
	v_add_co_ci_u32_e32 v13, vcc_lo, s4, v13, vcc_lo
	s_mov_b32 s4, 0
	.p2align	6
.LBB1299_148:                           ; =>This Inner Loop Header: Depth=1
	ds_load_b32 v16, v11
	v_lshlrev_b64 v[14:15], 2, v[9:10]
	v_add_nc_u32_e32 v9, 0x180, v9
	v_add_nc_u32_e32 v11, 0x600, v11
	s_delay_alu instid0(VALU_DEP_2) | instskip(NEXT) | instid1(VALU_DEP_4)
	v_cmp_ge_u32_e32 vcc_lo, v9, v19
	v_add_co_u32 v14, s1, v12, v14
	s_delay_alu instid0(VALU_DEP_1)
	v_add_co_ci_u32_e64 v15, s1, v13, v15, s1
	s_or_b32 s4, vcc_lo, s4
	s_waitcnt lgkmcnt(0)
	global_store_b32 v[14:15], v16, off
	s_and_not1_b32 exec_lo, exec_lo, s4
	s_cbranch_execnz .LBB1299_148
.LBB1299_149:
	s_or_b32 exec_lo, exec_lo, s3
.LBB1299_150:
	s_delay_alu instid0(SALU_CYCLE_1)
	s_and_b32 vcc_lo, exec_lo, s0
	s_mov_b32 s0, -1
	s_waitcnt_vscnt null, 0x0
	s_barrier
	buffer_gl0_inv
	s_cbranch_vccz .LBB1299_178
; %bb.151:
	v_cmp_lt_u32_e32 vcc_lo, v37, v43
	s_lshl_b64 s[0:1], s[10:11], 2
	s_delay_alu instid0(SALU_CYCLE_1) | instskip(SKIP_2) | instid1(SALU_CYCLE_1)
	s_add_u32 s0, s18, s0
	s_addc_u32 s1, s19, s1
	s_or_b32 s4, s23, vcc_lo
	s_and_saveexec_b32 s3, s4
	s_cbranch_execz .LBB1299_154
; %bb.152:
	v_cmp_eq_u32_e32 vcc_lo, 1, v17
	s_and_b32 exec_lo, exec_lo, vcc_lo
	s_cbranch_execz .LBB1299_154
; %bb.153:
	v_mov_b32_e32 v38, 0
	s_delay_alu instid0(VALU_DEP_1) | instskip(NEXT) | instid1(VALU_DEP_1)
	v_lshlrev_b64 v[9:10], 2, v[37:38]
	v_add_co_u32 v9, vcc_lo, s0, v9
	s_delay_alu instid0(VALU_DEP_2)
	v_add_co_ci_u32_e32 v10, vcc_lo, s1, v10, vcc_lo
	global_store_b32 v[9:10], v7, off
.LBB1299_154:
	s_or_b32 exec_lo, exec_lo, s3
	v_cmp_lt_u32_e32 vcc_lo, v35, v43
	s_or_b32 s4, s23, vcc_lo
	s_delay_alu instid0(SALU_CYCLE_1)
	s_and_saveexec_b32 s3, s4
	s_cbranch_execz .LBB1299_157
; %bb.155:
	v_and_b32_e32 v9, 1, v42
	s_delay_alu instid0(VALU_DEP_1)
	v_cmp_eq_u32_e32 vcc_lo, 1, v9
	s_and_b32 exec_lo, exec_lo, vcc_lo
	s_cbranch_execz .LBB1299_157
; %bb.156:
	v_mov_b32_e32 v36, 0
	s_delay_alu instid0(VALU_DEP_1) | instskip(NEXT) | instid1(VALU_DEP_1)
	v_lshlrev_b64 v[9:10], 2, v[35:36]
	v_add_co_u32 v9, vcc_lo, s0, v9
	s_delay_alu instid0(VALU_DEP_2)
	v_add_co_ci_u32_e32 v10, vcc_lo, s1, v10, vcc_lo
	global_store_b32 v[9:10], v8, off
.LBB1299_157:
	s_or_b32 exec_lo, exec_lo, s3
	v_cmp_lt_u32_e32 vcc_lo, v33, v43
	s_or_b32 s4, s23, vcc_lo
	s_delay_alu instid0(SALU_CYCLE_1)
	s_and_saveexec_b32 s3, s4
	s_cbranch_execz .LBB1299_160
; %bb.158:
	v_and_b32_e32 v9, 1, v41
	s_delay_alu instid0(VALU_DEP_1)
	v_cmp_eq_u32_e32 vcc_lo, 1, v9
	s_and_b32 exec_lo, exec_lo, vcc_lo
	s_cbranch_execz .LBB1299_160
; %bb.159:
	v_mov_b32_e32 v34, 0
	s_delay_alu instid0(VALU_DEP_1) | instskip(NEXT) | instid1(VALU_DEP_1)
	v_lshlrev_b64 v[9:10], 2, v[33:34]
	v_add_co_u32 v9, vcc_lo, s0, v9
	s_delay_alu instid0(VALU_DEP_2)
	v_add_co_ci_u32_e32 v10, vcc_lo, s1, v10, vcc_lo
	global_store_b32 v[9:10], v5, off
.LBB1299_160:
	;; [unrolled: 21-line block ×7, first 2 shown]
	s_or_b32 exec_lo, exec_lo, s3
.LBB1299_176:
	s_and_b32 s0, s2, s22
	s_delay_alu instid0(SALU_CYCLE_1)
	s_and_saveexec_b32 s1, s0
	s_cbranch_execz .LBB1299_199
.LBB1299_177:
	v_add_co_u32 v0, s0, s10, v19
	s_delay_alu instid0(VALU_DEP_1) | instskip(SKIP_1) | instid1(VALU_DEP_3)
	v_add_co_ci_u32_e64 v1, null, s11, 0, s0
	v_mov_b32_e32 v2, 0
	v_add_co_u32 v0, vcc_lo, v0, v20
	s_delay_alu instid0(VALU_DEP_3)
	v_add_co_ci_u32_e32 v1, vcc_lo, 0, v1, vcc_lo
	global_store_b64 v2, v[0:1], s[12:13]
	s_nop 0
	s_sendmsg sendmsg(MSG_DEALLOC_VGPRS)
	s_endpgm
.LBB1299_178:
	s_and_b32 vcc_lo, exec_lo, s0
	s_cbranch_vccz .LBB1299_176
; %bb.179:
	s_mov_b32 s0, exec_lo
	v_cmpx_eq_u32_e32 1, v17
	s_cbranch_execz .LBB1299_181
; %bb.180:
	v_sub_nc_u32_e32 v9, v37, v20
	s_delay_alu instid0(VALU_DEP_1)
	v_lshlrev_b32_e32 v9, 2, v9
	ds_store_b32 v9, v7
.LBB1299_181:
	s_or_b32 exec_lo, exec_lo, s0
	v_and_b32_e32 v7, 1, v42
	s_mov_b32 s0, exec_lo
	s_delay_alu instid0(VALU_DEP_1)
	v_cmpx_eq_u32_e32 1, v7
	s_cbranch_execz .LBB1299_183
; %bb.182:
	v_sub_nc_u32_e32 v7, v35, v20
	s_delay_alu instid0(VALU_DEP_1)
	v_lshlrev_b32_e32 v7, 2, v7
	ds_store_b32 v7, v8
.LBB1299_183:
	s_or_b32 exec_lo, exec_lo, s0
	v_and_b32_e32 v7, 1, v41
	s_mov_b32 s0, exec_lo
	s_delay_alu instid0(VALU_DEP_1)
	;; [unrolled: 12-line block ×7, first 2 shown]
	v_cmpx_eq_u32_e32 1, v1
	s_cbranch_execz .LBB1299_195
; %bb.194:
	v_sub_nc_u32_e32 v1, v23, v20
	s_delay_alu instid0(VALU_DEP_1)
	v_lshlrev_b32_e32 v1, 2, v1
	ds_store_b32 v1, v2
.LBB1299_195:
	s_or_b32 exec_lo, exec_lo, s0
	s_delay_alu instid0(SALU_CYCLE_1)
	s_mov_b32 s1, exec_lo
	s_waitcnt lgkmcnt(0)
	s_waitcnt_vscnt null, 0x0
	s_barrier
	buffer_gl0_inv
	v_cmpx_lt_u32_e64 v0, v19
	s_cbranch_execz .LBB1299_198
; %bb.196:
	v_dual_mov_b32 v1, 0 :: v_dual_mov_b32 v2, v20
	s_lshl_b64 s[4:5], s[10:11], 2
	v_lshlrev_b32_e32 v4, 2, v0
	s_add_u32 s0, s18, s4
	s_delay_alu instid0(VALU_DEP_2) | instskip(SKIP_1) | instid1(VALU_DEP_1)
	v_mov_b32_e32 v3, v1
	s_addc_u32 s3, s19, s5
	v_lshlrev_b64 v[2:3], 2, v[2:3]
	s_delay_alu instid0(VALU_DEP_1) | instskip(NEXT) | instid1(VALU_DEP_2)
	v_add_co_u32 v2, vcc_lo, s0, v2
	v_add_co_ci_u32_e32 v3, vcc_lo, s3, v3, vcc_lo
	s_mov_b32 s3, 0
	.p2align	6
.LBB1299_197:                           ; =>This Inner Loop Header: Depth=1
	ds_load_b32 v7, v4
	v_lshlrev_b64 v[5:6], 2, v[0:1]
	v_add_nc_u32_e32 v0, 0x180, v0
	v_add_nc_u32_e32 v4, 0x600, v4
	s_delay_alu instid0(VALU_DEP_2) | instskip(NEXT) | instid1(VALU_DEP_4)
	v_cmp_ge_u32_e32 vcc_lo, v0, v19
	v_add_co_u32 v5, s0, v2, v5
	s_delay_alu instid0(VALU_DEP_1)
	v_add_co_ci_u32_e64 v6, s0, v3, v6, s0
	s_or_b32 s3, vcc_lo, s3
	s_waitcnt lgkmcnt(0)
	global_store_b32 v[5:6], v7, off
	s_and_not1_b32 exec_lo, exec_lo, s3
	s_cbranch_execnz .LBB1299_197
.LBB1299_198:
	s_or_b32 exec_lo, exec_lo, s1
	s_and_b32 s0, s2, s22
	s_delay_alu instid0(SALU_CYCLE_1)
	s_and_saveexec_b32 s1, s0
	s_cbranch_execnz .LBB1299_177
.LBB1299_199:
	s_nop 0
	s_sendmsg sendmsg(MSG_DEALLOC_VGPRS)
	s_endpgm
	.section	.rodata,"a",@progbits
	.p2align	6, 0x0
	.amdhsa_kernel _ZN7rocprim17ROCPRIM_400000_NS6detail17trampoline_kernelINS0_14default_configENS1_25partition_config_selectorILNS1_17partition_subalgoE9EiibEEZZNS1_14partition_implILS5_9ELb0ES3_jN6thrust23THRUST_200600_302600_NS10device_ptrIiEESB_PNS0_10empty_typeENS0_5tupleIJSB_SC_EEENSE_IJSB_SD_EEENS0_18inequality_wrapperINS9_8equal_toIiEEEEPmJSC_EEE10hipError_tPvRmT3_T4_T5_T6_T7_T9_mT8_P12ihipStream_tbDpT10_ENKUlT_T0_E_clISt17integral_constantIbLb0EES14_IbLb1EEEEDaS10_S11_EUlS10_E_NS1_11comp_targetILNS1_3genE9ELNS1_11target_archE1100ELNS1_3gpuE3ELNS1_3repE0EEENS1_30default_config_static_selectorELNS0_4arch9wavefront6targetE0EEEvT1_
		.amdhsa_group_segment_fixed_size 12680
		.amdhsa_private_segment_fixed_size 0
		.amdhsa_kernarg_size 128
		.amdhsa_user_sgpr_count 15
		.amdhsa_user_sgpr_dispatch_ptr 0
		.amdhsa_user_sgpr_queue_ptr 0
		.amdhsa_user_sgpr_kernarg_segment_ptr 1
		.amdhsa_user_sgpr_dispatch_id 0
		.amdhsa_user_sgpr_private_segment_size 0
		.amdhsa_wavefront_size32 1
		.amdhsa_uses_dynamic_stack 0
		.amdhsa_enable_private_segment 0
		.amdhsa_system_sgpr_workgroup_id_x 1
		.amdhsa_system_sgpr_workgroup_id_y 0
		.amdhsa_system_sgpr_workgroup_id_z 0
		.amdhsa_system_sgpr_workgroup_info 0
		.amdhsa_system_vgpr_workitem_id 0
		.amdhsa_next_free_vgpr 51
		.amdhsa_next_free_sgpr 29
		.amdhsa_reserve_vcc 1
		.amdhsa_float_round_mode_32 0
		.amdhsa_float_round_mode_16_64 0
		.amdhsa_float_denorm_mode_32 3
		.amdhsa_float_denorm_mode_16_64 3
		.amdhsa_dx10_clamp 1
		.amdhsa_ieee_mode 1
		.amdhsa_fp16_overflow 0
		.amdhsa_workgroup_processor_mode 1
		.amdhsa_memory_ordered 1
		.amdhsa_forward_progress 0
		.amdhsa_shared_vgpr_count 0
		.amdhsa_exception_fp_ieee_invalid_op 0
		.amdhsa_exception_fp_denorm_src 0
		.amdhsa_exception_fp_ieee_div_zero 0
		.amdhsa_exception_fp_ieee_overflow 0
		.amdhsa_exception_fp_ieee_underflow 0
		.amdhsa_exception_fp_ieee_inexact 0
		.amdhsa_exception_int_div_zero 0
	.end_amdhsa_kernel
	.section	.text._ZN7rocprim17ROCPRIM_400000_NS6detail17trampoline_kernelINS0_14default_configENS1_25partition_config_selectorILNS1_17partition_subalgoE9EiibEEZZNS1_14partition_implILS5_9ELb0ES3_jN6thrust23THRUST_200600_302600_NS10device_ptrIiEESB_PNS0_10empty_typeENS0_5tupleIJSB_SC_EEENSE_IJSB_SD_EEENS0_18inequality_wrapperINS9_8equal_toIiEEEEPmJSC_EEE10hipError_tPvRmT3_T4_T5_T6_T7_T9_mT8_P12ihipStream_tbDpT10_ENKUlT_T0_E_clISt17integral_constantIbLb0EES14_IbLb1EEEEDaS10_S11_EUlS10_E_NS1_11comp_targetILNS1_3genE9ELNS1_11target_archE1100ELNS1_3gpuE3ELNS1_3repE0EEENS1_30default_config_static_selectorELNS0_4arch9wavefront6targetE0EEEvT1_,"axG",@progbits,_ZN7rocprim17ROCPRIM_400000_NS6detail17trampoline_kernelINS0_14default_configENS1_25partition_config_selectorILNS1_17partition_subalgoE9EiibEEZZNS1_14partition_implILS5_9ELb0ES3_jN6thrust23THRUST_200600_302600_NS10device_ptrIiEESB_PNS0_10empty_typeENS0_5tupleIJSB_SC_EEENSE_IJSB_SD_EEENS0_18inequality_wrapperINS9_8equal_toIiEEEEPmJSC_EEE10hipError_tPvRmT3_T4_T5_T6_T7_T9_mT8_P12ihipStream_tbDpT10_ENKUlT_T0_E_clISt17integral_constantIbLb0EES14_IbLb1EEEEDaS10_S11_EUlS10_E_NS1_11comp_targetILNS1_3genE9ELNS1_11target_archE1100ELNS1_3gpuE3ELNS1_3repE0EEENS1_30default_config_static_selectorELNS0_4arch9wavefront6targetE0EEEvT1_,comdat
.Lfunc_end1299:
	.size	_ZN7rocprim17ROCPRIM_400000_NS6detail17trampoline_kernelINS0_14default_configENS1_25partition_config_selectorILNS1_17partition_subalgoE9EiibEEZZNS1_14partition_implILS5_9ELb0ES3_jN6thrust23THRUST_200600_302600_NS10device_ptrIiEESB_PNS0_10empty_typeENS0_5tupleIJSB_SC_EEENSE_IJSB_SD_EEENS0_18inequality_wrapperINS9_8equal_toIiEEEEPmJSC_EEE10hipError_tPvRmT3_T4_T5_T6_T7_T9_mT8_P12ihipStream_tbDpT10_ENKUlT_T0_E_clISt17integral_constantIbLb0EES14_IbLb1EEEEDaS10_S11_EUlS10_E_NS1_11comp_targetILNS1_3genE9ELNS1_11target_archE1100ELNS1_3gpuE3ELNS1_3repE0EEENS1_30default_config_static_selectorELNS0_4arch9wavefront6targetE0EEEvT1_, .Lfunc_end1299-_ZN7rocprim17ROCPRIM_400000_NS6detail17trampoline_kernelINS0_14default_configENS1_25partition_config_selectorILNS1_17partition_subalgoE9EiibEEZZNS1_14partition_implILS5_9ELb0ES3_jN6thrust23THRUST_200600_302600_NS10device_ptrIiEESB_PNS0_10empty_typeENS0_5tupleIJSB_SC_EEENSE_IJSB_SD_EEENS0_18inequality_wrapperINS9_8equal_toIiEEEEPmJSC_EEE10hipError_tPvRmT3_T4_T5_T6_T7_T9_mT8_P12ihipStream_tbDpT10_ENKUlT_T0_E_clISt17integral_constantIbLb0EES14_IbLb1EEEEDaS10_S11_EUlS10_E_NS1_11comp_targetILNS1_3genE9ELNS1_11target_archE1100ELNS1_3gpuE3ELNS1_3repE0EEENS1_30default_config_static_selectorELNS0_4arch9wavefront6targetE0EEEvT1_
                                        ; -- End function
	.section	.AMDGPU.csdata,"",@progbits
; Kernel info:
; codeLenInByte = 9360
; NumSgprs: 31
; NumVgprs: 51
; ScratchSize: 0
; MemoryBound: 0
; FloatMode: 240
; IeeeMode: 1
; LDSByteSize: 12680 bytes/workgroup (compile time only)
; SGPRBlocks: 3
; VGPRBlocks: 6
; NumSGPRsForWavesPerEU: 31
; NumVGPRsForWavesPerEU: 51
; Occupancy: 15
; WaveLimiterHint : 1
; COMPUTE_PGM_RSRC2:SCRATCH_EN: 0
; COMPUTE_PGM_RSRC2:USER_SGPR: 15
; COMPUTE_PGM_RSRC2:TRAP_HANDLER: 0
; COMPUTE_PGM_RSRC2:TGID_X_EN: 1
; COMPUTE_PGM_RSRC2:TGID_Y_EN: 0
; COMPUTE_PGM_RSRC2:TGID_Z_EN: 0
; COMPUTE_PGM_RSRC2:TIDIG_COMP_CNT: 0
	.section	.text._ZN7rocprim17ROCPRIM_400000_NS6detail17trampoline_kernelINS0_14default_configENS1_25partition_config_selectorILNS1_17partition_subalgoE9EiibEEZZNS1_14partition_implILS5_9ELb0ES3_jN6thrust23THRUST_200600_302600_NS10device_ptrIiEESB_PNS0_10empty_typeENS0_5tupleIJSB_SC_EEENSE_IJSB_SD_EEENS0_18inequality_wrapperINS9_8equal_toIiEEEEPmJSC_EEE10hipError_tPvRmT3_T4_T5_T6_T7_T9_mT8_P12ihipStream_tbDpT10_ENKUlT_T0_E_clISt17integral_constantIbLb0EES14_IbLb1EEEEDaS10_S11_EUlS10_E_NS1_11comp_targetILNS1_3genE8ELNS1_11target_archE1030ELNS1_3gpuE2ELNS1_3repE0EEENS1_30default_config_static_selectorELNS0_4arch9wavefront6targetE0EEEvT1_,"axG",@progbits,_ZN7rocprim17ROCPRIM_400000_NS6detail17trampoline_kernelINS0_14default_configENS1_25partition_config_selectorILNS1_17partition_subalgoE9EiibEEZZNS1_14partition_implILS5_9ELb0ES3_jN6thrust23THRUST_200600_302600_NS10device_ptrIiEESB_PNS0_10empty_typeENS0_5tupleIJSB_SC_EEENSE_IJSB_SD_EEENS0_18inequality_wrapperINS9_8equal_toIiEEEEPmJSC_EEE10hipError_tPvRmT3_T4_T5_T6_T7_T9_mT8_P12ihipStream_tbDpT10_ENKUlT_T0_E_clISt17integral_constantIbLb0EES14_IbLb1EEEEDaS10_S11_EUlS10_E_NS1_11comp_targetILNS1_3genE8ELNS1_11target_archE1030ELNS1_3gpuE2ELNS1_3repE0EEENS1_30default_config_static_selectorELNS0_4arch9wavefront6targetE0EEEvT1_,comdat
	.protected	_ZN7rocprim17ROCPRIM_400000_NS6detail17trampoline_kernelINS0_14default_configENS1_25partition_config_selectorILNS1_17partition_subalgoE9EiibEEZZNS1_14partition_implILS5_9ELb0ES3_jN6thrust23THRUST_200600_302600_NS10device_ptrIiEESB_PNS0_10empty_typeENS0_5tupleIJSB_SC_EEENSE_IJSB_SD_EEENS0_18inequality_wrapperINS9_8equal_toIiEEEEPmJSC_EEE10hipError_tPvRmT3_T4_T5_T6_T7_T9_mT8_P12ihipStream_tbDpT10_ENKUlT_T0_E_clISt17integral_constantIbLb0EES14_IbLb1EEEEDaS10_S11_EUlS10_E_NS1_11comp_targetILNS1_3genE8ELNS1_11target_archE1030ELNS1_3gpuE2ELNS1_3repE0EEENS1_30default_config_static_selectorELNS0_4arch9wavefront6targetE0EEEvT1_ ; -- Begin function _ZN7rocprim17ROCPRIM_400000_NS6detail17trampoline_kernelINS0_14default_configENS1_25partition_config_selectorILNS1_17partition_subalgoE9EiibEEZZNS1_14partition_implILS5_9ELb0ES3_jN6thrust23THRUST_200600_302600_NS10device_ptrIiEESB_PNS0_10empty_typeENS0_5tupleIJSB_SC_EEENSE_IJSB_SD_EEENS0_18inequality_wrapperINS9_8equal_toIiEEEEPmJSC_EEE10hipError_tPvRmT3_T4_T5_T6_T7_T9_mT8_P12ihipStream_tbDpT10_ENKUlT_T0_E_clISt17integral_constantIbLb0EES14_IbLb1EEEEDaS10_S11_EUlS10_E_NS1_11comp_targetILNS1_3genE8ELNS1_11target_archE1030ELNS1_3gpuE2ELNS1_3repE0EEENS1_30default_config_static_selectorELNS0_4arch9wavefront6targetE0EEEvT1_
	.globl	_ZN7rocprim17ROCPRIM_400000_NS6detail17trampoline_kernelINS0_14default_configENS1_25partition_config_selectorILNS1_17partition_subalgoE9EiibEEZZNS1_14partition_implILS5_9ELb0ES3_jN6thrust23THRUST_200600_302600_NS10device_ptrIiEESB_PNS0_10empty_typeENS0_5tupleIJSB_SC_EEENSE_IJSB_SD_EEENS0_18inequality_wrapperINS9_8equal_toIiEEEEPmJSC_EEE10hipError_tPvRmT3_T4_T5_T6_T7_T9_mT8_P12ihipStream_tbDpT10_ENKUlT_T0_E_clISt17integral_constantIbLb0EES14_IbLb1EEEEDaS10_S11_EUlS10_E_NS1_11comp_targetILNS1_3genE8ELNS1_11target_archE1030ELNS1_3gpuE2ELNS1_3repE0EEENS1_30default_config_static_selectorELNS0_4arch9wavefront6targetE0EEEvT1_
	.p2align	8
	.type	_ZN7rocprim17ROCPRIM_400000_NS6detail17trampoline_kernelINS0_14default_configENS1_25partition_config_selectorILNS1_17partition_subalgoE9EiibEEZZNS1_14partition_implILS5_9ELb0ES3_jN6thrust23THRUST_200600_302600_NS10device_ptrIiEESB_PNS0_10empty_typeENS0_5tupleIJSB_SC_EEENSE_IJSB_SD_EEENS0_18inequality_wrapperINS9_8equal_toIiEEEEPmJSC_EEE10hipError_tPvRmT3_T4_T5_T6_T7_T9_mT8_P12ihipStream_tbDpT10_ENKUlT_T0_E_clISt17integral_constantIbLb0EES14_IbLb1EEEEDaS10_S11_EUlS10_E_NS1_11comp_targetILNS1_3genE8ELNS1_11target_archE1030ELNS1_3gpuE2ELNS1_3repE0EEENS1_30default_config_static_selectorELNS0_4arch9wavefront6targetE0EEEvT1_,@function
_ZN7rocprim17ROCPRIM_400000_NS6detail17trampoline_kernelINS0_14default_configENS1_25partition_config_selectorILNS1_17partition_subalgoE9EiibEEZZNS1_14partition_implILS5_9ELb0ES3_jN6thrust23THRUST_200600_302600_NS10device_ptrIiEESB_PNS0_10empty_typeENS0_5tupleIJSB_SC_EEENSE_IJSB_SD_EEENS0_18inequality_wrapperINS9_8equal_toIiEEEEPmJSC_EEE10hipError_tPvRmT3_T4_T5_T6_T7_T9_mT8_P12ihipStream_tbDpT10_ENKUlT_T0_E_clISt17integral_constantIbLb0EES14_IbLb1EEEEDaS10_S11_EUlS10_E_NS1_11comp_targetILNS1_3genE8ELNS1_11target_archE1030ELNS1_3gpuE2ELNS1_3repE0EEENS1_30default_config_static_selectorELNS0_4arch9wavefront6targetE0EEEvT1_: ; @_ZN7rocprim17ROCPRIM_400000_NS6detail17trampoline_kernelINS0_14default_configENS1_25partition_config_selectorILNS1_17partition_subalgoE9EiibEEZZNS1_14partition_implILS5_9ELb0ES3_jN6thrust23THRUST_200600_302600_NS10device_ptrIiEESB_PNS0_10empty_typeENS0_5tupleIJSB_SC_EEENSE_IJSB_SD_EEENS0_18inequality_wrapperINS9_8equal_toIiEEEEPmJSC_EEE10hipError_tPvRmT3_T4_T5_T6_T7_T9_mT8_P12ihipStream_tbDpT10_ENKUlT_T0_E_clISt17integral_constantIbLb0EES14_IbLb1EEEEDaS10_S11_EUlS10_E_NS1_11comp_targetILNS1_3genE8ELNS1_11target_archE1030ELNS1_3gpuE2ELNS1_3repE0EEENS1_30default_config_static_selectorELNS0_4arch9wavefront6targetE0EEEvT1_
; %bb.0:
	.section	.rodata,"a",@progbits
	.p2align	6, 0x0
	.amdhsa_kernel _ZN7rocprim17ROCPRIM_400000_NS6detail17trampoline_kernelINS0_14default_configENS1_25partition_config_selectorILNS1_17partition_subalgoE9EiibEEZZNS1_14partition_implILS5_9ELb0ES3_jN6thrust23THRUST_200600_302600_NS10device_ptrIiEESB_PNS0_10empty_typeENS0_5tupleIJSB_SC_EEENSE_IJSB_SD_EEENS0_18inequality_wrapperINS9_8equal_toIiEEEEPmJSC_EEE10hipError_tPvRmT3_T4_T5_T6_T7_T9_mT8_P12ihipStream_tbDpT10_ENKUlT_T0_E_clISt17integral_constantIbLb0EES14_IbLb1EEEEDaS10_S11_EUlS10_E_NS1_11comp_targetILNS1_3genE8ELNS1_11target_archE1030ELNS1_3gpuE2ELNS1_3repE0EEENS1_30default_config_static_selectorELNS0_4arch9wavefront6targetE0EEEvT1_
		.amdhsa_group_segment_fixed_size 0
		.amdhsa_private_segment_fixed_size 0
		.amdhsa_kernarg_size 128
		.amdhsa_user_sgpr_count 15
		.amdhsa_user_sgpr_dispatch_ptr 0
		.amdhsa_user_sgpr_queue_ptr 0
		.amdhsa_user_sgpr_kernarg_segment_ptr 1
		.amdhsa_user_sgpr_dispatch_id 0
		.amdhsa_user_sgpr_private_segment_size 0
		.amdhsa_wavefront_size32 1
		.amdhsa_uses_dynamic_stack 0
		.amdhsa_enable_private_segment 0
		.amdhsa_system_sgpr_workgroup_id_x 1
		.amdhsa_system_sgpr_workgroup_id_y 0
		.amdhsa_system_sgpr_workgroup_id_z 0
		.amdhsa_system_sgpr_workgroup_info 0
		.amdhsa_system_vgpr_workitem_id 0
		.amdhsa_next_free_vgpr 1
		.amdhsa_next_free_sgpr 1
		.amdhsa_reserve_vcc 0
		.amdhsa_float_round_mode_32 0
		.amdhsa_float_round_mode_16_64 0
		.amdhsa_float_denorm_mode_32 3
		.amdhsa_float_denorm_mode_16_64 3
		.amdhsa_dx10_clamp 1
		.amdhsa_ieee_mode 1
		.amdhsa_fp16_overflow 0
		.amdhsa_workgroup_processor_mode 1
		.amdhsa_memory_ordered 1
		.amdhsa_forward_progress 0
		.amdhsa_shared_vgpr_count 0
		.amdhsa_exception_fp_ieee_invalid_op 0
		.amdhsa_exception_fp_denorm_src 0
		.amdhsa_exception_fp_ieee_div_zero 0
		.amdhsa_exception_fp_ieee_overflow 0
		.amdhsa_exception_fp_ieee_underflow 0
		.amdhsa_exception_fp_ieee_inexact 0
		.amdhsa_exception_int_div_zero 0
	.end_amdhsa_kernel
	.section	.text._ZN7rocprim17ROCPRIM_400000_NS6detail17trampoline_kernelINS0_14default_configENS1_25partition_config_selectorILNS1_17partition_subalgoE9EiibEEZZNS1_14partition_implILS5_9ELb0ES3_jN6thrust23THRUST_200600_302600_NS10device_ptrIiEESB_PNS0_10empty_typeENS0_5tupleIJSB_SC_EEENSE_IJSB_SD_EEENS0_18inequality_wrapperINS9_8equal_toIiEEEEPmJSC_EEE10hipError_tPvRmT3_T4_T5_T6_T7_T9_mT8_P12ihipStream_tbDpT10_ENKUlT_T0_E_clISt17integral_constantIbLb0EES14_IbLb1EEEEDaS10_S11_EUlS10_E_NS1_11comp_targetILNS1_3genE8ELNS1_11target_archE1030ELNS1_3gpuE2ELNS1_3repE0EEENS1_30default_config_static_selectorELNS0_4arch9wavefront6targetE0EEEvT1_,"axG",@progbits,_ZN7rocprim17ROCPRIM_400000_NS6detail17trampoline_kernelINS0_14default_configENS1_25partition_config_selectorILNS1_17partition_subalgoE9EiibEEZZNS1_14partition_implILS5_9ELb0ES3_jN6thrust23THRUST_200600_302600_NS10device_ptrIiEESB_PNS0_10empty_typeENS0_5tupleIJSB_SC_EEENSE_IJSB_SD_EEENS0_18inequality_wrapperINS9_8equal_toIiEEEEPmJSC_EEE10hipError_tPvRmT3_T4_T5_T6_T7_T9_mT8_P12ihipStream_tbDpT10_ENKUlT_T0_E_clISt17integral_constantIbLb0EES14_IbLb1EEEEDaS10_S11_EUlS10_E_NS1_11comp_targetILNS1_3genE8ELNS1_11target_archE1030ELNS1_3gpuE2ELNS1_3repE0EEENS1_30default_config_static_selectorELNS0_4arch9wavefront6targetE0EEEvT1_,comdat
.Lfunc_end1300:
	.size	_ZN7rocprim17ROCPRIM_400000_NS6detail17trampoline_kernelINS0_14default_configENS1_25partition_config_selectorILNS1_17partition_subalgoE9EiibEEZZNS1_14partition_implILS5_9ELb0ES3_jN6thrust23THRUST_200600_302600_NS10device_ptrIiEESB_PNS0_10empty_typeENS0_5tupleIJSB_SC_EEENSE_IJSB_SD_EEENS0_18inequality_wrapperINS9_8equal_toIiEEEEPmJSC_EEE10hipError_tPvRmT3_T4_T5_T6_T7_T9_mT8_P12ihipStream_tbDpT10_ENKUlT_T0_E_clISt17integral_constantIbLb0EES14_IbLb1EEEEDaS10_S11_EUlS10_E_NS1_11comp_targetILNS1_3genE8ELNS1_11target_archE1030ELNS1_3gpuE2ELNS1_3repE0EEENS1_30default_config_static_selectorELNS0_4arch9wavefront6targetE0EEEvT1_, .Lfunc_end1300-_ZN7rocprim17ROCPRIM_400000_NS6detail17trampoline_kernelINS0_14default_configENS1_25partition_config_selectorILNS1_17partition_subalgoE9EiibEEZZNS1_14partition_implILS5_9ELb0ES3_jN6thrust23THRUST_200600_302600_NS10device_ptrIiEESB_PNS0_10empty_typeENS0_5tupleIJSB_SC_EEENSE_IJSB_SD_EEENS0_18inequality_wrapperINS9_8equal_toIiEEEEPmJSC_EEE10hipError_tPvRmT3_T4_T5_T6_T7_T9_mT8_P12ihipStream_tbDpT10_ENKUlT_T0_E_clISt17integral_constantIbLb0EES14_IbLb1EEEEDaS10_S11_EUlS10_E_NS1_11comp_targetILNS1_3genE8ELNS1_11target_archE1030ELNS1_3gpuE2ELNS1_3repE0EEENS1_30default_config_static_selectorELNS0_4arch9wavefront6targetE0EEEvT1_
                                        ; -- End function
	.section	.AMDGPU.csdata,"",@progbits
; Kernel info:
; codeLenInByte = 0
; NumSgprs: 0
; NumVgprs: 0
; ScratchSize: 0
; MemoryBound: 0
; FloatMode: 240
; IeeeMode: 1
; LDSByteSize: 0 bytes/workgroup (compile time only)
; SGPRBlocks: 0
; VGPRBlocks: 0
; NumSGPRsForWavesPerEU: 1
; NumVGPRsForWavesPerEU: 1
; Occupancy: 16
; WaveLimiterHint : 0
; COMPUTE_PGM_RSRC2:SCRATCH_EN: 0
; COMPUTE_PGM_RSRC2:USER_SGPR: 15
; COMPUTE_PGM_RSRC2:TRAP_HANDLER: 0
; COMPUTE_PGM_RSRC2:TGID_X_EN: 1
; COMPUTE_PGM_RSRC2:TGID_Y_EN: 0
; COMPUTE_PGM_RSRC2:TGID_Z_EN: 0
; COMPUTE_PGM_RSRC2:TIDIG_COMP_CNT: 0
	.section	.text._ZN6thrust23THRUST_200600_302600_NS11hip_rocprim14__parallel_for6kernelILj256ENS1_10for_each_fINS0_10device_ptrINS0_4pairIiN12_GLOBAL__N_15EntryEEEEENS0_6detail16wrapped_functionINSB_23allocator_traits_detail5gozerEvEEEElLj1EEEvT0_T1_SI_,"axG",@progbits,_ZN6thrust23THRUST_200600_302600_NS11hip_rocprim14__parallel_for6kernelILj256ENS1_10for_each_fINS0_10device_ptrINS0_4pairIiN12_GLOBAL__N_15EntryEEEEENS0_6detail16wrapped_functionINSB_23allocator_traits_detail5gozerEvEEEElLj1EEEvT0_T1_SI_,comdat
	.globl	_ZN6thrust23THRUST_200600_302600_NS11hip_rocprim14__parallel_for6kernelILj256ENS1_10for_each_fINS0_10device_ptrINS0_4pairIiN12_GLOBAL__N_15EntryEEEEENS0_6detail16wrapped_functionINSB_23allocator_traits_detail5gozerEvEEEElLj1EEEvT0_T1_SI_ ; -- Begin function _ZN6thrust23THRUST_200600_302600_NS11hip_rocprim14__parallel_for6kernelILj256ENS1_10for_each_fINS0_10device_ptrINS0_4pairIiN12_GLOBAL__N_15EntryEEEEENS0_6detail16wrapped_functionINSB_23allocator_traits_detail5gozerEvEEEElLj1EEEvT0_T1_SI_
	.p2align	8
	.type	_ZN6thrust23THRUST_200600_302600_NS11hip_rocprim14__parallel_for6kernelILj256ENS1_10for_each_fINS0_10device_ptrINS0_4pairIiN12_GLOBAL__N_15EntryEEEEENS0_6detail16wrapped_functionINSB_23allocator_traits_detail5gozerEvEEEElLj1EEEvT0_T1_SI_,@function
_ZN6thrust23THRUST_200600_302600_NS11hip_rocprim14__parallel_for6kernelILj256ENS1_10for_each_fINS0_10device_ptrINS0_4pairIiN12_GLOBAL__N_15EntryEEEEENS0_6detail16wrapped_functionINSB_23allocator_traits_detail5gozerEvEEEElLj1EEEvT0_T1_SI_: ; @_ZN6thrust23THRUST_200600_302600_NS11hip_rocprim14__parallel_for6kernelILj256ENS1_10for_each_fINS0_10device_ptrINS0_4pairIiN12_GLOBAL__N_15EntryEEEEENS0_6detail16wrapped_functionINSB_23allocator_traits_detail5gozerEvEEEElLj1EEEvT0_T1_SI_
; %bb.0:
	s_endpgm
	.section	.rodata,"a",@progbits
	.p2align	6, 0x0
	.amdhsa_kernel _ZN6thrust23THRUST_200600_302600_NS11hip_rocprim14__parallel_for6kernelILj256ENS1_10for_each_fINS0_10device_ptrINS0_4pairIiN12_GLOBAL__N_15EntryEEEEENS0_6detail16wrapped_functionINSB_23allocator_traits_detail5gozerEvEEEElLj1EEEvT0_T1_SI_
		.amdhsa_group_segment_fixed_size 0
		.amdhsa_private_segment_fixed_size 0
		.amdhsa_kernarg_size 32
		.amdhsa_user_sgpr_count 15
		.amdhsa_user_sgpr_dispatch_ptr 0
		.amdhsa_user_sgpr_queue_ptr 0
		.amdhsa_user_sgpr_kernarg_segment_ptr 1
		.amdhsa_user_sgpr_dispatch_id 0
		.amdhsa_user_sgpr_private_segment_size 0
		.amdhsa_wavefront_size32 1
		.amdhsa_uses_dynamic_stack 0
		.amdhsa_enable_private_segment 0
		.amdhsa_system_sgpr_workgroup_id_x 1
		.amdhsa_system_sgpr_workgroup_id_y 0
		.amdhsa_system_sgpr_workgroup_id_z 0
		.amdhsa_system_sgpr_workgroup_info 0
		.amdhsa_system_vgpr_workitem_id 0
		.amdhsa_next_free_vgpr 1
		.amdhsa_next_free_sgpr 1
		.amdhsa_reserve_vcc 0
		.amdhsa_float_round_mode_32 0
		.amdhsa_float_round_mode_16_64 0
		.amdhsa_float_denorm_mode_32 3
		.amdhsa_float_denorm_mode_16_64 3
		.amdhsa_dx10_clamp 1
		.amdhsa_ieee_mode 1
		.amdhsa_fp16_overflow 0
		.amdhsa_workgroup_processor_mode 1
		.amdhsa_memory_ordered 1
		.amdhsa_forward_progress 0
		.amdhsa_shared_vgpr_count 0
		.amdhsa_exception_fp_ieee_invalid_op 0
		.amdhsa_exception_fp_denorm_src 0
		.amdhsa_exception_fp_ieee_div_zero 0
		.amdhsa_exception_fp_ieee_overflow 0
		.amdhsa_exception_fp_ieee_underflow 0
		.amdhsa_exception_fp_ieee_inexact 0
		.amdhsa_exception_int_div_zero 0
	.end_amdhsa_kernel
	.section	.text._ZN6thrust23THRUST_200600_302600_NS11hip_rocprim14__parallel_for6kernelILj256ENS1_10for_each_fINS0_10device_ptrINS0_4pairIiN12_GLOBAL__N_15EntryEEEEENS0_6detail16wrapped_functionINSB_23allocator_traits_detail5gozerEvEEEElLj1EEEvT0_T1_SI_,"axG",@progbits,_ZN6thrust23THRUST_200600_302600_NS11hip_rocprim14__parallel_for6kernelILj256ENS1_10for_each_fINS0_10device_ptrINS0_4pairIiN12_GLOBAL__N_15EntryEEEEENS0_6detail16wrapped_functionINSB_23allocator_traits_detail5gozerEvEEEElLj1EEEvT0_T1_SI_,comdat
.Lfunc_end1301:
	.size	_ZN6thrust23THRUST_200600_302600_NS11hip_rocprim14__parallel_for6kernelILj256ENS1_10for_each_fINS0_10device_ptrINS0_4pairIiN12_GLOBAL__N_15EntryEEEEENS0_6detail16wrapped_functionINSB_23allocator_traits_detail5gozerEvEEEElLj1EEEvT0_T1_SI_, .Lfunc_end1301-_ZN6thrust23THRUST_200600_302600_NS11hip_rocprim14__parallel_for6kernelILj256ENS1_10for_each_fINS0_10device_ptrINS0_4pairIiN12_GLOBAL__N_15EntryEEEEENS0_6detail16wrapped_functionINSB_23allocator_traits_detail5gozerEvEEEElLj1EEEvT0_T1_SI_
                                        ; -- End function
	.section	.AMDGPU.csdata,"",@progbits
; Kernel info:
; codeLenInByte = 4
; NumSgprs: 0
; NumVgprs: 0
; ScratchSize: 0
; MemoryBound: 0
; FloatMode: 240
; IeeeMode: 1
; LDSByteSize: 0 bytes/workgroup (compile time only)
; SGPRBlocks: 0
; VGPRBlocks: 0
; NumSGPRsForWavesPerEU: 1
; NumVGPRsForWavesPerEU: 1
; Occupancy: 16
; WaveLimiterHint : 0
; COMPUTE_PGM_RSRC2:SCRATCH_EN: 0
; COMPUTE_PGM_RSRC2:USER_SGPR: 15
; COMPUTE_PGM_RSRC2:TRAP_HANDLER: 0
; COMPUTE_PGM_RSRC2:TGID_X_EN: 1
; COMPUTE_PGM_RSRC2:TGID_Y_EN: 0
; COMPUTE_PGM_RSRC2:TGID_Z_EN: 0
; COMPUTE_PGM_RSRC2:TIDIG_COMP_CNT: 0
	.section	.text._ZN6thrust23THRUST_200600_302600_NS11hip_rocprim14__parallel_for6kernelILj256ENS1_10for_each_fINS0_10device_ptrINS0_4pairIiN12_GLOBAL__N_15EntryEEEEENS0_6detail16wrapped_functionINSB_23allocator_traits_detail24construct1_via_allocatorINS0_16device_allocatorIS9_EEEEvEEEEmLj1EEEvT0_T1_SL_,"axG",@progbits,_ZN6thrust23THRUST_200600_302600_NS11hip_rocprim14__parallel_for6kernelILj256ENS1_10for_each_fINS0_10device_ptrINS0_4pairIiN12_GLOBAL__N_15EntryEEEEENS0_6detail16wrapped_functionINSB_23allocator_traits_detail24construct1_via_allocatorINS0_16device_allocatorIS9_EEEEvEEEEmLj1EEEvT0_T1_SL_,comdat
	.globl	_ZN6thrust23THRUST_200600_302600_NS11hip_rocprim14__parallel_for6kernelILj256ENS1_10for_each_fINS0_10device_ptrINS0_4pairIiN12_GLOBAL__N_15EntryEEEEENS0_6detail16wrapped_functionINSB_23allocator_traits_detail24construct1_via_allocatorINS0_16device_allocatorIS9_EEEEvEEEEmLj1EEEvT0_T1_SL_ ; -- Begin function _ZN6thrust23THRUST_200600_302600_NS11hip_rocprim14__parallel_for6kernelILj256ENS1_10for_each_fINS0_10device_ptrINS0_4pairIiN12_GLOBAL__N_15EntryEEEEENS0_6detail16wrapped_functionINSB_23allocator_traits_detail24construct1_via_allocatorINS0_16device_allocatorIS9_EEEEvEEEEmLj1EEEvT0_T1_SL_
	.p2align	8
	.type	_ZN6thrust23THRUST_200600_302600_NS11hip_rocprim14__parallel_for6kernelILj256ENS1_10for_each_fINS0_10device_ptrINS0_4pairIiN12_GLOBAL__N_15EntryEEEEENS0_6detail16wrapped_functionINSB_23allocator_traits_detail24construct1_via_allocatorINS0_16device_allocatorIS9_EEEEvEEEEmLj1EEEvT0_T1_SL_,@function
_ZN6thrust23THRUST_200600_302600_NS11hip_rocprim14__parallel_for6kernelILj256ENS1_10for_each_fINS0_10device_ptrINS0_4pairIiN12_GLOBAL__N_15EntryEEEEENS0_6detail16wrapped_functionINSB_23allocator_traits_detail24construct1_via_allocatorINS0_16device_allocatorIS9_EEEEvEEEEmLj1EEEvT0_T1_SL_: ; @_ZN6thrust23THRUST_200600_302600_NS11hip_rocprim14__parallel_for6kernelILj256ENS1_10for_each_fINS0_10device_ptrINS0_4pairIiN12_GLOBAL__N_15EntryEEEEENS0_6detail16wrapped_functionINSB_23allocator_traits_detail24construct1_via_allocatorINS0_16device_allocatorIS9_EEEEvEEEEmLj1EEEvT0_T1_SL_
; %bb.0:
	s_clause 0x1
	s_load_b128 s[8:11], s[0:1], 0x10
	s_load_b64 s[0:1], s[0:1], 0x0
	s_lshl_b32 s2, s15, 8
	s_waitcnt lgkmcnt(0)
	s_add_u32 s4, s2, s10
	s_addc_u32 s5, 0, s11
	s_sub_u32 s2, s8, s4
	s_subb_u32 s3, s9, s5
	s_delay_alu instid0(SALU_CYCLE_1) | instskip(NEXT) | instid1(VALU_DEP_1)
	v_cmp_gt_u64_e64 s3, 0x100, s[2:3]
	s_and_b32 vcc_lo, exec_lo, s3
	s_mov_b32 s3, 0
	s_cbranch_vccz .LBB1302_4
; %bb.1:
	v_cmp_gt_u32_e32 vcc_lo, s2, v0
	s_mov_b32 s2, 0
                                        ; implicit-def: $vgpr1_vgpr2
	s_and_saveexec_b32 s6, vcc_lo
	s_delay_alu instid0(SALU_CYCLE_1)
	s_xor_b32 s6, exec_lo, s6
; %bb.2:
	s_mul_i32 s7, s5, 12
	s_mul_hi_u32 s8, s4, 12
	s_mul_i32 s9, s4, 12
	s_add_i32 s7, s8, s7
	s_add_u32 s8, s0, s9
	s_addc_u32 s9, s1, s7
	s_mov_b32 s3, exec_lo
	v_mad_u64_u32 v[1:2], null, v0, 12, s[8:9]
; %bb.3:
	s_or_b32 exec_lo, exec_lo, s6
	s_delay_alu instid0(SALU_CYCLE_1)
	s_and_b32 vcc_lo, exec_lo, s2
	s_cbranch_vccnz .LBB1302_5
	s_branch .LBB1302_6
.LBB1302_4:
                                        ; implicit-def: $vgpr1_vgpr2
	s_cbranch_execz .LBB1302_6
.LBB1302_5:
	s_mul_i32 s5, s5, 12
	s_mul_hi_u32 s2, s4, 12
	s_mul_i32 s4, s4, 12
	s_add_i32 s2, s2, s5
	s_add_u32 s0, s0, s4
	s_addc_u32 s1, s1, s2
	s_or_b32 s3, s3, exec_lo
	v_mad_u64_u32 v[1:2], null, v0, 12, s[0:1]
.LBB1302_6:
	s_and_saveexec_b32 s0, s3
	s_cbranch_execnz .LBB1302_8
; %bb.7:
	s_endpgm
.LBB1302_8:
	v_mov_b32_e32 v3, 0
	s_delay_alu instid0(VALU_DEP_1) | instskip(NEXT) | instid1(VALU_DEP_1)
	v_mov_b32_e32 v4, v3
	v_mov_b32_e32 v5, v4
	v_mov_b32_e32 v4, v3
	flat_store_b96 v[1:2], v[3:5]
	s_endpgm
	.section	.rodata,"a",@progbits
	.p2align	6, 0x0
	.amdhsa_kernel _ZN6thrust23THRUST_200600_302600_NS11hip_rocprim14__parallel_for6kernelILj256ENS1_10for_each_fINS0_10device_ptrINS0_4pairIiN12_GLOBAL__N_15EntryEEEEENS0_6detail16wrapped_functionINSB_23allocator_traits_detail24construct1_via_allocatorINS0_16device_allocatorIS9_EEEEvEEEEmLj1EEEvT0_T1_SL_
		.amdhsa_group_segment_fixed_size 0
		.amdhsa_private_segment_fixed_size 0
		.amdhsa_kernarg_size 32
		.amdhsa_user_sgpr_count 15
		.amdhsa_user_sgpr_dispatch_ptr 0
		.amdhsa_user_sgpr_queue_ptr 0
		.amdhsa_user_sgpr_kernarg_segment_ptr 1
		.amdhsa_user_sgpr_dispatch_id 0
		.amdhsa_user_sgpr_private_segment_size 0
		.amdhsa_wavefront_size32 1
		.amdhsa_uses_dynamic_stack 0
		.amdhsa_enable_private_segment 0
		.amdhsa_system_sgpr_workgroup_id_x 1
		.amdhsa_system_sgpr_workgroup_id_y 0
		.amdhsa_system_sgpr_workgroup_id_z 0
		.amdhsa_system_sgpr_workgroup_info 0
		.amdhsa_system_vgpr_workitem_id 0
		.amdhsa_next_free_vgpr 6
		.amdhsa_next_free_sgpr 16
		.amdhsa_reserve_vcc 1
		.amdhsa_float_round_mode_32 0
		.amdhsa_float_round_mode_16_64 0
		.amdhsa_float_denorm_mode_32 3
		.amdhsa_float_denorm_mode_16_64 3
		.amdhsa_dx10_clamp 1
		.amdhsa_ieee_mode 1
		.amdhsa_fp16_overflow 0
		.amdhsa_workgroup_processor_mode 1
		.amdhsa_memory_ordered 1
		.amdhsa_forward_progress 0
		.amdhsa_shared_vgpr_count 0
		.amdhsa_exception_fp_ieee_invalid_op 0
		.amdhsa_exception_fp_denorm_src 0
		.amdhsa_exception_fp_ieee_div_zero 0
		.amdhsa_exception_fp_ieee_overflow 0
		.amdhsa_exception_fp_ieee_underflow 0
		.amdhsa_exception_fp_ieee_inexact 0
		.amdhsa_exception_int_div_zero 0
	.end_amdhsa_kernel
	.section	.text._ZN6thrust23THRUST_200600_302600_NS11hip_rocprim14__parallel_for6kernelILj256ENS1_10for_each_fINS0_10device_ptrINS0_4pairIiN12_GLOBAL__N_15EntryEEEEENS0_6detail16wrapped_functionINSB_23allocator_traits_detail24construct1_via_allocatorINS0_16device_allocatorIS9_EEEEvEEEEmLj1EEEvT0_T1_SL_,"axG",@progbits,_ZN6thrust23THRUST_200600_302600_NS11hip_rocprim14__parallel_for6kernelILj256ENS1_10for_each_fINS0_10device_ptrINS0_4pairIiN12_GLOBAL__N_15EntryEEEEENS0_6detail16wrapped_functionINSB_23allocator_traits_detail24construct1_via_allocatorINS0_16device_allocatorIS9_EEEEvEEEEmLj1EEEvT0_T1_SL_,comdat
.Lfunc_end1302:
	.size	_ZN6thrust23THRUST_200600_302600_NS11hip_rocprim14__parallel_for6kernelILj256ENS1_10for_each_fINS0_10device_ptrINS0_4pairIiN12_GLOBAL__N_15EntryEEEEENS0_6detail16wrapped_functionINSB_23allocator_traits_detail24construct1_via_allocatorINS0_16device_allocatorIS9_EEEEvEEEEmLj1EEEvT0_T1_SL_, .Lfunc_end1302-_ZN6thrust23THRUST_200600_302600_NS11hip_rocprim14__parallel_for6kernelILj256ENS1_10for_each_fINS0_10device_ptrINS0_4pairIiN12_GLOBAL__N_15EntryEEEEENS0_6detail16wrapped_functionINSB_23allocator_traits_detail24construct1_via_allocatorINS0_16device_allocatorIS9_EEEEvEEEEmLj1EEEvT0_T1_SL_
                                        ; -- End function
	.section	.AMDGPU.csdata,"",@progbits
; Kernel info:
; codeLenInByte = 232
; NumSgprs: 18
; NumVgprs: 6
; ScratchSize: 0
; MemoryBound: 0
; FloatMode: 240
; IeeeMode: 1
; LDSByteSize: 0 bytes/workgroup (compile time only)
; SGPRBlocks: 2
; VGPRBlocks: 0
; NumSGPRsForWavesPerEU: 18
; NumVGPRsForWavesPerEU: 6
; Occupancy: 16
; WaveLimiterHint : 0
; COMPUTE_PGM_RSRC2:SCRATCH_EN: 0
; COMPUTE_PGM_RSRC2:USER_SGPR: 15
; COMPUTE_PGM_RSRC2:TRAP_HANDLER: 0
; COMPUTE_PGM_RSRC2:TGID_X_EN: 1
; COMPUTE_PGM_RSRC2:TGID_Y_EN: 0
; COMPUTE_PGM_RSRC2:TGID_Z_EN: 0
; COMPUTE_PGM_RSRC2:TIDIG_COMP_CNT: 0
	.section	.text._ZN6thrust23THRUST_200600_302600_NS11hip_rocprim14__parallel_for6kernelILj256ENS1_20__uninitialized_fill7functorINS0_10device_ptrIN12_GLOBAL__N_15EntryEEES8_EEmLj1EEEvT0_T1_SC_,"axG",@progbits,_ZN6thrust23THRUST_200600_302600_NS11hip_rocprim14__parallel_for6kernelILj256ENS1_20__uninitialized_fill7functorINS0_10device_ptrIN12_GLOBAL__N_15EntryEEES8_EEmLj1EEEvT0_T1_SC_,comdat
	.globl	_ZN6thrust23THRUST_200600_302600_NS11hip_rocprim14__parallel_for6kernelILj256ENS1_20__uninitialized_fill7functorINS0_10device_ptrIN12_GLOBAL__N_15EntryEEES8_EEmLj1EEEvT0_T1_SC_ ; -- Begin function _ZN6thrust23THRUST_200600_302600_NS11hip_rocprim14__parallel_for6kernelILj256ENS1_20__uninitialized_fill7functorINS0_10device_ptrIN12_GLOBAL__N_15EntryEEES8_EEmLj1EEEvT0_T1_SC_
	.p2align	8
	.type	_ZN6thrust23THRUST_200600_302600_NS11hip_rocprim14__parallel_for6kernelILj256ENS1_20__uninitialized_fill7functorINS0_10device_ptrIN12_GLOBAL__N_15EntryEEES8_EEmLj1EEEvT0_T1_SC_,@function
_ZN6thrust23THRUST_200600_302600_NS11hip_rocprim14__parallel_for6kernelILj256ENS1_20__uninitialized_fill7functorINS0_10device_ptrIN12_GLOBAL__N_15EntryEEES8_EEmLj1EEEvT0_T1_SC_: ; @_ZN6thrust23THRUST_200600_302600_NS11hip_rocprim14__parallel_for6kernelILj256ENS1_20__uninitialized_fill7functorINS0_10device_ptrIN12_GLOBAL__N_15EntryEEES8_EEmLj1EEEvT0_T1_SC_
; %bb.0:
	s_load_b256 s[0:7], s[0:1], 0x0
	s_lshl_b32 s8, s15, 8
	s_waitcnt lgkmcnt(0)
	s_add_u32 s6, s8, s6
	s_addc_u32 s7, 0, s7
	s_sub_u32 s4, s4, s6
	s_subb_u32 s5, s5, s7
	s_delay_alu instid0(SALU_CYCLE_1) | instskip(NEXT) | instid1(VALU_DEP_1)
	v_cmp_gt_u64_e64 s5, 0x100, s[4:5]
	s_and_b32 vcc_lo, exec_lo, s5
	s_mov_b32 s5, 0
	s_cbranch_vccz .LBB1303_2
; %bb.1:
	v_cmp_gt_u32_e32 vcc_lo, s4, v0
	s_and_b32 s5, vcc_lo, exec_lo
	s_cbranch_execz .LBB1303_3
	s_branch .LBB1303_4
.LBB1303_2:
.LBB1303_3:
	s_or_b32 s5, s5, exec_lo
.LBB1303_4:
	s_delay_alu instid0(SALU_CYCLE_1)
	s_and_saveexec_b32 s4, s5
	s_cbranch_execnz .LBB1303_6
; %bb.5:
	s_endpgm
.LBB1303_6:
	v_dual_mov_b32 v1, 0 :: v_dual_mov_b32 v2, s2
	s_lshl_b64 s[4:5], s[6:7], 3
	v_mov_b32_e32 v3, s3
	s_add_u32 s0, s0, s4
	s_delay_alu instid0(VALU_DEP_2) | instskip(SKIP_1) | instid1(VALU_DEP_1)
	v_lshlrev_b64 v[0:1], 3, v[0:1]
	s_addc_u32 s1, s1, s5
	v_add_co_u32 v0, vcc_lo, s0, v0
	s_delay_alu instid0(VALU_DEP_2)
	v_add_co_ci_u32_e32 v1, vcc_lo, s1, v1, vcc_lo
	flat_store_b64 v[0:1], v[2:3]
	s_endpgm
	.section	.rodata,"a",@progbits
	.p2align	6, 0x0
	.amdhsa_kernel _ZN6thrust23THRUST_200600_302600_NS11hip_rocprim14__parallel_for6kernelILj256ENS1_20__uninitialized_fill7functorINS0_10device_ptrIN12_GLOBAL__N_15EntryEEES8_EEmLj1EEEvT0_T1_SC_
		.amdhsa_group_segment_fixed_size 0
		.amdhsa_private_segment_fixed_size 0
		.amdhsa_kernarg_size 32
		.amdhsa_user_sgpr_count 15
		.amdhsa_user_sgpr_dispatch_ptr 0
		.amdhsa_user_sgpr_queue_ptr 0
		.amdhsa_user_sgpr_kernarg_segment_ptr 1
		.amdhsa_user_sgpr_dispatch_id 0
		.amdhsa_user_sgpr_private_segment_size 0
		.amdhsa_wavefront_size32 1
		.amdhsa_uses_dynamic_stack 0
		.amdhsa_enable_private_segment 0
		.amdhsa_system_sgpr_workgroup_id_x 1
		.amdhsa_system_sgpr_workgroup_id_y 0
		.amdhsa_system_sgpr_workgroup_id_z 0
		.amdhsa_system_sgpr_workgroup_info 0
		.amdhsa_system_vgpr_workitem_id 0
		.amdhsa_next_free_vgpr 4
		.amdhsa_next_free_sgpr 16
		.amdhsa_reserve_vcc 1
		.amdhsa_float_round_mode_32 0
		.amdhsa_float_round_mode_16_64 0
		.amdhsa_float_denorm_mode_32 3
		.amdhsa_float_denorm_mode_16_64 3
		.amdhsa_dx10_clamp 1
		.amdhsa_ieee_mode 1
		.amdhsa_fp16_overflow 0
		.amdhsa_workgroup_processor_mode 1
		.amdhsa_memory_ordered 1
		.amdhsa_forward_progress 0
		.amdhsa_shared_vgpr_count 0
		.amdhsa_exception_fp_ieee_invalid_op 0
		.amdhsa_exception_fp_denorm_src 0
		.amdhsa_exception_fp_ieee_div_zero 0
		.amdhsa_exception_fp_ieee_overflow 0
		.amdhsa_exception_fp_ieee_underflow 0
		.amdhsa_exception_fp_ieee_inexact 0
		.amdhsa_exception_int_div_zero 0
	.end_amdhsa_kernel
	.section	.text._ZN6thrust23THRUST_200600_302600_NS11hip_rocprim14__parallel_for6kernelILj256ENS1_20__uninitialized_fill7functorINS0_10device_ptrIN12_GLOBAL__N_15EntryEEES8_EEmLj1EEEvT0_T1_SC_,"axG",@progbits,_ZN6thrust23THRUST_200600_302600_NS11hip_rocprim14__parallel_for6kernelILj256ENS1_20__uninitialized_fill7functorINS0_10device_ptrIN12_GLOBAL__N_15EntryEEES8_EEmLj1EEEvT0_T1_SC_,comdat
.Lfunc_end1303:
	.size	_ZN6thrust23THRUST_200600_302600_NS11hip_rocprim14__parallel_for6kernelILj256ENS1_20__uninitialized_fill7functorINS0_10device_ptrIN12_GLOBAL__N_15EntryEEES8_EEmLj1EEEvT0_T1_SC_, .Lfunc_end1303-_ZN6thrust23THRUST_200600_302600_NS11hip_rocprim14__parallel_for6kernelILj256ENS1_20__uninitialized_fill7functorINS0_10device_ptrIN12_GLOBAL__N_15EntryEEES8_EEmLj1EEEvT0_T1_SC_
                                        ; -- End function
	.section	.AMDGPU.csdata,"",@progbits
; Kernel info:
; codeLenInByte = 160
; NumSgprs: 18
; NumVgprs: 4
; ScratchSize: 0
; MemoryBound: 0
; FloatMode: 240
; IeeeMode: 1
; LDSByteSize: 0 bytes/workgroup (compile time only)
; SGPRBlocks: 2
; VGPRBlocks: 0
; NumSGPRsForWavesPerEU: 18
; NumVGPRsForWavesPerEU: 4
; Occupancy: 16
; WaveLimiterHint : 0
; COMPUTE_PGM_RSRC2:SCRATCH_EN: 0
; COMPUTE_PGM_RSRC2:USER_SGPR: 15
; COMPUTE_PGM_RSRC2:TRAP_HANDLER: 0
; COMPUTE_PGM_RSRC2:TGID_X_EN: 1
; COMPUTE_PGM_RSRC2:TGID_Y_EN: 0
; COMPUTE_PGM_RSRC2:TGID_Z_EN: 0
; COMPUTE_PGM_RSRC2:TIDIG_COMP_CNT: 0
	.section	.text._ZN7rocprim17ROCPRIM_400000_NS6detail17trampoline_kernelINS0_14default_configENS1_25partition_config_selectorILNS1_17partition_subalgoE9EN6thrust23THRUST_200600_302600_NS4pairIiN12_GLOBAL__N_15EntryEEESA_bEEZZNS1_14partition_implILS5_9ELb0ES3_jNS7_6detail15normal_iteratorINS7_10device_ptrIKSB_EEEENSF_INSG_ISA_EEEEPNS0_10empty_typeENS0_5tupleIJNSF_INSG_ISB_EEEESM_EEENSO_IJSL_SN_EEENS0_18inequality_wrapperINS9_12CompareFirstEEEPmJSM_EEE10hipError_tPvRmT3_T4_T5_T6_T7_T9_mT8_P12ihipStream_tbDpT10_ENKUlT_T0_E_clISt17integral_constantIbLb0EES1G_EEDaS1B_S1C_EUlS1B_E_NS1_11comp_targetILNS1_3genE0ELNS1_11target_archE4294967295ELNS1_3gpuE0ELNS1_3repE0EEENS1_30default_config_static_selectorELNS0_4arch9wavefront6targetE0EEEvT1_,"axG",@progbits,_ZN7rocprim17ROCPRIM_400000_NS6detail17trampoline_kernelINS0_14default_configENS1_25partition_config_selectorILNS1_17partition_subalgoE9EN6thrust23THRUST_200600_302600_NS4pairIiN12_GLOBAL__N_15EntryEEESA_bEEZZNS1_14partition_implILS5_9ELb0ES3_jNS7_6detail15normal_iteratorINS7_10device_ptrIKSB_EEEENSF_INSG_ISA_EEEEPNS0_10empty_typeENS0_5tupleIJNSF_INSG_ISB_EEEESM_EEENSO_IJSL_SN_EEENS0_18inequality_wrapperINS9_12CompareFirstEEEPmJSM_EEE10hipError_tPvRmT3_T4_T5_T6_T7_T9_mT8_P12ihipStream_tbDpT10_ENKUlT_T0_E_clISt17integral_constantIbLb0EES1G_EEDaS1B_S1C_EUlS1B_E_NS1_11comp_targetILNS1_3genE0ELNS1_11target_archE4294967295ELNS1_3gpuE0ELNS1_3repE0EEENS1_30default_config_static_selectorELNS0_4arch9wavefront6targetE0EEEvT1_,comdat
	.globl	_ZN7rocprim17ROCPRIM_400000_NS6detail17trampoline_kernelINS0_14default_configENS1_25partition_config_selectorILNS1_17partition_subalgoE9EN6thrust23THRUST_200600_302600_NS4pairIiN12_GLOBAL__N_15EntryEEESA_bEEZZNS1_14partition_implILS5_9ELb0ES3_jNS7_6detail15normal_iteratorINS7_10device_ptrIKSB_EEEENSF_INSG_ISA_EEEEPNS0_10empty_typeENS0_5tupleIJNSF_INSG_ISB_EEEESM_EEENSO_IJSL_SN_EEENS0_18inequality_wrapperINS9_12CompareFirstEEEPmJSM_EEE10hipError_tPvRmT3_T4_T5_T6_T7_T9_mT8_P12ihipStream_tbDpT10_ENKUlT_T0_E_clISt17integral_constantIbLb0EES1G_EEDaS1B_S1C_EUlS1B_E_NS1_11comp_targetILNS1_3genE0ELNS1_11target_archE4294967295ELNS1_3gpuE0ELNS1_3repE0EEENS1_30default_config_static_selectorELNS0_4arch9wavefront6targetE0EEEvT1_ ; -- Begin function _ZN7rocprim17ROCPRIM_400000_NS6detail17trampoline_kernelINS0_14default_configENS1_25partition_config_selectorILNS1_17partition_subalgoE9EN6thrust23THRUST_200600_302600_NS4pairIiN12_GLOBAL__N_15EntryEEESA_bEEZZNS1_14partition_implILS5_9ELb0ES3_jNS7_6detail15normal_iteratorINS7_10device_ptrIKSB_EEEENSF_INSG_ISA_EEEEPNS0_10empty_typeENS0_5tupleIJNSF_INSG_ISB_EEEESM_EEENSO_IJSL_SN_EEENS0_18inequality_wrapperINS9_12CompareFirstEEEPmJSM_EEE10hipError_tPvRmT3_T4_T5_T6_T7_T9_mT8_P12ihipStream_tbDpT10_ENKUlT_T0_E_clISt17integral_constantIbLb0EES1G_EEDaS1B_S1C_EUlS1B_E_NS1_11comp_targetILNS1_3genE0ELNS1_11target_archE4294967295ELNS1_3gpuE0ELNS1_3repE0EEENS1_30default_config_static_selectorELNS0_4arch9wavefront6targetE0EEEvT1_
	.p2align	8
	.type	_ZN7rocprim17ROCPRIM_400000_NS6detail17trampoline_kernelINS0_14default_configENS1_25partition_config_selectorILNS1_17partition_subalgoE9EN6thrust23THRUST_200600_302600_NS4pairIiN12_GLOBAL__N_15EntryEEESA_bEEZZNS1_14partition_implILS5_9ELb0ES3_jNS7_6detail15normal_iteratorINS7_10device_ptrIKSB_EEEENSF_INSG_ISA_EEEEPNS0_10empty_typeENS0_5tupleIJNSF_INSG_ISB_EEEESM_EEENSO_IJSL_SN_EEENS0_18inequality_wrapperINS9_12CompareFirstEEEPmJSM_EEE10hipError_tPvRmT3_T4_T5_T6_T7_T9_mT8_P12ihipStream_tbDpT10_ENKUlT_T0_E_clISt17integral_constantIbLb0EES1G_EEDaS1B_S1C_EUlS1B_E_NS1_11comp_targetILNS1_3genE0ELNS1_11target_archE4294967295ELNS1_3gpuE0ELNS1_3repE0EEENS1_30default_config_static_selectorELNS0_4arch9wavefront6targetE0EEEvT1_,@function
_ZN7rocprim17ROCPRIM_400000_NS6detail17trampoline_kernelINS0_14default_configENS1_25partition_config_selectorILNS1_17partition_subalgoE9EN6thrust23THRUST_200600_302600_NS4pairIiN12_GLOBAL__N_15EntryEEESA_bEEZZNS1_14partition_implILS5_9ELb0ES3_jNS7_6detail15normal_iteratorINS7_10device_ptrIKSB_EEEENSF_INSG_ISA_EEEEPNS0_10empty_typeENS0_5tupleIJNSF_INSG_ISB_EEEESM_EEENSO_IJSL_SN_EEENS0_18inequality_wrapperINS9_12CompareFirstEEEPmJSM_EEE10hipError_tPvRmT3_T4_T5_T6_T7_T9_mT8_P12ihipStream_tbDpT10_ENKUlT_T0_E_clISt17integral_constantIbLb0EES1G_EEDaS1B_S1C_EUlS1B_E_NS1_11comp_targetILNS1_3genE0ELNS1_11target_archE4294967295ELNS1_3gpuE0ELNS1_3repE0EEENS1_30default_config_static_selectorELNS0_4arch9wavefront6targetE0EEEvT1_: ; @_ZN7rocprim17ROCPRIM_400000_NS6detail17trampoline_kernelINS0_14default_configENS1_25partition_config_selectorILNS1_17partition_subalgoE9EN6thrust23THRUST_200600_302600_NS4pairIiN12_GLOBAL__N_15EntryEEESA_bEEZZNS1_14partition_implILS5_9ELb0ES3_jNS7_6detail15normal_iteratorINS7_10device_ptrIKSB_EEEENSF_INSG_ISA_EEEEPNS0_10empty_typeENS0_5tupleIJNSF_INSG_ISB_EEEESM_EEENSO_IJSL_SN_EEENS0_18inequality_wrapperINS9_12CompareFirstEEEPmJSM_EEE10hipError_tPvRmT3_T4_T5_T6_T7_T9_mT8_P12ihipStream_tbDpT10_ENKUlT_T0_E_clISt17integral_constantIbLb0EES1G_EEDaS1B_S1C_EUlS1B_E_NS1_11comp_targetILNS1_3genE0ELNS1_11target_archE4294967295ELNS1_3gpuE0ELNS1_3repE0EEENS1_30default_config_static_selectorELNS0_4arch9wavefront6targetE0EEEvT1_
; %bb.0:
	.section	.rodata,"a",@progbits
	.p2align	6, 0x0
	.amdhsa_kernel _ZN7rocprim17ROCPRIM_400000_NS6detail17trampoline_kernelINS0_14default_configENS1_25partition_config_selectorILNS1_17partition_subalgoE9EN6thrust23THRUST_200600_302600_NS4pairIiN12_GLOBAL__N_15EntryEEESA_bEEZZNS1_14partition_implILS5_9ELb0ES3_jNS7_6detail15normal_iteratorINS7_10device_ptrIKSB_EEEENSF_INSG_ISA_EEEEPNS0_10empty_typeENS0_5tupleIJNSF_INSG_ISB_EEEESM_EEENSO_IJSL_SN_EEENS0_18inequality_wrapperINS9_12CompareFirstEEEPmJSM_EEE10hipError_tPvRmT3_T4_T5_T6_T7_T9_mT8_P12ihipStream_tbDpT10_ENKUlT_T0_E_clISt17integral_constantIbLb0EES1G_EEDaS1B_S1C_EUlS1B_E_NS1_11comp_targetILNS1_3genE0ELNS1_11target_archE4294967295ELNS1_3gpuE0ELNS1_3repE0EEENS1_30default_config_static_selectorELNS0_4arch9wavefront6targetE0EEEvT1_
		.amdhsa_group_segment_fixed_size 0
		.amdhsa_private_segment_fixed_size 0
		.amdhsa_kernarg_size 112
		.amdhsa_user_sgpr_count 15
		.amdhsa_user_sgpr_dispatch_ptr 0
		.amdhsa_user_sgpr_queue_ptr 0
		.amdhsa_user_sgpr_kernarg_segment_ptr 1
		.amdhsa_user_sgpr_dispatch_id 0
		.amdhsa_user_sgpr_private_segment_size 0
		.amdhsa_wavefront_size32 1
		.amdhsa_uses_dynamic_stack 0
		.amdhsa_enable_private_segment 0
		.amdhsa_system_sgpr_workgroup_id_x 1
		.amdhsa_system_sgpr_workgroup_id_y 0
		.amdhsa_system_sgpr_workgroup_id_z 0
		.amdhsa_system_sgpr_workgroup_info 0
		.amdhsa_system_vgpr_workitem_id 0
		.amdhsa_next_free_vgpr 1
		.amdhsa_next_free_sgpr 1
		.amdhsa_reserve_vcc 0
		.amdhsa_float_round_mode_32 0
		.amdhsa_float_round_mode_16_64 0
		.amdhsa_float_denorm_mode_32 3
		.amdhsa_float_denorm_mode_16_64 3
		.amdhsa_dx10_clamp 1
		.amdhsa_ieee_mode 1
		.amdhsa_fp16_overflow 0
		.amdhsa_workgroup_processor_mode 1
		.amdhsa_memory_ordered 1
		.amdhsa_forward_progress 0
		.amdhsa_shared_vgpr_count 0
		.amdhsa_exception_fp_ieee_invalid_op 0
		.amdhsa_exception_fp_denorm_src 0
		.amdhsa_exception_fp_ieee_div_zero 0
		.amdhsa_exception_fp_ieee_overflow 0
		.amdhsa_exception_fp_ieee_underflow 0
		.amdhsa_exception_fp_ieee_inexact 0
		.amdhsa_exception_int_div_zero 0
	.end_amdhsa_kernel
	.section	.text._ZN7rocprim17ROCPRIM_400000_NS6detail17trampoline_kernelINS0_14default_configENS1_25partition_config_selectorILNS1_17partition_subalgoE9EN6thrust23THRUST_200600_302600_NS4pairIiN12_GLOBAL__N_15EntryEEESA_bEEZZNS1_14partition_implILS5_9ELb0ES3_jNS7_6detail15normal_iteratorINS7_10device_ptrIKSB_EEEENSF_INSG_ISA_EEEEPNS0_10empty_typeENS0_5tupleIJNSF_INSG_ISB_EEEESM_EEENSO_IJSL_SN_EEENS0_18inequality_wrapperINS9_12CompareFirstEEEPmJSM_EEE10hipError_tPvRmT3_T4_T5_T6_T7_T9_mT8_P12ihipStream_tbDpT10_ENKUlT_T0_E_clISt17integral_constantIbLb0EES1G_EEDaS1B_S1C_EUlS1B_E_NS1_11comp_targetILNS1_3genE0ELNS1_11target_archE4294967295ELNS1_3gpuE0ELNS1_3repE0EEENS1_30default_config_static_selectorELNS0_4arch9wavefront6targetE0EEEvT1_,"axG",@progbits,_ZN7rocprim17ROCPRIM_400000_NS6detail17trampoline_kernelINS0_14default_configENS1_25partition_config_selectorILNS1_17partition_subalgoE9EN6thrust23THRUST_200600_302600_NS4pairIiN12_GLOBAL__N_15EntryEEESA_bEEZZNS1_14partition_implILS5_9ELb0ES3_jNS7_6detail15normal_iteratorINS7_10device_ptrIKSB_EEEENSF_INSG_ISA_EEEEPNS0_10empty_typeENS0_5tupleIJNSF_INSG_ISB_EEEESM_EEENSO_IJSL_SN_EEENS0_18inequality_wrapperINS9_12CompareFirstEEEPmJSM_EEE10hipError_tPvRmT3_T4_T5_T6_T7_T9_mT8_P12ihipStream_tbDpT10_ENKUlT_T0_E_clISt17integral_constantIbLb0EES1G_EEDaS1B_S1C_EUlS1B_E_NS1_11comp_targetILNS1_3genE0ELNS1_11target_archE4294967295ELNS1_3gpuE0ELNS1_3repE0EEENS1_30default_config_static_selectorELNS0_4arch9wavefront6targetE0EEEvT1_,comdat
.Lfunc_end1304:
	.size	_ZN7rocprim17ROCPRIM_400000_NS6detail17trampoline_kernelINS0_14default_configENS1_25partition_config_selectorILNS1_17partition_subalgoE9EN6thrust23THRUST_200600_302600_NS4pairIiN12_GLOBAL__N_15EntryEEESA_bEEZZNS1_14partition_implILS5_9ELb0ES3_jNS7_6detail15normal_iteratorINS7_10device_ptrIKSB_EEEENSF_INSG_ISA_EEEEPNS0_10empty_typeENS0_5tupleIJNSF_INSG_ISB_EEEESM_EEENSO_IJSL_SN_EEENS0_18inequality_wrapperINS9_12CompareFirstEEEPmJSM_EEE10hipError_tPvRmT3_T4_T5_T6_T7_T9_mT8_P12ihipStream_tbDpT10_ENKUlT_T0_E_clISt17integral_constantIbLb0EES1G_EEDaS1B_S1C_EUlS1B_E_NS1_11comp_targetILNS1_3genE0ELNS1_11target_archE4294967295ELNS1_3gpuE0ELNS1_3repE0EEENS1_30default_config_static_selectorELNS0_4arch9wavefront6targetE0EEEvT1_, .Lfunc_end1304-_ZN7rocprim17ROCPRIM_400000_NS6detail17trampoline_kernelINS0_14default_configENS1_25partition_config_selectorILNS1_17partition_subalgoE9EN6thrust23THRUST_200600_302600_NS4pairIiN12_GLOBAL__N_15EntryEEESA_bEEZZNS1_14partition_implILS5_9ELb0ES3_jNS7_6detail15normal_iteratorINS7_10device_ptrIKSB_EEEENSF_INSG_ISA_EEEEPNS0_10empty_typeENS0_5tupleIJNSF_INSG_ISB_EEEESM_EEENSO_IJSL_SN_EEENS0_18inequality_wrapperINS9_12CompareFirstEEEPmJSM_EEE10hipError_tPvRmT3_T4_T5_T6_T7_T9_mT8_P12ihipStream_tbDpT10_ENKUlT_T0_E_clISt17integral_constantIbLb0EES1G_EEDaS1B_S1C_EUlS1B_E_NS1_11comp_targetILNS1_3genE0ELNS1_11target_archE4294967295ELNS1_3gpuE0ELNS1_3repE0EEENS1_30default_config_static_selectorELNS0_4arch9wavefront6targetE0EEEvT1_
                                        ; -- End function
	.section	.AMDGPU.csdata,"",@progbits
; Kernel info:
; codeLenInByte = 0
; NumSgprs: 0
; NumVgprs: 0
; ScratchSize: 0
; MemoryBound: 0
; FloatMode: 240
; IeeeMode: 1
; LDSByteSize: 0 bytes/workgroup (compile time only)
; SGPRBlocks: 0
; VGPRBlocks: 0
; NumSGPRsForWavesPerEU: 1
; NumVGPRsForWavesPerEU: 1
; Occupancy: 15
; WaveLimiterHint : 0
; COMPUTE_PGM_RSRC2:SCRATCH_EN: 0
; COMPUTE_PGM_RSRC2:USER_SGPR: 15
; COMPUTE_PGM_RSRC2:TRAP_HANDLER: 0
; COMPUTE_PGM_RSRC2:TGID_X_EN: 1
; COMPUTE_PGM_RSRC2:TGID_Y_EN: 0
; COMPUTE_PGM_RSRC2:TGID_Z_EN: 0
; COMPUTE_PGM_RSRC2:TIDIG_COMP_CNT: 0
	.section	.text._ZN7rocprim17ROCPRIM_400000_NS6detail17trampoline_kernelINS0_14default_configENS1_25partition_config_selectorILNS1_17partition_subalgoE9EN6thrust23THRUST_200600_302600_NS4pairIiN12_GLOBAL__N_15EntryEEESA_bEEZZNS1_14partition_implILS5_9ELb0ES3_jNS7_6detail15normal_iteratorINS7_10device_ptrIKSB_EEEENSF_INSG_ISA_EEEEPNS0_10empty_typeENS0_5tupleIJNSF_INSG_ISB_EEEESM_EEENSO_IJSL_SN_EEENS0_18inequality_wrapperINS9_12CompareFirstEEEPmJSM_EEE10hipError_tPvRmT3_T4_T5_T6_T7_T9_mT8_P12ihipStream_tbDpT10_ENKUlT_T0_E_clISt17integral_constantIbLb0EES1G_EEDaS1B_S1C_EUlS1B_E_NS1_11comp_targetILNS1_3genE5ELNS1_11target_archE942ELNS1_3gpuE9ELNS1_3repE0EEENS1_30default_config_static_selectorELNS0_4arch9wavefront6targetE0EEEvT1_,"axG",@progbits,_ZN7rocprim17ROCPRIM_400000_NS6detail17trampoline_kernelINS0_14default_configENS1_25partition_config_selectorILNS1_17partition_subalgoE9EN6thrust23THRUST_200600_302600_NS4pairIiN12_GLOBAL__N_15EntryEEESA_bEEZZNS1_14partition_implILS5_9ELb0ES3_jNS7_6detail15normal_iteratorINS7_10device_ptrIKSB_EEEENSF_INSG_ISA_EEEEPNS0_10empty_typeENS0_5tupleIJNSF_INSG_ISB_EEEESM_EEENSO_IJSL_SN_EEENS0_18inequality_wrapperINS9_12CompareFirstEEEPmJSM_EEE10hipError_tPvRmT3_T4_T5_T6_T7_T9_mT8_P12ihipStream_tbDpT10_ENKUlT_T0_E_clISt17integral_constantIbLb0EES1G_EEDaS1B_S1C_EUlS1B_E_NS1_11comp_targetILNS1_3genE5ELNS1_11target_archE942ELNS1_3gpuE9ELNS1_3repE0EEENS1_30default_config_static_selectorELNS0_4arch9wavefront6targetE0EEEvT1_,comdat
	.globl	_ZN7rocprim17ROCPRIM_400000_NS6detail17trampoline_kernelINS0_14default_configENS1_25partition_config_selectorILNS1_17partition_subalgoE9EN6thrust23THRUST_200600_302600_NS4pairIiN12_GLOBAL__N_15EntryEEESA_bEEZZNS1_14partition_implILS5_9ELb0ES3_jNS7_6detail15normal_iteratorINS7_10device_ptrIKSB_EEEENSF_INSG_ISA_EEEEPNS0_10empty_typeENS0_5tupleIJNSF_INSG_ISB_EEEESM_EEENSO_IJSL_SN_EEENS0_18inequality_wrapperINS9_12CompareFirstEEEPmJSM_EEE10hipError_tPvRmT3_T4_T5_T6_T7_T9_mT8_P12ihipStream_tbDpT10_ENKUlT_T0_E_clISt17integral_constantIbLb0EES1G_EEDaS1B_S1C_EUlS1B_E_NS1_11comp_targetILNS1_3genE5ELNS1_11target_archE942ELNS1_3gpuE9ELNS1_3repE0EEENS1_30default_config_static_selectorELNS0_4arch9wavefront6targetE0EEEvT1_ ; -- Begin function _ZN7rocprim17ROCPRIM_400000_NS6detail17trampoline_kernelINS0_14default_configENS1_25partition_config_selectorILNS1_17partition_subalgoE9EN6thrust23THRUST_200600_302600_NS4pairIiN12_GLOBAL__N_15EntryEEESA_bEEZZNS1_14partition_implILS5_9ELb0ES3_jNS7_6detail15normal_iteratorINS7_10device_ptrIKSB_EEEENSF_INSG_ISA_EEEEPNS0_10empty_typeENS0_5tupleIJNSF_INSG_ISB_EEEESM_EEENSO_IJSL_SN_EEENS0_18inequality_wrapperINS9_12CompareFirstEEEPmJSM_EEE10hipError_tPvRmT3_T4_T5_T6_T7_T9_mT8_P12ihipStream_tbDpT10_ENKUlT_T0_E_clISt17integral_constantIbLb0EES1G_EEDaS1B_S1C_EUlS1B_E_NS1_11comp_targetILNS1_3genE5ELNS1_11target_archE942ELNS1_3gpuE9ELNS1_3repE0EEENS1_30default_config_static_selectorELNS0_4arch9wavefront6targetE0EEEvT1_
	.p2align	8
	.type	_ZN7rocprim17ROCPRIM_400000_NS6detail17trampoline_kernelINS0_14default_configENS1_25partition_config_selectorILNS1_17partition_subalgoE9EN6thrust23THRUST_200600_302600_NS4pairIiN12_GLOBAL__N_15EntryEEESA_bEEZZNS1_14partition_implILS5_9ELb0ES3_jNS7_6detail15normal_iteratorINS7_10device_ptrIKSB_EEEENSF_INSG_ISA_EEEEPNS0_10empty_typeENS0_5tupleIJNSF_INSG_ISB_EEEESM_EEENSO_IJSL_SN_EEENS0_18inequality_wrapperINS9_12CompareFirstEEEPmJSM_EEE10hipError_tPvRmT3_T4_T5_T6_T7_T9_mT8_P12ihipStream_tbDpT10_ENKUlT_T0_E_clISt17integral_constantIbLb0EES1G_EEDaS1B_S1C_EUlS1B_E_NS1_11comp_targetILNS1_3genE5ELNS1_11target_archE942ELNS1_3gpuE9ELNS1_3repE0EEENS1_30default_config_static_selectorELNS0_4arch9wavefront6targetE0EEEvT1_,@function
_ZN7rocprim17ROCPRIM_400000_NS6detail17trampoline_kernelINS0_14default_configENS1_25partition_config_selectorILNS1_17partition_subalgoE9EN6thrust23THRUST_200600_302600_NS4pairIiN12_GLOBAL__N_15EntryEEESA_bEEZZNS1_14partition_implILS5_9ELb0ES3_jNS7_6detail15normal_iteratorINS7_10device_ptrIKSB_EEEENSF_INSG_ISA_EEEEPNS0_10empty_typeENS0_5tupleIJNSF_INSG_ISB_EEEESM_EEENSO_IJSL_SN_EEENS0_18inequality_wrapperINS9_12CompareFirstEEEPmJSM_EEE10hipError_tPvRmT3_T4_T5_T6_T7_T9_mT8_P12ihipStream_tbDpT10_ENKUlT_T0_E_clISt17integral_constantIbLb0EES1G_EEDaS1B_S1C_EUlS1B_E_NS1_11comp_targetILNS1_3genE5ELNS1_11target_archE942ELNS1_3gpuE9ELNS1_3repE0EEENS1_30default_config_static_selectorELNS0_4arch9wavefront6targetE0EEEvT1_: ; @_ZN7rocprim17ROCPRIM_400000_NS6detail17trampoline_kernelINS0_14default_configENS1_25partition_config_selectorILNS1_17partition_subalgoE9EN6thrust23THRUST_200600_302600_NS4pairIiN12_GLOBAL__N_15EntryEEESA_bEEZZNS1_14partition_implILS5_9ELb0ES3_jNS7_6detail15normal_iteratorINS7_10device_ptrIKSB_EEEENSF_INSG_ISA_EEEEPNS0_10empty_typeENS0_5tupleIJNSF_INSG_ISB_EEEESM_EEENSO_IJSL_SN_EEENS0_18inequality_wrapperINS9_12CompareFirstEEEPmJSM_EEE10hipError_tPvRmT3_T4_T5_T6_T7_T9_mT8_P12ihipStream_tbDpT10_ENKUlT_T0_E_clISt17integral_constantIbLb0EES1G_EEDaS1B_S1C_EUlS1B_E_NS1_11comp_targetILNS1_3genE5ELNS1_11target_archE942ELNS1_3gpuE9ELNS1_3repE0EEENS1_30default_config_static_selectorELNS0_4arch9wavefront6targetE0EEEvT1_
; %bb.0:
	.section	.rodata,"a",@progbits
	.p2align	6, 0x0
	.amdhsa_kernel _ZN7rocprim17ROCPRIM_400000_NS6detail17trampoline_kernelINS0_14default_configENS1_25partition_config_selectorILNS1_17partition_subalgoE9EN6thrust23THRUST_200600_302600_NS4pairIiN12_GLOBAL__N_15EntryEEESA_bEEZZNS1_14partition_implILS5_9ELb0ES3_jNS7_6detail15normal_iteratorINS7_10device_ptrIKSB_EEEENSF_INSG_ISA_EEEEPNS0_10empty_typeENS0_5tupleIJNSF_INSG_ISB_EEEESM_EEENSO_IJSL_SN_EEENS0_18inequality_wrapperINS9_12CompareFirstEEEPmJSM_EEE10hipError_tPvRmT3_T4_T5_T6_T7_T9_mT8_P12ihipStream_tbDpT10_ENKUlT_T0_E_clISt17integral_constantIbLb0EES1G_EEDaS1B_S1C_EUlS1B_E_NS1_11comp_targetILNS1_3genE5ELNS1_11target_archE942ELNS1_3gpuE9ELNS1_3repE0EEENS1_30default_config_static_selectorELNS0_4arch9wavefront6targetE0EEEvT1_
		.amdhsa_group_segment_fixed_size 0
		.amdhsa_private_segment_fixed_size 0
		.amdhsa_kernarg_size 112
		.amdhsa_user_sgpr_count 15
		.amdhsa_user_sgpr_dispatch_ptr 0
		.amdhsa_user_sgpr_queue_ptr 0
		.amdhsa_user_sgpr_kernarg_segment_ptr 1
		.amdhsa_user_sgpr_dispatch_id 0
		.amdhsa_user_sgpr_private_segment_size 0
		.amdhsa_wavefront_size32 1
		.amdhsa_uses_dynamic_stack 0
		.amdhsa_enable_private_segment 0
		.amdhsa_system_sgpr_workgroup_id_x 1
		.amdhsa_system_sgpr_workgroup_id_y 0
		.amdhsa_system_sgpr_workgroup_id_z 0
		.amdhsa_system_sgpr_workgroup_info 0
		.amdhsa_system_vgpr_workitem_id 0
		.amdhsa_next_free_vgpr 1
		.amdhsa_next_free_sgpr 1
		.amdhsa_reserve_vcc 0
		.amdhsa_float_round_mode_32 0
		.amdhsa_float_round_mode_16_64 0
		.amdhsa_float_denorm_mode_32 3
		.amdhsa_float_denorm_mode_16_64 3
		.amdhsa_dx10_clamp 1
		.amdhsa_ieee_mode 1
		.amdhsa_fp16_overflow 0
		.amdhsa_workgroup_processor_mode 1
		.amdhsa_memory_ordered 1
		.amdhsa_forward_progress 0
		.amdhsa_shared_vgpr_count 0
		.amdhsa_exception_fp_ieee_invalid_op 0
		.amdhsa_exception_fp_denorm_src 0
		.amdhsa_exception_fp_ieee_div_zero 0
		.amdhsa_exception_fp_ieee_overflow 0
		.amdhsa_exception_fp_ieee_underflow 0
		.amdhsa_exception_fp_ieee_inexact 0
		.amdhsa_exception_int_div_zero 0
	.end_amdhsa_kernel
	.section	.text._ZN7rocprim17ROCPRIM_400000_NS6detail17trampoline_kernelINS0_14default_configENS1_25partition_config_selectorILNS1_17partition_subalgoE9EN6thrust23THRUST_200600_302600_NS4pairIiN12_GLOBAL__N_15EntryEEESA_bEEZZNS1_14partition_implILS5_9ELb0ES3_jNS7_6detail15normal_iteratorINS7_10device_ptrIKSB_EEEENSF_INSG_ISA_EEEEPNS0_10empty_typeENS0_5tupleIJNSF_INSG_ISB_EEEESM_EEENSO_IJSL_SN_EEENS0_18inequality_wrapperINS9_12CompareFirstEEEPmJSM_EEE10hipError_tPvRmT3_T4_T5_T6_T7_T9_mT8_P12ihipStream_tbDpT10_ENKUlT_T0_E_clISt17integral_constantIbLb0EES1G_EEDaS1B_S1C_EUlS1B_E_NS1_11comp_targetILNS1_3genE5ELNS1_11target_archE942ELNS1_3gpuE9ELNS1_3repE0EEENS1_30default_config_static_selectorELNS0_4arch9wavefront6targetE0EEEvT1_,"axG",@progbits,_ZN7rocprim17ROCPRIM_400000_NS6detail17trampoline_kernelINS0_14default_configENS1_25partition_config_selectorILNS1_17partition_subalgoE9EN6thrust23THRUST_200600_302600_NS4pairIiN12_GLOBAL__N_15EntryEEESA_bEEZZNS1_14partition_implILS5_9ELb0ES3_jNS7_6detail15normal_iteratorINS7_10device_ptrIKSB_EEEENSF_INSG_ISA_EEEEPNS0_10empty_typeENS0_5tupleIJNSF_INSG_ISB_EEEESM_EEENSO_IJSL_SN_EEENS0_18inequality_wrapperINS9_12CompareFirstEEEPmJSM_EEE10hipError_tPvRmT3_T4_T5_T6_T7_T9_mT8_P12ihipStream_tbDpT10_ENKUlT_T0_E_clISt17integral_constantIbLb0EES1G_EEDaS1B_S1C_EUlS1B_E_NS1_11comp_targetILNS1_3genE5ELNS1_11target_archE942ELNS1_3gpuE9ELNS1_3repE0EEENS1_30default_config_static_selectorELNS0_4arch9wavefront6targetE0EEEvT1_,comdat
.Lfunc_end1305:
	.size	_ZN7rocprim17ROCPRIM_400000_NS6detail17trampoline_kernelINS0_14default_configENS1_25partition_config_selectorILNS1_17partition_subalgoE9EN6thrust23THRUST_200600_302600_NS4pairIiN12_GLOBAL__N_15EntryEEESA_bEEZZNS1_14partition_implILS5_9ELb0ES3_jNS7_6detail15normal_iteratorINS7_10device_ptrIKSB_EEEENSF_INSG_ISA_EEEEPNS0_10empty_typeENS0_5tupleIJNSF_INSG_ISB_EEEESM_EEENSO_IJSL_SN_EEENS0_18inequality_wrapperINS9_12CompareFirstEEEPmJSM_EEE10hipError_tPvRmT3_T4_T5_T6_T7_T9_mT8_P12ihipStream_tbDpT10_ENKUlT_T0_E_clISt17integral_constantIbLb0EES1G_EEDaS1B_S1C_EUlS1B_E_NS1_11comp_targetILNS1_3genE5ELNS1_11target_archE942ELNS1_3gpuE9ELNS1_3repE0EEENS1_30default_config_static_selectorELNS0_4arch9wavefront6targetE0EEEvT1_, .Lfunc_end1305-_ZN7rocprim17ROCPRIM_400000_NS6detail17trampoline_kernelINS0_14default_configENS1_25partition_config_selectorILNS1_17partition_subalgoE9EN6thrust23THRUST_200600_302600_NS4pairIiN12_GLOBAL__N_15EntryEEESA_bEEZZNS1_14partition_implILS5_9ELb0ES3_jNS7_6detail15normal_iteratorINS7_10device_ptrIKSB_EEEENSF_INSG_ISA_EEEEPNS0_10empty_typeENS0_5tupleIJNSF_INSG_ISB_EEEESM_EEENSO_IJSL_SN_EEENS0_18inequality_wrapperINS9_12CompareFirstEEEPmJSM_EEE10hipError_tPvRmT3_T4_T5_T6_T7_T9_mT8_P12ihipStream_tbDpT10_ENKUlT_T0_E_clISt17integral_constantIbLb0EES1G_EEDaS1B_S1C_EUlS1B_E_NS1_11comp_targetILNS1_3genE5ELNS1_11target_archE942ELNS1_3gpuE9ELNS1_3repE0EEENS1_30default_config_static_selectorELNS0_4arch9wavefront6targetE0EEEvT1_
                                        ; -- End function
	.section	.AMDGPU.csdata,"",@progbits
; Kernel info:
; codeLenInByte = 0
; NumSgprs: 0
; NumVgprs: 0
; ScratchSize: 0
; MemoryBound: 0
; FloatMode: 240
; IeeeMode: 1
; LDSByteSize: 0 bytes/workgroup (compile time only)
; SGPRBlocks: 0
; VGPRBlocks: 0
; NumSGPRsForWavesPerEU: 1
; NumVGPRsForWavesPerEU: 1
; Occupancy: 15
; WaveLimiterHint : 0
; COMPUTE_PGM_RSRC2:SCRATCH_EN: 0
; COMPUTE_PGM_RSRC2:USER_SGPR: 15
; COMPUTE_PGM_RSRC2:TRAP_HANDLER: 0
; COMPUTE_PGM_RSRC2:TGID_X_EN: 1
; COMPUTE_PGM_RSRC2:TGID_Y_EN: 0
; COMPUTE_PGM_RSRC2:TGID_Z_EN: 0
; COMPUTE_PGM_RSRC2:TIDIG_COMP_CNT: 0
	.section	.text._ZN7rocprim17ROCPRIM_400000_NS6detail17trampoline_kernelINS0_14default_configENS1_25partition_config_selectorILNS1_17partition_subalgoE9EN6thrust23THRUST_200600_302600_NS4pairIiN12_GLOBAL__N_15EntryEEESA_bEEZZNS1_14partition_implILS5_9ELb0ES3_jNS7_6detail15normal_iteratorINS7_10device_ptrIKSB_EEEENSF_INSG_ISA_EEEEPNS0_10empty_typeENS0_5tupleIJNSF_INSG_ISB_EEEESM_EEENSO_IJSL_SN_EEENS0_18inequality_wrapperINS9_12CompareFirstEEEPmJSM_EEE10hipError_tPvRmT3_T4_T5_T6_T7_T9_mT8_P12ihipStream_tbDpT10_ENKUlT_T0_E_clISt17integral_constantIbLb0EES1G_EEDaS1B_S1C_EUlS1B_E_NS1_11comp_targetILNS1_3genE4ELNS1_11target_archE910ELNS1_3gpuE8ELNS1_3repE0EEENS1_30default_config_static_selectorELNS0_4arch9wavefront6targetE0EEEvT1_,"axG",@progbits,_ZN7rocprim17ROCPRIM_400000_NS6detail17trampoline_kernelINS0_14default_configENS1_25partition_config_selectorILNS1_17partition_subalgoE9EN6thrust23THRUST_200600_302600_NS4pairIiN12_GLOBAL__N_15EntryEEESA_bEEZZNS1_14partition_implILS5_9ELb0ES3_jNS7_6detail15normal_iteratorINS7_10device_ptrIKSB_EEEENSF_INSG_ISA_EEEEPNS0_10empty_typeENS0_5tupleIJNSF_INSG_ISB_EEEESM_EEENSO_IJSL_SN_EEENS0_18inequality_wrapperINS9_12CompareFirstEEEPmJSM_EEE10hipError_tPvRmT3_T4_T5_T6_T7_T9_mT8_P12ihipStream_tbDpT10_ENKUlT_T0_E_clISt17integral_constantIbLb0EES1G_EEDaS1B_S1C_EUlS1B_E_NS1_11comp_targetILNS1_3genE4ELNS1_11target_archE910ELNS1_3gpuE8ELNS1_3repE0EEENS1_30default_config_static_selectorELNS0_4arch9wavefront6targetE0EEEvT1_,comdat
	.globl	_ZN7rocprim17ROCPRIM_400000_NS6detail17trampoline_kernelINS0_14default_configENS1_25partition_config_selectorILNS1_17partition_subalgoE9EN6thrust23THRUST_200600_302600_NS4pairIiN12_GLOBAL__N_15EntryEEESA_bEEZZNS1_14partition_implILS5_9ELb0ES3_jNS7_6detail15normal_iteratorINS7_10device_ptrIKSB_EEEENSF_INSG_ISA_EEEEPNS0_10empty_typeENS0_5tupleIJNSF_INSG_ISB_EEEESM_EEENSO_IJSL_SN_EEENS0_18inequality_wrapperINS9_12CompareFirstEEEPmJSM_EEE10hipError_tPvRmT3_T4_T5_T6_T7_T9_mT8_P12ihipStream_tbDpT10_ENKUlT_T0_E_clISt17integral_constantIbLb0EES1G_EEDaS1B_S1C_EUlS1B_E_NS1_11comp_targetILNS1_3genE4ELNS1_11target_archE910ELNS1_3gpuE8ELNS1_3repE0EEENS1_30default_config_static_selectorELNS0_4arch9wavefront6targetE0EEEvT1_ ; -- Begin function _ZN7rocprim17ROCPRIM_400000_NS6detail17trampoline_kernelINS0_14default_configENS1_25partition_config_selectorILNS1_17partition_subalgoE9EN6thrust23THRUST_200600_302600_NS4pairIiN12_GLOBAL__N_15EntryEEESA_bEEZZNS1_14partition_implILS5_9ELb0ES3_jNS7_6detail15normal_iteratorINS7_10device_ptrIKSB_EEEENSF_INSG_ISA_EEEEPNS0_10empty_typeENS0_5tupleIJNSF_INSG_ISB_EEEESM_EEENSO_IJSL_SN_EEENS0_18inequality_wrapperINS9_12CompareFirstEEEPmJSM_EEE10hipError_tPvRmT3_T4_T5_T6_T7_T9_mT8_P12ihipStream_tbDpT10_ENKUlT_T0_E_clISt17integral_constantIbLb0EES1G_EEDaS1B_S1C_EUlS1B_E_NS1_11comp_targetILNS1_3genE4ELNS1_11target_archE910ELNS1_3gpuE8ELNS1_3repE0EEENS1_30default_config_static_selectorELNS0_4arch9wavefront6targetE0EEEvT1_
	.p2align	8
	.type	_ZN7rocprim17ROCPRIM_400000_NS6detail17trampoline_kernelINS0_14default_configENS1_25partition_config_selectorILNS1_17partition_subalgoE9EN6thrust23THRUST_200600_302600_NS4pairIiN12_GLOBAL__N_15EntryEEESA_bEEZZNS1_14partition_implILS5_9ELb0ES3_jNS7_6detail15normal_iteratorINS7_10device_ptrIKSB_EEEENSF_INSG_ISA_EEEEPNS0_10empty_typeENS0_5tupleIJNSF_INSG_ISB_EEEESM_EEENSO_IJSL_SN_EEENS0_18inequality_wrapperINS9_12CompareFirstEEEPmJSM_EEE10hipError_tPvRmT3_T4_T5_T6_T7_T9_mT8_P12ihipStream_tbDpT10_ENKUlT_T0_E_clISt17integral_constantIbLb0EES1G_EEDaS1B_S1C_EUlS1B_E_NS1_11comp_targetILNS1_3genE4ELNS1_11target_archE910ELNS1_3gpuE8ELNS1_3repE0EEENS1_30default_config_static_selectorELNS0_4arch9wavefront6targetE0EEEvT1_,@function
_ZN7rocprim17ROCPRIM_400000_NS6detail17trampoline_kernelINS0_14default_configENS1_25partition_config_selectorILNS1_17partition_subalgoE9EN6thrust23THRUST_200600_302600_NS4pairIiN12_GLOBAL__N_15EntryEEESA_bEEZZNS1_14partition_implILS5_9ELb0ES3_jNS7_6detail15normal_iteratorINS7_10device_ptrIKSB_EEEENSF_INSG_ISA_EEEEPNS0_10empty_typeENS0_5tupleIJNSF_INSG_ISB_EEEESM_EEENSO_IJSL_SN_EEENS0_18inequality_wrapperINS9_12CompareFirstEEEPmJSM_EEE10hipError_tPvRmT3_T4_T5_T6_T7_T9_mT8_P12ihipStream_tbDpT10_ENKUlT_T0_E_clISt17integral_constantIbLb0EES1G_EEDaS1B_S1C_EUlS1B_E_NS1_11comp_targetILNS1_3genE4ELNS1_11target_archE910ELNS1_3gpuE8ELNS1_3repE0EEENS1_30default_config_static_selectorELNS0_4arch9wavefront6targetE0EEEvT1_: ; @_ZN7rocprim17ROCPRIM_400000_NS6detail17trampoline_kernelINS0_14default_configENS1_25partition_config_selectorILNS1_17partition_subalgoE9EN6thrust23THRUST_200600_302600_NS4pairIiN12_GLOBAL__N_15EntryEEESA_bEEZZNS1_14partition_implILS5_9ELb0ES3_jNS7_6detail15normal_iteratorINS7_10device_ptrIKSB_EEEENSF_INSG_ISA_EEEEPNS0_10empty_typeENS0_5tupleIJNSF_INSG_ISB_EEEESM_EEENSO_IJSL_SN_EEENS0_18inequality_wrapperINS9_12CompareFirstEEEPmJSM_EEE10hipError_tPvRmT3_T4_T5_T6_T7_T9_mT8_P12ihipStream_tbDpT10_ENKUlT_T0_E_clISt17integral_constantIbLb0EES1G_EEDaS1B_S1C_EUlS1B_E_NS1_11comp_targetILNS1_3genE4ELNS1_11target_archE910ELNS1_3gpuE8ELNS1_3repE0EEENS1_30default_config_static_selectorELNS0_4arch9wavefront6targetE0EEEvT1_
; %bb.0:
	.section	.rodata,"a",@progbits
	.p2align	6, 0x0
	.amdhsa_kernel _ZN7rocprim17ROCPRIM_400000_NS6detail17trampoline_kernelINS0_14default_configENS1_25partition_config_selectorILNS1_17partition_subalgoE9EN6thrust23THRUST_200600_302600_NS4pairIiN12_GLOBAL__N_15EntryEEESA_bEEZZNS1_14partition_implILS5_9ELb0ES3_jNS7_6detail15normal_iteratorINS7_10device_ptrIKSB_EEEENSF_INSG_ISA_EEEEPNS0_10empty_typeENS0_5tupleIJNSF_INSG_ISB_EEEESM_EEENSO_IJSL_SN_EEENS0_18inequality_wrapperINS9_12CompareFirstEEEPmJSM_EEE10hipError_tPvRmT3_T4_T5_T6_T7_T9_mT8_P12ihipStream_tbDpT10_ENKUlT_T0_E_clISt17integral_constantIbLb0EES1G_EEDaS1B_S1C_EUlS1B_E_NS1_11comp_targetILNS1_3genE4ELNS1_11target_archE910ELNS1_3gpuE8ELNS1_3repE0EEENS1_30default_config_static_selectorELNS0_4arch9wavefront6targetE0EEEvT1_
		.amdhsa_group_segment_fixed_size 0
		.amdhsa_private_segment_fixed_size 0
		.amdhsa_kernarg_size 112
		.amdhsa_user_sgpr_count 15
		.amdhsa_user_sgpr_dispatch_ptr 0
		.amdhsa_user_sgpr_queue_ptr 0
		.amdhsa_user_sgpr_kernarg_segment_ptr 1
		.amdhsa_user_sgpr_dispatch_id 0
		.amdhsa_user_sgpr_private_segment_size 0
		.amdhsa_wavefront_size32 1
		.amdhsa_uses_dynamic_stack 0
		.amdhsa_enable_private_segment 0
		.amdhsa_system_sgpr_workgroup_id_x 1
		.amdhsa_system_sgpr_workgroup_id_y 0
		.amdhsa_system_sgpr_workgroup_id_z 0
		.amdhsa_system_sgpr_workgroup_info 0
		.amdhsa_system_vgpr_workitem_id 0
		.amdhsa_next_free_vgpr 1
		.amdhsa_next_free_sgpr 1
		.amdhsa_reserve_vcc 0
		.amdhsa_float_round_mode_32 0
		.amdhsa_float_round_mode_16_64 0
		.amdhsa_float_denorm_mode_32 3
		.amdhsa_float_denorm_mode_16_64 3
		.amdhsa_dx10_clamp 1
		.amdhsa_ieee_mode 1
		.amdhsa_fp16_overflow 0
		.amdhsa_workgroup_processor_mode 1
		.amdhsa_memory_ordered 1
		.amdhsa_forward_progress 0
		.amdhsa_shared_vgpr_count 0
		.amdhsa_exception_fp_ieee_invalid_op 0
		.amdhsa_exception_fp_denorm_src 0
		.amdhsa_exception_fp_ieee_div_zero 0
		.amdhsa_exception_fp_ieee_overflow 0
		.amdhsa_exception_fp_ieee_underflow 0
		.amdhsa_exception_fp_ieee_inexact 0
		.amdhsa_exception_int_div_zero 0
	.end_amdhsa_kernel
	.section	.text._ZN7rocprim17ROCPRIM_400000_NS6detail17trampoline_kernelINS0_14default_configENS1_25partition_config_selectorILNS1_17partition_subalgoE9EN6thrust23THRUST_200600_302600_NS4pairIiN12_GLOBAL__N_15EntryEEESA_bEEZZNS1_14partition_implILS5_9ELb0ES3_jNS7_6detail15normal_iteratorINS7_10device_ptrIKSB_EEEENSF_INSG_ISA_EEEEPNS0_10empty_typeENS0_5tupleIJNSF_INSG_ISB_EEEESM_EEENSO_IJSL_SN_EEENS0_18inequality_wrapperINS9_12CompareFirstEEEPmJSM_EEE10hipError_tPvRmT3_T4_T5_T6_T7_T9_mT8_P12ihipStream_tbDpT10_ENKUlT_T0_E_clISt17integral_constantIbLb0EES1G_EEDaS1B_S1C_EUlS1B_E_NS1_11comp_targetILNS1_3genE4ELNS1_11target_archE910ELNS1_3gpuE8ELNS1_3repE0EEENS1_30default_config_static_selectorELNS0_4arch9wavefront6targetE0EEEvT1_,"axG",@progbits,_ZN7rocprim17ROCPRIM_400000_NS6detail17trampoline_kernelINS0_14default_configENS1_25partition_config_selectorILNS1_17partition_subalgoE9EN6thrust23THRUST_200600_302600_NS4pairIiN12_GLOBAL__N_15EntryEEESA_bEEZZNS1_14partition_implILS5_9ELb0ES3_jNS7_6detail15normal_iteratorINS7_10device_ptrIKSB_EEEENSF_INSG_ISA_EEEEPNS0_10empty_typeENS0_5tupleIJNSF_INSG_ISB_EEEESM_EEENSO_IJSL_SN_EEENS0_18inequality_wrapperINS9_12CompareFirstEEEPmJSM_EEE10hipError_tPvRmT3_T4_T5_T6_T7_T9_mT8_P12ihipStream_tbDpT10_ENKUlT_T0_E_clISt17integral_constantIbLb0EES1G_EEDaS1B_S1C_EUlS1B_E_NS1_11comp_targetILNS1_3genE4ELNS1_11target_archE910ELNS1_3gpuE8ELNS1_3repE0EEENS1_30default_config_static_selectorELNS0_4arch9wavefront6targetE0EEEvT1_,comdat
.Lfunc_end1306:
	.size	_ZN7rocprim17ROCPRIM_400000_NS6detail17trampoline_kernelINS0_14default_configENS1_25partition_config_selectorILNS1_17partition_subalgoE9EN6thrust23THRUST_200600_302600_NS4pairIiN12_GLOBAL__N_15EntryEEESA_bEEZZNS1_14partition_implILS5_9ELb0ES3_jNS7_6detail15normal_iteratorINS7_10device_ptrIKSB_EEEENSF_INSG_ISA_EEEEPNS0_10empty_typeENS0_5tupleIJNSF_INSG_ISB_EEEESM_EEENSO_IJSL_SN_EEENS0_18inequality_wrapperINS9_12CompareFirstEEEPmJSM_EEE10hipError_tPvRmT3_T4_T5_T6_T7_T9_mT8_P12ihipStream_tbDpT10_ENKUlT_T0_E_clISt17integral_constantIbLb0EES1G_EEDaS1B_S1C_EUlS1B_E_NS1_11comp_targetILNS1_3genE4ELNS1_11target_archE910ELNS1_3gpuE8ELNS1_3repE0EEENS1_30default_config_static_selectorELNS0_4arch9wavefront6targetE0EEEvT1_, .Lfunc_end1306-_ZN7rocprim17ROCPRIM_400000_NS6detail17trampoline_kernelINS0_14default_configENS1_25partition_config_selectorILNS1_17partition_subalgoE9EN6thrust23THRUST_200600_302600_NS4pairIiN12_GLOBAL__N_15EntryEEESA_bEEZZNS1_14partition_implILS5_9ELb0ES3_jNS7_6detail15normal_iteratorINS7_10device_ptrIKSB_EEEENSF_INSG_ISA_EEEEPNS0_10empty_typeENS0_5tupleIJNSF_INSG_ISB_EEEESM_EEENSO_IJSL_SN_EEENS0_18inequality_wrapperINS9_12CompareFirstEEEPmJSM_EEE10hipError_tPvRmT3_T4_T5_T6_T7_T9_mT8_P12ihipStream_tbDpT10_ENKUlT_T0_E_clISt17integral_constantIbLb0EES1G_EEDaS1B_S1C_EUlS1B_E_NS1_11comp_targetILNS1_3genE4ELNS1_11target_archE910ELNS1_3gpuE8ELNS1_3repE0EEENS1_30default_config_static_selectorELNS0_4arch9wavefront6targetE0EEEvT1_
                                        ; -- End function
	.section	.AMDGPU.csdata,"",@progbits
; Kernel info:
; codeLenInByte = 0
; NumSgprs: 0
; NumVgprs: 0
; ScratchSize: 0
; MemoryBound: 0
; FloatMode: 240
; IeeeMode: 1
; LDSByteSize: 0 bytes/workgroup (compile time only)
; SGPRBlocks: 0
; VGPRBlocks: 0
; NumSGPRsForWavesPerEU: 1
; NumVGPRsForWavesPerEU: 1
; Occupancy: 16
; WaveLimiterHint : 0
; COMPUTE_PGM_RSRC2:SCRATCH_EN: 0
; COMPUTE_PGM_RSRC2:USER_SGPR: 15
; COMPUTE_PGM_RSRC2:TRAP_HANDLER: 0
; COMPUTE_PGM_RSRC2:TGID_X_EN: 1
; COMPUTE_PGM_RSRC2:TGID_Y_EN: 0
; COMPUTE_PGM_RSRC2:TGID_Z_EN: 0
; COMPUTE_PGM_RSRC2:TIDIG_COMP_CNT: 0
	.section	.text._ZN7rocprim17ROCPRIM_400000_NS6detail17trampoline_kernelINS0_14default_configENS1_25partition_config_selectorILNS1_17partition_subalgoE9EN6thrust23THRUST_200600_302600_NS4pairIiN12_GLOBAL__N_15EntryEEESA_bEEZZNS1_14partition_implILS5_9ELb0ES3_jNS7_6detail15normal_iteratorINS7_10device_ptrIKSB_EEEENSF_INSG_ISA_EEEEPNS0_10empty_typeENS0_5tupleIJNSF_INSG_ISB_EEEESM_EEENSO_IJSL_SN_EEENS0_18inequality_wrapperINS9_12CompareFirstEEEPmJSM_EEE10hipError_tPvRmT3_T4_T5_T6_T7_T9_mT8_P12ihipStream_tbDpT10_ENKUlT_T0_E_clISt17integral_constantIbLb0EES1G_EEDaS1B_S1C_EUlS1B_E_NS1_11comp_targetILNS1_3genE3ELNS1_11target_archE908ELNS1_3gpuE7ELNS1_3repE0EEENS1_30default_config_static_selectorELNS0_4arch9wavefront6targetE0EEEvT1_,"axG",@progbits,_ZN7rocprim17ROCPRIM_400000_NS6detail17trampoline_kernelINS0_14default_configENS1_25partition_config_selectorILNS1_17partition_subalgoE9EN6thrust23THRUST_200600_302600_NS4pairIiN12_GLOBAL__N_15EntryEEESA_bEEZZNS1_14partition_implILS5_9ELb0ES3_jNS7_6detail15normal_iteratorINS7_10device_ptrIKSB_EEEENSF_INSG_ISA_EEEEPNS0_10empty_typeENS0_5tupleIJNSF_INSG_ISB_EEEESM_EEENSO_IJSL_SN_EEENS0_18inequality_wrapperINS9_12CompareFirstEEEPmJSM_EEE10hipError_tPvRmT3_T4_T5_T6_T7_T9_mT8_P12ihipStream_tbDpT10_ENKUlT_T0_E_clISt17integral_constantIbLb0EES1G_EEDaS1B_S1C_EUlS1B_E_NS1_11comp_targetILNS1_3genE3ELNS1_11target_archE908ELNS1_3gpuE7ELNS1_3repE0EEENS1_30default_config_static_selectorELNS0_4arch9wavefront6targetE0EEEvT1_,comdat
	.globl	_ZN7rocprim17ROCPRIM_400000_NS6detail17trampoline_kernelINS0_14default_configENS1_25partition_config_selectorILNS1_17partition_subalgoE9EN6thrust23THRUST_200600_302600_NS4pairIiN12_GLOBAL__N_15EntryEEESA_bEEZZNS1_14partition_implILS5_9ELb0ES3_jNS7_6detail15normal_iteratorINS7_10device_ptrIKSB_EEEENSF_INSG_ISA_EEEEPNS0_10empty_typeENS0_5tupleIJNSF_INSG_ISB_EEEESM_EEENSO_IJSL_SN_EEENS0_18inequality_wrapperINS9_12CompareFirstEEEPmJSM_EEE10hipError_tPvRmT3_T4_T5_T6_T7_T9_mT8_P12ihipStream_tbDpT10_ENKUlT_T0_E_clISt17integral_constantIbLb0EES1G_EEDaS1B_S1C_EUlS1B_E_NS1_11comp_targetILNS1_3genE3ELNS1_11target_archE908ELNS1_3gpuE7ELNS1_3repE0EEENS1_30default_config_static_selectorELNS0_4arch9wavefront6targetE0EEEvT1_ ; -- Begin function _ZN7rocprim17ROCPRIM_400000_NS6detail17trampoline_kernelINS0_14default_configENS1_25partition_config_selectorILNS1_17partition_subalgoE9EN6thrust23THRUST_200600_302600_NS4pairIiN12_GLOBAL__N_15EntryEEESA_bEEZZNS1_14partition_implILS5_9ELb0ES3_jNS7_6detail15normal_iteratorINS7_10device_ptrIKSB_EEEENSF_INSG_ISA_EEEEPNS0_10empty_typeENS0_5tupleIJNSF_INSG_ISB_EEEESM_EEENSO_IJSL_SN_EEENS0_18inequality_wrapperINS9_12CompareFirstEEEPmJSM_EEE10hipError_tPvRmT3_T4_T5_T6_T7_T9_mT8_P12ihipStream_tbDpT10_ENKUlT_T0_E_clISt17integral_constantIbLb0EES1G_EEDaS1B_S1C_EUlS1B_E_NS1_11comp_targetILNS1_3genE3ELNS1_11target_archE908ELNS1_3gpuE7ELNS1_3repE0EEENS1_30default_config_static_selectorELNS0_4arch9wavefront6targetE0EEEvT1_
	.p2align	8
	.type	_ZN7rocprim17ROCPRIM_400000_NS6detail17trampoline_kernelINS0_14default_configENS1_25partition_config_selectorILNS1_17partition_subalgoE9EN6thrust23THRUST_200600_302600_NS4pairIiN12_GLOBAL__N_15EntryEEESA_bEEZZNS1_14partition_implILS5_9ELb0ES3_jNS7_6detail15normal_iteratorINS7_10device_ptrIKSB_EEEENSF_INSG_ISA_EEEEPNS0_10empty_typeENS0_5tupleIJNSF_INSG_ISB_EEEESM_EEENSO_IJSL_SN_EEENS0_18inequality_wrapperINS9_12CompareFirstEEEPmJSM_EEE10hipError_tPvRmT3_T4_T5_T6_T7_T9_mT8_P12ihipStream_tbDpT10_ENKUlT_T0_E_clISt17integral_constantIbLb0EES1G_EEDaS1B_S1C_EUlS1B_E_NS1_11comp_targetILNS1_3genE3ELNS1_11target_archE908ELNS1_3gpuE7ELNS1_3repE0EEENS1_30default_config_static_selectorELNS0_4arch9wavefront6targetE0EEEvT1_,@function
_ZN7rocprim17ROCPRIM_400000_NS6detail17trampoline_kernelINS0_14default_configENS1_25partition_config_selectorILNS1_17partition_subalgoE9EN6thrust23THRUST_200600_302600_NS4pairIiN12_GLOBAL__N_15EntryEEESA_bEEZZNS1_14partition_implILS5_9ELb0ES3_jNS7_6detail15normal_iteratorINS7_10device_ptrIKSB_EEEENSF_INSG_ISA_EEEEPNS0_10empty_typeENS0_5tupleIJNSF_INSG_ISB_EEEESM_EEENSO_IJSL_SN_EEENS0_18inequality_wrapperINS9_12CompareFirstEEEPmJSM_EEE10hipError_tPvRmT3_T4_T5_T6_T7_T9_mT8_P12ihipStream_tbDpT10_ENKUlT_T0_E_clISt17integral_constantIbLb0EES1G_EEDaS1B_S1C_EUlS1B_E_NS1_11comp_targetILNS1_3genE3ELNS1_11target_archE908ELNS1_3gpuE7ELNS1_3repE0EEENS1_30default_config_static_selectorELNS0_4arch9wavefront6targetE0EEEvT1_: ; @_ZN7rocprim17ROCPRIM_400000_NS6detail17trampoline_kernelINS0_14default_configENS1_25partition_config_selectorILNS1_17partition_subalgoE9EN6thrust23THRUST_200600_302600_NS4pairIiN12_GLOBAL__N_15EntryEEESA_bEEZZNS1_14partition_implILS5_9ELb0ES3_jNS7_6detail15normal_iteratorINS7_10device_ptrIKSB_EEEENSF_INSG_ISA_EEEEPNS0_10empty_typeENS0_5tupleIJNSF_INSG_ISB_EEEESM_EEENSO_IJSL_SN_EEENS0_18inequality_wrapperINS9_12CompareFirstEEEPmJSM_EEE10hipError_tPvRmT3_T4_T5_T6_T7_T9_mT8_P12ihipStream_tbDpT10_ENKUlT_T0_E_clISt17integral_constantIbLb0EES1G_EEDaS1B_S1C_EUlS1B_E_NS1_11comp_targetILNS1_3genE3ELNS1_11target_archE908ELNS1_3gpuE7ELNS1_3repE0EEENS1_30default_config_static_selectorELNS0_4arch9wavefront6targetE0EEEvT1_
; %bb.0:
	.section	.rodata,"a",@progbits
	.p2align	6, 0x0
	.amdhsa_kernel _ZN7rocprim17ROCPRIM_400000_NS6detail17trampoline_kernelINS0_14default_configENS1_25partition_config_selectorILNS1_17partition_subalgoE9EN6thrust23THRUST_200600_302600_NS4pairIiN12_GLOBAL__N_15EntryEEESA_bEEZZNS1_14partition_implILS5_9ELb0ES3_jNS7_6detail15normal_iteratorINS7_10device_ptrIKSB_EEEENSF_INSG_ISA_EEEEPNS0_10empty_typeENS0_5tupleIJNSF_INSG_ISB_EEEESM_EEENSO_IJSL_SN_EEENS0_18inequality_wrapperINS9_12CompareFirstEEEPmJSM_EEE10hipError_tPvRmT3_T4_T5_T6_T7_T9_mT8_P12ihipStream_tbDpT10_ENKUlT_T0_E_clISt17integral_constantIbLb0EES1G_EEDaS1B_S1C_EUlS1B_E_NS1_11comp_targetILNS1_3genE3ELNS1_11target_archE908ELNS1_3gpuE7ELNS1_3repE0EEENS1_30default_config_static_selectorELNS0_4arch9wavefront6targetE0EEEvT1_
		.amdhsa_group_segment_fixed_size 0
		.amdhsa_private_segment_fixed_size 0
		.amdhsa_kernarg_size 112
		.amdhsa_user_sgpr_count 15
		.amdhsa_user_sgpr_dispatch_ptr 0
		.amdhsa_user_sgpr_queue_ptr 0
		.amdhsa_user_sgpr_kernarg_segment_ptr 1
		.amdhsa_user_sgpr_dispatch_id 0
		.amdhsa_user_sgpr_private_segment_size 0
		.amdhsa_wavefront_size32 1
		.amdhsa_uses_dynamic_stack 0
		.amdhsa_enable_private_segment 0
		.amdhsa_system_sgpr_workgroup_id_x 1
		.amdhsa_system_sgpr_workgroup_id_y 0
		.amdhsa_system_sgpr_workgroup_id_z 0
		.amdhsa_system_sgpr_workgroup_info 0
		.amdhsa_system_vgpr_workitem_id 0
		.amdhsa_next_free_vgpr 1
		.amdhsa_next_free_sgpr 1
		.amdhsa_reserve_vcc 0
		.amdhsa_float_round_mode_32 0
		.amdhsa_float_round_mode_16_64 0
		.amdhsa_float_denorm_mode_32 3
		.amdhsa_float_denorm_mode_16_64 3
		.amdhsa_dx10_clamp 1
		.amdhsa_ieee_mode 1
		.amdhsa_fp16_overflow 0
		.amdhsa_workgroup_processor_mode 1
		.amdhsa_memory_ordered 1
		.amdhsa_forward_progress 0
		.amdhsa_shared_vgpr_count 0
		.amdhsa_exception_fp_ieee_invalid_op 0
		.amdhsa_exception_fp_denorm_src 0
		.amdhsa_exception_fp_ieee_div_zero 0
		.amdhsa_exception_fp_ieee_overflow 0
		.amdhsa_exception_fp_ieee_underflow 0
		.amdhsa_exception_fp_ieee_inexact 0
		.amdhsa_exception_int_div_zero 0
	.end_amdhsa_kernel
	.section	.text._ZN7rocprim17ROCPRIM_400000_NS6detail17trampoline_kernelINS0_14default_configENS1_25partition_config_selectorILNS1_17partition_subalgoE9EN6thrust23THRUST_200600_302600_NS4pairIiN12_GLOBAL__N_15EntryEEESA_bEEZZNS1_14partition_implILS5_9ELb0ES3_jNS7_6detail15normal_iteratorINS7_10device_ptrIKSB_EEEENSF_INSG_ISA_EEEEPNS0_10empty_typeENS0_5tupleIJNSF_INSG_ISB_EEEESM_EEENSO_IJSL_SN_EEENS0_18inequality_wrapperINS9_12CompareFirstEEEPmJSM_EEE10hipError_tPvRmT3_T4_T5_T6_T7_T9_mT8_P12ihipStream_tbDpT10_ENKUlT_T0_E_clISt17integral_constantIbLb0EES1G_EEDaS1B_S1C_EUlS1B_E_NS1_11comp_targetILNS1_3genE3ELNS1_11target_archE908ELNS1_3gpuE7ELNS1_3repE0EEENS1_30default_config_static_selectorELNS0_4arch9wavefront6targetE0EEEvT1_,"axG",@progbits,_ZN7rocprim17ROCPRIM_400000_NS6detail17trampoline_kernelINS0_14default_configENS1_25partition_config_selectorILNS1_17partition_subalgoE9EN6thrust23THRUST_200600_302600_NS4pairIiN12_GLOBAL__N_15EntryEEESA_bEEZZNS1_14partition_implILS5_9ELb0ES3_jNS7_6detail15normal_iteratorINS7_10device_ptrIKSB_EEEENSF_INSG_ISA_EEEEPNS0_10empty_typeENS0_5tupleIJNSF_INSG_ISB_EEEESM_EEENSO_IJSL_SN_EEENS0_18inequality_wrapperINS9_12CompareFirstEEEPmJSM_EEE10hipError_tPvRmT3_T4_T5_T6_T7_T9_mT8_P12ihipStream_tbDpT10_ENKUlT_T0_E_clISt17integral_constantIbLb0EES1G_EEDaS1B_S1C_EUlS1B_E_NS1_11comp_targetILNS1_3genE3ELNS1_11target_archE908ELNS1_3gpuE7ELNS1_3repE0EEENS1_30default_config_static_selectorELNS0_4arch9wavefront6targetE0EEEvT1_,comdat
.Lfunc_end1307:
	.size	_ZN7rocprim17ROCPRIM_400000_NS6detail17trampoline_kernelINS0_14default_configENS1_25partition_config_selectorILNS1_17partition_subalgoE9EN6thrust23THRUST_200600_302600_NS4pairIiN12_GLOBAL__N_15EntryEEESA_bEEZZNS1_14partition_implILS5_9ELb0ES3_jNS7_6detail15normal_iteratorINS7_10device_ptrIKSB_EEEENSF_INSG_ISA_EEEEPNS0_10empty_typeENS0_5tupleIJNSF_INSG_ISB_EEEESM_EEENSO_IJSL_SN_EEENS0_18inequality_wrapperINS9_12CompareFirstEEEPmJSM_EEE10hipError_tPvRmT3_T4_T5_T6_T7_T9_mT8_P12ihipStream_tbDpT10_ENKUlT_T0_E_clISt17integral_constantIbLb0EES1G_EEDaS1B_S1C_EUlS1B_E_NS1_11comp_targetILNS1_3genE3ELNS1_11target_archE908ELNS1_3gpuE7ELNS1_3repE0EEENS1_30default_config_static_selectorELNS0_4arch9wavefront6targetE0EEEvT1_, .Lfunc_end1307-_ZN7rocprim17ROCPRIM_400000_NS6detail17trampoline_kernelINS0_14default_configENS1_25partition_config_selectorILNS1_17partition_subalgoE9EN6thrust23THRUST_200600_302600_NS4pairIiN12_GLOBAL__N_15EntryEEESA_bEEZZNS1_14partition_implILS5_9ELb0ES3_jNS7_6detail15normal_iteratorINS7_10device_ptrIKSB_EEEENSF_INSG_ISA_EEEEPNS0_10empty_typeENS0_5tupleIJNSF_INSG_ISB_EEEESM_EEENSO_IJSL_SN_EEENS0_18inequality_wrapperINS9_12CompareFirstEEEPmJSM_EEE10hipError_tPvRmT3_T4_T5_T6_T7_T9_mT8_P12ihipStream_tbDpT10_ENKUlT_T0_E_clISt17integral_constantIbLb0EES1G_EEDaS1B_S1C_EUlS1B_E_NS1_11comp_targetILNS1_3genE3ELNS1_11target_archE908ELNS1_3gpuE7ELNS1_3repE0EEENS1_30default_config_static_selectorELNS0_4arch9wavefront6targetE0EEEvT1_
                                        ; -- End function
	.section	.AMDGPU.csdata,"",@progbits
; Kernel info:
; codeLenInByte = 0
; NumSgprs: 0
; NumVgprs: 0
; ScratchSize: 0
; MemoryBound: 0
; FloatMode: 240
; IeeeMode: 1
; LDSByteSize: 0 bytes/workgroup (compile time only)
; SGPRBlocks: 0
; VGPRBlocks: 0
; NumSGPRsForWavesPerEU: 1
; NumVGPRsForWavesPerEU: 1
; Occupancy: 15
; WaveLimiterHint : 0
; COMPUTE_PGM_RSRC2:SCRATCH_EN: 0
; COMPUTE_PGM_RSRC2:USER_SGPR: 15
; COMPUTE_PGM_RSRC2:TRAP_HANDLER: 0
; COMPUTE_PGM_RSRC2:TGID_X_EN: 1
; COMPUTE_PGM_RSRC2:TGID_Y_EN: 0
; COMPUTE_PGM_RSRC2:TGID_Z_EN: 0
; COMPUTE_PGM_RSRC2:TIDIG_COMP_CNT: 0
	.section	.text._ZN7rocprim17ROCPRIM_400000_NS6detail17trampoline_kernelINS0_14default_configENS1_25partition_config_selectorILNS1_17partition_subalgoE9EN6thrust23THRUST_200600_302600_NS4pairIiN12_GLOBAL__N_15EntryEEESA_bEEZZNS1_14partition_implILS5_9ELb0ES3_jNS7_6detail15normal_iteratorINS7_10device_ptrIKSB_EEEENSF_INSG_ISA_EEEEPNS0_10empty_typeENS0_5tupleIJNSF_INSG_ISB_EEEESM_EEENSO_IJSL_SN_EEENS0_18inequality_wrapperINS9_12CompareFirstEEEPmJSM_EEE10hipError_tPvRmT3_T4_T5_T6_T7_T9_mT8_P12ihipStream_tbDpT10_ENKUlT_T0_E_clISt17integral_constantIbLb0EES1G_EEDaS1B_S1C_EUlS1B_E_NS1_11comp_targetILNS1_3genE2ELNS1_11target_archE906ELNS1_3gpuE6ELNS1_3repE0EEENS1_30default_config_static_selectorELNS0_4arch9wavefront6targetE0EEEvT1_,"axG",@progbits,_ZN7rocprim17ROCPRIM_400000_NS6detail17trampoline_kernelINS0_14default_configENS1_25partition_config_selectorILNS1_17partition_subalgoE9EN6thrust23THRUST_200600_302600_NS4pairIiN12_GLOBAL__N_15EntryEEESA_bEEZZNS1_14partition_implILS5_9ELb0ES3_jNS7_6detail15normal_iteratorINS7_10device_ptrIKSB_EEEENSF_INSG_ISA_EEEEPNS0_10empty_typeENS0_5tupleIJNSF_INSG_ISB_EEEESM_EEENSO_IJSL_SN_EEENS0_18inequality_wrapperINS9_12CompareFirstEEEPmJSM_EEE10hipError_tPvRmT3_T4_T5_T6_T7_T9_mT8_P12ihipStream_tbDpT10_ENKUlT_T0_E_clISt17integral_constantIbLb0EES1G_EEDaS1B_S1C_EUlS1B_E_NS1_11comp_targetILNS1_3genE2ELNS1_11target_archE906ELNS1_3gpuE6ELNS1_3repE0EEENS1_30default_config_static_selectorELNS0_4arch9wavefront6targetE0EEEvT1_,comdat
	.globl	_ZN7rocprim17ROCPRIM_400000_NS6detail17trampoline_kernelINS0_14default_configENS1_25partition_config_selectorILNS1_17partition_subalgoE9EN6thrust23THRUST_200600_302600_NS4pairIiN12_GLOBAL__N_15EntryEEESA_bEEZZNS1_14partition_implILS5_9ELb0ES3_jNS7_6detail15normal_iteratorINS7_10device_ptrIKSB_EEEENSF_INSG_ISA_EEEEPNS0_10empty_typeENS0_5tupleIJNSF_INSG_ISB_EEEESM_EEENSO_IJSL_SN_EEENS0_18inequality_wrapperINS9_12CompareFirstEEEPmJSM_EEE10hipError_tPvRmT3_T4_T5_T6_T7_T9_mT8_P12ihipStream_tbDpT10_ENKUlT_T0_E_clISt17integral_constantIbLb0EES1G_EEDaS1B_S1C_EUlS1B_E_NS1_11comp_targetILNS1_3genE2ELNS1_11target_archE906ELNS1_3gpuE6ELNS1_3repE0EEENS1_30default_config_static_selectorELNS0_4arch9wavefront6targetE0EEEvT1_ ; -- Begin function _ZN7rocprim17ROCPRIM_400000_NS6detail17trampoline_kernelINS0_14default_configENS1_25partition_config_selectorILNS1_17partition_subalgoE9EN6thrust23THRUST_200600_302600_NS4pairIiN12_GLOBAL__N_15EntryEEESA_bEEZZNS1_14partition_implILS5_9ELb0ES3_jNS7_6detail15normal_iteratorINS7_10device_ptrIKSB_EEEENSF_INSG_ISA_EEEEPNS0_10empty_typeENS0_5tupleIJNSF_INSG_ISB_EEEESM_EEENSO_IJSL_SN_EEENS0_18inequality_wrapperINS9_12CompareFirstEEEPmJSM_EEE10hipError_tPvRmT3_T4_T5_T6_T7_T9_mT8_P12ihipStream_tbDpT10_ENKUlT_T0_E_clISt17integral_constantIbLb0EES1G_EEDaS1B_S1C_EUlS1B_E_NS1_11comp_targetILNS1_3genE2ELNS1_11target_archE906ELNS1_3gpuE6ELNS1_3repE0EEENS1_30default_config_static_selectorELNS0_4arch9wavefront6targetE0EEEvT1_
	.p2align	8
	.type	_ZN7rocprim17ROCPRIM_400000_NS6detail17trampoline_kernelINS0_14default_configENS1_25partition_config_selectorILNS1_17partition_subalgoE9EN6thrust23THRUST_200600_302600_NS4pairIiN12_GLOBAL__N_15EntryEEESA_bEEZZNS1_14partition_implILS5_9ELb0ES3_jNS7_6detail15normal_iteratorINS7_10device_ptrIKSB_EEEENSF_INSG_ISA_EEEEPNS0_10empty_typeENS0_5tupleIJNSF_INSG_ISB_EEEESM_EEENSO_IJSL_SN_EEENS0_18inequality_wrapperINS9_12CompareFirstEEEPmJSM_EEE10hipError_tPvRmT3_T4_T5_T6_T7_T9_mT8_P12ihipStream_tbDpT10_ENKUlT_T0_E_clISt17integral_constantIbLb0EES1G_EEDaS1B_S1C_EUlS1B_E_NS1_11comp_targetILNS1_3genE2ELNS1_11target_archE906ELNS1_3gpuE6ELNS1_3repE0EEENS1_30default_config_static_selectorELNS0_4arch9wavefront6targetE0EEEvT1_,@function
_ZN7rocprim17ROCPRIM_400000_NS6detail17trampoline_kernelINS0_14default_configENS1_25partition_config_selectorILNS1_17partition_subalgoE9EN6thrust23THRUST_200600_302600_NS4pairIiN12_GLOBAL__N_15EntryEEESA_bEEZZNS1_14partition_implILS5_9ELb0ES3_jNS7_6detail15normal_iteratorINS7_10device_ptrIKSB_EEEENSF_INSG_ISA_EEEEPNS0_10empty_typeENS0_5tupleIJNSF_INSG_ISB_EEEESM_EEENSO_IJSL_SN_EEENS0_18inequality_wrapperINS9_12CompareFirstEEEPmJSM_EEE10hipError_tPvRmT3_T4_T5_T6_T7_T9_mT8_P12ihipStream_tbDpT10_ENKUlT_T0_E_clISt17integral_constantIbLb0EES1G_EEDaS1B_S1C_EUlS1B_E_NS1_11comp_targetILNS1_3genE2ELNS1_11target_archE906ELNS1_3gpuE6ELNS1_3repE0EEENS1_30default_config_static_selectorELNS0_4arch9wavefront6targetE0EEEvT1_: ; @_ZN7rocprim17ROCPRIM_400000_NS6detail17trampoline_kernelINS0_14default_configENS1_25partition_config_selectorILNS1_17partition_subalgoE9EN6thrust23THRUST_200600_302600_NS4pairIiN12_GLOBAL__N_15EntryEEESA_bEEZZNS1_14partition_implILS5_9ELb0ES3_jNS7_6detail15normal_iteratorINS7_10device_ptrIKSB_EEEENSF_INSG_ISA_EEEEPNS0_10empty_typeENS0_5tupleIJNSF_INSG_ISB_EEEESM_EEENSO_IJSL_SN_EEENS0_18inequality_wrapperINS9_12CompareFirstEEEPmJSM_EEE10hipError_tPvRmT3_T4_T5_T6_T7_T9_mT8_P12ihipStream_tbDpT10_ENKUlT_T0_E_clISt17integral_constantIbLb0EES1G_EEDaS1B_S1C_EUlS1B_E_NS1_11comp_targetILNS1_3genE2ELNS1_11target_archE906ELNS1_3gpuE6ELNS1_3repE0EEENS1_30default_config_static_selectorELNS0_4arch9wavefront6targetE0EEEvT1_
; %bb.0:
	.section	.rodata,"a",@progbits
	.p2align	6, 0x0
	.amdhsa_kernel _ZN7rocprim17ROCPRIM_400000_NS6detail17trampoline_kernelINS0_14default_configENS1_25partition_config_selectorILNS1_17partition_subalgoE9EN6thrust23THRUST_200600_302600_NS4pairIiN12_GLOBAL__N_15EntryEEESA_bEEZZNS1_14partition_implILS5_9ELb0ES3_jNS7_6detail15normal_iteratorINS7_10device_ptrIKSB_EEEENSF_INSG_ISA_EEEEPNS0_10empty_typeENS0_5tupleIJNSF_INSG_ISB_EEEESM_EEENSO_IJSL_SN_EEENS0_18inequality_wrapperINS9_12CompareFirstEEEPmJSM_EEE10hipError_tPvRmT3_T4_T5_T6_T7_T9_mT8_P12ihipStream_tbDpT10_ENKUlT_T0_E_clISt17integral_constantIbLb0EES1G_EEDaS1B_S1C_EUlS1B_E_NS1_11comp_targetILNS1_3genE2ELNS1_11target_archE906ELNS1_3gpuE6ELNS1_3repE0EEENS1_30default_config_static_selectorELNS0_4arch9wavefront6targetE0EEEvT1_
		.amdhsa_group_segment_fixed_size 0
		.amdhsa_private_segment_fixed_size 0
		.amdhsa_kernarg_size 112
		.amdhsa_user_sgpr_count 15
		.amdhsa_user_sgpr_dispatch_ptr 0
		.amdhsa_user_sgpr_queue_ptr 0
		.amdhsa_user_sgpr_kernarg_segment_ptr 1
		.amdhsa_user_sgpr_dispatch_id 0
		.amdhsa_user_sgpr_private_segment_size 0
		.amdhsa_wavefront_size32 1
		.amdhsa_uses_dynamic_stack 0
		.amdhsa_enable_private_segment 0
		.amdhsa_system_sgpr_workgroup_id_x 1
		.amdhsa_system_sgpr_workgroup_id_y 0
		.amdhsa_system_sgpr_workgroup_id_z 0
		.amdhsa_system_sgpr_workgroup_info 0
		.amdhsa_system_vgpr_workitem_id 0
		.amdhsa_next_free_vgpr 1
		.amdhsa_next_free_sgpr 1
		.amdhsa_reserve_vcc 0
		.amdhsa_float_round_mode_32 0
		.amdhsa_float_round_mode_16_64 0
		.amdhsa_float_denorm_mode_32 3
		.amdhsa_float_denorm_mode_16_64 3
		.amdhsa_dx10_clamp 1
		.amdhsa_ieee_mode 1
		.amdhsa_fp16_overflow 0
		.amdhsa_workgroup_processor_mode 1
		.amdhsa_memory_ordered 1
		.amdhsa_forward_progress 0
		.amdhsa_shared_vgpr_count 0
		.amdhsa_exception_fp_ieee_invalid_op 0
		.amdhsa_exception_fp_denorm_src 0
		.amdhsa_exception_fp_ieee_div_zero 0
		.amdhsa_exception_fp_ieee_overflow 0
		.amdhsa_exception_fp_ieee_underflow 0
		.amdhsa_exception_fp_ieee_inexact 0
		.amdhsa_exception_int_div_zero 0
	.end_amdhsa_kernel
	.section	.text._ZN7rocprim17ROCPRIM_400000_NS6detail17trampoline_kernelINS0_14default_configENS1_25partition_config_selectorILNS1_17partition_subalgoE9EN6thrust23THRUST_200600_302600_NS4pairIiN12_GLOBAL__N_15EntryEEESA_bEEZZNS1_14partition_implILS5_9ELb0ES3_jNS7_6detail15normal_iteratorINS7_10device_ptrIKSB_EEEENSF_INSG_ISA_EEEEPNS0_10empty_typeENS0_5tupleIJNSF_INSG_ISB_EEEESM_EEENSO_IJSL_SN_EEENS0_18inequality_wrapperINS9_12CompareFirstEEEPmJSM_EEE10hipError_tPvRmT3_T4_T5_T6_T7_T9_mT8_P12ihipStream_tbDpT10_ENKUlT_T0_E_clISt17integral_constantIbLb0EES1G_EEDaS1B_S1C_EUlS1B_E_NS1_11comp_targetILNS1_3genE2ELNS1_11target_archE906ELNS1_3gpuE6ELNS1_3repE0EEENS1_30default_config_static_selectorELNS0_4arch9wavefront6targetE0EEEvT1_,"axG",@progbits,_ZN7rocprim17ROCPRIM_400000_NS6detail17trampoline_kernelINS0_14default_configENS1_25partition_config_selectorILNS1_17partition_subalgoE9EN6thrust23THRUST_200600_302600_NS4pairIiN12_GLOBAL__N_15EntryEEESA_bEEZZNS1_14partition_implILS5_9ELb0ES3_jNS7_6detail15normal_iteratorINS7_10device_ptrIKSB_EEEENSF_INSG_ISA_EEEEPNS0_10empty_typeENS0_5tupleIJNSF_INSG_ISB_EEEESM_EEENSO_IJSL_SN_EEENS0_18inequality_wrapperINS9_12CompareFirstEEEPmJSM_EEE10hipError_tPvRmT3_T4_T5_T6_T7_T9_mT8_P12ihipStream_tbDpT10_ENKUlT_T0_E_clISt17integral_constantIbLb0EES1G_EEDaS1B_S1C_EUlS1B_E_NS1_11comp_targetILNS1_3genE2ELNS1_11target_archE906ELNS1_3gpuE6ELNS1_3repE0EEENS1_30default_config_static_selectorELNS0_4arch9wavefront6targetE0EEEvT1_,comdat
.Lfunc_end1308:
	.size	_ZN7rocprim17ROCPRIM_400000_NS6detail17trampoline_kernelINS0_14default_configENS1_25partition_config_selectorILNS1_17partition_subalgoE9EN6thrust23THRUST_200600_302600_NS4pairIiN12_GLOBAL__N_15EntryEEESA_bEEZZNS1_14partition_implILS5_9ELb0ES3_jNS7_6detail15normal_iteratorINS7_10device_ptrIKSB_EEEENSF_INSG_ISA_EEEEPNS0_10empty_typeENS0_5tupleIJNSF_INSG_ISB_EEEESM_EEENSO_IJSL_SN_EEENS0_18inequality_wrapperINS9_12CompareFirstEEEPmJSM_EEE10hipError_tPvRmT3_T4_T5_T6_T7_T9_mT8_P12ihipStream_tbDpT10_ENKUlT_T0_E_clISt17integral_constantIbLb0EES1G_EEDaS1B_S1C_EUlS1B_E_NS1_11comp_targetILNS1_3genE2ELNS1_11target_archE906ELNS1_3gpuE6ELNS1_3repE0EEENS1_30default_config_static_selectorELNS0_4arch9wavefront6targetE0EEEvT1_, .Lfunc_end1308-_ZN7rocprim17ROCPRIM_400000_NS6detail17trampoline_kernelINS0_14default_configENS1_25partition_config_selectorILNS1_17partition_subalgoE9EN6thrust23THRUST_200600_302600_NS4pairIiN12_GLOBAL__N_15EntryEEESA_bEEZZNS1_14partition_implILS5_9ELb0ES3_jNS7_6detail15normal_iteratorINS7_10device_ptrIKSB_EEEENSF_INSG_ISA_EEEEPNS0_10empty_typeENS0_5tupleIJNSF_INSG_ISB_EEEESM_EEENSO_IJSL_SN_EEENS0_18inequality_wrapperINS9_12CompareFirstEEEPmJSM_EEE10hipError_tPvRmT3_T4_T5_T6_T7_T9_mT8_P12ihipStream_tbDpT10_ENKUlT_T0_E_clISt17integral_constantIbLb0EES1G_EEDaS1B_S1C_EUlS1B_E_NS1_11comp_targetILNS1_3genE2ELNS1_11target_archE906ELNS1_3gpuE6ELNS1_3repE0EEENS1_30default_config_static_selectorELNS0_4arch9wavefront6targetE0EEEvT1_
                                        ; -- End function
	.section	.AMDGPU.csdata,"",@progbits
; Kernel info:
; codeLenInByte = 0
; NumSgprs: 0
; NumVgprs: 0
; ScratchSize: 0
; MemoryBound: 0
; FloatMode: 240
; IeeeMode: 1
; LDSByteSize: 0 bytes/workgroup (compile time only)
; SGPRBlocks: 0
; VGPRBlocks: 0
; NumSGPRsForWavesPerEU: 1
; NumVGPRsForWavesPerEU: 1
; Occupancy: 15
; WaveLimiterHint : 0
; COMPUTE_PGM_RSRC2:SCRATCH_EN: 0
; COMPUTE_PGM_RSRC2:USER_SGPR: 15
; COMPUTE_PGM_RSRC2:TRAP_HANDLER: 0
; COMPUTE_PGM_RSRC2:TGID_X_EN: 1
; COMPUTE_PGM_RSRC2:TGID_Y_EN: 0
; COMPUTE_PGM_RSRC2:TGID_Z_EN: 0
; COMPUTE_PGM_RSRC2:TIDIG_COMP_CNT: 0
	.section	.text._ZN7rocprim17ROCPRIM_400000_NS6detail17trampoline_kernelINS0_14default_configENS1_25partition_config_selectorILNS1_17partition_subalgoE9EN6thrust23THRUST_200600_302600_NS4pairIiN12_GLOBAL__N_15EntryEEESA_bEEZZNS1_14partition_implILS5_9ELb0ES3_jNS7_6detail15normal_iteratorINS7_10device_ptrIKSB_EEEENSF_INSG_ISA_EEEEPNS0_10empty_typeENS0_5tupleIJNSF_INSG_ISB_EEEESM_EEENSO_IJSL_SN_EEENS0_18inequality_wrapperINS9_12CompareFirstEEEPmJSM_EEE10hipError_tPvRmT3_T4_T5_T6_T7_T9_mT8_P12ihipStream_tbDpT10_ENKUlT_T0_E_clISt17integral_constantIbLb0EES1G_EEDaS1B_S1C_EUlS1B_E_NS1_11comp_targetILNS1_3genE10ELNS1_11target_archE1200ELNS1_3gpuE4ELNS1_3repE0EEENS1_30default_config_static_selectorELNS0_4arch9wavefront6targetE0EEEvT1_,"axG",@progbits,_ZN7rocprim17ROCPRIM_400000_NS6detail17trampoline_kernelINS0_14default_configENS1_25partition_config_selectorILNS1_17partition_subalgoE9EN6thrust23THRUST_200600_302600_NS4pairIiN12_GLOBAL__N_15EntryEEESA_bEEZZNS1_14partition_implILS5_9ELb0ES3_jNS7_6detail15normal_iteratorINS7_10device_ptrIKSB_EEEENSF_INSG_ISA_EEEEPNS0_10empty_typeENS0_5tupleIJNSF_INSG_ISB_EEEESM_EEENSO_IJSL_SN_EEENS0_18inequality_wrapperINS9_12CompareFirstEEEPmJSM_EEE10hipError_tPvRmT3_T4_T5_T6_T7_T9_mT8_P12ihipStream_tbDpT10_ENKUlT_T0_E_clISt17integral_constantIbLb0EES1G_EEDaS1B_S1C_EUlS1B_E_NS1_11comp_targetILNS1_3genE10ELNS1_11target_archE1200ELNS1_3gpuE4ELNS1_3repE0EEENS1_30default_config_static_selectorELNS0_4arch9wavefront6targetE0EEEvT1_,comdat
	.globl	_ZN7rocprim17ROCPRIM_400000_NS6detail17trampoline_kernelINS0_14default_configENS1_25partition_config_selectorILNS1_17partition_subalgoE9EN6thrust23THRUST_200600_302600_NS4pairIiN12_GLOBAL__N_15EntryEEESA_bEEZZNS1_14partition_implILS5_9ELb0ES3_jNS7_6detail15normal_iteratorINS7_10device_ptrIKSB_EEEENSF_INSG_ISA_EEEEPNS0_10empty_typeENS0_5tupleIJNSF_INSG_ISB_EEEESM_EEENSO_IJSL_SN_EEENS0_18inequality_wrapperINS9_12CompareFirstEEEPmJSM_EEE10hipError_tPvRmT3_T4_T5_T6_T7_T9_mT8_P12ihipStream_tbDpT10_ENKUlT_T0_E_clISt17integral_constantIbLb0EES1G_EEDaS1B_S1C_EUlS1B_E_NS1_11comp_targetILNS1_3genE10ELNS1_11target_archE1200ELNS1_3gpuE4ELNS1_3repE0EEENS1_30default_config_static_selectorELNS0_4arch9wavefront6targetE0EEEvT1_ ; -- Begin function _ZN7rocprim17ROCPRIM_400000_NS6detail17trampoline_kernelINS0_14default_configENS1_25partition_config_selectorILNS1_17partition_subalgoE9EN6thrust23THRUST_200600_302600_NS4pairIiN12_GLOBAL__N_15EntryEEESA_bEEZZNS1_14partition_implILS5_9ELb0ES3_jNS7_6detail15normal_iteratorINS7_10device_ptrIKSB_EEEENSF_INSG_ISA_EEEEPNS0_10empty_typeENS0_5tupleIJNSF_INSG_ISB_EEEESM_EEENSO_IJSL_SN_EEENS0_18inequality_wrapperINS9_12CompareFirstEEEPmJSM_EEE10hipError_tPvRmT3_T4_T5_T6_T7_T9_mT8_P12ihipStream_tbDpT10_ENKUlT_T0_E_clISt17integral_constantIbLb0EES1G_EEDaS1B_S1C_EUlS1B_E_NS1_11comp_targetILNS1_3genE10ELNS1_11target_archE1200ELNS1_3gpuE4ELNS1_3repE0EEENS1_30default_config_static_selectorELNS0_4arch9wavefront6targetE0EEEvT1_
	.p2align	8
	.type	_ZN7rocprim17ROCPRIM_400000_NS6detail17trampoline_kernelINS0_14default_configENS1_25partition_config_selectorILNS1_17partition_subalgoE9EN6thrust23THRUST_200600_302600_NS4pairIiN12_GLOBAL__N_15EntryEEESA_bEEZZNS1_14partition_implILS5_9ELb0ES3_jNS7_6detail15normal_iteratorINS7_10device_ptrIKSB_EEEENSF_INSG_ISA_EEEEPNS0_10empty_typeENS0_5tupleIJNSF_INSG_ISB_EEEESM_EEENSO_IJSL_SN_EEENS0_18inequality_wrapperINS9_12CompareFirstEEEPmJSM_EEE10hipError_tPvRmT3_T4_T5_T6_T7_T9_mT8_P12ihipStream_tbDpT10_ENKUlT_T0_E_clISt17integral_constantIbLb0EES1G_EEDaS1B_S1C_EUlS1B_E_NS1_11comp_targetILNS1_3genE10ELNS1_11target_archE1200ELNS1_3gpuE4ELNS1_3repE0EEENS1_30default_config_static_selectorELNS0_4arch9wavefront6targetE0EEEvT1_,@function
_ZN7rocprim17ROCPRIM_400000_NS6detail17trampoline_kernelINS0_14default_configENS1_25partition_config_selectorILNS1_17partition_subalgoE9EN6thrust23THRUST_200600_302600_NS4pairIiN12_GLOBAL__N_15EntryEEESA_bEEZZNS1_14partition_implILS5_9ELb0ES3_jNS7_6detail15normal_iteratorINS7_10device_ptrIKSB_EEEENSF_INSG_ISA_EEEEPNS0_10empty_typeENS0_5tupleIJNSF_INSG_ISB_EEEESM_EEENSO_IJSL_SN_EEENS0_18inequality_wrapperINS9_12CompareFirstEEEPmJSM_EEE10hipError_tPvRmT3_T4_T5_T6_T7_T9_mT8_P12ihipStream_tbDpT10_ENKUlT_T0_E_clISt17integral_constantIbLb0EES1G_EEDaS1B_S1C_EUlS1B_E_NS1_11comp_targetILNS1_3genE10ELNS1_11target_archE1200ELNS1_3gpuE4ELNS1_3repE0EEENS1_30default_config_static_selectorELNS0_4arch9wavefront6targetE0EEEvT1_: ; @_ZN7rocprim17ROCPRIM_400000_NS6detail17trampoline_kernelINS0_14default_configENS1_25partition_config_selectorILNS1_17partition_subalgoE9EN6thrust23THRUST_200600_302600_NS4pairIiN12_GLOBAL__N_15EntryEEESA_bEEZZNS1_14partition_implILS5_9ELb0ES3_jNS7_6detail15normal_iteratorINS7_10device_ptrIKSB_EEEENSF_INSG_ISA_EEEEPNS0_10empty_typeENS0_5tupleIJNSF_INSG_ISB_EEEESM_EEENSO_IJSL_SN_EEENS0_18inequality_wrapperINS9_12CompareFirstEEEPmJSM_EEE10hipError_tPvRmT3_T4_T5_T6_T7_T9_mT8_P12ihipStream_tbDpT10_ENKUlT_T0_E_clISt17integral_constantIbLb0EES1G_EEDaS1B_S1C_EUlS1B_E_NS1_11comp_targetILNS1_3genE10ELNS1_11target_archE1200ELNS1_3gpuE4ELNS1_3repE0EEENS1_30default_config_static_selectorELNS0_4arch9wavefront6targetE0EEEvT1_
; %bb.0:
	.section	.rodata,"a",@progbits
	.p2align	6, 0x0
	.amdhsa_kernel _ZN7rocprim17ROCPRIM_400000_NS6detail17trampoline_kernelINS0_14default_configENS1_25partition_config_selectorILNS1_17partition_subalgoE9EN6thrust23THRUST_200600_302600_NS4pairIiN12_GLOBAL__N_15EntryEEESA_bEEZZNS1_14partition_implILS5_9ELb0ES3_jNS7_6detail15normal_iteratorINS7_10device_ptrIKSB_EEEENSF_INSG_ISA_EEEEPNS0_10empty_typeENS0_5tupleIJNSF_INSG_ISB_EEEESM_EEENSO_IJSL_SN_EEENS0_18inequality_wrapperINS9_12CompareFirstEEEPmJSM_EEE10hipError_tPvRmT3_T4_T5_T6_T7_T9_mT8_P12ihipStream_tbDpT10_ENKUlT_T0_E_clISt17integral_constantIbLb0EES1G_EEDaS1B_S1C_EUlS1B_E_NS1_11comp_targetILNS1_3genE10ELNS1_11target_archE1200ELNS1_3gpuE4ELNS1_3repE0EEENS1_30default_config_static_selectorELNS0_4arch9wavefront6targetE0EEEvT1_
		.amdhsa_group_segment_fixed_size 0
		.amdhsa_private_segment_fixed_size 0
		.amdhsa_kernarg_size 112
		.amdhsa_user_sgpr_count 15
		.amdhsa_user_sgpr_dispatch_ptr 0
		.amdhsa_user_sgpr_queue_ptr 0
		.amdhsa_user_sgpr_kernarg_segment_ptr 1
		.amdhsa_user_sgpr_dispatch_id 0
		.amdhsa_user_sgpr_private_segment_size 0
		.amdhsa_wavefront_size32 1
		.amdhsa_uses_dynamic_stack 0
		.amdhsa_enable_private_segment 0
		.amdhsa_system_sgpr_workgroup_id_x 1
		.amdhsa_system_sgpr_workgroup_id_y 0
		.amdhsa_system_sgpr_workgroup_id_z 0
		.amdhsa_system_sgpr_workgroup_info 0
		.amdhsa_system_vgpr_workitem_id 0
		.amdhsa_next_free_vgpr 1
		.amdhsa_next_free_sgpr 1
		.amdhsa_reserve_vcc 0
		.amdhsa_float_round_mode_32 0
		.amdhsa_float_round_mode_16_64 0
		.amdhsa_float_denorm_mode_32 3
		.amdhsa_float_denorm_mode_16_64 3
		.amdhsa_dx10_clamp 1
		.amdhsa_ieee_mode 1
		.amdhsa_fp16_overflow 0
		.amdhsa_workgroup_processor_mode 1
		.amdhsa_memory_ordered 1
		.amdhsa_forward_progress 0
		.amdhsa_shared_vgpr_count 0
		.amdhsa_exception_fp_ieee_invalid_op 0
		.amdhsa_exception_fp_denorm_src 0
		.amdhsa_exception_fp_ieee_div_zero 0
		.amdhsa_exception_fp_ieee_overflow 0
		.amdhsa_exception_fp_ieee_underflow 0
		.amdhsa_exception_fp_ieee_inexact 0
		.amdhsa_exception_int_div_zero 0
	.end_amdhsa_kernel
	.section	.text._ZN7rocprim17ROCPRIM_400000_NS6detail17trampoline_kernelINS0_14default_configENS1_25partition_config_selectorILNS1_17partition_subalgoE9EN6thrust23THRUST_200600_302600_NS4pairIiN12_GLOBAL__N_15EntryEEESA_bEEZZNS1_14partition_implILS5_9ELb0ES3_jNS7_6detail15normal_iteratorINS7_10device_ptrIKSB_EEEENSF_INSG_ISA_EEEEPNS0_10empty_typeENS0_5tupleIJNSF_INSG_ISB_EEEESM_EEENSO_IJSL_SN_EEENS0_18inequality_wrapperINS9_12CompareFirstEEEPmJSM_EEE10hipError_tPvRmT3_T4_T5_T6_T7_T9_mT8_P12ihipStream_tbDpT10_ENKUlT_T0_E_clISt17integral_constantIbLb0EES1G_EEDaS1B_S1C_EUlS1B_E_NS1_11comp_targetILNS1_3genE10ELNS1_11target_archE1200ELNS1_3gpuE4ELNS1_3repE0EEENS1_30default_config_static_selectorELNS0_4arch9wavefront6targetE0EEEvT1_,"axG",@progbits,_ZN7rocprim17ROCPRIM_400000_NS6detail17trampoline_kernelINS0_14default_configENS1_25partition_config_selectorILNS1_17partition_subalgoE9EN6thrust23THRUST_200600_302600_NS4pairIiN12_GLOBAL__N_15EntryEEESA_bEEZZNS1_14partition_implILS5_9ELb0ES3_jNS7_6detail15normal_iteratorINS7_10device_ptrIKSB_EEEENSF_INSG_ISA_EEEEPNS0_10empty_typeENS0_5tupleIJNSF_INSG_ISB_EEEESM_EEENSO_IJSL_SN_EEENS0_18inequality_wrapperINS9_12CompareFirstEEEPmJSM_EEE10hipError_tPvRmT3_T4_T5_T6_T7_T9_mT8_P12ihipStream_tbDpT10_ENKUlT_T0_E_clISt17integral_constantIbLb0EES1G_EEDaS1B_S1C_EUlS1B_E_NS1_11comp_targetILNS1_3genE10ELNS1_11target_archE1200ELNS1_3gpuE4ELNS1_3repE0EEENS1_30default_config_static_selectorELNS0_4arch9wavefront6targetE0EEEvT1_,comdat
.Lfunc_end1309:
	.size	_ZN7rocprim17ROCPRIM_400000_NS6detail17trampoline_kernelINS0_14default_configENS1_25partition_config_selectorILNS1_17partition_subalgoE9EN6thrust23THRUST_200600_302600_NS4pairIiN12_GLOBAL__N_15EntryEEESA_bEEZZNS1_14partition_implILS5_9ELb0ES3_jNS7_6detail15normal_iteratorINS7_10device_ptrIKSB_EEEENSF_INSG_ISA_EEEEPNS0_10empty_typeENS0_5tupleIJNSF_INSG_ISB_EEEESM_EEENSO_IJSL_SN_EEENS0_18inequality_wrapperINS9_12CompareFirstEEEPmJSM_EEE10hipError_tPvRmT3_T4_T5_T6_T7_T9_mT8_P12ihipStream_tbDpT10_ENKUlT_T0_E_clISt17integral_constantIbLb0EES1G_EEDaS1B_S1C_EUlS1B_E_NS1_11comp_targetILNS1_3genE10ELNS1_11target_archE1200ELNS1_3gpuE4ELNS1_3repE0EEENS1_30default_config_static_selectorELNS0_4arch9wavefront6targetE0EEEvT1_, .Lfunc_end1309-_ZN7rocprim17ROCPRIM_400000_NS6detail17trampoline_kernelINS0_14default_configENS1_25partition_config_selectorILNS1_17partition_subalgoE9EN6thrust23THRUST_200600_302600_NS4pairIiN12_GLOBAL__N_15EntryEEESA_bEEZZNS1_14partition_implILS5_9ELb0ES3_jNS7_6detail15normal_iteratorINS7_10device_ptrIKSB_EEEENSF_INSG_ISA_EEEEPNS0_10empty_typeENS0_5tupleIJNSF_INSG_ISB_EEEESM_EEENSO_IJSL_SN_EEENS0_18inequality_wrapperINS9_12CompareFirstEEEPmJSM_EEE10hipError_tPvRmT3_T4_T5_T6_T7_T9_mT8_P12ihipStream_tbDpT10_ENKUlT_T0_E_clISt17integral_constantIbLb0EES1G_EEDaS1B_S1C_EUlS1B_E_NS1_11comp_targetILNS1_3genE10ELNS1_11target_archE1200ELNS1_3gpuE4ELNS1_3repE0EEENS1_30default_config_static_selectorELNS0_4arch9wavefront6targetE0EEEvT1_
                                        ; -- End function
	.section	.AMDGPU.csdata,"",@progbits
; Kernel info:
; codeLenInByte = 0
; NumSgprs: 0
; NumVgprs: 0
; ScratchSize: 0
; MemoryBound: 0
; FloatMode: 240
; IeeeMode: 1
; LDSByteSize: 0 bytes/workgroup (compile time only)
; SGPRBlocks: 0
; VGPRBlocks: 0
; NumSGPRsForWavesPerEU: 1
; NumVGPRsForWavesPerEU: 1
; Occupancy: 16
; WaveLimiterHint : 0
; COMPUTE_PGM_RSRC2:SCRATCH_EN: 0
; COMPUTE_PGM_RSRC2:USER_SGPR: 15
; COMPUTE_PGM_RSRC2:TRAP_HANDLER: 0
; COMPUTE_PGM_RSRC2:TGID_X_EN: 1
; COMPUTE_PGM_RSRC2:TGID_Y_EN: 0
; COMPUTE_PGM_RSRC2:TGID_Z_EN: 0
; COMPUTE_PGM_RSRC2:TIDIG_COMP_CNT: 0
	.section	.text._ZN7rocprim17ROCPRIM_400000_NS6detail17trampoline_kernelINS0_14default_configENS1_25partition_config_selectorILNS1_17partition_subalgoE9EN6thrust23THRUST_200600_302600_NS4pairIiN12_GLOBAL__N_15EntryEEESA_bEEZZNS1_14partition_implILS5_9ELb0ES3_jNS7_6detail15normal_iteratorINS7_10device_ptrIKSB_EEEENSF_INSG_ISA_EEEEPNS0_10empty_typeENS0_5tupleIJNSF_INSG_ISB_EEEESM_EEENSO_IJSL_SN_EEENS0_18inequality_wrapperINS9_12CompareFirstEEEPmJSM_EEE10hipError_tPvRmT3_T4_T5_T6_T7_T9_mT8_P12ihipStream_tbDpT10_ENKUlT_T0_E_clISt17integral_constantIbLb0EES1G_EEDaS1B_S1C_EUlS1B_E_NS1_11comp_targetILNS1_3genE9ELNS1_11target_archE1100ELNS1_3gpuE3ELNS1_3repE0EEENS1_30default_config_static_selectorELNS0_4arch9wavefront6targetE0EEEvT1_,"axG",@progbits,_ZN7rocprim17ROCPRIM_400000_NS6detail17trampoline_kernelINS0_14default_configENS1_25partition_config_selectorILNS1_17partition_subalgoE9EN6thrust23THRUST_200600_302600_NS4pairIiN12_GLOBAL__N_15EntryEEESA_bEEZZNS1_14partition_implILS5_9ELb0ES3_jNS7_6detail15normal_iteratorINS7_10device_ptrIKSB_EEEENSF_INSG_ISA_EEEEPNS0_10empty_typeENS0_5tupleIJNSF_INSG_ISB_EEEESM_EEENSO_IJSL_SN_EEENS0_18inequality_wrapperINS9_12CompareFirstEEEPmJSM_EEE10hipError_tPvRmT3_T4_T5_T6_T7_T9_mT8_P12ihipStream_tbDpT10_ENKUlT_T0_E_clISt17integral_constantIbLb0EES1G_EEDaS1B_S1C_EUlS1B_E_NS1_11comp_targetILNS1_3genE9ELNS1_11target_archE1100ELNS1_3gpuE3ELNS1_3repE0EEENS1_30default_config_static_selectorELNS0_4arch9wavefront6targetE0EEEvT1_,comdat
	.globl	_ZN7rocprim17ROCPRIM_400000_NS6detail17trampoline_kernelINS0_14default_configENS1_25partition_config_selectorILNS1_17partition_subalgoE9EN6thrust23THRUST_200600_302600_NS4pairIiN12_GLOBAL__N_15EntryEEESA_bEEZZNS1_14partition_implILS5_9ELb0ES3_jNS7_6detail15normal_iteratorINS7_10device_ptrIKSB_EEEENSF_INSG_ISA_EEEEPNS0_10empty_typeENS0_5tupleIJNSF_INSG_ISB_EEEESM_EEENSO_IJSL_SN_EEENS0_18inequality_wrapperINS9_12CompareFirstEEEPmJSM_EEE10hipError_tPvRmT3_T4_T5_T6_T7_T9_mT8_P12ihipStream_tbDpT10_ENKUlT_T0_E_clISt17integral_constantIbLb0EES1G_EEDaS1B_S1C_EUlS1B_E_NS1_11comp_targetILNS1_3genE9ELNS1_11target_archE1100ELNS1_3gpuE3ELNS1_3repE0EEENS1_30default_config_static_selectorELNS0_4arch9wavefront6targetE0EEEvT1_ ; -- Begin function _ZN7rocprim17ROCPRIM_400000_NS6detail17trampoline_kernelINS0_14default_configENS1_25partition_config_selectorILNS1_17partition_subalgoE9EN6thrust23THRUST_200600_302600_NS4pairIiN12_GLOBAL__N_15EntryEEESA_bEEZZNS1_14partition_implILS5_9ELb0ES3_jNS7_6detail15normal_iteratorINS7_10device_ptrIKSB_EEEENSF_INSG_ISA_EEEEPNS0_10empty_typeENS0_5tupleIJNSF_INSG_ISB_EEEESM_EEENSO_IJSL_SN_EEENS0_18inequality_wrapperINS9_12CompareFirstEEEPmJSM_EEE10hipError_tPvRmT3_T4_T5_T6_T7_T9_mT8_P12ihipStream_tbDpT10_ENKUlT_T0_E_clISt17integral_constantIbLb0EES1G_EEDaS1B_S1C_EUlS1B_E_NS1_11comp_targetILNS1_3genE9ELNS1_11target_archE1100ELNS1_3gpuE3ELNS1_3repE0EEENS1_30default_config_static_selectorELNS0_4arch9wavefront6targetE0EEEvT1_
	.p2align	8
	.type	_ZN7rocprim17ROCPRIM_400000_NS6detail17trampoline_kernelINS0_14default_configENS1_25partition_config_selectorILNS1_17partition_subalgoE9EN6thrust23THRUST_200600_302600_NS4pairIiN12_GLOBAL__N_15EntryEEESA_bEEZZNS1_14partition_implILS5_9ELb0ES3_jNS7_6detail15normal_iteratorINS7_10device_ptrIKSB_EEEENSF_INSG_ISA_EEEEPNS0_10empty_typeENS0_5tupleIJNSF_INSG_ISB_EEEESM_EEENSO_IJSL_SN_EEENS0_18inequality_wrapperINS9_12CompareFirstEEEPmJSM_EEE10hipError_tPvRmT3_T4_T5_T6_T7_T9_mT8_P12ihipStream_tbDpT10_ENKUlT_T0_E_clISt17integral_constantIbLb0EES1G_EEDaS1B_S1C_EUlS1B_E_NS1_11comp_targetILNS1_3genE9ELNS1_11target_archE1100ELNS1_3gpuE3ELNS1_3repE0EEENS1_30default_config_static_selectorELNS0_4arch9wavefront6targetE0EEEvT1_,@function
_ZN7rocprim17ROCPRIM_400000_NS6detail17trampoline_kernelINS0_14default_configENS1_25partition_config_selectorILNS1_17partition_subalgoE9EN6thrust23THRUST_200600_302600_NS4pairIiN12_GLOBAL__N_15EntryEEESA_bEEZZNS1_14partition_implILS5_9ELb0ES3_jNS7_6detail15normal_iteratorINS7_10device_ptrIKSB_EEEENSF_INSG_ISA_EEEEPNS0_10empty_typeENS0_5tupleIJNSF_INSG_ISB_EEEESM_EEENSO_IJSL_SN_EEENS0_18inequality_wrapperINS9_12CompareFirstEEEPmJSM_EEE10hipError_tPvRmT3_T4_T5_T6_T7_T9_mT8_P12ihipStream_tbDpT10_ENKUlT_T0_E_clISt17integral_constantIbLb0EES1G_EEDaS1B_S1C_EUlS1B_E_NS1_11comp_targetILNS1_3genE9ELNS1_11target_archE1100ELNS1_3gpuE3ELNS1_3repE0EEENS1_30default_config_static_selectorELNS0_4arch9wavefront6targetE0EEEvT1_: ; @_ZN7rocprim17ROCPRIM_400000_NS6detail17trampoline_kernelINS0_14default_configENS1_25partition_config_selectorILNS1_17partition_subalgoE9EN6thrust23THRUST_200600_302600_NS4pairIiN12_GLOBAL__N_15EntryEEESA_bEEZZNS1_14partition_implILS5_9ELb0ES3_jNS7_6detail15normal_iteratorINS7_10device_ptrIKSB_EEEENSF_INSG_ISA_EEEEPNS0_10empty_typeENS0_5tupleIJNSF_INSG_ISB_EEEESM_EEENSO_IJSL_SN_EEENS0_18inequality_wrapperINS9_12CompareFirstEEEPmJSM_EEE10hipError_tPvRmT3_T4_T5_T6_T7_T9_mT8_P12ihipStream_tbDpT10_ENKUlT_T0_E_clISt17integral_constantIbLb0EES1G_EEDaS1B_S1C_EUlS1B_E_NS1_11comp_targetILNS1_3genE9ELNS1_11target_archE1100ELNS1_3gpuE3ELNS1_3repE0EEENS1_30default_config_static_selectorELNS0_4arch9wavefront6targetE0EEEvT1_
; %bb.0:
	s_clause 0x4
	s_load_b128 s[4:7], s[0:1], 0x8
	s_load_b32 s2, s[0:1], 0x68
	s_load_b128 s[16:19], s[0:1], 0x40
	s_load_b64 s[12:13], s[0:1], 0x50
	s_load_b64 s[8:9], s[0:1], 0x18
	s_mul_i32 s23, s15, 0x6000
	v_lshrrev_b32_e32 v14, 5, v0
	v_or_b32_e32 v25, 0x200, v0
	v_or_b32_e32 v19, 0x400, v0
	;; [unrolled: 1-line block ×3, first 2 shown]
	s_mov_b32 s3, -1
	s_waitcnt lgkmcnt(0)
	s_mul_i32 s10, s7, 12
	s_mul_hi_u32 s11, s6, 12
	s_mul_i32 s14, s6, 12
	s_add_i32 s11, s11, s10
	s_add_u32 s21, s4, s14
	s_addc_u32 s22, s5, s11
	s_add_i32 s14, s2, -1
	s_load_b64 s[10:11], s[18:19], 0x0
	s_lshl_b32 s4, s14, 11
	s_lshl_b32 s2, s2, 11
	s_add_i32 s4, s6, s4
	s_delay_alu instid0(SALU_CYCLE_1)
	s_sub_i32 s19, s12, s4
	s_add_u32 s4, s6, s2
	s_addc_u32 s5, s7, 0
	s_cmp_eq_u32 s15, s14
	v_cmp_ge_u64_e64 s2, s[4:5], s[12:13]
	s_cselect_b32 s14, -1, 0
	s_lshl_b32 s12, s15, 11
	s_mov_b32 s13, 0
	s_delay_alu instid0(VALU_DEP_1)
	s_and_b32 s20, s14, s2
	s_mul_hi_u32 s2, s12, 12
	s_xor_b32 s18, s20, -1
	s_add_u32 s4, s21, s23
	s_addc_u32 s5, s22, s2
	s_and_b32 vcc_lo, exec_lo, s18
	s_cbranch_vccz .LBB1310_2
; %bb.1:
	v_mad_u64_u32 v[4:5], null, v0, 12, s[4:5]
	v_mul_u32_u24_e32 v13, 12, v0
	v_lshrrev_b32_e32 v15, 5, v25
	v_lshrrev_b32_e32 v16, 5, v19
	;; [unrolled: 1-line block ×3, first 2 shown]
	s_mov_b32 s3, s13
	s_delay_alu instid0(VALU_DEP_3)
	v_mad_u32_u24 v15, v15, 12, v13
	v_add_co_u32 v6, vcc_lo, 0x1000, v4
	v_add_co_ci_u32_e32 v7, vcc_lo, 0, v5, vcc_lo
	v_add_co_u32 v8, vcc_lo, 0x3000, v4
	v_add_co_ci_u32_e32 v9, vcc_lo, 0, v5, vcc_lo
	;; [unrolled: 2-line block ×3, first 2 shown]
	s_clause 0x3
	flat_load_b96 v[1:3], v[4:5]
	flat_load_b96 v[4:6], v[6:7] offset:2048
	flat_load_b96 v[7:9], v[8:9]
	flat_load_b96 v[10:12], v[10:11] offset:2048
	v_mad_u32_u24 v16, v16, 12, v13
	v_mad_u32_u24 v17, v17, 12, v13
	;; [unrolled: 1-line block ×3, first 2 shown]
	v_add_nc_u32_e32 v18, 0x1800, v15
	s_delay_alu instid0(VALU_DEP_4) | instskip(NEXT) | instid1(VALU_DEP_4)
	v_add_nc_u32_e32 v20, 0x3000, v16
	v_add_nc_u32_e32 v21, 0x4800, v17
	s_waitcnt vmcnt(3) lgkmcnt(0)
	ds_store_2addr_b32 v13, v1, v2 offset1:1
	ds_store_b32 v13, v3 offset:8
	s_waitcnt vmcnt(2)
	ds_store_2addr_b32 v18, v4, v5 offset1:1
	ds_store_b32 v15, v6 offset:6152
	s_waitcnt vmcnt(1)
	;; [unrolled: 3-line block ×3, first 2 shown]
	ds_store_2addr_b32 v21, v10, v11 offset1:1
	ds_store_b32 v17, v12 offset:18440
	s_waitcnt lgkmcnt(0)
	s_barrier
.LBB1310_2:
	v_cmp_gt_u32_e64 s2, s19, v0
	s_and_not1_b32 vcc_lo, exec_lo, s3
	s_cbranch_vccnz .LBB1310_12
; %bb.3:
	v_dual_mov_b32 v3, 0 :: v_dual_mov_b32 v6, 0
	v_dual_mov_b32 v5, 0 :: v_dual_mov_b32 v4, 0
	s_and_saveexec_b32 s3, s2
	s_cbranch_execz .LBB1310_5
; %bb.4:
	v_mad_u64_u32 v[1:2], null, v0, 12, s[4:5]
	flat_load_b96 v[4:6], v[1:2]
.LBB1310_5:
	s_or_b32 exec_lo, exec_lo, s3
	v_dual_mov_b32 v2, 0 :: v_dual_mov_b32 v1, 0
	s_mov_b32 s2, exec_lo
	v_cmpx_gt_u32_e64 s19, v25
	s_cbranch_execz .LBB1310_7
; %bb.6:
	v_mad_u64_u32 v[1:2], null, v25, 12, s[4:5]
	flat_load_b96 v[1:3], v[1:2]
.LBB1310_7:
	s_or_b32 exec_lo, exec_lo, s2
	v_dual_mov_b32 v9, 0 :: v_dual_mov_b32 v12, 0
	v_dual_mov_b32 v11, 0 :: v_dual_mov_b32 v10, 0
	s_mov_b32 s2, exec_lo
	v_cmpx_gt_u32_e64 s19, v19
	s_cbranch_execz .LBB1310_9
; %bb.8:
	v_mad_u64_u32 v[7:8], null, v19, 12, s[4:5]
	flat_load_b96 v[10:12], v[7:8]
.LBB1310_9:
	s_or_b32 exec_lo, exec_lo, s2
	v_dual_mov_b32 v8, 0 :: v_dual_mov_b32 v7, 0
	s_mov_b32 s2, exec_lo
	v_cmpx_gt_u32_e64 s19, v24
	s_cbranch_execz .LBB1310_11
; %bb.10:
	v_mad_u64_u32 v[7:8], null, v24, 12, s[4:5]
	flat_load_b96 v[7:9], v[7:8]
.LBB1310_11:
	s_or_b32 exec_lo, exec_lo, s2
	v_mul_u32_u24_e32 v13, 12, v0
	v_lshrrev_b32_e32 v15, 5, v25
	v_lshrrev_b32_e32 v16, 5, v19
	;; [unrolled: 1-line block ×3, first 2 shown]
	s_delay_alu instid0(VALU_DEP_4) | instskip(NEXT) | instid1(VALU_DEP_4)
	v_mad_u32_u24 v18, v14, 12, v13
	v_mad_u32_u24 v15, v15, 12, v13
	s_delay_alu instid0(VALU_DEP_4) | instskip(NEXT) | instid1(VALU_DEP_4)
	v_mad_u32_u24 v16, v16, 12, v13
	v_mad_u32_u24 v13, v17, 12, v13
	s_waitcnt vmcnt(0) lgkmcnt(0)
	ds_store_2addr_b32 v18, v4, v5 offset1:1
	ds_store_b32 v18, v6 offset:8
	v_add_nc_u32_e32 v17, 0x1800, v15
	v_add_nc_u32_e32 v20, 0x3000, v16
	v_add_nc_u32_e32 v4, 0x4800, v13
	ds_store_2addr_b32 v17, v1, v2 offset1:1
	ds_store_b32 v15, v3 offset:6152
	ds_store_2addr_b32 v20, v10, v11 offset1:1
	ds_store_b32 v16, v12 offset:12296
	;; [unrolled: 2-line block ×3, first 2 shown]
	s_waitcnt lgkmcnt(0)
	s_barrier
.LBB1310_12:
	v_lshlrev_b32_e32 v9, 2, v0
	v_lshrrev_b32_e32 v1, 3, v0
	s_waitcnt lgkmcnt(0)
	buffer_gl0_inv
	s_lshl_b64 s[2:3], s[6:7], 3
	v_lshrrev_b32_e32 v28, 2, v0
	s_add_u32 s8, s8, s2
	v_add_nc_u32_e32 v26, v1, v9
	s_addc_u32 s9, s9, s3
	s_lshl_b64 s[2:3], s[12:13], 3
	s_delay_alu instid0(SALU_CYCLE_1) | instskip(NEXT) | instid1(VALU_DEP_1)
	s_add_u32 s2, s8, s2
	v_mul_u32_u24_e32 v27, 12, v26
	s_addc_u32 s3, s9, s3
	s_and_b32 vcc_lo, exec_lo, s18
	s_mov_b32 s8, -1
	ds_load_2addr_b32 v[17:18], v27 offset1:1
	ds_load_2addr_b32 v[22:23], v27 offset0:2 offset1:3
	ds_load_2addr_b32 v[20:21], v27 offset0:8 offset1:9
	;; [unrolled: 1-line block ×5, first 2 shown]
	s_waitcnt lgkmcnt(0)
	s_barrier
	buffer_gl0_inv
	s_cbranch_vccz .LBB1310_14
; %bb.13:
	v_lshlrev_b32_e32 v29, 3, v0
	v_lshrrev_b32_e32 v30, 2, v25
	v_lshrrev_b32_e32 v31, 2, v19
	;; [unrolled: 1-line block ×3, first 2 shown]
	v_and_b32_e32 v33, 0x78, v28
	v_add_co_u32 v1, s8, s2, v29
	s_delay_alu instid0(VALU_DEP_1) | instskip(SKIP_1) | instid1(VALU_DEP_3)
	v_add_co_ci_u32_e64 v2, null, s3, 0, s8
	v_and_b32_e32 v30, 0xf8, v30
	v_add_co_u32 v3, vcc_lo, 0x1000, v1
	s_delay_alu instid0(VALU_DEP_3)
	v_add_co_ci_u32_e32 v4, vcc_lo, 0, v2, vcc_lo
	v_add_co_u32 v5, vcc_lo, 0x2000, v1
	v_add_co_ci_u32_e32 v6, vcc_lo, 0, v2, vcc_lo
	v_add_co_u32 v7, vcc_lo, 0x3000, v1
	v_add_co_ci_u32_e32 v8, vcc_lo, 0, v2, vcc_lo
	s_clause 0x3
	flat_load_b64 v[1:2], v[1:2]
	flat_load_b64 v[3:4], v[3:4]
	;; [unrolled: 1-line block ×4, first 2 shown]
	v_and_b32_e32 v31, 0x178, v31
	v_and_b32_e32 v32, 0x1f8, v32
	v_add_nc_u32_e32 v33, v33, v29
	v_add_nc_u32_e32 v30, v30, v29
	s_mov_b32 s8, 0
	v_add_nc_u32_e32 v31, v31, v29
	v_add_nc_u32_e32 v29, v32, v29
	s_waitcnt vmcnt(3) lgkmcnt(3)
	ds_store_b64 v33, v[1:2]
	s_waitcnt vmcnt(2) lgkmcnt(3)
	ds_store_b64 v30, v[3:4] offset:4096
	s_waitcnt vmcnt(1) lgkmcnt(3)
	ds_store_b64 v31, v[5:6] offset:8192
	;; [unrolled: 2-line block ×3, first 2 shown]
	s_waitcnt lgkmcnt(0)
	s_barrier
.LBB1310_14:
	s_and_not1_b32 vcc_lo, exec_lo, s8
	s_cbranch_vccnz .LBB1310_24
; %bb.15:
	s_mov_b32 s8, exec_lo
                                        ; implicit-def: $vgpr1_vgpr2
	v_cmpx_gt_u32_e64 s19, v0
                                        ; implicit-def: $vgpr4
	s_cbranch_execz .LBB1310_17
; %bb.16:
	v_lshlrev_b32_e32 v1, 3, v0
	s_delay_alu instid0(VALU_DEP_1) | instskip(NEXT) | instid1(VALU_DEP_1)
	v_add_co_u32 v1, s9, s2, v1
	v_add_co_ci_u32_e64 v2, null, s3, 0, s9
	flat_load_b64 v[1:2], v[1:2]
.LBB1310_17:
	s_or_b32 exec_lo, exec_lo, s8
	s_delay_alu instid0(SALU_CYCLE_1)
	s_mov_b32 s8, exec_lo
                                        ; implicit-def: $vgpr3
	v_cmpx_gt_u32_e64 s19, v25
                                        ; implicit-def: $vgpr6
	s_cbranch_execz .LBB1310_19
; %bb.18:
	v_lshlrev_b32_e32 v3, 3, v25
	s_delay_alu instid0(VALU_DEP_1) | instskip(NEXT) | instid1(VALU_DEP_1)
	v_add_co_u32 v3, s9, s2, v3
	v_add_co_ci_u32_e64 v4, null, s3, 0, s9
	flat_load_b64 v[3:4], v[3:4]
.LBB1310_19:
	s_or_b32 exec_lo, exec_lo, s8
	s_delay_alu instid0(SALU_CYCLE_1)
	s_mov_b32 s8, exec_lo
                                        ; implicit-def: $vgpr5
	v_cmpx_gt_u32_e64 s19, v19
                                        ; implicit-def: $vgpr8
	s_cbranch_execz .LBB1310_21
; %bb.20:
	v_lshlrev_b32_e32 v5, 3, v19
	s_delay_alu instid0(VALU_DEP_1) | instskip(NEXT) | instid1(VALU_DEP_1)
	v_add_co_u32 v5, s9, s2, v5
	v_add_co_ci_u32_e64 v6, null, s3, 0, s9
	flat_load_b64 v[5:6], v[5:6]
.LBB1310_21:
	s_or_b32 exec_lo, exec_lo, s8
	s_delay_alu instid0(SALU_CYCLE_1)
	s_mov_b32 s8, exec_lo
                                        ; implicit-def: $vgpr7
	v_cmpx_gt_u32_e64 s19, v24
	s_cbranch_execz .LBB1310_23
; %bb.22:
	v_lshlrev_b32_e32 v7, 3, v24
	s_delay_alu instid0(VALU_DEP_1) | instskip(NEXT) | instid1(VALU_DEP_1)
	v_add_co_u32 v7, s2, s2, v7
	v_add_co_ci_u32_e64 v8, null, s3, 0, s2
	flat_load_b64 v[7:8], v[7:8]
.LBB1310_23:
	s_or_b32 exec_lo, exec_lo, s8
	v_lshrrev_b32_e32 v25, 2, v25
	v_lshrrev_b32_e32 v19, 2, v19
	;; [unrolled: 1-line block ×3, first 2 shown]
	v_and_b32_e32 v28, 0x78, v28
	v_lshlrev_b32_e32 v29, 3, v0
	v_and_b32_e32 v25, 0xf8, v25
	v_and_b32_e32 v19, 0x1f8, v19
	;; [unrolled: 1-line block ×3, first 2 shown]
	s_delay_alu instid0(VALU_DEP_4) | instskip(NEXT) | instid1(VALU_DEP_4)
	v_add_nc_u32_e32 v28, v28, v29
	v_add_nc_u32_e32 v25, v25, v29
	s_delay_alu instid0(VALU_DEP_4) | instskip(NEXT) | instid1(VALU_DEP_4)
	v_add_nc_u32_e32 v19, v19, v29
	v_add_nc_u32_e32 v24, v24, v29
	s_waitcnt vmcnt(0) lgkmcnt(0)
	ds_store_b64 v28, v[1:2]
	ds_store_b64 v25, v[3:4] offset:4096
	ds_store_b64 v19, v[5:6] offset:8192
	;; [unrolled: 1-line block ×3, first 2 shown]
	s_waitcnt lgkmcnt(0)
	s_barrier
.LBB1310_24:
	v_lshlrev_b32_e32 v1, 2, v26
	buffer_gl0_inv
	s_cmp_lg_u32 s15, 0
	s_cselect_b32 s8, -1, 0
	v_sub_nc_u32_e32 v1, v27, v1
	s_cmp_lg_u64 s[6:7], 0
	s_mov_b32 s7, 0
	s_cselect_b32 s2, -1, 0
	ds_load_2addr_b64 v[5:8], v1 offset1:1
	ds_load_2addr_b64 v[1:4], v1 offset0:2 offset1:3
	s_or_b32 s2, s8, s2
	s_waitcnt lgkmcnt(0)
	s_and_b32 vcc_lo, exec_lo, s2
	s_barrier
	buffer_gl0_inv
	s_cbranch_vccz .LBB1310_29
; %bb.25:
	v_add_co_u32 v24, s2, -12, s4
	s_delay_alu instid0(VALU_DEP_1)
	v_add_co_ci_u32_e64 v25, null, -1, s5, s2
	s_mov_b32 s3, -1
	s_and_b32 vcc_lo, exec_lo, s18
	flat_load_b32 v19, v[24:25]
	v_mul_u32_u24_e32 v24, 12, v0
	ds_store_2addr_b32 v24, v21, v10 offset1:1
	ds_store_b32 v24, v11 offset:8
	s_cbranch_vccz .LBB1310_30
; %bb.26:
	s_waitcnt vmcnt(0) lgkmcnt(2)
	v_mov_b32_e32 v25, v19
	s_mov_b32 s3, 0
	s_mov_b32 s2, exec_lo
	s_waitcnt lgkmcnt(0)
	s_barrier
	buffer_gl0_inv
	v_cmpx_ne_u32_e32 0, v0
	s_cbranch_execz .LBB1310_28
; %bb.27:
	v_add_nc_u32_e32 v25, -12, v24
	ds_load_b32 v25, v25
.LBB1310_28:
	s_or_b32 exec_lo, exec_lo, s2
	v_cmp_ne_u32_e32 vcc_lo, v12, v21
	s_waitcnt lgkmcnt(0)
	v_cmp_ne_u32_e64 s2, v25, v17
	v_cndmask_b32_e64 v26, 0, 1, vcc_lo
	v_cmp_ne_u32_e32 vcc_lo, v23, v12
	s_delay_alu instid0(VALU_DEP_2) | instskip(SKIP_2) | instid1(VALU_DEP_2)
	v_lshlrev_b16 v26, 8, v26
	v_cndmask_b32_e64 v27, 0, 1, vcc_lo
	v_cmp_ne_u32_e32 vcc_lo, v17, v23
	v_or_b32_e32 v26, v27, v26
	v_cndmask_b32_e64 v28, 0, 1, vcc_lo
	s_delay_alu instid0(VALU_DEP_2) | instskip(NEXT) | instid1(VALU_DEP_2)
	v_lshlrev_b32_e32 v26, 16, v26
	v_lshlrev_b16 v28, 8, v28
	s_delay_alu instid0(VALU_DEP_1) | instskip(NEXT) | instid1(VALU_DEP_1)
	v_and_b32_e32 v27, 0xffff, v28
	v_or_b32_e32 v31, v27, v26
	s_and_b32 vcc_lo, exec_lo, s3
	s_cbranch_vccnz .LBB1310_31
	s_branch .LBB1310_34
.LBB1310_29:
                                        ; implicit-def: $sgpr2
                                        ; implicit-def: $vgpr31
	s_branch .LBB1310_35
.LBB1310_30:
                                        ; implicit-def: $sgpr2
                                        ; implicit-def: $vgpr31
	s_and_b32 vcc_lo, exec_lo, s3
	s_cbranch_vccz .LBB1310_34
.LBB1310_31:
	s_mov_b32 s2, exec_lo
	s_waitcnt vmcnt(0) lgkmcnt(0)
	s_barrier
	buffer_gl0_inv
	v_cmpx_ne_u32_e32 0, v0
	s_cbranch_execz .LBB1310_33
; %bb.32:
	v_add_nc_u32_e32 v19, -12, v24
	ds_load_b32 v19, v19
.LBB1310_33:
	s_or_b32 exec_lo, exec_lo, s2
	v_or_b32_e32 v24, 3, v9
	v_or_b32_e32 v25, 2, v9
	v_cmp_ne_u32_e32 vcc_lo, v12, v21
	v_cmp_ne_u32_e64 s3, v23, v12
	v_cmp_ne_u32_e64 s4, v17, v23
	v_cmp_gt_u32_e64 s2, s19, v24
	v_or_b32_e32 v24, 1, v9
	v_cmp_gt_u32_e64 s5, s19, v25
	s_delay_alu instid0(VALU_DEP_3) | instskip(NEXT) | instid1(VALU_DEP_2)
	s_and_b32 s2, s2, vcc_lo
	v_cmp_gt_u32_e32 vcc_lo, s19, v24
	v_cndmask_b32_e64 v25, 0, 1, s2
	s_delay_alu instid0(VALU_DEP_3) | instskip(NEXT) | instid1(SALU_CYCLE_1)
	s_and_b32 s2, s5, s3
	v_cndmask_b32_e64 v24, 0, 1, s2
	s_and_b32 s2, vcc_lo, s4
	s_delay_alu instid0(VALU_DEP_2)
	v_lshlrev_b16 v25, 8, v25
	v_cndmask_b32_e64 v26, 0, 1, s2
	v_cmp_gt_u32_e32 vcc_lo, s19, v9
	s_waitcnt lgkmcnt(0)
	v_cmp_ne_u32_e64 s2, v19, v17
	v_or_b32_e32 v24, v24, v25
	v_lshlrev_b16 v25, 8, v26
	s_delay_alu instid0(VALU_DEP_3) | instskip(NEXT) | instid1(VALU_DEP_2)
	s_and_b32 s2, vcc_lo, s2
	v_lshlrev_b32_e32 v24, 16, v24
	s_delay_alu instid0(VALU_DEP_2) | instskip(NEXT) | instid1(VALU_DEP_1)
	v_and_b32_e32 v25, 0xffff, v25
	v_or_b32_e32 v31, v25, v24
.LBB1310_34:
	s_mov_b32 s7, -1
	s_cbranch_execnz .LBB1310_43
.LBB1310_35:
	s_waitcnt vmcnt(0) lgkmcnt(2)
	v_mul_u32_u24_e32 v19, 12, v0
	v_cmp_ne_u32_e64 s3, v12, v21
	v_cmp_ne_u32_e64 s2, v23, v12
	;; [unrolled: 1-line block ×3, first 2 shown]
	s_and_b32 vcc_lo, exec_lo, s18
	ds_store_2addr_b32 v19, v21, v10 offset1:1
	ds_store_b32 v19, v11 offset:8
	s_cbranch_vccz .LBB1310_39
; %bb.36:
	v_cndmask_b32_e64 v24, 0, 1, s3
	v_cndmask_b32_e64 v25, 0, 1, s4
	;; [unrolled: 1-line block ×3, first 2 shown]
	s_mov_b32 s3, 0
	s_mov_b32 s4, exec_lo
	v_lshlrev_b16 v24, 8, v24
	v_lshlrev_b16 v25, 8, v25
	s_waitcnt lgkmcnt(0)
	s_barrier
	buffer_gl0_inv
	v_or_b32_e32 v24, v26, v24
	v_or_b32_e32 v25, 1, v25
                                        ; implicit-def: $sgpr2
	s_delay_alu instid0(VALU_DEP_2) | instskip(NEXT) | instid1(VALU_DEP_2)
	v_lshlrev_b32_e32 v24, 16, v24
	v_and_b32_e32 v25, 0xffff, v25
	s_delay_alu instid0(VALU_DEP_1)
	v_or_b32_e32 v31, v25, v24
	v_cmpx_ne_u32_e32 0, v0
	s_xor_b32 s4, exec_lo, s4
	s_cbranch_execz .LBB1310_38
; %bb.37:
	v_add_nc_u32_e32 v24, -12, v19
	s_or_b32 s7, s7, exec_lo
	ds_load_b32 v24, v24
	s_waitcnt lgkmcnt(0)
	v_cmp_ne_u32_e32 vcc_lo, v24, v17
	s_and_b32 s2, vcc_lo, exec_lo
.LBB1310_38:
	s_or_b32 exec_lo, exec_lo, s4
	s_delay_alu instid0(SALU_CYCLE_1)
	s_and_b32 vcc_lo, exec_lo, s3
	s_cbranch_vccnz .LBB1310_40
	s_branch .LBB1310_43
.LBB1310_39:
                                        ; implicit-def: $sgpr2
                                        ; implicit-def: $vgpr31
	s_cbranch_execz .LBB1310_43
.LBB1310_40:
	v_or_b32_e32 v24, 3, v9
	v_or_b32_e32 v25, 1, v9
	v_cmp_ne_u32_e32 vcc_lo, v12, v21
	v_or_b32_e32 v26, 2, v9
	v_cmp_ne_u32_e64 s3, v17, v23
	v_cmp_gt_u32_e64 s2, s19, v24
	v_cmp_gt_u32_e64 s4, s19, v25
	v_cmp_ne_u32_e64 s5, v23, v12
	v_cmp_gt_u32_e64 s6, s19, v26
	s_waitcnt lgkmcnt(0)
	s_and_b32 s2, s2, vcc_lo
	s_barrier
	v_cndmask_b32_e64 v24, 0, 1, s2
	s_and_b32 s2, s4, s3
	s_mov_b32 s3, exec_lo
	v_cndmask_b32_e64 v25, 0, 1, s2
	s_and_b32 s2, s6, s5
	v_lshlrev_b16 v24, 8, v24
	v_cndmask_b32_e64 v26, 0, 1, s2
	buffer_gl0_inv
	v_lshlrev_b16 v25, 8, v25
                                        ; implicit-def: $sgpr2
	v_or_b32_e32 v24, v26, v24
	s_delay_alu instid0(VALU_DEP_2) | instskip(NEXT) | instid1(VALU_DEP_2)
	v_or_b32_e32 v25, 1, v25
	v_lshlrev_b32_e32 v24, 16, v24
	s_delay_alu instid0(VALU_DEP_2) | instskip(NEXT) | instid1(VALU_DEP_1)
	v_and_b32_e32 v25, 0xffff, v25
	v_or_b32_e32 v31, v25, v24
	v_cmpx_ne_u32_e32 0, v0
	s_cbranch_execz .LBB1310_42
; %bb.41:
	v_add_nc_u32_e32 v19, -12, v19
	v_cmp_gt_u32_e32 vcc_lo, s19, v9
	s_or_b32 s7, s7, exec_lo
	ds_load_b32 v19, v19
	s_waitcnt lgkmcnt(0)
	v_cmp_ne_u32_e64 s2, v19, v17
	s_delay_alu instid0(VALU_DEP_1) | instskip(NEXT) | instid1(SALU_CYCLE_1)
	s_and_b32 s2, vcc_lo, s2
	s_and_b32 s2, s2, exec_lo
.LBB1310_42:
	s_or_b32 exec_lo, exec_lo, s3
.LBB1310_43:
	s_and_saveexec_b32 s3, s7
	s_cbranch_execz .LBB1310_45
; %bb.44:
	s_waitcnt vmcnt(0) lgkmcnt(2)
	v_and_b32_e32 v19, 0xffffff00, v31
	v_cndmask_b32_e64 v24, 0, 1, s2
	s_delay_alu instid0(VALU_DEP_1) | instskip(NEXT) | instid1(VALU_DEP_1)
	v_or_b32_e32 v19, v24, v19
	v_and_b32_e32 v19, 0xffff, v19
	s_delay_alu instid0(VALU_DEP_1)
	v_and_or_b32 v31, 0xffff0000, v31, v19
.LBB1310_45:
	s_or_b32 exec_lo, exec_lo, s3
	s_load_b64 s[12:13], s[0:1], 0x60
	s_and_not1_b32 vcc_lo, exec_lo, s20
	s_cbranch_vccnz .LBB1310_47
; %bb.46:
	v_cmp_gt_u32_e32 vcc_lo, s19, v9
	v_or_b32_e32 v24, 1, v9
	s_waitcnt vmcnt(0) lgkmcnt(0)
	v_cndmask_b32_e32 v19, 0, v31, vcc_lo
	s_delay_alu instid0(VALU_DEP_2) | instskip(SKIP_1) | instid1(VALU_DEP_3)
	v_cmp_gt_u32_e32 vcc_lo, s19, v24
	v_or_b32_e32 v24, 2, v9
	v_and_b32_e32 v19, 0xff, v19
	s_delay_alu instid0(VALU_DEP_1) | instskip(NEXT) | instid1(VALU_DEP_3)
	v_cndmask_b32_e32 v19, v19, v31, vcc_lo
	v_cmp_gt_u32_e32 vcc_lo, s19, v24
	v_or_b32_e32 v24, 3, v9
	s_delay_alu instid0(VALU_DEP_3) | instskip(NEXT) | instid1(VALU_DEP_1)
	v_and_b32_e32 v19, 0xffff, v19
	v_cndmask_b32_e32 v19, v19, v31, vcc_lo
	s_delay_alu instid0(VALU_DEP_3) | instskip(NEXT) | instid1(VALU_DEP_2)
	v_cmp_gt_u32_e32 vcc_lo, s19, v24
	v_and_b32_e32 v19, 0xffffff, v19
	s_delay_alu instid0(VALU_DEP_1)
	v_cndmask_b32_e32 v31, v19, v31, vcc_lo
.LBB1310_47:
	s_waitcnt vmcnt(0) lgkmcnt(0)
	s_delay_alu instid0(VALU_DEP_1)
	v_and_b32_e32 v19, 0xff, v31
	v_bfe_u32 v33, v31, 8, 8
	v_mbcnt_lo_u32_b32 v36, -1, 0
	v_bfe_u32 v35, v31, 16, 8
	v_lshrrev_b32_e32 v34, 24, v31
	v_or_b32_e32 v26, 31, v0
	v_add_nc_u32_e32 v24, v33, v19
	v_and_b32_e32 v25, 15, v36
	s_and_b32 vcc_lo, exec_lo, s8
	s_mov_b32 s9, -1
	v_cmp_eq_u32_e64 s6, v26, v0
	v_add3_u32 v37, v24, v35, v34
	v_and_b32_e32 v24, 16, v36
	v_cmp_eq_u32_e64 s2, 0, v25
	v_cmp_lt_u32_e64 s5, 1, v25
	v_cmp_lt_u32_e64 s4, 3, v25
	;; [unrolled: 1-line block ×3, first 2 shown]
	v_cmp_eq_u32_e64 s7, 0, v24
	s_barrier
	buffer_gl0_inv
	s_cbranch_vccz .LBB1310_73
; %bb.48:
	v_mov_b32_dpp v24, v37 row_shr:1 row_mask:0xf bank_mask:0xf
	s_delay_alu instid0(VALU_DEP_1) | instskip(NEXT) | instid1(VALU_DEP_1)
	v_cndmask_b32_e64 v24, v24, 0, s2
	v_add_nc_u32_e32 v24, v24, v37
	s_delay_alu instid0(VALU_DEP_1) | instskip(NEXT) | instid1(VALU_DEP_1)
	v_mov_b32_dpp v25, v24 row_shr:2 row_mask:0xf bank_mask:0xf
	v_cndmask_b32_e64 v25, 0, v25, s5
	s_delay_alu instid0(VALU_DEP_1) | instskip(NEXT) | instid1(VALU_DEP_1)
	v_add_nc_u32_e32 v24, v24, v25
	v_mov_b32_dpp v25, v24 row_shr:4 row_mask:0xf bank_mask:0xf
	s_delay_alu instid0(VALU_DEP_1) | instskip(NEXT) | instid1(VALU_DEP_1)
	v_cndmask_b32_e64 v25, 0, v25, s4
	v_add_nc_u32_e32 v24, v24, v25
	s_delay_alu instid0(VALU_DEP_1) | instskip(NEXT) | instid1(VALU_DEP_1)
	v_mov_b32_dpp v25, v24 row_shr:8 row_mask:0xf bank_mask:0xf
	v_cndmask_b32_e64 v25, 0, v25, s3
	s_delay_alu instid0(VALU_DEP_1) | instskip(SKIP_3) | instid1(VALU_DEP_1)
	v_add_nc_u32_e32 v24, v24, v25
	ds_swizzle_b32 v25, v24 offset:swizzle(BROADCAST,32,15)
	s_waitcnt lgkmcnt(0)
	v_cndmask_b32_e64 v25, v25, 0, s7
	v_add_nc_u32_e32 v24, v24, v25
	s_and_saveexec_b32 s8, s6
	s_cbranch_execz .LBB1310_50
; %bb.49:
	v_lshlrev_b32_e32 v25, 2, v14
	ds_store_b32 v25, v24
.LBB1310_50:
	s_or_b32 exec_lo, exec_lo, s8
	s_delay_alu instid0(SALU_CYCLE_1)
	s_mov_b32 s8, exec_lo
	s_waitcnt lgkmcnt(0)
	s_barrier
	buffer_gl0_inv
	v_cmpx_gt_u32_e32 16, v0
	s_cbranch_execz .LBB1310_52
; %bb.51:
	ds_load_b32 v25, v9
	s_waitcnt lgkmcnt(0)
	v_mov_b32_dpp v26, v25 row_shr:1 row_mask:0xf bank_mask:0xf
	s_delay_alu instid0(VALU_DEP_1) | instskip(NEXT) | instid1(VALU_DEP_1)
	v_cndmask_b32_e64 v26, v26, 0, s2
	v_add_nc_u32_e32 v25, v26, v25
	s_delay_alu instid0(VALU_DEP_1) | instskip(NEXT) | instid1(VALU_DEP_1)
	v_mov_b32_dpp v26, v25 row_shr:2 row_mask:0xf bank_mask:0xf
	v_cndmask_b32_e64 v26, 0, v26, s5
	s_delay_alu instid0(VALU_DEP_1) | instskip(NEXT) | instid1(VALU_DEP_1)
	v_add_nc_u32_e32 v25, v25, v26
	v_mov_b32_dpp v26, v25 row_shr:4 row_mask:0xf bank_mask:0xf
	s_delay_alu instid0(VALU_DEP_1) | instskip(NEXT) | instid1(VALU_DEP_1)
	v_cndmask_b32_e64 v26, 0, v26, s4
	v_add_nc_u32_e32 v25, v25, v26
	s_delay_alu instid0(VALU_DEP_1) | instskip(NEXT) | instid1(VALU_DEP_1)
	v_mov_b32_dpp v26, v25 row_shr:8 row_mask:0xf bank_mask:0xf
	v_cndmask_b32_e64 v26, 0, v26, s3
	s_delay_alu instid0(VALU_DEP_1)
	v_add_nc_u32_e32 v25, v25, v26
	ds_store_b32 v9, v25
.LBB1310_52:
	s_or_b32 exec_lo, exec_lo, s8
	v_cmp_gt_u32_e32 vcc_lo, 32, v0
	s_mov_b32 s9, exec_lo
	s_waitcnt lgkmcnt(0)
	s_barrier
	buffer_gl0_inv
                                        ; implicit-def: $vgpr32
	v_cmpx_lt_u32_e32 31, v0
	s_cbranch_execz .LBB1310_54
; %bb.53:
	v_lshl_add_u32 v25, v14, 2, -4
	ds_load_b32 v32, v25
	s_waitcnt lgkmcnt(0)
	v_add_nc_u32_e32 v24, v32, v24
.LBB1310_54:
	s_or_b32 exec_lo, exec_lo, s9
	v_add_nc_u32_e32 v25, -1, v36
	s_delay_alu instid0(VALU_DEP_1) | instskip(NEXT) | instid1(VALU_DEP_1)
	v_cmp_gt_i32_e64 s8, 0, v25
	v_cndmask_b32_e64 v25, v25, v36, s8
	v_cmp_eq_u32_e64 s8, 0, v36
	s_delay_alu instid0(VALU_DEP_2)
	v_lshlrev_b32_e32 v25, 2, v25
	ds_bpermute_b32 v38, v25, v24
	s_and_saveexec_b32 s9, vcc_lo
	s_cbranch_execz .LBB1310_72
; %bb.55:
	v_mov_b32_e32 v27, 0
	ds_load_b32 v24, v27 offset:60
	s_and_saveexec_b32 s19, s8
	s_cbranch_execz .LBB1310_57
; %bb.56:
	s_add_i32 s20, s15, 32
	s_mov_b32 s21, 0
	v_mov_b32_e32 v25, 1
	s_lshl_b64 s[20:21], s[20:21], 3
	s_delay_alu instid0(SALU_CYCLE_1)
	s_add_u32 s20, s12, s20
	s_addc_u32 s21, s13, s21
	s_waitcnt lgkmcnt(0)
	global_store_b64 v27, v[24:25], s[20:21]
.LBB1310_57:
	s_or_b32 exec_lo, exec_lo, s19
	v_xad_u32 v25, v36, -1, s15
	s_mov_b32 s20, 0
	s_mov_b32 s19, exec_lo
	s_delay_alu instid0(VALU_DEP_1) | instskip(NEXT) | instid1(VALU_DEP_1)
	v_add_nc_u32_e32 v26, 32, v25
	v_lshlrev_b64 v[26:27], 3, v[26:27]
	s_delay_alu instid0(VALU_DEP_1) | instskip(NEXT) | instid1(VALU_DEP_2)
	v_add_co_u32 v29, vcc_lo, s12, v26
	v_add_co_ci_u32_e32 v30, vcc_lo, s13, v27, vcc_lo
	global_load_b64 v[27:28], v[29:30], off glc
	s_waitcnt vmcnt(0)
	v_and_b32_e32 v26, 0xff, v28
	s_delay_alu instid0(VALU_DEP_1)
	v_cmpx_eq_u16_e32 0, v26
	s_cbranch_execz .LBB1310_60
.LBB1310_58:                            ; =>This Inner Loop Header: Depth=1
	global_load_b64 v[27:28], v[29:30], off glc
	s_waitcnt vmcnt(0)
	v_and_b32_e32 v26, 0xff, v28
	s_delay_alu instid0(VALU_DEP_1) | instskip(SKIP_1) | instid1(SALU_CYCLE_1)
	v_cmp_ne_u16_e32 vcc_lo, 0, v26
	s_or_b32 s20, vcc_lo, s20
	s_and_not1_b32 exec_lo, exec_lo, s20
	s_cbranch_execnz .LBB1310_58
; %bb.59:
	s_or_b32 exec_lo, exec_lo, s20
.LBB1310_60:
	s_delay_alu instid0(SALU_CYCLE_1)
	s_or_b32 exec_lo, exec_lo, s19
	v_cmp_ne_u32_e32 vcc_lo, 31, v36
	v_lshlrev_b32_e64 v40, v36, -1
	v_add_nc_u32_e32 v42, 2, v36
	v_add_nc_u32_e32 v45, 4, v36
	;; [unrolled: 1-line block ×3, first 2 shown]
	v_add_co_ci_u32_e32 v26, vcc_lo, 0, v36, vcc_lo
	v_add_nc_u32_e32 v49, 16, v36
	s_delay_alu instid0(VALU_DEP_2) | instskip(SKIP_2) | instid1(VALU_DEP_1)
	v_lshlrev_b32_e32 v39, 2, v26
	ds_bpermute_b32 v29, v39, v27
	v_and_b32_e32 v26, 0xff, v28
	v_cmp_eq_u16_e32 vcc_lo, 2, v26
	v_and_or_b32 v26, vcc_lo, v40, 0x80000000
	v_cmp_gt_u32_e32 vcc_lo, 30, v36
	s_delay_alu instid0(VALU_DEP_2) | instskip(SKIP_1) | instid1(VALU_DEP_2)
	v_ctz_i32_b32_e32 v26, v26
	v_cndmask_b32_e64 v30, 0, 1, vcc_lo
	v_cmp_lt_u32_e32 vcc_lo, v36, v26
	s_waitcnt lgkmcnt(0)
	s_delay_alu instid0(VALU_DEP_2) | instskip(NEXT) | instid1(VALU_DEP_1)
	v_dual_cndmask_b32 v29, 0, v29 :: v_dual_lshlrev_b32 v30, 1, v30
	v_add_lshl_u32 v41, v30, v36, 2
	v_cmp_gt_u32_e32 vcc_lo, 28, v36
	s_delay_alu instid0(VALU_DEP_3) | instskip(SKIP_4) | instid1(VALU_DEP_1)
	v_add_nc_u32_e32 v27, v29, v27
	v_cndmask_b32_e64 v30, 0, 1, vcc_lo
	v_cmp_le_u32_e32 vcc_lo, v42, v26
	ds_bpermute_b32 v29, v41, v27
	v_lshlrev_b32_e32 v30, 2, v30
	v_add_lshl_u32 v43, v30, v36, 2
	s_waitcnt lgkmcnt(0)
	v_cndmask_b32_e32 v29, 0, v29, vcc_lo
	v_cmp_gt_u32_e32 vcc_lo, 24, v36
	s_delay_alu instid0(VALU_DEP_2) | instskip(SKIP_4) | instid1(VALU_DEP_1)
	v_add_nc_u32_e32 v27, v27, v29
	v_cndmask_b32_e64 v30, 0, 1, vcc_lo
	v_cmp_le_u32_e32 vcc_lo, v45, v26
	ds_bpermute_b32 v29, v43, v27
	v_lshlrev_b32_e32 v30, 3, v30
	v_add_lshl_u32 v46, v30, v36, 2
	s_waitcnt lgkmcnt(0)
	v_cndmask_b32_e32 v29, 0, v29, vcc_lo
	v_cmp_gt_u32_e32 vcc_lo, 16, v36
	s_delay_alu instid0(VALU_DEP_2) | instskip(SKIP_4) | instid1(VALU_DEP_1)
	v_add_nc_u32_e32 v27, v27, v29
	v_cndmask_b32_e64 v30, 0, 1, vcc_lo
	v_cmp_le_u32_e32 vcc_lo, v47, v26
	ds_bpermute_b32 v29, v46, v27
	v_lshlrev_b32_e32 v30, 4, v30
	v_add_lshl_u32 v48, v30, v36, 2
	s_waitcnt lgkmcnt(0)
	v_cndmask_b32_e32 v29, 0, v29, vcc_lo
	v_cmp_le_u32_e32 vcc_lo, v49, v26
	s_delay_alu instid0(VALU_DEP_2) | instskip(SKIP_3) | instid1(VALU_DEP_1)
	v_add_nc_u32_e32 v27, v27, v29
	ds_bpermute_b32 v29, v48, v27
	s_waitcnt lgkmcnt(0)
	v_cndmask_b32_e32 v26, 0, v29, vcc_lo
	v_dual_mov_b32 v26, 0 :: v_dual_add_nc_u32 v27, v27, v26
	s_branch .LBB1310_62
.LBB1310_61:                            ;   in Loop: Header=BB1310_62 Depth=1
	s_or_b32 exec_lo, exec_lo, s19
	ds_bpermute_b32 v30, v39, v27
	v_and_b32_e32 v29, 0xff, v28
	v_subrev_nc_u32_e32 v25, 32, v25
	s_delay_alu instid0(VALU_DEP_2) | instskip(SKIP_1) | instid1(VALU_DEP_1)
	v_cmp_eq_u16_e32 vcc_lo, 2, v29
	v_and_or_b32 v29, vcc_lo, v40, 0x80000000
	v_ctz_i32_b32_e32 v29, v29
	s_delay_alu instid0(VALU_DEP_1) | instskip(SKIP_3) | instid1(VALU_DEP_2)
	v_cmp_lt_u32_e32 vcc_lo, v36, v29
	s_waitcnt lgkmcnt(0)
	v_cndmask_b32_e32 v30, 0, v30, vcc_lo
	v_cmp_le_u32_e32 vcc_lo, v42, v29
	v_add_nc_u32_e32 v27, v30, v27
	ds_bpermute_b32 v30, v41, v27
	s_waitcnt lgkmcnt(0)
	v_cndmask_b32_e32 v30, 0, v30, vcc_lo
	v_cmp_le_u32_e32 vcc_lo, v45, v29
	s_delay_alu instid0(VALU_DEP_2) | instskip(SKIP_4) | instid1(VALU_DEP_2)
	v_add_nc_u32_e32 v27, v27, v30
	ds_bpermute_b32 v30, v43, v27
	s_waitcnt lgkmcnt(0)
	v_cndmask_b32_e32 v30, 0, v30, vcc_lo
	v_cmp_le_u32_e32 vcc_lo, v47, v29
	v_add_nc_u32_e32 v27, v27, v30
	ds_bpermute_b32 v30, v46, v27
	s_waitcnt lgkmcnt(0)
	v_cndmask_b32_e32 v30, 0, v30, vcc_lo
	v_cmp_le_u32_e32 vcc_lo, v49, v29
	s_delay_alu instid0(VALU_DEP_2) | instskip(SKIP_3) | instid1(VALU_DEP_1)
	v_add_nc_u32_e32 v27, v27, v30
	ds_bpermute_b32 v30, v48, v27
	s_waitcnt lgkmcnt(0)
	v_cndmask_b32_e32 v29, 0, v30, vcc_lo
	v_add3_u32 v27, v29, v44, v27
.LBB1310_62:                            ; =>This Loop Header: Depth=1
                                        ;     Child Loop BB1310_65 Depth 2
	v_and_b32_e32 v28, 0xff, v28
	s_delay_alu instid0(VALU_DEP_2) | instskip(NEXT) | instid1(VALU_DEP_2)
	v_mov_b32_e32 v44, v27
	v_cmp_ne_u16_e32 vcc_lo, 2, v28
	v_cndmask_b32_e64 v28, 0, 1, vcc_lo
	;;#ASMSTART
	;;#ASMEND
	s_delay_alu instid0(VALU_DEP_1)
	v_cmp_ne_u32_e32 vcc_lo, 0, v28
	s_cmp_lg_u32 vcc_lo, exec_lo
	s_cbranch_scc1 .LBB1310_67
; %bb.63:                               ;   in Loop: Header=BB1310_62 Depth=1
	v_lshlrev_b64 v[27:28], 3, v[25:26]
	s_mov_b32 s19, exec_lo
	s_delay_alu instid0(VALU_DEP_1) | instskip(NEXT) | instid1(VALU_DEP_2)
	v_add_co_u32 v29, vcc_lo, s12, v27
	v_add_co_ci_u32_e32 v30, vcc_lo, s13, v28, vcc_lo
	global_load_b64 v[27:28], v[29:30], off glc
	s_waitcnt vmcnt(0)
	v_and_b32_e32 v50, 0xff, v28
	s_delay_alu instid0(VALU_DEP_1)
	v_cmpx_eq_u16_e32 0, v50
	s_cbranch_execz .LBB1310_61
; %bb.64:                               ;   in Loop: Header=BB1310_62 Depth=1
	s_mov_b32 s20, 0
.LBB1310_65:                            ;   Parent Loop BB1310_62 Depth=1
                                        ; =>  This Inner Loop Header: Depth=2
	global_load_b64 v[27:28], v[29:30], off glc
	s_waitcnt vmcnt(0)
	v_and_b32_e32 v50, 0xff, v28
	s_delay_alu instid0(VALU_DEP_1) | instskip(SKIP_1) | instid1(SALU_CYCLE_1)
	v_cmp_ne_u16_e32 vcc_lo, 0, v50
	s_or_b32 s20, vcc_lo, s20
	s_and_not1_b32 exec_lo, exec_lo, s20
	s_cbranch_execnz .LBB1310_65
; %bb.66:                               ;   in Loop: Header=BB1310_62 Depth=1
	s_or_b32 exec_lo, exec_lo, s20
	s_branch .LBB1310_61
.LBB1310_67:                            ;   in Loop: Header=BB1310_62 Depth=1
                                        ; implicit-def: $vgpr27
                                        ; implicit-def: $vgpr28
	s_cbranch_execz .LBB1310_62
; %bb.68:
	s_and_saveexec_b32 s19, s8
	s_cbranch_execz .LBB1310_70
; %bb.69:
	s_add_i32 s20, s15, 32
	s_mov_b32 s21, 0
	v_dual_mov_b32 v26, 2 :: v_dual_add_nc_u32 v25, v44, v24
	s_lshl_b64 s[20:21], s[20:21], 3
	v_mov_b32_e32 v27, 0
	v_add_nc_u32_e64 v28, 0x6000, 0
	s_add_u32 s20, s12, s20
	s_addc_u32 s21, s13, s21
	global_store_b64 v27, v[25:26], s[20:21]
	ds_store_2addr_b32 v28, v24, v44 offset0:192 offset1:194
.LBB1310_70:
	s_or_b32 exec_lo, exec_lo, s19
	v_cmp_eq_u32_e32 vcc_lo, 0, v0
	s_and_b32 exec_lo, exec_lo, vcc_lo
	s_cbranch_execz .LBB1310_72
; %bb.71:
	v_mov_b32_e32 v24, 0
	ds_store_b32 v24, v44 offset:60
.LBB1310_72:
	s_or_b32 exec_lo, exec_lo, s9
	v_mov_b32_e32 v24, 0
	s_waitcnt lgkmcnt(0)
	s_waitcnt_vscnt null, 0x0
	s_barrier
	buffer_gl0_inv
	v_add_nc_u32_e64 v25, 0x6000, 0
	ds_load_b32 v26, v24 offset:60
	v_cndmask_b32_e64 v24, v38, v32, s8
	v_cmp_ne_u32_e32 vcc_lo, 0, v0
	s_waitcnt lgkmcnt(0)
	s_barrier
	buffer_gl0_inv
	v_cndmask_b32_e32 v27, 0, v24, vcc_lo
	ds_load_2addr_b32 v[24:25], v25 offset0:192 offset1:194
	v_add_nc_u32_e32 v32, v26, v27
	s_delay_alu instid0(VALU_DEP_1) | instskip(SKIP_2) | instid1(VALU_DEP_2)
	v_add_nc_u32_e32 v30, v32, v19
	s_waitcnt lgkmcnt(0)
	v_readfirstlane_b32 s8, v25
	v_add_nc_u32_e32 v28, v30, v33
	s_delay_alu instid0(VALU_DEP_1)
	v_add_nc_u32_e32 v26, v28, v35
	s_branch .LBB1310_83
.LBB1310_73:
                                        ; implicit-def: $vgpr26
                                        ; implicit-def: $vgpr28
                                        ; implicit-def: $vgpr30
                                        ; implicit-def: $vgpr32
                                        ; implicit-def: $sgpr8
                                        ; implicit-def: $vgpr24
	s_and_b32 vcc_lo, exec_lo, s9
	s_cbranch_vccz .LBB1310_83
; %bb.74:
	v_mov_b32_dpp v24, v37 row_shr:1 row_mask:0xf bank_mask:0xf
	s_delay_alu instid0(VALU_DEP_1) | instskip(NEXT) | instid1(VALU_DEP_1)
	v_cndmask_b32_e64 v24, v24, 0, s2
	v_add_nc_u32_e32 v24, v24, v37
	s_delay_alu instid0(VALU_DEP_1) | instskip(NEXT) | instid1(VALU_DEP_1)
	v_mov_b32_dpp v25, v24 row_shr:2 row_mask:0xf bank_mask:0xf
	v_cndmask_b32_e64 v25, 0, v25, s5
	s_delay_alu instid0(VALU_DEP_1) | instskip(NEXT) | instid1(VALU_DEP_1)
	v_add_nc_u32_e32 v24, v24, v25
	v_mov_b32_dpp v25, v24 row_shr:4 row_mask:0xf bank_mask:0xf
	s_delay_alu instid0(VALU_DEP_1) | instskip(NEXT) | instid1(VALU_DEP_1)
	v_cndmask_b32_e64 v25, 0, v25, s4
	v_add_nc_u32_e32 v24, v24, v25
	s_delay_alu instid0(VALU_DEP_1) | instskip(NEXT) | instid1(VALU_DEP_1)
	v_mov_b32_dpp v25, v24 row_shr:8 row_mask:0xf bank_mask:0xf
	v_cndmask_b32_e64 v25, 0, v25, s3
	s_delay_alu instid0(VALU_DEP_1) | instskip(SKIP_3) | instid1(VALU_DEP_1)
	v_add_nc_u32_e32 v24, v24, v25
	ds_swizzle_b32 v25, v24 offset:swizzle(BROADCAST,32,15)
	s_waitcnt lgkmcnt(0)
	v_cndmask_b32_e64 v25, v25, 0, s7
	v_add_nc_u32_e32 v24, v24, v25
	s_and_saveexec_b32 s7, s6
	s_cbranch_execz .LBB1310_76
; %bb.75:
	v_lshlrev_b32_e32 v25, 2, v14
	ds_store_b32 v25, v24
.LBB1310_76:
	s_or_b32 exec_lo, exec_lo, s7
	s_delay_alu instid0(SALU_CYCLE_1)
	s_mov_b32 s6, exec_lo
	s_waitcnt lgkmcnt(0)
	s_barrier
	buffer_gl0_inv
	v_cmpx_gt_u32_e32 16, v0
	s_cbranch_execz .LBB1310_78
; %bb.77:
	ds_load_b32 v25, v9
	s_waitcnt lgkmcnt(0)
	v_mov_b32_dpp v26, v25 row_shr:1 row_mask:0xf bank_mask:0xf
	s_delay_alu instid0(VALU_DEP_1) | instskip(NEXT) | instid1(VALU_DEP_1)
	v_cndmask_b32_e64 v26, v26, 0, s2
	v_add_nc_u32_e32 v25, v26, v25
	s_delay_alu instid0(VALU_DEP_1) | instskip(NEXT) | instid1(VALU_DEP_1)
	v_mov_b32_dpp v26, v25 row_shr:2 row_mask:0xf bank_mask:0xf
	v_cndmask_b32_e64 v26, 0, v26, s5
	s_delay_alu instid0(VALU_DEP_1) | instskip(NEXT) | instid1(VALU_DEP_1)
	v_add_nc_u32_e32 v25, v25, v26
	v_mov_b32_dpp v26, v25 row_shr:4 row_mask:0xf bank_mask:0xf
	s_delay_alu instid0(VALU_DEP_1) | instskip(NEXT) | instid1(VALU_DEP_1)
	v_cndmask_b32_e64 v26, 0, v26, s4
	v_add_nc_u32_e32 v25, v25, v26
	s_delay_alu instid0(VALU_DEP_1) | instskip(NEXT) | instid1(VALU_DEP_1)
	v_mov_b32_dpp v26, v25 row_shr:8 row_mask:0xf bank_mask:0xf
	v_cndmask_b32_e64 v26, 0, v26, s3
	s_delay_alu instid0(VALU_DEP_1)
	v_add_nc_u32_e32 v25, v25, v26
	ds_store_b32 v9, v25
.LBB1310_78:
	s_or_b32 exec_lo, exec_lo, s6
	v_mov_b32_e32 v25, 0
	v_mov_b32_e32 v9, 0
	s_mov_b32 s2, exec_lo
	s_waitcnt lgkmcnt(0)
	s_barrier
	buffer_gl0_inv
	v_cmpx_lt_u32_e32 31, v0
	s_cbranch_execz .LBB1310_80
; %bb.79:
	v_lshl_add_u32 v9, v14, 2, -4
	ds_load_b32 v9, v9
.LBB1310_80:
	s_or_b32 exec_lo, exec_lo, s2
	v_add_nc_u32_e32 v14, -1, v36
	s_waitcnt lgkmcnt(0)
	v_add_nc_u32_e32 v24, v9, v24
	s_mov_b32 s8, 0
	s_delay_alu instid0(VALU_DEP_2) | instskip(SKIP_2) | instid1(VALU_DEP_2)
	v_cmp_gt_i32_e32 vcc_lo, 0, v14
	v_cndmask_b32_e32 v14, v14, v36, vcc_lo
	v_cmp_eq_u32_e32 vcc_lo, 0, v0
	v_lshlrev_b32_e32 v14, 2, v14
	ds_bpermute_b32 v14, v14, v24
	ds_load_b32 v24, v25 offset:60
	s_and_saveexec_b32 s2, vcc_lo
	s_cbranch_execz .LBB1310_82
; %bb.81:
	v_dual_mov_b32 v26, 0 :: v_dual_mov_b32 v25, 2
	s_waitcnt lgkmcnt(0)
	global_store_b64 v26, v[24:25], s[12:13] offset:256
.LBB1310_82:
	s_or_b32 exec_lo, exec_lo, s2
	v_cmp_eq_u32_e64 s2, 0, v36
	s_waitcnt lgkmcnt(0)
	s_waitcnt_vscnt null, 0x0
	s_barrier
	buffer_gl0_inv
	v_cndmask_b32_e64 v9, v14, v9, s2
	s_delay_alu instid0(VALU_DEP_1) | instskip(NEXT) | instid1(VALU_DEP_1)
	v_cndmask_b32_e64 v32, v9, 0, vcc_lo
	v_add_nc_u32_e32 v30, v32, v19
	s_delay_alu instid0(VALU_DEP_1) | instskip(NEXT) | instid1(VALU_DEP_1)
	v_add_nc_u32_e32 v28, v30, v33
	v_add_nc_u32_e32 v26, v28, v35
.LBB1310_83:
	s_load_b128 s[4:7], s[0:1], 0x28
	v_add_nc_u32_e32 v27, s8, v24
	v_cmp_gt_u32_e64 s0, 0x201, v24
	v_lshrrev_b32_e32 v25, 16, v31
	v_lshrrev_b32_e32 v35, 8, v31
	s_mov_b32 s2, -1
	v_cmp_lt_u32_e64 s1, v32, v27
	s_and_b32 vcc_lo, exec_lo, s0
	s_cbranch_vccz .LBB1310_97
; %bb.84:
	s_delay_alu instid0(VALU_DEP_1) | instskip(NEXT) | instid1(SALU_CYCLE_1)
	s_or_b32 s2, s18, s1
	s_and_saveexec_b32 s1, s2
	s_cbranch_execz .LBB1310_87
; %bb.85:
	v_and_b32_e32 v9, 1, v31
	s_delay_alu instid0(VALU_DEP_1)
	v_cmp_eq_u32_e32 vcc_lo, 1, v9
	s_and_b32 exec_lo, exec_lo, vcc_lo
	s_cbranch_execz .LBB1310_87
; %bb.86:
	s_mul_i32 s2, s11, 12
	s_mul_hi_u32 s3, s10, 12
	s_mul_i32 s9, s10, 12
	s_add_i32 s3, s3, s2
	s_waitcnt lgkmcnt(0)
	s_add_u32 s2, s4, s9
	s_addc_u32 s3, s5, s3
	v_mov_b32_e32 v19, v22
	v_mad_u64_u32 v[36:37], null, v32, 12, s[2:3]
	global_store_b96 v[36:37], v[17:19], off
.LBB1310_87:
	s_or_b32 exec_lo, exec_lo, s1
	v_cmp_lt_u32_e32 vcc_lo, v30, v27
	s_or_b32 s2, s18, vcc_lo
	s_delay_alu instid0(SALU_CYCLE_1)
	s_and_saveexec_b32 s1, s2
	s_cbranch_execz .LBB1310_90
; %bb.88:
	v_and_b32_e32 v9, 1, v35
	s_delay_alu instid0(VALU_DEP_1)
	v_cmp_eq_u32_e32 vcc_lo, 1, v9
	s_and_b32 exec_lo, exec_lo, vcc_lo
	s_cbranch_execz .LBB1310_90
; %bb.89:
	s_mul_i32 s2, s11, 12
	s_mul_hi_u32 s3, s10, 12
	s_mul_i32 s9, s10, 12
	s_add_i32 s3, s3, s2
	s_waitcnt lgkmcnt(0)
	s_add_u32 s2, s4, s9
	s_addc_u32 s3, s5, s3
	v_mov_b32_e32 v14, v23
	v_mad_u64_u32 v[36:37], null, v30, 12, s[2:3]
	global_store_b96 v[36:37], v[14:16], off
.LBB1310_90:
	s_or_b32 exec_lo, exec_lo, s1
	v_cmp_lt_u32_e32 vcc_lo, v28, v27
	s_or_b32 s2, s18, vcc_lo
	s_delay_alu instid0(SALU_CYCLE_1)
	;; [unrolled: 24-line block ×3, first 2 shown]
	s_and_saveexec_b32 s1, s2
	s_cbranch_execz .LBB1310_96
; %bb.94:
	v_and_b32_e32 v9, 1, v34
	s_delay_alu instid0(VALU_DEP_1)
	v_cmp_eq_u32_e32 vcc_lo, 1, v9
	s_and_b32 exec_lo, exec_lo, vcc_lo
	s_cbranch_execz .LBB1310_96
; %bb.95:
	s_mul_i32 s2, s11, 12
	s_mul_hi_u32 s3, s10, 12
	s_mul_i32 s9, s10, 12
	s_add_i32 s3, s3, s2
	s_waitcnt lgkmcnt(0)
	s_add_u32 s2, s4, s9
	s_addc_u32 s3, s5, s3
	v_mov_b32_e32 v9, v21
	v_mad_u64_u32 v[36:37], null, v26, 12, s[2:3]
	global_store_b96 v[36:37], v[9:11], off
.LBB1310_96:
	s_or_b32 exec_lo, exec_lo, s1
	s_mov_b32 s2, 0
.LBB1310_97:
	v_and_b32_e32 v9, 1, v31
	s_and_b32 vcc_lo, exec_lo, s2
	s_delay_alu instid0(VALU_DEP_1)
	v_cmp_eq_u32_e64 s1, 1, v9
	s_cbranch_vccz .LBB1310_110
; %bb.98:
	s_delay_alu instid0(VALU_DEP_1)
	s_and_saveexec_b32 s2, s1
	s_cbranch_execz .LBB1310_100
; %bb.99:
	v_subrev_nc_u32_e32 v14, s8, v32
	s_delay_alu instid0(VALU_DEP_1)
	v_mul_lo_u32 v14, v14, 12
	ds_store_2addr_b32 v14, v17, v18 offset1:1
	ds_store_b32 v14, v22 offset:8
.LBB1310_100:
	s_or_b32 exec_lo, exec_lo, s2
	v_and_b32_e32 v14, 1, v35
	s_mov_b32 s1, exec_lo
	s_delay_alu instid0(VALU_DEP_1)
	v_cmpx_eq_u32_e32 1, v14
	s_cbranch_execz .LBB1310_102
; %bb.101:
	v_subrev_nc_u32_e32 v14, s8, v30
	s_delay_alu instid0(VALU_DEP_1)
	v_mul_lo_u32 v14, v14, 12
	ds_store_2addr_b32 v14, v23, v15 offset1:1
	ds_store_b32 v14, v16 offset:8
.LBB1310_102:
	s_or_b32 exec_lo, exec_lo, s1
	v_and_b32_e32 v14, 1, v25
	s_mov_b32 s1, exec_lo
	s_delay_alu instid0(VALU_DEP_1)
	v_cmpx_eq_u32_e32 1, v14
	;; [unrolled: 13-line block ×3, first 2 shown]
	s_cbranch_execz .LBB1310_106
; %bb.105:
	v_subrev_nc_u32_e32 v12, s8, v26
	s_delay_alu instid0(VALU_DEP_1)
	v_mul_lo_u32 v12, v12, 12
	ds_store_2addr_b32 v12, v21, v10 offset1:1
	ds_store_b32 v12, v11 offset:8
.LBB1310_106:
	s_or_b32 exec_lo, exec_lo, s1
	s_delay_alu instid0(SALU_CYCLE_1)
	s_mov_b32 s1, exec_lo
	s_waitcnt lgkmcnt(0)
	s_waitcnt_vscnt null, 0x0
	s_barrier
	buffer_gl0_inv
	v_cmpx_lt_u32_e64 v0, v24
	s_cbranch_execz .LBB1310_109
; %bb.107:
	s_mul_i32 s2, s8, 12
	s_mul_hi_u32 s3, s8, 12
	s_add_u32 s2, s4, s2
	s_mul_i32 s4, s11, 12
	s_mul_hi_u32 s9, s10, 12
	s_addc_u32 s3, s5, s3
	s_add_i32 s9, s9, s4
	s_mul_i32 s4, s10, 12
	v_mul_u32_u24_e32 v10, 12, v0
	v_mov_b32_e32 v11, v0
	s_add_u32 s2, s2, s4
	s_addc_u32 s3, s3, s9
	s_mov_b32 s4, 0
.LBB1310_108:                           ; =>This Inner Loop Header: Depth=1
	ds_load_2addr_b32 v[12:13], v10 offset1:1
	ds_load_b32 v14, v10 offset:8
	v_mad_u64_u32 v[15:16], null, v11, 12, s[2:3]
	v_add_nc_u32_e32 v11, 0x200, v11
	v_add_nc_u32_e32 v10, 0x1800, v10
	s_delay_alu instid0(VALU_DEP_2)
	v_cmp_ge_u32_e32 vcc_lo, v11, v24
	s_or_b32 s4, vcc_lo, s4
	s_waitcnt lgkmcnt(0)
	global_store_b96 v[15:16], v[12:14], off
	s_and_not1_b32 exec_lo, exec_lo, s4
	s_cbranch_execnz .LBB1310_108
.LBB1310_109:
	s_or_b32 exec_lo, exec_lo, s1
.LBB1310_110:
	s_delay_alu instid0(SALU_CYCLE_1)
	s_and_b32 vcc_lo, exec_lo, s0
	s_mov_b32 s0, -1
	s_waitcnt lgkmcnt(0)
	s_waitcnt_vscnt null, 0x0
	s_barrier
	buffer_gl0_inv
	s_cbranch_vccz .LBB1310_126
; %bb.111:
	v_cmp_lt_u32_e32 vcc_lo, v32, v27
	s_or_b32 s1, s18, vcc_lo
	s_delay_alu instid0(SALU_CYCLE_1)
	s_and_saveexec_b32 s0, s1
	s_cbranch_execz .LBB1310_114
; %bb.112:
	v_cmp_eq_u32_e32 vcc_lo, 1, v9
	s_and_b32 exec_lo, exec_lo, vcc_lo
	s_cbranch_execz .LBB1310_114
; %bb.113:
	v_mov_b32_e32 v33, 0
	s_lshl_b64 s[2:3], s[10:11], 3
	s_delay_alu instid0(SALU_CYCLE_1) | instskip(SKIP_1) | instid1(VALU_DEP_1)
	s_add_u32 s1, s6, s2
	s_addc_u32 s2, s7, s3
	v_lshlrev_b64 v[10:11], 3, v[32:33]
	s_delay_alu instid0(VALU_DEP_1) | instskip(NEXT) | instid1(VALU_DEP_2)
	v_add_co_u32 v10, vcc_lo, s1, v10
	v_add_co_ci_u32_e32 v11, vcc_lo, s2, v11, vcc_lo
	global_store_b64 v[10:11], v[5:6], off
.LBB1310_114:
	s_or_b32 exec_lo, exec_lo, s0
	v_cmp_lt_u32_e32 vcc_lo, v30, v27
	s_or_b32 s1, s18, vcc_lo
	s_delay_alu instid0(SALU_CYCLE_1)
	s_and_saveexec_b32 s0, s1
	s_cbranch_execz .LBB1310_117
; %bb.115:
	v_and_b32_e32 v10, 1, v35
	s_delay_alu instid0(VALU_DEP_1)
	v_cmp_eq_u32_e32 vcc_lo, 1, v10
	s_and_b32 exec_lo, exec_lo, vcc_lo
	s_cbranch_execz .LBB1310_117
; %bb.116:
	v_mov_b32_e32 v31, 0
	s_lshl_b64 s[2:3], s[10:11], 3
	s_delay_alu instid0(SALU_CYCLE_1) | instskip(SKIP_1) | instid1(VALU_DEP_1)
	s_add_u32 s1, s6, s2
	s_addc_u32 s2, s7, s3
	v_lshlrev_b64 v[10:11], 3, v[30:31]
	s_delay_alu instid0(VALU_DEP_1) | instskip(NEXT) | instid1(VALU_DEP_2)
	v_add_co_u32 v10, vcc_lo, s1, v10
	v_add_co_ci_u32_e32 v11, vcc_lo, s2, v11, vcc_lo
	global_store_b64 v[10:11], v[7:8], off
.LBB1310_117:
	s_or_b32 exec_lo, exec_lo, s0
	v_cmp_lt_u32_e32 vcc_lo, v28, v27
	s_or_b32 s1, s18, vcc_lo
	s_delay_alu instid0(SALU_CYCLE_1)
	s_and_saveexec_b32 s0, s1
	s_cbranch_execz .LBB1310_120
; %bb.118:
	v_and_b32_e32 v10, 1, v25
	s_delay_alu instid0(VALU_DEP_1)
	v_cmp_eq_u32_e32 vcc_lo, 1, v10
	s_and_b32 exec_lo, exec_lo, vcc_lo
	s_cbranch_execz .LBB1310_120
; %bb.119:
	v_mov_b32_e32 v29, 0
	s_lshl_b64 s[2:3], s[10:11], 3
	s_delay_alu instid0(SALU_CYCLE_1) | instskip(SKIP_1) | instid1(VALU_DEP_1)
	s_add_u32 s1, s6, s2
	s_addc_u32 s2, s7, s3
	v_lshlrev_b64 v[10:11], 3, v[28:29]
	s_delay_alu instid0(VALU_DEP_1) | instskip(NEXT) | instid1(VALU_DEP_2)
	v_add_co_u32 v10, vcc_lo, s1, v10
	v_add_co_ci_u32_e32 v11, vcc_lo, s2, v11, vcc_lo
	global_store_b64 v[10:11], v[1:2], off
.LBB1310_120:
	;; [unrolled: 24-line block ×3, first 2 shown]
	s_or_b32 exec_lo, exec_lo, s0
.LBB1310_124:
	v_cmp_eq_u32_e32 vcc_lo, 0, v0
	s_and_b32 s0, vcc_lo, s14
	s_delay_alu instid0(SALU_CYCLE_1)
	s_and_saveexec_b32 s1, s0
	s_cbranch_execz .LBB1310_139
.LBB1310_125:
	v_add_co_u32 v0, s0, s10, v24
	s_delay_alu instid0(VALU_DEP_1) | instskip(SKIP_1) | instid1(VALU_DEP_3)
	v_add_co_ci_u32_e64 v1, null, s11, 0, s0
	v_mov_b32_e32 v2, 0
	v_add_co_u32 v0, vcc_lo, v0, s8
	s_delay_alu instid0(VALU_DEP_3)
	v_add_co_ci_u32_e32 v1, vcc_lo, 0, v1, vcc_lo
	global_store_b64 v2, v[0:1], s[16:17]
	s_nop 0
	s_sendmsg sendmsg(MSG_DEALLOC_VGPRS)
	s_endpgm
.LBB1310_126:
	s_and_b32 vcc_lo, exec_lo, s0
	s_cbranch_vccz .LBB1310_124
; %bb.127:
	s_mov_b32 s0, exec_lo
	v_cmpx_eq_u32_e32 1, v9
	s_cbranch_execz .LBB1310_129
; %bb.128:
	v_subrev_nc_u32_e32 v9, s8, v32
	s_delay_alu instid0(VALU_DEP_1)
	v_lshlrev_b32_e32 v9, 3, v9
	ds_store_b64 v9, v[5:6]
.LBB1310_129:
	s_or_b32 exec_lo, exec_lo, s0
	v_and_b32_e32 v5, 1, v35
	s_mov_b32 s0, exec_lo
	s_delay_alu instid0(VALU_DEP_1)
	v_cmpx_eq_u32_e32 1, v5
	s_cbranch_execz .LBB1310_131
; %bb.130:
	v_subrev_nc_u32_e32 v5, s8, v30
	s_delay_alu instid0(VALU_DEP_1)
	v_lshlrev_b32_e32 v5, 3, v5
	ds_store_b64 v5, v[7:8]
.LBB1310_131:
	s_or_b32 exec_lo, exec_lo, s0
	v_and_b32_e32 v5, 1, v25
	s_mov_b32 s0, exec_lo
	s_delay_alu instid0(VALU_DEP_1)
	;; [unrolled: 12-line block ×3, first 2 shown]
	v_cmpx_eq_u32_e32 1, v1
	s_cbranch_execz .LBB1310_135
; %bb.134:
	v_subrev_nc_u32_e32 v1, s8, v26
	s_delay_alu instid0(VALU_DEP_1)
	v_lshlrev_b32_e32 v1, 3, v1
	ds_store_b64 v1, v[3:4]
.LBB1310_135:
	s_or_b32 exec_lo, exec_lo, s0
	s_delay_alu instid0(SALU_CYCLE_1)
	s_mov_b32 s1, exec_lo
	s_waitcnt lgkmcnt(0)
	s_waitcnt_vscnt null, 0x0
	s_barrier
	buffer_gl0_inv
	v_cmpx_lt_u32_e64 v0, v24
	s_cbranch_execz .LBB1310_138
; %bb.136:
	s_mov_b32 s9, 0
	s_lshl_b64 s[2:3], s[10:11], 3
	s_lshl_b64 s[4:5], s[8:9], 3
	v_dual_mov_b32 v4, v0 :: v_dual_lshlrev_b32 v3, 3, v0
	s_add_u32 s0, s2, s4
	s_addc_u32 s2, s3, s5
	s_add_u32 s0, s6, s0
	s_addc_u32 s2, s7, s2
	v_add_co_u32 v1, s0, s0, v3
	s_delay_alu instid0(VALU_DEP_1)
	v_add_co_ci_u32_e64 v2, null, s2, 0, s0
	.p2align	6
.LBB1310_137:                           ; =>This Inner Loop Header: Depth=1
	ds_load_b64 v[5:6], v3
	v_add_nc_u32_e32 v4, 0x200, v4
	v_add_nc_u32_e32 v3, 0x1000, v3
	s_delay_alu instid0(VALU_DEP_2) | instskip(SKIP_4) | instid1(VALU_DEP_1)
	v_cmp_ge_u32_e32 vcc_lo, v4, v24
	s_or_b32 s9, vcc_lo, s9
	s_waitcnt lgkmcnt(0)
	global_store_b64 v[1:2], v[5:6], off
	v_add_co_u32 v1, s0, 0x1000, v1
	v_add_co_ci_u32_e64 v2, s0, 0, v2, s0
	s_and_not1_b32 exec_lo, exec_lo, s9
	s_cbranch_execnz .LBB1310_137
.LBB1310_138:
	s_or_b32 exec_lo, exec_lo, s1
	v_cmp_eq_u32_e32 vcc_lo, 0, v0
	s_and_b32 s0, vcc_lo, s14
	s_delay_alu instid0(SALU_CYCLE_1)
	s_and_saveexec_b32 s1, s0
	s_cbranch_execnz .LBB1310_125
.LBB1310_139:
	s_nop 0
	s_sendmsg sendmsg(MSG_DEALLOC_VGPRS)
	s_endpgm
	.section	.rodata,"a",@progbits
	.p2align	6, 0x0
	.amdhsa_kernel _ZN7rocprim17ROCPRIM_400000_NS6detail17trampoline_kernelINS0_14default_configENS1_25partition_config_selectorILNS1_17partition_subalgoE9EN6thrust23THRUST_200600_302600_NS4pairIiN12_GLOBAL__N_15EntryEEESA_bEEZZNS1_14partition_implILS5_9ELb0ES3_jNS7_6detail15normal_iteratorINS7_10device_ptrIKSB_EEEENSF_INSG_ISA_EEEEPNS0_10empty_typeENS0_5tupleIJNSF_INSG_ISB_EEEESM_EEENSO_IJSL_SN_EEENS0_18inequality_wrapperINS9_12CompareFirstEEEPmJSM_EEE10hipError_tPvRmT3_T4_T5_T6_T7_T9_mT8_P12ihipStream_tbDpT10_ENKUlT_T0_E_clISt17integral_constantIbLb0EES1G_EEDaS1B_S1C_EUlS1B_E_NS1_11comp_targetILNS1_3genE9ELNS1_11target_archE1100ELNS1_3gpuE3ELNS1_3repE0EEENS1_30default_config_static_selectorELNS0_4arch9wavefront6targetE0EEEvT1_
		.amdhsa_group_segment_fixed_size 25356
		.amdhsa_private_segment_fixed_size 0
		.amdhsa_kernarg_size 112
		.amdhsa_user_sgpr_count 15
		.amdhsa_user_sgpr_dispatch_ptr 0
		.amdhsa_user_sgpr_queue_ptr 0
		.amdhsa_user_sgpr_kernarg_segment_ptr 1
		.amdhsa_user_sgpr_dispatch_id 0
		.amdhsa_user_sgpr_private_segment_size 0
		.amdhsa_wavefront_size32 1
		.amdhsa_uses_dynamic_stack 0
		.amdhsa_enable_private_segment 0
		.amdhsa_system_sgpr_workgroup_id_x 1
		.amdhsa_system_sgpr_workgroup_id_y 0
		.amdhsa_system_sgpr_workgroup_id_z 0
		.amdhsa_system_sgpr_workgroup_info 0
		.amdhsa_system_vgpr_workitem_id 0
		.amdhsa_next_free_vgpr 51
		.amdhsa_next_free_sgpr 24
		.amdhsa_reserve_vcc 1
		.amdhsa_float_round_mode_32 0
		.amdhsa_float_round_mode_16_64 0
		.amdhsa_float_denorm_mode_32 3
		.amdhsa_float_denorm_mode_16_64 3
		.amdhsa_dx10_clamp 1
		.amdhsa_ieee_mode 1
		.amdhsa_fp16_overflow 0
		.amdhsa_workgroup_processor_mode 1
		.amdhsa_memory_ordered 1
		.amdhsa_forward_progress 0
		.amdhsa_shared_vgpr_count 0
		.amdhsa_exception_fp_ieee_invalid_op 0
		.amdhsa_exception_fp_denorm_src 0
		.amdhsa_exception_fp_ieee_div_zero 0
		.amdhsa_exception_fp_ieee_overflow 0
		.amdhsa_exception_fp_ieee_underflow 0
		.amdhsa_exception_fp_ieee_inexact 0
		.amdhsa_exception_int_div_zero 0
	.end_amdhsa_kernel
	.section	.text._ZN7rocprim17ROCPRIM_400000_NS6detail17trampoline_kernelINS0_14default_configENS1_25partition_config_selectorILNS1_17partition_subalgoE9EN6thrust23THRUST_200600_302600_NS4pairIiN12_GLOBAL__N_15EntryEEESA_bEEZZNS1_14partition_implILS5_9ELb0ES3_jNS7_6detail15normal_iteratorINS7_10device_ptrIKSB_EEEENSF_INSG_ISA_EEEEPNS0_10empty_typeENS0_5tupleIJNSF_INSG_ISB_EEEESM_EEENSO_IJSL_SN_EEENS0_18inequality_wrapperINS9_12CompareFirstEEEPmJSM_EEE10hipError_tPvRmT3_T4_T5_T6_T7_T9_mT8_P12ihipStream_tbDpT10_ENKUlT_T0_E_clISt17integral_constantIbLb0EES1G_EEDaS1B_S1C_EUlS1B_E_NS1_11comp_targetILNS1_3genE9ELNS1_11target_archE1100ELNS1_3gpuE3ELNS1_3repE0EEENS1_30default_config_static_selectorELNS0_4arch9wavefront6targetE0EEEvT1_,"axG",@progbits,_ZN7rocprim17ROCPRIM_400000_NS6detail17trampoline_kernelINS0_14default_configENS1_25partition_config_selectorILNS1_17partition_subalgoE9EN6thrust23THRUST_200600_302600_NS4pairIiN12_GLOBAL__N_15EntryEEESA_bEEZZNS1_14partition_implILS5_9ELb0ES3_jNS7_6detail15normal_iteratorINS7_10device_ptrIKSB_EEEENSF_INSG_ISA_EEEEPNS0_10empty_typeENS0_5tupleIJNSF_INSG_ISB_EEEESM_EEENSO_IJSL_SN_EEENS0_18inequality_wrapperINS9_12CompareFirstEEEPmJSM_EEE10hipError_tPvRmT3_T4_T5_T6_T7_T9_mT8_P12ihipStream_tbDpT10_ENKUlT_T0_E_clISt17integral_constantIbLb0EES1G_EEDaS1B_S1C_EUlS1B_E_NS1_11comp_targetILNS1_3genE9ELNS1_11target_archE1100ELNS1_3gpuE3ELNS1_3repE0EEENS1_30default_config_static_selectorELNS0_4arch9wavefront6targetE0EEEvT1_,comdat
.Lfunc_end1310:
	.size	_ZN7rocprim17ROCPRIM_400000_NS6detail17trampoline_kernelINS0_14default_configENS1_25partition_config_selectorILNS1_17partition_subalgoE9EN6thrust23THRUST_200600_302600_NS4pairIiN12_GLOBAL__N_15EntryEEESA_bEEZZNS1_14partition_implILS5_9ELb0ES3_jNS7_6detail15normal_iteratorINS7_10device_ptrIKSB_EEEENSF_INSG_ISA_EEEEPNS0_10empty_typeENS0_5tupleIJNSF_INSG_ISB_EEEESM_EEENSO_IJSL_SN_EEENS0_18inequality_wrapperINS9_12CompareFirstEEEPmJSM_EEE10hipError_tPvRmT3_T4_T5_T6_T7_T9_mT8_P12ihipStream_tbDpT10_ENKUlT_T0_E_clISt17integral_constantIbLb0EES1G_EEDaS1B_S1C_EUlS1B_E_NS1_11comp_targetILNS1_3genE9ELNS1_11target_archE1100ELNS1_3gpuE3ELNS1_3repE0EEENS1_30default_config_static_selectorELNS0_4arch9wavefront6targetE0EEEvT1_, .Lfunc_end1310-_ZN7rocprim17ROCPRIM_400000_NS6detail17trampoline_kernelINS0_14default_configENS1_25partition_config_selectorILNS1_17partition_subalgoE9EN6thrust23THRUST_200600_302600_NS4pairIiN12_GLOBAL__N_15EntryEEESA_bEEZZNS1_14partition_implILS5_9ELb0ES3_jNS7_6detail15normal_iteratorINS7_10device_ptrIKSB_EEEENSF_INSG_ISA_EEEEPNS0_10empty_typeENS0_5tupleIJNSF_INSG_ISB_EEEESM_EEENSO_IJSL_SN_EEENS0_18inequality_wrapperINS9_12CompareFirstEEEPmJSM_EEE10hipError_tPvRmT3_T4_T5_T6_T7_T9_mT8_P12ihipStream_tbDpT10_ENKUlT_T0_E_clISt17integral_constantIbLb0EES1G_EEDaS1B_S1C_EUlS1B_E_NS1_11comp_targetILNS1_3genE9ELNS1_11target_archE1100ELNS1_3gpuE3ELNS1_3repE0EEENS1_30default_config_static_selectorELNS0_4arch9wavefront6targetE0EEEvT1_
                                        ; -- End function
	.section	.AMDGPU.csdata,"",@progbits
; Kernel info:
; codeLenInByte = 6540
; NumSgprs: 26
; NumVgprs: 51
; ScratchSize: 0
; MemoryBound: 0
; FloatMode: 240
; IeeeMode: 1
; LDSByteSize: 25356 bytes/workgroup (compile time only)
; SGPRBlocks: 3
; VGPRBlocks: 6
; NumSGPRsForWavesPerEU: 26
; NumVGPRsForWavesPerEU: 51
; Occupancy: 16
; WaveLimiterHint : 1
; COMPUTE_PGM_RSRC2:SCRATCH_EN: 0
; COMPUTE_PGM_RSRC2:USER_SGPR: 15
; COMPUTE_PGM_RSRC2:TRAP_HANDLER: 0
; COMPUTE_PGM_RSRC2:TGID_X_EN: 1
; COMPUTE_PGM_RSRC2:TGID_Y_EN: 0
; COMPUTE_PGM_RSRC2:TGID_Z_EN: 0
; COMPUTE_PGM_RSRC2:TIDIG_COMP_CNT: 0
	.section	.text._ZN7rocprim17ROCPRIM_400000_NS6detail17trampoline_kernelINS0_14default_configENS1_25partition_config_selectorILNS1_17partition_subalgoE9EN6thrust23THRUST_200600_302600_NS4pairIiN12_GLOBAL__N_15EntryEEESA_bEEZZNS1_14partition_implILS5_9ELb0ES3_jNS7_6detail15normal_iteratorINS7_10device_ptrIKSB_EEEENSF_INSG_ISA_EEEEPNS0_10empty_typeENS0_5tupleIJNSF_INSG_ISB_EEEESM_EEENSO_IJSL_SN_EEENS0_18inequality_wrapperINS9_12CompareFirstEEEPmJSM_EEE10hipError_tPvRmT3_T4_T5_T6_T7_T9_mT8_P12ihipStream_tbDpT10_ENKUlT_T0_E_clISt17integral_constantIbLb0EES1G_EEDaS1B_S1C_EUlS1B_E_NS1_11comp_targetILNS1_3genE8ELNS1_11target_archE1030ELNS1_3gpuE2ELNS1_3repE0EEENS1_30default_config_static_selectorELNS0_4arch9wavefront6targetE0EEEvT1_,"axG",@progbits,_ZN7rocprim17ROCPRIM_400000_NS6detail17trampoline_kernelINS0_14default_configENS1_25partition_config_selectorILNS1_17partition_subalgoE9EN6thrust23THRUST_200600_302600_NS4pairIiN12_GLOBAL__N_15EntryEEESA_bEEZZNS1_14partition_implILS5_9ELb0ES3_jNS7_6detail15normal_iteratorINS7_10device_ptrIKSB_EEEENSF_INSG_ISA_EEEEPNS0_10empty_typeENS0_5tupleIJNSF_INSG_ISB_EEEESM_EEENSO_IJSL_SN_EEENS0_18inequality_wrapperINS9_12CompareFirstEEEPmJSM_EEE10hipError_tPvRmT3_T4_T5_T6_T7_T9_mT8_P12ihipStream_tbDpT10_ENKUlT_T0_E_clISt17integral_constantIbLb0EES1G_EEDaS1B_S1C_EUlS1B_E_NS1_11comp_targetILNS1_3genE8ELNS1_11target_archE1030ELNS1_3gpuE2ELNS1_3repE0EEENS1_30default_config_static_selectorELNS0_4arch9wavefront6targetE0EEEvT1_,comdat
	.globl	_ZN7rocprim17ROCPRIM_400000_NS6detail17trampoline_kernelINS0_14default_configENS1_25partition_config_selectorILNS1_17partition_subalgoE9EN6thrust23THRUST_200600_302600_NS4pairIiN12_GLOBAL__N_15EntryEEESA_bEEZZNS1_14partition_implILS5_9ELb0ES3_jNS7_6detail15normal_iteratorINS7_10device_ptrIKSB_EEEENSF_INSG_ISA_EEEEPNS0_10empty_typeENS0_5tupleIJNSF_INSG_ISB_EEEESM_EEENSO_IJSL_SN_EEENS0_18inequality_wrapperINS9_12CompareFirstEEEPmJSM_EEE10hipError_tPvRmT3_T4_T5_T6_T7_T9_mT8_P12ihipStream_tbDpT10_ENKUlT_T0_E_clISt17integral_constantIbLb0EES1G_EEDaS1B_S1C_EUlS1B_E_NS1_11comp_targetILNS1_3genE8ELNS1_11target_archE1030ELNS1_3gpuE2ELNS1_3repE0EEENS1_30default_config_static_selectorELNS0_4arch9wavefront6targetE0EEEvT1_ ; -- Begin function _ZN7rocprim17ROCPRIM_400000_NS6detail17trampoline_kernelINS0_14default_configENS1_25partition_config_selectorILNS1_17partition_subalgoE9EN6thrust23THRUST_200600_302600_NS4pairIiN12_GLOBAL__N_15EntryEEESA_bEEZZNS1_14partition_implILS5_9ELb0ES3_jNS7_6detail15normal_iteratorINS7_10device_ptrIKSB_EEEENSF_INSG_ISA_EEEEPNS0_10empty_typeENS0_5tupleIJNSF_INSG_ISB_EEEESM_EEENSO_IJSL_SN_EEENS0_18inequality_wrapperINS9_12CompareFirstEEEPmJSM_EEE10hipError_tPvRmT3_T4_T5_T6_T7_T9_mT8_P12ihipStream_tbDpT10_ENKUlT_T0_E_clISt17integral_constantIbLb0EES1G_EEDaS1B_S1C_EUlS1B_E_NS1_11comp_targetILNS1_3genE8ELNS1_11target_archE1030ELNS1_3gpuE2ELNS1_3repE0EEENS1_30default_config_static_selectorELNS0_4arch9wavefront6targetE0EEEvT1_
	.p2align	8
	.type	_ZN7rocprim17ROCPRIM_400000_NS6detail17trampoline_kernelINS0_14default_configENS1_25partition_config_selectorILNS1_17partition_subalgoE9EN6thrust23THRUST_200600_302600_NS4pairIiN12_GLOBAL__N_15EntryEEESA_bEEZZNS1_14partition_implILS5_9ELb0ES3_jNS7_6detail15normal_iteratorINS7_10device_ptrIKSB_EEEENSF_INSG_ISA_EEEEPNS0_10empty_typeENS0_5tupleIJNSF_INSG_ISB_EEEESM_EEENSO_IJSL_SN_EEENS0_18inequality_wrapperINS9_12CompareFirstEEEPmJSM_EEE10hipError_tPvRmT3_T4_T5_T6_T7_T9_mT8_P12ihipStream_tbDpT10_ENKUlT_T0_E_clISt17integral_constantIbLb0EES1G_EEDaS1B_S1C_EUlS1B_E_NS1_11comp_targetILNS1_3genE8ELNS1_11target_archE1030ELNS1_3gpuE2ELNS1_3repE0EEENS1_30default_config_static_selectorELNS0_4arch9wavefront6targetE0EEEvT1_,@function
_ZN7rocprim17ROCPRIM_400000_NS6detail17trampoline_kernelINS0_14default_configENS1_25partition_config_selectorILNS1_17partition_subalgoE9EN6thrust23THRUST_200600_302600_NS4pairIiN12_GLOBAL__N_15EntryEEESA_bEEZZNS1_14partition_implILS5_9ELb0ES3_jNS7_6detail15normal_iteratorINS7_10device_ptrIKSB_EEEENSF_INSG_ISA_EEEEPNS0_10empty_typeENS0_5tupleIJNSF_INSG_ISB_EEEESM_EEENSO_IJSL_SN_EEENS0_18inequality_wrapperINS9_12CompareFirstEEEPmJSM_EEE10hipError_tPvRmT3_T4_T5_T6_T7_T9_mT8_P12ihipStream_tbDpT10_ENKUlT_T0_E_clISt17integral_constantIbLb0EES1G_EEDaS1B_S1C_EUlS1B_E_NS1_11comp_targetILNS1_3genE8ELNS1_11target_archE1030ELNS1_3gpuE2ELNS1_3repE0EEENS1_30default_config_static_selectorELNS0_4arch9wavefront6targetE0EEEvT1_: ; @_ZN7rocprim17ROCPRIM_400000_NS6detail17trampoline_kernelINS0_14default_configENS1_25partition_config_selectorILNS1_17partition_subalgoE9EN6thrust23THRUST_200600_302600_NS4pairIiN12_GLOBAL__N_15EntryEEESA_bEEZZNS1_14partition_implILS5_9ELb0ES3_jNS7_6detail15normal_iteratorINS7_10device_ptrIKSB_EEEENSF_INSG_ISA_EEEEPNS0_10empty_typeENS0_5tupleIJNSF_INSG_ISB_EEEESM_EEENSO_IJSL_SN_EEENS0_18inequality_wrapperINS9_12CompareFirstEEEPmJSM_EEE10hipError_tPvRmT3_T4_T5_T6_T7_T9_mT8_P12ihipStream_tbDpT10_ENKUlT_T0_E_clISt17integral_constantIbLb0EES1G_EEDaS1B_S1C_EUlS1B_E_NS1_11comp_targetILNS1_3genE8ELNS1_11target_archE1030ELNS1_3gpuE2ELNS1_3repE0EEENS1_30default_config_static_selectorELNS0_4arch9wavefront6targetE0EEEvT1_
; %bb.0:
	.section	.rodata,"a",@progbits
	.p2align	6, 0x0
	.amdhsa_kernel _ZN7rocprim17ROCPRIM_400000_NS6detail17trampoline_kernelINS0_14default_configENS1_25partition_config_selectorILNS1_17partition_subalgoE9EN6thrust23THRUST_200600_302600_NS4pairIiN12_GLOBAL__N_15EntryEEESA_bEEZZNS1_14partition_implILS5_9ELb0ES3_jNS7_6detail15normal_iteratorINS7_10device_ptrIKSB_EEEENSF_INSG_ISA_EEEEPNS0_10empty_typeENS0_5tupleIJNSF_INSG_ISB_EEEESM_EEENSO_IJSL_SN_EEENS0_18inequality_wrapperINS9_12CompareFirstEEEPmJSM_EEE10hipError_tPvRmT3_T4_T5_T6_T7_T9_mT8_P12ihipStream_tbDpT10_ENKUlT_T0_E_clISt17integral_constantIbLb0EES1G_EEDaS1B_S1C_EUlS1B_E_NS1_11comp_targetILNS1_3genE8ELNS1_11target_archE1030ELNS1_3gpuE2ELNS1_3repE0EEENS1_30default_config_static_selectorELNS0_4arch9wavefront6targetE0EEEvT1_
		.amdhsa_group_segment_fixed_size 0
		.amdhsa_private_segment_fixed_size 0
		.amdhsa_kernarg_size 112
		.amdhsa_user_sgpr_count 15
		.amdhsa_user_sgpr_dispatch_ptr 0
		.amdhsa_user_sgpr_queue_ptr 0
		.amdhsa_user_sgpr_kernarg_segment_ptr 1
		.amdhsa_user_sgpr_dispatch_id 0
		.amdhsa_user_sgpr_private_segment_size 0
		.amdhsa_wavefront_size32 1
		.amdhsa_uses_dynamic_stack 0
		.amdhsa_enable_private_segment 0
		.amdhsa_system_sgpr_workgroup_id_x 1
		.amdhsa_system_sgpr_workgroup_id_y 0
		.amdhsa_system_sgpr_workgroup_id_z 0
		.amdhsa_system_sgpr_workgroup_info 0
		.amdhsa_system_vgpr_workitem_id 0
		.amdhsa_next_free_vgpr 1
		.amdhsa_next_free_sgpr 1
		.amdhsa_reserve_vcc 0
		.amdhsa_float_round_mode_32 0
		.amdhsa_float_round_mode_16_64 0
		.amdhsa_float_denorm_mode_32 3
		.amdhsa_float_denorm_mode_16_64 3
		.amdhsa_dx10_clamp 1
		.amdhsa_ieee_mode 1
		.amdhsa_fp16_overflow 0
		.amdhsa_workgroup_processor_mode 1
		.amdhsa_memory_ordered 1
		.amdhsa_forward_progress 0
		.amdhsa_shared_vgpr_count 0
		.amdhsa_exception_fp_ieee_invalid_op 0
		.amdhsa_exception_fp_denorm_src 0
		.amdhsa_exception_fp_ieee_div_zero 0
		.amdhsa_exception_fp_ieee_overflow 0
		.amdhsa_exception_fp_ieee_underflow 0
		.amdhsa_exception_fp_ieee_inexact 0
		.amdhsa_exception_int_div_zero 0
	.end_amdhsa_kernel
	.section	.text._ZN7rocprim17ROCPRIM_400000_NS6detail17trampoline_kernelINS0_14default_configENS1_25partition_config_selectorILNS1_17partition_subalgoE9EN6thrust23THRUST_200600_302600_NS4pairIiN12_GLOBAL__N_15EntryEEESA_bEEZZNS1_14partition_implILS5_9ELb0ES3_jNS7_6detail15normal_iteratorINS7_10device_ptrIKSB_EEEENSF_INSG_ISA_EEEEPNS0_10empty_typeENS0_5tupleIJNSF_INSG_ISB_EEEESM_EEENSO_IJSL_SN_EEENS0_18inequality_wrapperINS9_12CompareFirstEEEPmJSM_EEE10hipError_tPvRmT3_T4_T5_T6_T7_T9_mT8_P12ihipStream_tbDpT10_ENKUlT_T0_E_clISt17integral_constantIbLb0EES1G_EEDaS1B_S1C_EUlS1B_E_NS1_11comp_targetILNS1_3genE8ELNS1_11target_archE1030ELNS1_3gpuE2ELNS1_3repE0EEENS1_30default_config_static_selectorELNS0_4arch9wavefront6targetE0EEEvT1_,"axG",@progbits,_ZN7rocprim17ROCPRIM_400000_NS6detail17trampoline_kernelINS0_14default_configENS1_25partition_config_selectorILNS1_17partition_subalgoE9EN6thrust23THRUST_200600_302600_NS4pairIiN12_GLOBAL__N_15EntryEEESA_bEEZZNS1_14partition_implILS5_9ELb0ES3_jNS7_6detail15normal_iteratorINS7_10device_ptrIKSB_EEEENSF_INSG_ISA_EEEEPNS0_10empty_typeENS0_5tupleIJNSF_INSG_ISB_EEEESM_EEENSO_IJSL_SN_EEENS0_18inequality_wrapperINS9_12CompareFirstEEEPmJSM_EEE10hipError_tPvRmT3_T4_T5_T6_T7_T9_mT8_P12ihipStream_tbDpT10_ENKUlT_T0_E_clISt17integral_constantIbLb0EES1G_EEDaS1B_S1C_EUlS1B_E_NS1_11comp_targetILNS1_3genE8ELNS1_11target_archE1030ELNS1_3gpuE2ELNS1_3repE0EEENS1_30default_config_static_selectorELNS0_4arch9wavefront6targetE0EEEvT1_,comdat
.Lfunc_end1311:
	.size	_ZN7rocprim17ROCPRIM_400000_NS6detail17trampoline_kernelINS0_14default_configENS1_25partition_config_selectorILNS1_17partition_subalgoE9EN6thrust23THRUST_200600_302600_NS4pairIiN12_GLOBAL__N_15EntryEEESA_bEEZZNS1_14partition_implILS5_9ELb0ES3_jNS7_6detail15normal_iteratorINS7_10device_ptrIKSB_EEEENSF_INSG_ISA_EEEEPNS0_10empty_typeENS0_5tupleIJNSF_INSG_ISB_EEEESM_EEENSO_IJSL_SN_EEENS0_18inequality_wrapperINS9_12CompareFirstEEEPmJSM_EEE10hipError_tPvRmT3_T4_T5_T6_T7_T9_mT8_P12ihipStream_tbDpT10_ENKUlT_T0_E_clISt17integral_constantIbLb0EES1G_EEDaS1B_S1C_EUlS1B_E_NS1_11comp_targetILNS1_3genE8ELNS1_11target_archE1030ELNS1_3gpuE2ELNS1_3repE0EEENS1_30default_config_static_selectorELNS0_4arch9wavefront6targetE0EEEvT1_, .Lfunc_end1311-_ZN7rocprim17ROCPRIM_400000_NS6detail17trampoline_kernelINS0_14default_configENS1_25partition_config_selectorILNS1_17partition_subalgoE9EN6thrust23THRUST_200600_302600_NS4pairIiN12_GLOBAL__N_15EntryEEESA_bEEZZNS1_14partition_implILS5_9ELb0ES3_jNS7_6detail15normal_iteratorINS7_10device_ptrIKSB_EEEENSF_INSG_ISA_EEEEPNS0_10empty_typeENS0_5tupleIJNSF_INSG_ISB_EEEESM_EEENSO_IJSL_SN_EEENS0_18inequality_wrapperINS9_12CompareFirstEEEPmJSM_EEE10hipError_tPvRmT3_T4_T5_T6_T7_T9_mT8_P12ihipStream_tbDpT10_ENKUlT_T0_E_clISt17integral_constantIbLb0EES1G_EEDaS1B_S1C_EUlS1B_E_NS1_11comp_targetILNS1_3genE8ELNS1_11target_archE1030ELNS1_3gpuE2ELNS1_3repE0EEENS1_30default_config_static_selectorELNS0_4arch9wavefront6targetE0EEEvT1_
                                        ; -- End function
	.section	.AMDGPU.csdata,"",@progbits
; Kernel info:
; codeLenInByte = 0
; NumSgprs: 0
; NumVgprs: 0
; ScratchSize: 0
; MemoryBound: 0
; FloatMode: 240
; IeeeMode: 1
; LDSByteSize: 0 bytes/workgroup (compile time only)
; SGPRBlocks: 0
; VGPRBlocks: 0
; NumSGPRsForWavesPerEU: 1
; NumVGPRsForWavesPerEU: 1
; Occupancy: 16
; WaveLimiterHint : 0
; COMPUTE_PGM_RSRC2:SCRATCH_EN: 0
; COMPUTE_PGM_RSRC2:USER_SGPR: 15
; COMPUTE_PGM_RSRC2:TRAP_HANDLER: 0
; COMPUTE_PGM_RSRC2:TGID_X_EN: 1
; COMPUTE_PGM_RSRC2:TGID_Y_EN: 0
; COMPUTE_PGM_RSRC2:TGID_Z_EN: 0
; COMPUTE_PGM_RSRC2:TIDIG_COMP_CNT: 0
	.section	.text._ZN7rocprim17ROCPRIM_400000_NS6detail17trampoline_kernelINS0_14default_configENS1_25partition_config_selectorILNS1_17partition_subalgoE9EN6thrust23THRUST_200600_302600_NS4pairIiN12_GLOBAL__N_15EntryEEESA_bEEZZNS1_14partition_implILS5_9ELb0ES3_jNS7_6detail15normal_iteratorINS7_10device_ptrIKSB_EEEENSF_INSG_ISA_EEEEPNS0_10empty_typeENS0_5tupleIJNSF_INSG_ISB_EEEESM_EEENSO_IJSL_SN_EEENS0_18inequality_wrapperINS9_12CompareFirstEEEPmJSM_EEE10hipError_tPvRmT3_T4_T5_T6_T7_T9_mT8_P12ihipStream_tbDpT10_ENKUlT_T0_E_clISt17integral_constantIbLb1EES1G_EEDaS1B_S1C_EUlS1B_E_NS1_11comp_targetILNS1_3genE0ELNS1_11target_archE4294967295ELNS1_3gpuE0ELNS1_3repE0EEENS1_30default_config_static_selectorELNS0_4arch9wavefront6targetE0EEEvT1_,"axG",@progbits,_ZN7rocprim17ROCPRIM_400000_NS6detail17trampoline_kernelINS0_14default_configENS1_25partition_config_selectorILNS1_17partition_subalgoE9EN6thrust23THRUST_200600_302600_NS4pairIiN12_GLOBAL__N_15EntryEEESA_bEEZZNS1_14partition_implILS5_9ELb0ES3_jNS7_6detail15normal_iteratorINS7_10device_ptrIKSB_EEEENSF_INSG_ISA_EEEEPNS0_10empty_typeENS0_5tupleIJNSF_INSG_ISB_EEEESM_EEENSO_IJSL_SN_EEENS0_18inequality_wrapperINS9_12CompareFirstEEEPmJSM_EEE10hipError_tPvRmT3_T4_T5_T6_T7_T9_mT8_P12ihipStream_tbDpT10_ENKUlT_T0_E_clISt17integral_constantIbLb1EES1G_EEDaS1B_S1C_EUlS1B_E_NS1_11comp_targetILNS1_3genE0ELNS1_11target_archE4294967295ELNS1_3gpuE0ELNS1_3repE0EEENS1_30default_config_static_selectorELNS0_4arch9wavefront6targetE0EEEvT1_,comdat
	.globl	_ZN7rocprim17ROCPRIM_400000_NS6detail17trampoline_kernelINS0_14default_configENS1_25partition_config_selectorILNS1_17partition_subalgoE9EN6thrust23THRUST_200600_302600_NS4pairIiN12_GLOBAL__N_15EntryEEESA_bEEZZNS1_14partition_implILS5_9ELb0ES3_jNS7_6detail15normal_iteratorINS7_10device_ptrIKSB_EEEENSF_INSG_ISA_EEEEPNS0_10empty_typeENS0_5tupleIJNSF_INSG_ISB_EEEESM_EEENSO_IJSL_SN_EEENS0_18inequality_wrapperINS9_12CompareFirstEEEPmJSM_EEE10hipError_tPvRmT3_T4_T5_T6_T7_T9_mT8_P12ihipStream_tbDpT10_ENKUlT_T0_E_clISt17integral_constantIbLb1EES1G_EEDaS1B_S1C_EUlS1B_E_NS1_11comp_targetILNS1_3genE0ELNS1_11target_archE4294967295ELNS1_3gpuE0ELNS1_3repE0EEENS1_30default_config_static_selectorELNS0_4arch9wavefront6targetE0EEEvT1_ ; -- Begin function _ZN7rocprim17ROCPRIM_400000_NS6detail17trampoline_kernelINS0_14default_configENS1_25partition_config_selectorILNS1_17partition_subalgoE9EN6thrust23THRUST_200600_302600_NS4pairIiN12_GLOBAL__N_15EntryEEESA_bEEZZNS1_14partition_implILS5_9ELb0ES3_jNS7_6detail15normal_iteratorINS7_10device_ptrIKSB_EEEENSF_INSG_ISA_EEEEPNS0_10empty_typeENS0_5tupleIJNSF_INSG_ISB_EEEESM_EEENSO_IJSL_SN_EEENS0_18inequality_wrapperINS9_12CompareFirstEEEPmJSM_EEE10hipError_tPvRmT3_T4_T5_T6_T7_T9_mT8_P12ihipStream_tbDpT10_ENKUlT_T0_E_clISt17integral_constantIbLb1EES1G_EEDaS1B_S1C_EUlS1B_E_NS1_11comp_targetILNS1_3genE0ELNS1_11target_archE4294967295ELNS1_3gpuE0ELNS1_3repE0EEENS1_30default_config_static_selectorELNS0_4arch9wavefront6targetE0EEEvT1_
	.p2align	8
	.type	_ZN7rocprim17ROCPRIM_400000_NS6detail17trampoline_kernelINS0_14default_configENS1_25partition_config_selectorILNS1_17partition_subalgoE9EN6thrust23THRUST_200600_302600_NS4pairIiN12_GLOBAL__N_15EntryEEESA_bEEZZNS1_14partition_implILS5_9ELb0ES3_jNS7_6detail15normal_iteratorINS7_10device_ptrIKSB_EEEENSF_INSG_ISA_EEEEPNS0_10empty_typeENS0_5tupleIJNSF_INSG_ISB_EEEESM_EEENSO_IJSL_SN_EEENS0_18inequality_wrapperINS9_12CompareFirstEEEPmJSM_EEE10hipError_tPvRmT3_T4_T5_T6_T7_T9_mT8_P12ihipStream_tbDpT10_ENKUlT_T0_E_clISt17integral_constantIbLb1EES1G_EEDaS1B_S1C_EUlS1B_E_NS1_11comp_targetILNS1_3genE0ELNS1_11target_archE4294967295ELNS1_3gpuE0ELNS1_3repE0EEENS1_30default_config_static_selectorELNS0_4arch9wavefront6targetE0EEEvT1_,@function
_ZN7rocprim17ROCPRIM_400000_NS6detail17trampoline_kernelINS0_14default_configENS1_25partition_config_selectorILNS1_17partition_subalgoE9EN6thrust23THRUST_200600_302600_NS4pairIiN12_GLOBAL__N_15EntryEEESA_bEEZZNS1_14partition_implILS5_9ELb0ES3_jNS7_6detail15normal_iteratorINS7_10device_ptrIKSB_EEEENSF_INSG_ISA_EEEEPNS0_10empty_typeENS0_5tupleIJNSF_INSG_ISB_EEEESM_EEENSO_IJSL_SN_EEENS0_18inequality_wrapperINS9_12CompareFirstEEEPmJSM_EEE10hipError_tPvRmT3_T4_T5_T6_T7_T9_mT8_P12ihipStream_tbDpT10_ENKUlT_T0_E_clISt17integral_constantIbLb1EES1G_EEDaS1B_S1C_EUlS1B_E_NS1_11comp_targetILNS1_3genE0ELNS1_11target_archE4294967295ELNS1_3gpuE0ELNS1_3repE0EEENS1_30default_config_static_selectorELNS0_4arch9wavefront6targetE0EEEvT1_: ; @_ZN7rocprim17ROCPRIM_400000_NS6detail17trampoline_kernelINS0_14default_configENS1_25partition_config_selectorILNS1_17partition_subalgoE9EN6thrust23THRUST_200600_302600_NS4pairIiN12_GLOBAL__N_15EntryEEESA_bEEZZNS1_14partition_implILS5_9ELb0ES3_jNS7_6detail15normal_iteratorINS7_10device_ptrIKSB_EEEENSF_INSG_ISA_EEEEPNS0_10empty_typeENS0_5tupleIJNSF_INSG_ISB_EEEESM_EEENSO_IJSL_SN_EEENS0_18inequality_wrapperINS9_12CompareFirstEEEPmJSM_EEE10hipError_tPvRmT3_T4_T5_T6_T7_T9_mT8_P12ihipStream_tbDpT10_ENKUlT_T0_E_clISt17integral_constantIbLb1EES1G_EEDaS1B_S1C_EUlS1B_E_NS1_11comp_targetILNS1_3genE0ELNS1_11target_archE4294967295ELNS1_3gpuE0ELNS1_3repE0EEENS1_30default_config_static_selectorELNS0_4arch9wavefront6targetE0EEEvT1_
; %bb.0:
	.section	.rodata,"a",@progbits
	.p2align	6, 0x0
	.amdhsa_kernel _ZN7rocprim17ROCPRIM_400000_NS6detail17trampoline_kernelINS0_14default_configENS1_25partition_config_selectorILNS1_17partition_subalgoE9EN6thrust23THRUST_200600_302600_NS4pairIiN12_GLOBAL__N_15EntryEEESA_bEEZZNS1_14partition_implILS5_9ELb0ES3_jNS7_6detail15normal_iteratorINS7_10device_ptrIKSB_EEEENSF_INSG_ISA_EEEEPNS0_10empty_typeENS0_5tupleIJNSF_INSG_ISB_EEEESM_EEENSO_IJSL_SN_EEENS0_18inequality_wrapperINS9_12CompareFirstEEEPmJSM_EEE10hipError_tPvRmT3_T4_T5_T6_T7_T9_mT8_P12ihipStream_tbDpT10_ENKUlT_T0_E_clISt17integral_constantIbLb1EES1G_EEDaS1B_S1C_EUlS1B_E_NS1_11comp_targetILNS1_3genE0ELNS1_11target_archE4294967295ELNS1_3gpuE0ELNS1_3repE0EEENS1_30default_config_static_selectorELNS0_4arch9wavefront6targetE0EEEvT1_
		.amdhsa_group_segment_fixed_size 0
		.amdhsa_private_segment_fixed_size 0
		.amdhsa_kernarg_size 128
		.amdhsa_user_sgpr_count 15
		.amdhsa_user_sgpr_dispatch_ptr 0
		.amdhsa_user_sgpr_queue_ptr 0
		.amdhsa_user_sgpr_kernarg_segment_ptr 1
		.amdhsa_user_sgpr_dispatch_id 0
		.amdhsa_user_sgpr_private_segment_size 0
		.amdhsa_wavefront_size32 1
		.amdhsa_uses_dynamic_stack 0
		.amdhsa_enable_private_segment 0
		.amdhsa_system_sgpr_workgroup_id_x 1
		.amdhsa_system_sgpr_workgroup_id_y 0
		.amdhsa_system_sgpr_workgroup_id_z 0
		.amdhsa_system_sgpr_workgroup_info 0
		.amdhsa_system_vgpr_workitem_id 0
		.amdhsa_next_free_vgpr 1
		.amdhsa_next_free_sgpr 1
		.amdhsa_reserve_vcc 0
		.amdhsa_float_round_mode_32 0
		.amdhsa_float_round_mode_16_64 0
		.amdhsa_float_denorm_mode_32 3
		.amdhsa_float_denorm_mode_16_64 3
		.amdhsa_dx10_clamp 1
		.amdhsa_ieee_mode 1
		.amdhsa_fp16_overflow 0
		.amdhsa_workgroup_processor_mode 1
		.amdhsa_memory_ordered 1
		.amdhsa_forward_progress 0
		.amdhsa_shared_vgpr_count 0
		.amdhsa_exception_fp_ieee_invalid_op 0
		.amdhsa_exception_fp_denorm_src 0
		.amdhsa_exception_fp_ieee_div_zero 0
		.amdhsa_exception_fp_ieee_overflow 0
		.amdhsa_exception_fp_ieee_underflow 0
		.amdhsa_exception_fp_ieee_inexact 0
		.amdhsa_exception_int_div_zero 0
	.end_amdhsa_kernel
	.section	.text._ZN7rocprim17ROCPRIM_400000_NS6detail17trampoline_kernelINS0_14default_configENS1_25partition_config_selectorILNS1_17partition_subalgoE9EN6thrust23THRUST_200600_302600_NS4pairIiN12_GLOBAL__N_15EntryEEESA_bEEZZNS1_14partition_implILS5_9ELb0ES3_jNS7_6detail15normal_iteratorINS7_10device_ptrIKSB_EEEENSF_INSG_ISA_EEEEPNS0_10empty_typeENS0_5tupleIJNSF_INSG_ISB_EEEESM_EEENSO_IJSL_SN_EEENS0_18inequality_wrapperINS9_12CompareFirstEEEPmJSM_EEE10hipError_tPvRmT3_T4_T5_T6_T7_T9_mT8_P12ihipStream_tbDpT10_ENKUlT_T0_E_clISt17integral_constantIbLb1EES1G_EEDaS1B_S1C_EUlS1B_E_NS1_11comp_targetILNS1_3genE0ELNS1_11target_archE4294967295ELNS1_3gpuE0ELNS1_3repE0EEENS1_30default_config_static_selectorELNS0_4arch9wavefront6targetE0EEEvT1_,"axG",@progbits,_ZN7rocprim17ROCPRIM_400000_NS6detail17trampoline_kernelINS0_14default_configENS1_25partition_config_selectorILNS1_17partition_subalgoE9EN6thrust23THRUST_200600_302600_NS4pairIiN12_GLOBAL__N_15EntryEEESA_bEEZZNS1_14partition_implILS5_9ELb0ES3_jNS7_6detail15normal_iteratorINS7_10device_ptrIKSB_EEEENSF_INSG_ISA_EEEEPNS0_10empty_typeENS0_5tupleIJNSF_INSG_ISB_EEEESM_EEENSO_IJSL_SN_EEENS0_18inequality_wrapperINS9_12CompareFirstEEEPmJSM_EEE10hipError_tPvRmT3_T4_T5_T6_T7_T9_mT8_P12ihipStream_tbDpT10_ENKUlT_T0_E_clISt17integral_constantIbLb1EES1G_EEDaS1B_S1C_EUlS1B_E_NS1_11comp_targetILNS1_3genE0ELNS1_11target_archE4294967295ELNS1_3gpuE0ELNS1_3repE0EEENS1_30default_config_static_selectorELNS0_4arch9wavefront6targetE0EEEvT1_,comdat
.Lfunc_end1312:
	.size	_ZN7rocprim17ROCPRIM_400000_NS6detail17trampoline_kernelINS0_14default_configENS1_25partition_config_selectorILNS1_17partition_subalgoE9EN6thrust23THRUST_200600_302600_NS4pairIiN12_GLOBAL__N_15EntryEEESA_bEEZZNS1_14partition_implILS5_9ELb0ES3_jNS7_6detail15normal_iteratorINS7_10device_ptrIKSB_EEEENSF_INSG_ISA_EEEEPNS0_10empty_typeENS0_5tupleIJNSF_INSG_ISB_EEEESM_EEENSO_IJSL_SN_EEENS0_18inequality_wrapperINS9_12CompareFirstEEEPmJSM_EEE10hipError_tPvRmT3_T4_T5_T6_T7_T9_mT8_P12ihipStream_tbDpT10_ENKUlT_T0_E_clISt17integral_constantIbLb1EES1G_EEDaS1B_S1C_EUlS1B_E_NS1_11comp_targetILNS1_3genE0ELNS1_11target_archE4294967295ELNS1_3gpuE0ELNS1_3repE0EEENS1_30default_config_static_selectorELNS0_4arch9wavefront6targetE0EEEvT1_, .Lfunc_end1312-_ZN7rocprim17ROCPRIM_400000_NS6detail17trampoline_kernelINS0_14default_configENS1_25partition_config_selectorILNS1_17partition_subalgoE9EN6thrust23THRUST_200600_302600_NS4pairIiN12_GLOBAL__N_15EntryEEESA_bEEZZNS1_14partition_implILS5_9ELb0ES3_jNS7_6detail15normal_iteratorINS7_10device_ptrIKSB_EEEENSF_INSG_ISA_EEEEPNS0_10empty_typeENS0_5tupleIJNSF_INSG_ISB_EEEESM_EEENSO_IJSL_SN_EEENS0_18inequality_wrapperINS9_12CompareFirstEEEPmJSM_EEE10hipError_tPvRmT3_T4_T5_T6_T7_T9_mT8_P12ihipStream_tbDpT10_ENKUlT_T0_E_clISt17integral_constantIbLb1EES1G_EEDaS1B_S1C_EUlS1B_E_NS1_11comp_targetILNS1_3genE0ELNS1_11target_archE4294967295ELNS1_3gpuE0ELNS1_3repE0EEENS1_30default_config_static_selectorELNS0_4arch9wavefront6targetE0EEEvT1_
                                        ; -- End function
	.section	.AMDGPU.csdata,"",@progbits
; Kernel info:
; codeLenInByte = 0
; NumSgprs: 0
; NumVgprs: 0
; ScratchSize: 0
; MemoryBound: 0
; FloatMode: 240
; IeeeMode: 1
; LDSByteSize: 0 bytes/workgroup (compile time only)
; SGPRBlocks: 0
; VGPRBlocks: 0
; NumSGPRsForWavesPerEU: 1
; NumVGPRsForWavesPerEU: 1
; Occupancy: 15
; WaveLimiterHint : 0
; COMPUTE_PGM_RSRC2:SCRATCH_EN: 0
; COMPUTE_PGM_RSRC2:USER_SGPR: 15
; COMPUTE_PGM_RSRC2:TRAP_HANDLER: 0
; COMPUTE_PGM_RSRC2:TGID_X_EN: 1
; COMPUTE_PGM_RSRC2:TGID_Y_EN: 0
; COMPUTE_PGM_RSRC2:TGID_Z_EN: 0
; COMPUTE_PGM_RSRC2:TIDIG_COMP_CNT: 0
	.section	.text._ZN7rocprim17ROCPRIM_400000_NS6detail17trampoline_kernelINS0_14default_configENS1_25partition_config_selectorILNS1_17partition_subalgoE9EN6thrust23THRUST_200600_302600_NS4pairIiN12_GLOBAL__N_15EntryEEESA_bEEZZNS1_14partition_implILS5_9ELb0ES3_jNS7_6detail15normal_iteratorINS7_10device_ptrIKSB_EEEENSF_INSG_ISA_EEEEPNS0_10empty_typeENS0_5tupleIJNSF_INSG_ISB_EEEESM_EEENSO_IJSL_SN_EEENS0_18inequality_wrapperINS9_12CompareFirstEEEPmJSM_EEE10hipError_tPvRmT3_T4_T5_T6_T7_T9_mT8_P12ihipStream_tbDpT10_ENKUlT_T0_E_clISt17integral_constantIbLb1EES1G_EEDaS1B_S1C_EUlS1B_E_NS1_11comp_targetILNS1_3genE5ELNS1_11target_archE942ELNS1_3gpuE9ELNS1_3repE0EEENS1_30default_config_static_selectorELNS0_4arch9wavefront6targetE0EEEvT1_,"axG",@progbits,_ZN7rocprim17ROCPRIM_400000_NS6detail17trampoline_kernelINS0_14default_configENS1_25partition_config_selectorILNS1_17partition_subalgoE9EN6thrust23THRUST_200600_302600_NS4pairIiN12_GLOBAL__N_15EntryEEESA_bEEZZNS1_14partition_implILS5_9ELb0ES3_jNS7_6detail15normal_iteratorINS7_10device_ptrIKSB_EEEENSF_INSG_ISA_EEEEPNS0_10empty_typeENS0_5tupleIJNSF_INSG_ISB_EEEESM_EEENSO_IJSL_SN_EEENS0_18inequality_wrapperINS9_12CompareFirstEEEPmJSM_EEE10hipError_tPvRmT3_T4_T5_T6_T7_T9_mT8_P12ihipStream_tbDpT10_ENKUlT_T0_E_clISt17integral_constantIbLb1EES1G_EEDaS1B_S1C_EUlS1B_E_NS1_11comp_targetILNS1_3genE5ELNS1_11target_archE942ELNS1_3gpuE9ELNS1_3repE0EEENS1_30default_config_static_selectorELNS0_4arch9wavefront6targetE0EEEvT1_,comdat
	.globl	_ZN7rocprim17ROCPRIM_400000_NS6detail17trampoline_kernelINS0_14default_configENS1_25partition_config_selectorILNS1_17partition_subalgoE9EN6thrust23THRUST_200600_302600_NS4pairIiN12_GLOBAL__N_15EntryEEESA_bEEZZNS1_14partition_implILS5_9ELb0ES3_jNS7_6detail15normal_iteratorINS7_10device_ptrIKSB_EEEENSF_INSG_ISA_EEEEPNS0_10empty_typeENS0_5tupleIJNSF_INSG_ISB_EEEESM_EEENSO_IJSL_SN_EEENS0_18inequality_wrapperINS9_12CompareFirstEEEPmJSM_EEE10hipError_tPvRmT3_T4_T5_T6_T7_T9_mT8_P12ihipStream_tbDpT10_ENKUlT_T0_E_clISt17integral_constantIbLb1EES1G_EEDaS1B_S1C_EUlS1B_E_NS1_11comp_targetILNS1_3genE5ELNS1_11target_archE942ELNS1_3gpuE9ELNS1_3repE0EEENS1_30default_config_static_selectorELNS0_4arch9wavefront6targetE0EEEvT1_ ; -- Begin function _ZN7rocprim17ROCPRIM_400000_NS6detail17trampoline_kernelINS0_14default_configENS1_25partition_config_selectorILNS1_17partition_subalgoE9EN6thrust23THRUST_200600_302600_NS4pairIiN12_GLOBAL__N_15EntryEEESA_bEEZZNS1_14partition_implILS5_9ELb0ES3_jNS7_6detail15normal_iteratorINS7_10device_ptrIKSB_EEEENSF_INSG_ISA_EEEEPNS0_10empty_typeENS0_5tupleIJNSF_INSG_ISB_EEEESM_EEENSO_IJSL_SN_EEENS0_18inequality_wrapperINS9_12CompareFirstEEEPmJSM_EEE10hipError_tPvRmT3_T4_T5_T6_T7_T9_mT8_P12ihipStream_tbDpT10_ENKUlT_T0_E_clISt17integral_constantIbLb1EES1G_EEDaS1B_S1C_EUlS1B_E_NS1_11comp_targetILNS1_3genE5ELNS1_11target_archE942ELNS1_3gpuE9ELNS1_3repE0EEENS1_30default_config_static_selectorELNS0_4arch9wavefront6targetE0EEEvT1_
	.p2align	8
	.type	_ZN7rocprim17ROCPRIM_400000_NS6detail17trampoline_kernelINS0_14default_configENS1_25partition_config_selectorILNS1_17partition_subalgoE9EN6thrust23THRUST_200600_302600_NS4pairIiN12_GLOBAL__N_15EntryEEESA_bEEZZNS1_14partition_implILS5_9ELb0ES3_jNS7_6detail15normal_iteratorINS7_10device_ptrIKSB_EEEENSF_INSG_ISA_EEEEPNS0_10empty_typeENS0_5tupleIJNSF_INSG_ISB_EEEESM_EEENSO_IJSL_SN_EEENS0_18inequality_wrapperINS9_12CompareFirstEEEPmJSM_EEE10hipError_tPvRmT3_T4_T5_T6_T7_T9_mT8_P12ihipStream_tbDpT10_ENKUlT_T0_E_clISt17integral_constantIbLb1EES1G_EEDaS1B_S1C_EUlS1B_E_NS1_11comp_targetILNS1_3genE5ELNS1_11target_archE942ELNS1_3gpuE9ELNS1_3repE0EEENS1_30default_config_static_selectorELNS0_4arch9wavefront6targetE0EEEvT1_,@function
_ZN7rocprim17ROCPRIM_400000_NS6detail17trampoline_kernelINS0_14default_configENS1_25partition_config_selectorILNS1_17partition_subalgoE9EN6thrust23THRUST_200600_302600_NS4pairIiN12_GLOBAL__N_15EntryEEESA_bEEZZNS1_14partition_implILS5_9ELb0ES3_jNS7_6detail15normal_iteratorINS7_10device_ptrIKSB_EEEENSF_INSG_ISA_EEEEPNS0_10empty_typeENS0_5tupleIJNSF_INSG_ISB_EEEESM_EEENSO_IJSL_SN_EEENS0_18inequality_wrapperINS9_12CompareFirstEEEPmJSM_EEE10hipError_tPvRmT3_T4_T5_T6_T7_T9_mT8_P12ihipStream_tbDpT10_ENKUlT_T0_E_clISt17integral_constantIbLb1EES1G_EEDaS1B_S1C_EUlS1B_E_NS1_11comp_targetILNS1_3genE5ELNS1_11target_archE942ELNS1_3gpuE9ELNS1_3repE0EEENS1_30default_config_static_selectorELNS0_4arch9wavefront6targetE0EEEvT1_: ; @_ZN7rocprim17ROCPRIM_400000_NS6detail17trampoline_kernelINS0_14default_configENS1_25partition_config_selectorILNS1_17partition_subalgoE9EN6thrust23THRUST_200600_302600_NS4pairIiN12_GLOBAL__N_15EntryEEESA_bEEZZNS1_14partition_implILS5_9ELb0ES3_jNS7_6detail15normal_iteratorINS7_10device_ptrIKSB_EEEENSF_INSG_ISA_EEEEPNS0_10empty_typeENS0_5tupleIJNSF_INSG_ISB_EEEESM_EEENSO_IJSL_SN_EEENS0_18inequality_wrapperINS9_12CompareFirstEEEPmJSM_EEE10hipError_tPvRmT3_T4_T5_T6_T7_T9_mT8_P12ihipStream_tbDpT10_ENKUlT_T0_E_clISt17integral_constantIbLb1EES1G_EEDaS1B_S1C_EUlS1B_E_NS1_11comp_targetILNS1_3genE5ELNS1_11target_archE942ELNS1_3gpuE9ELNS1_3repE0EEENS1_30default_config_static_selectorELNS0_4arch9wavefront6targetE0EEEvT1_
; %bb.0:
	.section	.rodata,"a",@progbits
	.p2align	6, 0x0
	.amdhsa_kernel _ZN7rocprim17ROCPRIM_400000_NS6detail17trampoline_kernelINS0_14default_configENS1_25partition_config_selectorILNS1_17partition_subalgoE9EN6thrust23THRUST_200600_302600_NS4pairIiN12_GLOBAL__N_15EntryEEESA_bEEZZNS1_14partition_implILS5_9ELb0ES3_jNS7_6detail15normal_iteratorINS7_10device_ptrIKSB_EEEENSF_INSG_ISA_EEEEPNS0_10empty_typeENS0_5tupleIJNSF_INSG_ISB_EEEESM_EEENSO_IJSL_SN_EEENS0_18inequality_wrapperINS9_12CompareFirstEEEPmJSM_EEE10hipError_tPvRmT3_T4_T5_T6_T7_T9_mT8_P12ihipStream_tbDpT10_ENKUlT_T0_E_clISt17integral_constantIbLb1EES1G_EEDaS1B_S1C_EUlS1B_E_NS1_11comp_targetILNS1_3genE5ELNS1_11target_archE942ELNS1_3gpuE9ELNS1_3repE0EEENS1_30default_config_static_selectorELNS0_4arch9wavefront6targetE0EEEvT1_
		.amdhsa_group_segment_fixed_size 0
		.amdhsa_private_segment_fixed_size 0
		.amdhsa_kernarg_size 128
		.amdhsa_user_sgpr_count 15
		.amdhsa_user_sgpr_dispatch_ptr 0
		.amdhsa_user_sgpr_queue_ptr 0
		.amdhsa_user_sgpr_kernarg_segment_ptr 1
		.amdhsa_user_sgpr_dispatch_id 0
		.amdhsa_user_sgpr_private_segment_size 0
		.amdhsa_wavefront_size32 1
		.amdhsa_uses_dynamic_stack 0
		.amdhsa_enable_private_segment 0
		.amdhsa_system_sgpr_workgroup_id_x 1
		.amdhsa_system_sgpr_workgroup_id_y 0
		.amdhsa_system_sgpr_workgroup_id_z 0
		.amdhsa_system_sgpr_workgroup_info 0
		.amdhsa_system_vgpr_workitem_id 0
		.amdhsa_next_free_vgpr 1
		.amdhsa_next_free_sgpr 1
		.amdhsa_reserve_vcc 0
		.amdhsa_float_round_mode_32 0
		.amdhsa_float_round_mode_16_64 0
		.amdhsa_float_denorm_mode_32 3
		.amdhsa_float_denorm_mode_16_64 3
		.amdhsa_dx10_clamp 1
		.amdhsa_ieee_mode 1
		.amdhsa_fp16_overflow 0
		.amdhsa_workgroup_processor_mode 1
		.amdhsa_memory_ordered 1
		.amdhsa_forward_progress 0
		.amdhsa_shared_vgpr_count 0
		.amdhsa_exception_fp_ieee_invalid_op 0
		.amdhsa_exception_fp_denorm_src 0
		.amdhsa_exception_fp_ieee_div_zero 0
		.amdhsa_exception_fp_ieee_overflow 0
		.amdhsa_exception_fp_ieee_underflow 0
		.amdhsa_exception_fp_ieee_inexact 0
		.amdhsa_exception_int_div_zero 0
	.end_amdhsa_kernel
	.section	.text._ZN7rocprim17ROCPRIM_400000_NS6detail17trampoline_kernelINS0_14default_configENS1_25partition_config_selectorILNS1_17partition_subalgoE9EN6thrust23THRUST_200600_302600_NS4pairIiN12_GLOBAL__N_15EntryEEESA_bEEZZNS1_14partition_implILS5_9ELb0ES3_jNS7_6detail15normal_iteratorINS7_10device_ptrIKSB_EEEENSF_INSG_ISA_EEEEPNS0_10empty_typeENS0_5tupleIJNSF_INSG_ISB_EEEESM_EEENSO_IJSL_SN_EEENS0_18inequality_wrapperINS9_12CompareFirstEEEPmJSM_EEE10hipError_tPvRmT3_T4_T5_T6_T7_T9_mT8_P12ihipStream_tbDpT10_ENKUlT_T0_E_clISt17integral_constantIbLb1EES1G_EEDaS1B_S1C_EUlS1B_E_NS1_11comp_targetILNS1_3genE5ELNS1_11target_archE942ELNS1_3gpuE9ELNS1_3repE0EEENS1_30default_config_static_selectorELNS0_4arch9wavefront6targetE0EEEvT1_,"axG",@progbits,_ZN7rocprim17ROCPRIM_400000_NS6detail17trampoline_kernelINS0_14default_configENS1_25partition_config_selectorILNS1_17partition_subalgoE9EN6thrust23THRUST_200600_302600_NS4pairIiN12_GLOBAL__N_15EntryEEESA_bEEZZNS1_14partition_implILS5_9ELb0ES3_jNS7_6detail15normal_iteratorINS7_10device_ptrIKSB_EEEENSF_INSG_ISA_EEEEPNS0_10empty_typeENS0_5tupleIJNSF_INSG_ISB_EEEESM_EEENSO_IJSL_SN_EEENS0_18inequality_wrapperINS9_12CompareFirstEEEPmJSM_EEE10hipError_tPvRmT3_T4_T5_T6_T7_T9_mT8_P12ihipStream_tbDpT10_ENKUlT_T0_E_clISt17integral_constantIbLb1EES1G_EEDaS1B_S1C_EUlS1B_E_NS1_11comp_targetILNS1_3genE5ELNS1_11target_archE942ELNS1_3gpuE9ELNS1_3repE0EEENS1_30default_config_static_selectorELNS0_4arch9wavefront6targetE0EEEvT1_,comdat
.Lfunc_end1313:
	.size	_ZN7rocprim17ROCPRIM_400000_NS6detail17trampoline_kernelINS0_14default_configENS1_25partition_config_selectorILNS1_17partition_subalgoE9EN6thrust23THRUST_200600_302600_NS4pairIiN12_GLOBAL__N_15EntryEEESA_bEEZZNS1_14partition_implILS5_9ELb0ES3_jNS7_6detail15normal_iteratorINS7_10device_ptrIKSB_EEEENSF_INSG_ISA_EEEEPNS0_10empty_typeENS0_5tupleIJNSF_INSG_ISB_EEEESM_EEENSO_IJSL_SN_EEENS0_18inequality_wrapperINS9_12CompareFirstEEEPmJSM_EEE10hipError_tPvRmT3_T4_T5_T6_T7_T9_mT8_P12ihipStream_tbDpT10_ENKUlT_T0_E_clISt17integral_constantIbLb1EES1G_EEDaS1B_S1C_EUlS1B_E_NS1_11comp_targetILNS1_3genE5ELNS1_11target_archE942ELNS1_3gpuE9ELNS1_3repE0EEENS1_30default_config_static_selectorELNS0_4arch9wavefront6targetE0EEEvT1_, .Lfunc_end1313-_ZN7rocprim17ROCPRIM_400000_NS6detail17trampoline_kernelINS0_14default_configENS1_25partition_config_selectorILNS1_17partition_subalgoE9EN6thrust23THRUST_200600_302600_NS4pairIiN12_GLOBAL__N_15EntryEEESA_bEEZZNS1_14partition_implILS5_9ELb0ES3_jNS7_6detail15normal_iteratorINS7_10device_ptrIKSB_EEEENSF_INSG_ISA_EEEEPNS0_10empty_typeENS0_5tupleIJNSF_INSG_ISB_EEEESM_EEENSO_IJSL_SN_EEENS0_18inequality_wrapperINS9_12CompareFirstEEEPmJSM_EEE10hipError_tPvRmT3_T4_T5_T6_T7_T9_mT8_P12ihipStream_tbDpT10_ENKUlT_T0_E_clISt17integral_constantIbLb1EES1G_EEDaS1B_S1C_EUlS1B_E_NS1_11comp_targetILNS1_3genE5ELNS1_11target_archE942ELNS1_3gpuE9ELNS1_3repE0EEENS1_30default_config_static_selectorELNS0_4arch9wavefront6targetE0EEEvT1_
                                        ; -- End function
	.section	.AMDGPU.csdata,"",@progbits
; Kernel info:
; codeLenInByte = 0
; NumSgprs: 0
; NumVgprs: 0
; ScratchSize: 0
; MemoryBound: 0
; FloatMode: 240
; IeeeMode: 1
; LDSByteSize: 0 bytes/workgroup (compile time only)
; SGPRBlocks: 0
; VGPRBlocks: 0
; NumSGPRsForWavesPerEU: 1
; NumVGPRsForWavesPerEU: 1
; Occupancy: 15
; WaveLimiterHint : 0
; COMPUTE_PGM_RSRC2:SCRATCH_EN: 0
; COMPUTE_PGM_RSRC2:USER_SGPR: 15
; COMPUTE_PGM_RSRC2:TRAP_HANDLER: 0
; COMPUTE_PGM_RSRC2:TGID_X_EN: 1
; COMPUTE_PGM_RSRC2:TGID_Y_EN: 0
; COMPUTE_PGM_RSRC2:TGID_Z_EN: 0
; COMPUTE_PGM_RSRC2:TIDIG_COMP_CNT: 0
	.section	.text._ZN7rocprim17ROCPRIM_400000_NS6detail17trampoline_kernelINS0_14default_configENS1_25partition_config_selectorILNS1_17partition_subalgoE9EN6thrust23THRUST_200600_302600_NS4pairIiN12_GLOBAL__N_15EntryEEESA_bEEZZNS1_14partition_implILS5_9ELb0ES3_jNS7_6detail15normal_iteratorINS7_10device_ptrIKSB_EEEENSF_INSG_ISA_EEEEPNS0_10empty_typeENS0_5tupleIJNSF_INSG_ISB_EEEESM_EEENSO_IJSL_SN_EEENS0_18inequality_wrapperINS9_12CompareFirstEEEPmJSM_EEE10hipError_tPvRmT3_T4_T5_T6_T7_T9_mT8_P12ihipStream_tbDpT10_ENKUlT_T0_E_clISt17integral_constantIbLb1EES1G_EEDaS1B_S1C_EUlS1B_E_NS1_11comp_targetILNS1_3genE4ELNS1_11target_archE910ELNS1_3gpuE8ELNS1_3repE0EEENS1_30default_config_static_selectorELNS0_4arch9wavefront6targetE0EEEvT1_,"axG",@progbits,_ZN7rocprim17ROCPRIM_400000_NS6detail17trampoline_kernelINS0_14default_configENS1_25partition_config_selectorILNS1_17partition_subalgoE9EN6thrust23THRUST_200600_302600_NS4pairIiN12_GLOBAL__N_15EntryEEESA_bEEZZNS1_14partition_implILS5_9ELb0ES3_jNS7_6detail15normal_iteratorINS7_10device_ptrIKSB_EEEENSF_INSG_ISA_EEEEPNS0_10empty_typeENS0_5tupleIJNSF_INSG_ISB_EEEESM_EEENSO_IJSL_SN_EEENS0_18inequality_wrapperINS9_12CompareFirstEEEPmJSM_EEE10hipError_tPvRmT3_T4_T5_T6_T7_T9_mT8_P12ihipStream_tbDpT10_ENKUlT_T0_E_clISt17integral_constantIbLb1EES1G_EEDaS1B_S1C_EUlS1B_E_NS1_11comp_targetILNS1_3genE4ELNS1_11target_archE910ELNS1_3gpuE8ELNS1_3repE0EEENS1_30default_config_static_selectorELNS0_4arch9wavefront6targetE0EEEvT1_,comdat
	.globl	_ZN7rocprim17ROCPRIM_400000_NS6detail17trampoline_kernelINS0_14default_configENS1_25partition_config_selectorILNS1_17partition_subalgoE9EN6thrust23THRUST_200600_302600_NS4pairIiN12_GLOBAL__N_15EntryEEESA_bEEZZNS1_14partition_implILS5_9ELb0ES3_jNS7_6detail15normal_iteratorINS7_10device_ptrIKSB_EEEENSF_INSG_ISA_EEEEPNS0_10empty_typeENS0_5tupleIJNSF_INSG_ISB_EEEESM_EEENSO_IJSL_SN_EEENS0_18inequality_wrapperINS9_12CompareFirstEEEPmJSM_EEE10hipError_tPvRmT3_T4_T5_T6_T7_T9_mT8_P12ihipStream_tbDpT10_ENKUlT_T0_E_clISt17integral_constantIbLb1EES1G_EEDaS1B_S1C_EUlS1B_E_NS1_11comp_targetILNS1_3genE4ELNS1_11target_archE910ELNS1_3gpuE8ELNS1_3repE0EEENS1_30default_config_static_selectorELNS0_4arch9wavefront6targetE0EEEvT1_ ; -- Begin function _ZN7rocprim17ROCPRIM_400000_NS6detail17trampoline_kernelINS0_14default_configENS1_25partition_config_selectorILNS1_17partition_subalgoE9EN6thrust23THRUST_200600_302600_NS4pairIiN12_GLOBAL__N_15EntryEEESA_bEEZZNS1_14partition_implILS5_9ELb0ES3_jNS7_6detail15normal_iteratorINS7_10device_ptrIKSB_EEEENSF_INSG_ISA_EEEEPNS0_10empty_typeENS0_5tupleIJNSF_INSG_ISB_EEEESM_EEENSO_IJSL_SN_EEENS0_18inequality_wrapperINS9_12CompareFirstEEEPmJSM_EEE10hipError_tPvRmT3_T4_T5_T6_T7_T9_mT8_P12ihipStream_tbDpT10_ENKUlT_T0_E_clISt17integral_constantIbLb1EES1G_EEDaS1B_S1C_EUlS1B_E_NS1_11comp_targetILNS1_3genE4ELNS1_11target_archE910ELNS1_3gpuE8ELNS1_3repE0EEENS1_30default_config_static_selectorELNS0_4arch9wavefront6targetE0EEEvT1_
	.p2align	8
	.type	_ZN7rocprim17ROCPRIM_400000_NS6detail17trampoline_kernelINS0_14default_configENS1_25partition_config_selectorILNS1_17partition_subalgoE9EN6thrust23THRUST_200600_302600_NS4pairIiN12_GLOBAL__N_15EntryEEESA_bEEZZNS1_14partition_implILS5_9ELb0ES3_jNS7_6detail15normal_iteratorINS7_10device_ptrIKSB_EEEENSF_INSG_ISA_EEEEPNS0_10empty_typeENS0_5tupleIJNSF_INSG_ISB_EEEESM_EEENSO_IJSL_SN_EEENS0_18inequality_wrapperINS9_12CompareFirstEEEPmJSM_EEE10hipError_tPvRmT3_T4_T5_T6_T7_T9_mT8_P12ihipStream_tbDpT10_ENKUlT_T0_E_clISt17integral_constantIbLb1EES1G_EEDaS1B_S1C_EUlS1B_E_NS1_11comp_targetILNS1_3genE4ELNS1_11target_archE910ELNS1_3gpuE8ELNS1_3repE0EEENS1_30default_config_static_selectorELNS0_4arch9wavefront6targetE0EEEvT1_,@function
_ZN7rocprim17ROCPRIM_400000_NS6detail17trampoline_kernelINS0_14default_configENS1_25partition_config_selectorILNS1_17partition_subalgoE9EN6thrust23THRUST_200600_302600_NS4pairIiN12_GLOBAL__N_15EntryEEESA_bEEZZNS1_14partition_implILS5_9ELb0ES3_jNS7_6detail15normal_iteratorINS7_10device_ptrIKSB_EEEENSF_INSG_ISA_EEEEPNS0_10empty_typeENS0_5tupleIJNSF_INSG_ISB_EEEESM_EEENSO_IJSL_SN_EEENS0_18inequality_wrapperINS9_12CompareFirstEEEPmJSM_EEE10hipError_tPvRmT3_T4_T5_T6_T7_T9_mT8_P12ihipStream_tbDpT10_ENKUlT_T0_E_clISt17integral_constantIbLb1EES1G_EEDaS1B_S1C_EUlS1B_E_NS1_11comp_targetILNS1_3genE4ELNS1_11target_archE910ELNS1_3gpuE8ELNS1_3repE0EEENS1_30default_config_static_selectorELNS0_4arch9wavefront6targetE0EEEvT1_: ; @_ZN7rocprim17ROCPRIM_400000_NS6detail17trampoline_kernelINS0_14default_configENS1_25partition_config_selectorILNS1_17partition_subalgoE9EN6thrust23THRUST_200600_302600_NS4pairIiN12_GLOBAL__N_15EntryEEESA_bEEZZNS1_14partition_implILS5_9ELb0ES3_jNS7_6detail15normal_iteratorINS7_10device_ptrIKSB_EEEENSF_INSG_ISA_EEEEPNS0_10empty_typeENS0_5tupleIJNSF_INSG_ISB_EEEESM_EEENSO_IJSL_SN_EEENS0_18inequality_wrapperINS9_12CompareFirstEEEPmJSM_EEE10hipError_tPvRmT3_T4_T5_T6_T7_T9_mT8_P12ihipStream_tbDpT10_ENKUlT_T0_E_clISt17integral_constantIbLb1EES1G_EEDaS1B_S1C_EUlS1B_E_NS1_11comp_targetILNS1_3genE4ELNS1_11target_archE910ELNS1_3gpuE8ELNS1_3repE0EEENS1_30default_config_static_selectorELNS0_4arch9wavefront6targetE0EEEvT1_
; %bb.0:
	.section	.rodata,"a",@progbits
	.p2align	6, 0x0
	.amdhsa_kernel _ZN7rocprim17ROCPRIM_400000_NS6detail17trampoline_kernelINS0_14default_configENS1_25partition_config_selectorILNS1_17partition_subalgoE9EN6thrust23THRUST_200600_302600_NS4pairIiN12_GLOBAL__N_15EntryEEESA_bEEZZNS1_14partition_implILS5_9ELb0ES3_jNS7_6detail15normal_iteratorINS7_10device_ptrIKSB_EEEENSF_INSG_ISA_EEEEPNS0_10empty_typeENS0_5tupleIJNSF_INSG_ISB_EEEESM_EEENSO_IJSL_SN_EEENS0_18inequality_wrapperINS9_12CompareFirstEEEPmJSM_EEE10hipError_tPvRmT3_T4_T5_T6_T7_T9_mT8_P12ihipStream_tbDpT10_ENKUlT_T0_E_clISt17integral_constantIbLb1EES1G_EEDaS1B_S1C_EUlS1B_E_NS1_11comp_targetILNS1_3genE4ELNS1_11target_archE910ELNS1_3gpuE8ELNS1_3repE0EEENS1_30default_config_static_selectorELNS0_4arch9wavefront6targetE0EEEvT1_
		.amdhsa_group_segment_fixed_size 0
		.amdhsa_private_segment_fixed_size 0
		.amdhsa_kernarg_size 128
		.amdhsa_user_sgpr_count 15
		.amdhsa_user_sgpr_dispatch_ptr 0
		.amdhsa_user_sgpr_queue_ptr 0
		.amdhsa_user_sgpr_kernarg_segment_ptr 1
		.amdhsa_user_sgpr_dispatch_id 0
		.amdhsa_user_sgpr_private_segment_size 0
		.amdhsa_wavefront_size32 1
		.amdhsa_uses_dynamic_stack 0
		.amdhsa_enable_private_segment 0
		.amdhsa_system_sgpr_workgroup_id_x 1
		.amdhsa_system_sgpr_workgroup_id_y 0
		.amdhsa_system_sgpr_workgroup_id_z 0
		.amdhsa_system_sgpr_workgroup_info 0
		.amdhsa_system_vgpr_workitem_id 0
		.amdhsa_next_free_vgpr 1
		.amdhsa_next_free_sgpr 1
		.amdhsa_reserve_vcc 0
		.amdhsa_float_round_mode_32 0
		.amdhsa_float_round_mode_16_64 0
		.amdhsa_float_denorm_mode_32 3
		.amdhsa_float_denorm_mode_16_64 3
		.amdhsa_dx10_clamp 1
		.amdhsa_ieee_mode 1
		.amdhsa_fp16_overflow 0
		.amdhsa_workgroup_processor_mode 1
		.amdhsa_memory_ordered 1
		.amdhsa_forward_progress 0
		.amdhsa_shared_vgpr_count 0
		.amdhsa_exception_fp_ieee_invalid_op 0
		.amdhsa_exception_fp_denorm_src 0
		.amdhsa_exception_fp_ieee_div_zero 0
		.amdhsa_exception_fp_ieee_overflow 0
		.amdhsa_exception_fp_ieee_underflow 0
		.amdhsa_exception_fp_ieee_inexact 0
		.amdhsa_exception_int_div_zero 0
	.end_amdhsa_kernel
	.section	.text._ZN7rocprim17ROCPRIM_400000_NS6detail17trampoline_kernelINS0_14default_configENS1_25partition_config_selectorILNS1_17partition_subalgoE9EN6thrust23THRUST_200600_302600_NS4pairIiN12_GLOBAL__N_15EntryEEESA_bEEZZNS1_14partition_implILS5_9ELb0ES3_jNS7_6detail15normal_iteratorINS7_10device_ptrIKSB_EEEENSF_INSG_ISA_EEEEPNS0_10empty_typeENS0_5tupleIJNSF_INSG_ISB_EEEESM_EEENSO_IJSL_SN_EEENS0_18inequality_wrapperINS9_12CompareFirstEEEPmJSM_EEE10hipError_tPvRmT3_T4_T5_T6_T7_T9_mT8_P12ihipStream_tbDpT10_ENKUlT_T0_E_clISt17integral_constantIbLb1EES1G_EEDaS1B_S1C_EUlS1B_E_NS1_11comp_targetILNS1_3genE4ELNS1_11target_archE910ELNS1_3gpuE8ELNS1_3repE0EEENS1_30default_config_static_selectorELNS0_4arch9wavefront6targetE0EEEvT1_,"axG",@progbits,_ZN7rocprim17ROCPRIM_400000_NS6detail17trampoline_kernelINS0_14default_configENS1_25partition_config_selectorILNS1_17partition_subalgoE9EN6thrust23THRUST_200600_302600_NS4pairIiN12_GLOBAL__N_15EntryEEESA_bEEZZNS1_14partition_implILS5_9ELb0ES3_jNS7_6detail15normal_iteratorINS7_10device_ptrIKSB_EEEENSF_INSG_ISA_EEEEPNS0_10empty_typeENS0_5tupleIJNSF_INSG_ISB_EEEESM_EEENSO_IJSL_SN_EEENS0_18inequality_wrapperINS9_12CompareFirstEEEPmJSM_EEE10hipError_tPvRmT3_T4_T5_T6_T7_T9_mT8_P12ihipStream_tbDpT10_ENKUlT_T0_E_clISt17integral_constantIbLb1EES1G_EEDaS1B_S1C_EUlS1B_E_NS1_11comp_targetILNS1_3genE4ELNS1_11target_archE910ELNS1_3gpuE8ELNS1_3repE0EEENS1_30default_config_static_selectorELNS0_4arch9wavefront6targetE0EEEvT1_,comdat
.Lfunc_end1314:
	.size	_ZN7rocprim17ROCPRIM_400000_NS6detail17trampoline_kernelINS0_14default_configENS1_25partition_config_selectorILNS1_17partition_subalgoE9EN6thrust23THRUST_200600_302600_NS4pairIiN12_GLOBAL__N_15EntryEEESA_bEEZZNS1_14partition_implILS5_9ELb0ES3_jNS7_6detail15normal_iteratorINS7_10device_ptrIKSB_EEEENSF_INSG_ISA_EEEEPNS0_10empty_typeENS0_5tupleIJNSF_INSG_ISB_EEEESM_EEENSO_IJSL_SN_EEENS0_18inequality_wrapperINS9_12CompareFirstEEEPmJSM_EEE10hipError_tPvRmT3_T4_T5_T6_T7_T9_mT8_P12ihipStream_tbDpT10_ENKUlT_T0_E_clISt17integral_constantIbLb1EES1G_EEDaS1B_S1C_EUlS1B_E_NS1_11comp_targetILNS1_3genE4ELNS1_11target_archE910ELNS1_3gpuE8ELNS1_3repE0EEENS1_30default_config_static_selectorELNS0_4arch9wavefront6targetE0EEEvT1_, .Lfunc_end1314-_ZN7rocprim17ROCPRIM_400000_NS6detail17trampoline_kernelINS0_14default_configENS1_25partition_config_selectorILNS1_17partition_subalgoE9EN6thrust23THRUST_200600_302600_NS4pairIiN12_GLOBAL__N_15EntryEEESA_bEEZZNS1_14partition_implILS5_9ELb0ES3_jNS7_6detail15normal_iteratorINS7_10device_ptrIKSB_EEEENSF_INSG_ISA_EEEEPNS0_10empty_typeENS0_5tupleIJNSF_INSG_ISB_EEEESM_EEENSO_IJSL_SN_EEENS0_18inequality_wrapperINS9_12CompareFirstEEEPmJSM_EEE10hipError_tPvRmT3_T4_T5_T6_T7_T9_mT8_P12ihipStream_tbDpT10_ENKUlT_T0_E_clISt17integral_constantIbLb1EES1G_EEDaS1B_S1C_EUlS1B_E_NS1_11comp_targetILNS1_3genE4ELNS1_11target_archE910ELNS1_3gpuE8ELNS1_3repE0EEENS1_30default_config_static_selectorELNS0_4arch9wavefront6targetE0EEEvT1_
                                        ; -- End function
	.section	.AMDGPU.csdata,"",@progbits
; Kernel info:
; codeLenInByte = 0
; NumSgprs: 0
; NumVgprs: 0
; ScratchSize: 0
; MemoryBound: 0
; FloatMode: 240
; IeeeMode: 1
; LDSByteSize: 0 bytes/workgroup (compile time only)
; SGPRBlocks: 0
; VGPRBlocks: 0
; NumSGPRsForWavesPerEU: 1
; NumVGPRsForWavesPerEU: 1
; Occupancy: 16
; WaveLimiterHint : 0
; COMPUTE_PGM_RSRC2:SCRATCH_EN: 0
; COMPUTE_PGM_RSRC2:USER_SGPR: 15
; COMPUTE_PGM_RSRC2:TRAP_HANDLER: 0
; COMPUTE_PGM_RSRC2:TGID_X_EN: 1
; COMPUTE_PGM_RSRC2:TGID_Y_EN: 0
; COMPUTE_PGM_RSRC2:TGID_Z_EN: 0
; COMPUTE_PGM_RSRC2:TIDIG_COMP_CNT: 0
	.section	.text._ZN7rocprim17ROCPRIM_400000_NS6detail17trampoline_kernelINS0_14default_configENS1_25partition_config_selectorILNS1_17partition_subalgoE9EN6thrust23THRUST_200600_302600_NS4pairIiN12_GLOBAL__N_15EntryEEESA_bEEZZNS1_14partition_implILS5_9ELb0ES3_jNS7_6detail15normal_iteratorINS7_10device_ptrIKSB_EEEENSF_INSG_ISA_EEEEPNS0_10empty_typeENS0_5tupleIJNSF_INSG_ISB_EEEESM_EEENSO_IJSL_SN_EEENS0_18inequality_wrapperINS9_12CompareFirstEEEPmJSM_EEE10hipError_tPvRmT3_T4_T5_T6_T7_T9_mT8_P12ihipStream_tbDpT10_ENKUlT_T0_E_clISt17integral_constantIbLb1EES1G_EEDaS1B_S1C_EUlS1B_E_NS1_11comp_targetILNS1_3genE3ELNS1_11target_archE908ELNS1_3gpuE7ELNS1_3repE0EEENS1_30default_config_static_selectorELNS0_4arch9wavefront6targetE0EEEvT1_,"axG",@progbits,_ZN7rocprim17ROCPRIM_400000_NS6detail17trampoline_kernelINS0_14default_configENS1_25partition_config_selectorILNS1_17partition_subalgoE9EN6thrust23THRUST_200600_302600_NS4pairIiN12_GLOBAL__N_15EntryEEESA_bEEZZNS1_14partition_implILS5_9ELb0ES3_jNS7_6detail15normal_iteratorINS7_10device_ptrIKSB_EEEENSF_INSG_ISA_EEEEPNS0_10empty_typeENS0_5tupleIJNSF_INSG_ISB_EEEESM_EEENSO_IJSL_SN_EEENS0_18inequality_wrapperINS9_12CompareFirstEEEPmJSM_EEE10hipError_tPvRmT3_T4_T5_T6_T7_T9_mT8_P12ihipStream_tbDpT10_ENKUlT_T0_E_clISt17integral_constantIbLb1EES1G_EEDaS1B_S1C_EUlS1B_E_NS1_11comp_targetILNS1_3genE3ELNS1_11target_archE908ELNS1_3gpuE7ELNS1_3repE0EEENS1_30default_config_static_selectorELNS0_4arch9wavefront6targetE0EEEvT1_,comdat
	.globl	_ZN7rocprim17ROCPRIM_400000_NS6detail17trampoline_kernelINS0_14default_configENS1_25partition_config_selectorILNS1_17partition_subalgoE9EN6thrust23THRUST_200600_302600_NS4pairIiN12_GLOBAL__N_15EntryEEESA_bEEZZNS1_14partition_implILS5_9ELb0ES3_jNS7_6detail15normal_iteratorINS7_10device_ptrIKSB_EEEENSF_INSG_ISA_EEEEPNS0_10empty_typeENS0_5tupleIJNSF_INSG_ISB_EEEESM_EEENSO_IJSL_SN_EEENS0_18inequality_wrapperINS9_12CompareFirstEEEPmJSM_EEE10hipError_tPvRmT3_T4_T5_T6_T7_T9_mT8_P12ihipStream_tbDpT10_ENKUlT_T0_E_clISt17integral_constantIbLb1EES1G_EEDaS1B_S1C_EUlS1B_E_NS1_11comp_targetILNS1_3genE3ELNS1_11target_archE908ELNS1_3gpuE7ELNS1_3repE0EEENS1_30default_config_static_selectorELNS0_4arch9wavefront6targetE0EEEvT1_ ; -- Begin function _ZN7rocprim17ROCPRIM_400000_NS6detail17trampoline_kernelINS0_14default_configENS1_25partition_config_selectorILNS1_17partition_subalgoE9EN6thrust23THRUST_200600_302600_NS4pairIiN12_GLOBAL__N_15EntryEEESA_bEEZZNS1_14partition_implILS5_9ELb0ES3_jNS7_6detail15normal_iteratorINS7_10device_ptrIKSB_EEEENSF_INSG_ISA_EEEEPNS0_10empty_typeENS0_5tupleIJNSF_INSG_ISB_EEEESM_EEENSO_IJSL_SN_EEENS0_18inequality_wrapperINS9_12CompareFirstEEEPmJSM_EEE10hipError_tPvRmT3_T4_T5_T6_T7_T9_mT8_P12ihipStream_tbDpT10_ENKUlT_T0_E_clISt17integral_constantIbLb1EES1G_EEDaS1B_S1C_EUlS1B_E_NS1_11comp_targetILNS1_3genE3ELNS1_11target_archE908ELNS1_3gpuE7ELNS1_3repE0EEENS1_30default_config_static_selectorELNS0_4arch9wavefront6targetE0EEEvT1_
	.p2align	8
	.type	_ZN7rocprim17ROCPRIM_400000_NS6detail17trampoline_kernelINS0_14default_configENS1_25partition_config_selectorILNS1_17partition_subalgoE9EN6thrust23THRUST_200600_302600_NS4pairIiN12_GLOBAL__N_15EntryEEESA_bEEZZNS1_14partition_implILS5_9ELb0ES3_jNS7_6detail15normal_iteratorINS7_10device_ptrIKSB_EEEENSF_INSG_ISA_EEEEPNS0_10empty_typeENS0_5tupleIJNSF_INSG_ISB_EEEESM_EEENSO_IJSL_SN_EEENS0_18inequality_wrapperINS9_12CompareFirstEEEPmJSM_EEE10hipError_tPvRmT3_T4_T5_T6_T7_T9_mT8_P12ihipStream_tbDpT10_ENKUlT_T0_E_clISt17integral_constantIbLb1EES1G_EEDaS1B_S1C_EUlS1B_E_NS1_11comp_targetILNS1_3genE3ELNS1_11target_archE908ELNS1_3gpuE7ELNS1_3repE0EEENS1_30default_config_static_selectorELNS0_4arch9wavefront6targetE0EEEvT1_,@function
_ZN7rocprim17ROCPRIM_400000_NS6detail17trampoline_kernelINS0_14default_configENS1_25partition_config_selectorILNS1_17partition_subalgoE9EN6thrust23THRUST_200600_302600_NS4pairIiN12_GLOBAL__N_15EntryEEESA_bEEZZNS1_14partition_implILS5_9ELb0ES3_jNS7_6detail15normal_iteratorINS7_10device_ptrIKSB_EEEENSF_INSG_ISA_EEEEPNS0_10empty_typeENS0_5tupleIJNSF_INSG_ISB_EEEESM_EEENSO_IJSL_SN_EEENS0_18inequality_wrapperINS9_12CompareFirstEEEPmJSM_EEE10hipError_tPvRmT3_T4_T5_T6_T7_T9_mT8_P12ihipStream_tbDpT10_ENKUlT_T0_E_clISt17integral_constantIbLb1EES1G_EEDaS1B_S1C_EUlS1B_E_NS1_11comp_targetILNS1_3genE3ELNS1_11target_archE908ELNS1_3gpuE7ELNS1_3repE0EEENS1_30default_config_static_selectorELNS0_4arch9wavefront6targetE0EEEvT1_: ; @_ZN7rocprim17ROCPRIM_400000_NS6detail17trampoline_kernelINS0_14default_configENS1_25partition_config_selectorILNS1_17partition_subalgoE9EN6thrust23THRUST_200600_302600_NS4pairIiN12_GLOBAL__N_15EntryEEESA_bEEZZNS1_14partition_implILS5_9ELb0ES3_jNS7_6detail15normal_iteratorINS7_10device_ptrIKSB_EEEENSF_INSG_ISA_EEEEPNS0_10empty_typeENS0_5tupleIJNSF_INSG_ISB_EEEESM_EEENSO_IJSL_SN_EEENS0_18inequality_wrapperINS9_12CompareFirstEEEPmJSM_EEE10hipError_tPvRmT3_T4_T5_T6_T7_T9_mT8_P12ihipStream_tbDpT10_ENKUlT_T0_E_clISt17integral_constantIbLb1EES1G_EEDaS1B_S1C_EUlS1B_E_NS1_11comp_targetILNS1_3genE3ELNS1_11target_archE908ELNS1_3gpuE7ELNS1_3repE0EEENS1_30default_config_static_selectorELNS0_4arch9wavefront6targetE0EEEvT1_
; %bb.0:
	.section	.rodata,"a",@progbits
	.p2align	6, 0x0
	.amdhsa_kernel _ZN7rocprim17ROCPRIM_400000_NS6detail17trampoline_kernelINS0_14default_configENS1_25partition_config_selectorILNS1_17partition_subalgoE9EN6thrust23THRUST_200600_302600_NS4pairIiN12_GLOBAL__N_15EntryEEESA_bEEZZNS1_14partition_implILS5_9ELb0ES3_jNS7_6detail15normal_iteratorINS7_10device_ptrIKSB_EEEENSF_INSG_ISA_EEEEPNS0_10empty_typeENS0_5tupleIJNSF_INSG_ISB_EEEESM_EEENSO_IJSL_SN_EEENS0_18inequality_wrapperINS9_12CompareFirstEEEPmJSM_EEE10hipError_tPvRmT3_T4_T5_T6_T7_T9_mT8_P12ihipStream_tbDpT10_ENKUlT_T0_E_clISt17integral_constantIbLb1EES1G_EEDaS1B_S1C_EUlS1B_E_NS1_11comp_targetILNS1_3genE3ELNS1_11target_archE908ELNS1_3gpuE7ELNS1_3repE0EEENS1_30default_config_static_selectorELNS0_4arch9wavefront6targetE0EEEvT1_
		.amdhsa_group_segment_fixed_size 0
		.amdhsa_private_segment_fixed_size 0
		.amdhsa_kernarg_size 128
		.amdhsa_user_sgpr_count 15
		.amdhsa_user_sgpr_dispatch_ptr 0
		.amdhsa_user_sgpr_queue_ptr 0
		.amdhsa_user_sgpr_kernarg_segment_ptr 1
		.amdhsa_user_sgpr_dispatch_id 0
		.amdhsa_user_sgpr_private_segment_size 0
		.amdhsa_wavefront_size32 1
		.amdhsa_uses_dynamic_stack 0
		.amdhsa_enable_private_segment 0
		.amdhsa_system_sgpr_workgroup_id_x 1
		.amdhsa_system_sgpr_workgroup_id_y 0
		.amdhsa_system_sgpr_workgroup_id_z 0
		.amdhsa_system_sgpr_workgroup_info 0
		.amdhsa_system_vgpr_workitem_id 0
		.amdhsa_next_free_vgpr 1
		.amdhsa_next_free_sgpr 1
		.amdhsa_reserve_vcc 0
		.amdhsa_float_round_mode_32 0
		.amdhsa_float_round_mode_16_64 0
		.amdhsa_float_denorm_mode_32 3
		.amdhsa_float_denorm_mode_16_64 3
		.amdhsa_dx10_clamp 1
		.amdhsa_ieee_mode 1
		.amdhsa_fp16_overflow 0
		.amdhsa_workgroup_processor_mode 1
		.amdhsa_memory_ordered 1
		.amdhsa_forward_progress 0
		.amdhsa_shared_vgpr_count 0
		.amdhsa_exception_fp_ieee_invalid_op 0
		.amdhsa_exception_fp_denorm_src 0
		.amdhsa_exception_fp_ieee_div_zero 0
		.amdhsa_exception_fp_ieee_overflow 0
		.amdhsa_exception_fp_ieee_underflow 0
		.amdhsa_exception_fp_ieee_inexact 0
		.amdhsa_exception_int_div_zero 0
	.end_amdhsa_kernel
	.section	.text._ZN7rocprim17ROCPRIM_400000_NS6detail17trampoline_kernelINS0_14default_configENS1_25partition_config_selectorILNS1_17partition_subalgoE9EN6thrust23THRUST_200600_302600_NS4pairIiN12_GLOBAL__N_15EntryEEESA_bEEZZNS1_14partition_implILS5_9ELb0ES3_jNS7_6detail15normal_iteratorINS7_10device_ptrIKSB_EEEENSF_INSG_ISA_EEEEPNS0_10empty_typeENS0_5tupleIJNSF_INSG_ISB_EEEESM_EEENSO_IJSL_SN_EEENS0_18inequality_wrapperINS9_12CompareFirstEEEPmJSM_EEE10hipError_tPvRmT3_T4_T5_T6_T7_T9_mT8_P12ihipStream_tbDpT10_ENKUlT_T0_E_clISt17integral_constantIbLb1EES1G_EEDaS1B_S1C_EUlS1B_E_NS1_11comp_targetILNS1_3genE3ELNS1_11target_archE908ELNS1_3gpuE7ELNS1_3repE0EEENS1_30default_config_static_selectorELNS0_4arch9wavefront6targetE0EEEvT1_,"axG",@progbits,_ZN7rocprim17ROCPRIM_400000_NS6detail17trampoline_kernelINS0_14default_configENS1_25partition_config_selectorILNS1_17partition_subalgoE9EN6thrust23THRUST_200600_302600_NS4pairIiN12_GLOBAL__N_15EntryEEESA_bEEZZNS1_14partition_implILS5_9ELb0ES3_jNS7_6detail15normal_iteratorINS7_10device_ptrIKSB_EEEENSF_INSG_ISA_EEEEPNS0_10empty_typeENS0_5tupleIJNSF_INSG_ISB_EEEESM_EEENSO_IJSL_SN_EEENS0_18inequality_wrapperINS9_12CompareFirstEEEPmJSM_EEE10hipError_tPvRmT3_T4_T5_T6_T7_T9_mT8_P12ihipStream_tbDpT10_ENKUlT_T0_E_clISt17integral_constantIbLb1EES1G_EEDaS1B_S1C_EUlS1B_E_NS1_11comp_targetILNS1_3genE3ELNS1_11target_archE908ELNS1_3gpuE7ELNS1_3repE0EEENS1_30default_config_static_selectorELNS0_4arch9wavefront6targetE0EEEvT1_,comdat
.Lfunc_end1315:
	.size	_ZN7rocprim17ROCPRIM_400000_NS6detail17trampoline_kernelINS0_14default_configENS1_25partition_config_selectorILNS1_17partition_subalgoE9EN6thrust23THRUST_200600_302600_NS4pairIiN12_GLOBAL__N_15EntryEEESA_bEEZZNS1_14partition_implILS5_9ELb0ES3_jNS7_6detail15normal_iteratorINS7_10device_ptrIKSB_EEEENSF_INSG_ISA_EEEEPNS0_10empty_typeENS0_5tupleIJNSF_INSG_ISB_EEEESM_EEENSO_IJSL_SN_EEENS0_18inequality_wrapperINS9_12CompareFirstEEEPmJSM_EEE10hipError_tPvRmT3_T4_T5_T6_T7_T9_mT8_P12ihipStream_tbDpT10_ENKUlT_T0_E_clISt17integral_constantIbLb1EES1G_EEDaS1B_S1C_EUlS1B_E_NS1_11comp_targetILNS1_3genE3ELNS1_11target_archE908ELNS1_3gpuE7ELNS1_3repE0EEENS1_30default_config_static_selectorELNS0_4arch9wavefront6targetE0EEEvT1_, .Lfunc_end1315-_ZN7rocprim17ROCPRIM_400000_NS6detail17trampoline_kernelINS0_14default_configENS1_25partition_config_selectorILNS1_17partition_subalgoE9EN6thrust23THRUST_200600_302600_NS4pairIiN12_GLOBAL__N_15EntryEEESA_bEEZZNS1_14partition_implILS5_9ELb0ES3_jNS7_6detail15normal_iteratorINS7_10device_ptrIKSB_EEEENSF_INSG_ISA_EEEEPNS0_10empty_typeENS0_5tupleIJNSF_INSG_ISB_EEEESM_EEENSO_IJSL_SN_EEENS0_18inequality_wrapperINS9_12CompareFirstEEEPmJSM_EEE10hipError_tPvRmT3_T4_T5_T6_T7_T9_mT8_P12ihipStream_tbDpT10_ENKUlT_T0_E_clISt17integral_constantIbLb1EES1G_EEDaS1B_S1C_EUlS1B_E_NS1_11comp_targetILNS1_3genE3ELNS1_11target_archE908ELNS1_3gpuE7ELNS1_3repE0EEENS1_30default_config_static_selectorELNS0_4arch9wavefront6targetE0EEEvT1_
                                        ; -- End function
	.section	.AMDGPU.csdata,"",@progbits
; Kernel info:
; codeLenInByte = 0
; NumSgprs: 0
; NumVgprs: 0
; ScratchSize: 0
; MemoryBound: 0
; FloatMode: 240
; IeeeMode: 1
; LDSByteSize: 0 bytes/workgroup (compile time only)
; SGPRBlocks: 0
; VGPRBlocks: 0
; NumSGPRsForWavesPerEU: 1
; NumVGPRsForWavesPerEU: 1
; Occupancy: 15
; WaveLimiterHint : 0
; COMPUTE_PGM_RSRC2:SCRATCH_EN: 0
; COMPUTE_PGM_RSRC2:USER_SGPR: 15
; COMPUTE_PGM_RSRC2:TRAP_HANDLER: 0
; COMPUTE_PGM_RSRC2:TGID_X_EN: 1
; COMPUTE_PGM_RSRC2:TGID_Y_EN: 0
; COMPUTE_PGM_RSRC2:TGID_Z_EN: 0
; COMPUTE_PGM_RSRC2:TIDIG_COMP_CNT: 0
	.section	.text._ZN7rocprim17ROCPRIM_400000_NS6detail17trampoline_kernelINS0_14default_configENS1_25partition_config_selectorILNS1_17partition_subalgoE9EN6thrust23THRUST_200600_302600_NS4pairIiN12_GLOBAL__N_15EntryEEESA_bEEZZNS1_14partition_implILS5_9ELb0ES3_jNS7_6detail15normal_iteratorINS7_10device_ptrIKSB_EEEENSF_INSG_ISA_EEEEPNS0_10empty_typeENS0_5tupleIJNSF_INSG_ISB_EEEESM_EEENSO_IJSL_SN_EEENS0_18inequality_wrapperINS9_12CompareFirstEEEPmJSM_EEE10hipError_tPvRmT3_T4_T5_T6_T7_T9_mT8_P12ihipStream_tbDpT10_ENKUlT_T0_E_clISt17integral_constantIbLb1EES1G_EEDaS1B_S1C_EUlS1B_E_NS1_11comp_targetILNS1_3genE2ELNS1_11target_archE906ELNS1_3gpuE6ELNS1_3repE0EEENS1_30default_config_static_selectorELNS0_4arch9wavefront6targetE0EEEvT1_,"axG",@progbits,_ZN7rocprim17ROCPRIM_400000_NS6detail17trampoline_kernelINS0_14default_configENS1_25partition_config_selectorILNS1_17partition_subalgoE9EN6thrust23THRUST_200600_302600_NS4pairIiN12_GLOBAL__N_15EntryEEESA_bEEZZNS1_14partition_implILS5_9ELb0ES3_jNS7_6detail15normal_iteratorINS7_10device_ptrIKSB_EEEENSF_INSG_ISA_EEEEPNS0_10empty_typeENS0_5tupleIJNSF_INSG_ISB_EEEESM_EEENSO_IJSL_SN_EEENS0_18inequality_wrapperINS9_12CompareFirstEEEPmJSM_EEE10hipError_tPvRmT3_T4_T5_T6_T7_T9_mT8_P12ihipStream_tbDpT10_ENKUlT_T0_E_clISt17integral_constantIbLb1EES1G_EEDaS1B_S1C_EUlS1B_E_NS1_11comp_targetILNS1_3genE2ELNS1_11target_archE906ELNS1_3gpuE6ELNS1_3repE0EEENS1_30default_config_static_selectorELNS0_4arch9wavefront6targetE0EEEvT1_,comdat
	.globl	_ZN7rocprim17ROCPRIM_400000_NS6detail17trampoline_kernelINS0_14default_configENS1_25partition_config_selectorILNS1_17partition_subalgoE9EN6thrust23THRUST_200600_302600_NS4pairIiN12_GLOBAL__N_15EntryEEESA_bEEZZNS1_14partition_implILS5_9ELb0ES3_jNS7_6detail15normal_iteratorINS7_10device_ptrIKSB_EEEENSF_INSG_ISA_EEEEPNS0_10empty_typeENS0_5tupleIJNSF_INSG_ISB_EEEESM_EEENSO_IJSL_SN_EEENS0_18inequality_wrapperINS9_12CompareFirstEEEPmJSM_EEE10hipError_tPvRmT3_T4_T5_T6_T7_T9_mT8_P12ihipStream_tbDpT10_ENKUlT_T0_E_clISt17integral_constantIbLb1EES1G_EEDaS1B_S1C_EUlS1B_E_NS1_11comp_targetILNS1_3genE2ELNS1_11target_archE906ELNS1_3gpuE6ELNS1_3repE0EEENS1_30default_config_static_selectorELNS0_4arch9wavefront6targetE0EEEvT1_ ; -- Begin function _ZN7rocprim17ROCPRIM_400000_NS6detail17trampoline_kernelINS0_14default_configENS1_25partition_config_selectorILNS1_17partition_subalgoE9EN6thrust23THRUST_200600_302600_NS4pairIiN12_GLOBAL__N_15EntryEEESA_bEEZZNS1_14partition_implILS5_9ELb0ES3_jNS7_6detail15normal_iteratorINS7_10device_ptrIKSB_EEEENSF_INSG_ISA_EEEEPNS0_10empty_typeENS0_5tupleIJNSF_INSG_ISB_EEEESM_EEENSO_IJSL_SN_EEENS0_18inequality_wrapperINS9_12CompareFirstEEEPmJSM_EEE10hipError_tPvRmT3_T4_T5_T6_T7_T9_mT8_P12ihipStream_tbDpT10_ENKUlT_T0_E_clISt17integral_constantIbLb1EES1G_EEDaS1B_S1C_EUlS1B_E_NS1_11comp_targetILNS1_3genE2ELNS1_11target_archE906ELNS1_3gpuE6ELNS1_3repE0EEENS1_30default_config_static_selectorELNS0_4arch9wavefront6targetE0EEEvT1_
	.p2align	8
	.type	_ZN7rocprim17ROCPRIM_400000_NS6detail17trampoline_kernelINS0_14default_configENS1_25partition_config_selectorILNS1_17partition_subalgoE9EN6thrust23THRUST_200600_302600_NS4pairIiN12_GLOBAL__N_15EntryEEESA_bEEZZNS1_14partition_implILS5_9ELb0ES3_jNS7_6detail15normal_iteratorINS7_10device_ptrIKSB_EEEENSF_INSG_ISA_EEEEPNS0_10empty_typeENS0_5tupleIJNSF_INSG_ISB_EEEESM_EEENSO_IJSL_SN_EEENS0_18inequality_wrapperINS9_12CompareFirstEEEPmJSM_EEE10hipError_tPvRmT3_T4_T5_T6_T7_T9_mT8_P12ihipStream_tbDpT10_ENKUlT_T0_E_clISt17integral_constantIbLb1EES1G_EEDaS1B_S1C_EUlS1B_E_NS1_11comp_targetILNS1_3genE2ELNS1_11target_archE906ELNS1_3gpuE6ELNS1_3repE0EEENS1_30default_config_static_selectorELNS0_4arch9wavefront6targetE0EEEvT1_,@function
_ZN7rocprim17ROCPRIM_400000_NS6detail17trampoline_kernelINS0_14default_configENS1_25partition_config_selectorILNS1_17partition_subalgoE9EN6thrust23THRUST_200600_302600_NS4pairIiN12_GLOBAL__N_15EntryEEESA_bEEZZNS1_14partition_implILS5_9ELb0ES3_jNS7_6detail15normal_iteratorINS7_10device_ptrIKSB_EEEENSF_INSG_ISA_EEEEPNS0_10empty_typeENS0_5tupleIJNSF_INSG_ISB_EEEESM_EEENSO_IJSL_SN_EEENS0_18inequality_wrapperINS9_12CompareFirstEEEPmJSM_EEE10hipError_tPvRmT3_T4_T5_T6_T7_T9_mT8_P12ihipStream_tbDpT10_ENKUlT_T0_E_clISt17integral_constantIbLb1EES1G_EEDaS1B_S1C_EUlS1B_E_NS1_11comp_targetILNS1_3genE2ELNS1_11target_archE906ELNS1_3gpuE6ELNS1_3repE0EEENS1_30default_config_static_selectorELNS0_4arch9wavefront6targetE0EEEvT1_: ; @_ZN7rocprim17ROCPRIM_400000_NS6detail17trampoline_kernelINS0_14default_configENS1_25partition_config_selectorILNS1_17partition_subalgoE9EN6thrust23THRUST_200600_302600_NS4pairIiN12_GLOBAL__N_15EntryEEESA_bEEZZNS1_14partition_implILS5_9ELb0ES3_jNS7_6detail15normal_iteratorINS7_10device_ptrIKSB_EEEENSF_INSG_ISA_EEEEPNS0_10empty_typeENS0_5tupleIJNSF_INSG_ISB_EEEESM_EEENSO_IJSL_SN_EEENS0_18inequality_wrapperINS9_12CompareFirstEEEPmJSM_EEE10hipError_tPvRmT3_T4_T5_T6_T7_T9_mT8_P12ihipStream_tbDpT10_ENKUlT_T0_E_clISt17integral_constantIbLb1EES1G_EEDaS1B_S1C_EUlS1B_E_NS1_11comp_targetILNS1_3genE2ELNS1_11target_archE906ELNS1_3gpuE6ELNS1_3repE0EEENS1_30default_config_static_selectorELNS0_4arch9wavefront6targetE0EEEvT1_
; %bb.0:
	.section	.rodata,"a",@progbits
	.p2align	6, 0x0
	.amdhsa_kernel _ZN7rocprim17ROCPRIM_400000_NS6detail17trampoline_kernelINS0_14default_configENS1_25partition_config_selectorILNS1_17partition_subalgoE9EN6thrust23THRUST_200600_302600_NS4pairIiN12_GLOBAL__N_15EntryEEESA_bEEZZNS1_14partition_implILS5_9ELb0ES3_jNS7_6detail15normal_iteratorINS7_10device_ptrIKSB_EEEENSF_INSG_ISA_EEEEPNS0_10empty_typeENS0_5tupleIJNSF_INSG_ISB_EEEESM_EEENSO_IJSL_SN_EEENS0_18inequality_wrapperINS9_12CompareFirstEEEPmJSM_EEE10hipError_tPvRmT3_T4_T5_T6_T7_T9_mT8_P12ihipStream_tbDpT10_ENKUlT_T0_E_clISt17integral_constantIbLb1EES1G_EEDaS1B_S1C_EUlS1B_E_NS1_11comp_targetILNS1_3genE2ELNS1_11target_archE906ELNS1_3gpuE6ELNS1_3repE0EEENS1_30default_config_static_selectorELNS0_4arch9wavefront6targetE0EEEvT1_
		.amdhsa_group_segment_fixed_size 0
		.amdhsa_private_segment_fixed_size 0
		.amdhsa_kernarg_size 128
		.amdhsa_user_sgpr_count 15
		.amdhsa_user_sgpr_dispatch_ptr 0
		.amdhsa_user_sgpr_queue_ptr 0
		.amdhsa_user_sgpr_kernarg_segment_ptr 1
		.amdhsa_user_sgpr_dispatch_id 0
		.amdhsa_user_sgpr_private_segment_size 0
		.amdhsa_wavefront_size32 1
		.amdhsa_uses_dynamic_stack 0
		.amdhsa_enable_private_segment 0
		.amdhsa_system_sgpr_workgroup_id_x 1
		.amdhsa_system_sgpr_workgroup_id_y 0
		.amdhsa_system_sgpr_workgroup_id_z 0
		.amdhsa_system_sgpr_workgroup_info 0
		.amdhsa_system_vgpr_workitem_id 0
		.amdhsa_next_free_vgpr 1
		.amdhsa_next_free_sgpr 1
		.amdhsa_reserve_vcc 0
		.amdhsa_float_round_mode_32 0
		.amdhsa_float_round_mode_16_64 0
		.amdhsa_float_denorm_mode_32 3
		.amdhsa_float_denorm_mode_16_64 3
		.amdhsa_dx10_clamp 1
		.amdhsa_ieee_mode 1
		.amdhsa_fp16_overflow 0
		.amdhsa_workgroup_processor_mode 1
		.amdhsa_memory_ordered 1
		.amdhsa_forward_progress 0
		.amdhsa_shared_vgpr_count 0
		.amdhsa_exception_fp_ieee_invalid_op 0
		.amdhsa_exception_fp_denorm_src 0
		.amdhsa_exception_fp_ieee_div_zero 0
		.amdhsa_exception_fp_ieee_overflow 0
		.amdhsa_exception_fp_ieee_underflow 0
		.amdhsa_exception_fp_ieee_inexact 0
		.amdhsa_exception_int_div_zero 0
	.end_amdhsa_kernel
	.section	.text._ZN7rocprim17ROCPRIM_400000_NS6detail17trampoline_kernelINS0_14default_configENS1_25partition_config_selectorILNS1_17partition_subalgoE9EN6thrust23THRUST_200600_302600_NS4pairIiN12_GLOBAL__N_15EntryEEESA_bEEZZNS1_14partition_implILS5_9ELb0ES3_jNS7_6detail15normal_iteratorINS7_10device_ptrIKSB_EEEENSF_INSG_ISA_EEEEPNS0_10empty_typeENS0_5tupleIJNSF_INSG_ISB_EEEESM_EEENSO_IJSL_SN_EEENS0_18inequality_wrapperINS9_12CompareFirstEEEPmJSM_EEE10hipError_tPvRmT3_T4_T5_T6_T7_T9_mT8_P12ihipStream_tbDpT10_ENKUlT_T0_E_clISt17integral_constantIbLb1EES1G_EEDaS1B_S1C_EUlS1B_E_NS1_11comp_targetILNS1_3genE2ELNS1_11target_archE906ELNS1_3gpuE6ELNS1_3repE0EEENS1_30default_config_static_selectorELNS0_4arch9wavefront6targetE0EEEvT1_,"axG",@progbits,_ZN7rocprim17ROCPRIM_400000_NS6detail17trampoline_kernelINS0_14default_configENS1_25partition_config_selectorILNS1_17partition_subalgoE9EN6thrust23THRUST_200600_302600_NS4pairIiN12_GLOBAL__N_15EntryEEESA_bEEZZNS1_14partition_implILS5_9ELb0ES3_jNS7_6detail15normal_iteratorINS7_10device_ptrIKSB_EEEENSF_INSG_ISA_EEEEPNS0_10empty_typeENS0_5tupleIJNSF_INSG_ISB_EEEESM_EEENSO_IJSL_SN_EEENS0_18inequality_wrapperINS9_12CompareFirstEEEPmJSM_EEE10hipError_tPvRmT3_T4_T5_T6_T7_T9_mT8_P12ihipStream_tbDpT10_ENKUlT_T0_E_clISt17integral_constantIbLb1EES1G_EEDaS1B_S1C_EUlS1B_E_NS1_11comp_targetILNS1_3genE2ELNS1_11target_archE906ELNS1_3gpuE6ELNS1_3repE0EEENS1_30default_config_static_selectorELNS0_4arch9wavefront6targetE0EEEvT1_,comdat
.Lfunc_end1316:
	.size	_ZN7rocprim17ROCPRIM_400000_NS6detail17trampoline_kernelINS0_14default_configENS1_25partition_config_selectorILNS1_17partition_subalgoE9EN6thrust23THRUST_200600_302600_NS4pairIiN12_GLOBAL__N_15EntryEEESA_bEEZZNS1_14partition_implILS5_9ELb0ES3_jNS7_6detail15normal_iteratorINS7_10device_ptrIKSB_EEEENSF_INSG_ISA_EEEEPNS0_10empty_typeENS0_5tupleIJNSF_INSG_ISB_EEEESM_EEENSO_IJSL_SN_EEENS0_18inequality_wrapperINS9_12CompareFirstEEEPmJSM_EEE10hipError_tPvRmT3_T4_T5_T6_T7_T9_mT8_P12ihipStream_tbDpT10_ENKUlT_T0_E_clISt17integral_constantIbLb1EES1G_EEDaS1B_S1C_EUlS1B_E_NS1_11comp_targetILNS1_3genE2ELNS1_11target_archE906ELNS1_3gpuE6ELNS1_3repE0EEENS1_30default_config_static_selectorELNS0_4arch9wavefront6targetE0EEEvT1_, .Lfunc_end1316-_ZN7rocprim17ROCPRIM_400000_NS6detail17trampoline_kernelINS0_14default_configENS1_25partition_config_selectorILNS1_17partition_subalgoE9EN6thrust23THRUST_200600_302600_NS4pairIiN12_GLOBAL__N_15EntryEEESA_bEEZZNS1_14partition_implILS5_9ELb0ES3_jNS7_6detail15normal_iteratorINS7_10device_ptrIKSB_EEEENSF_INSG_ISA_EEEEPNS0_10empty_typeENS0_5tupleIJNSF_INSG_ISB_EEEESM_EEENSO_IJSL_SN_EEENS0_18inequality_wrapperINS9_12CompareFirstEEEPmJSM_EEE10hipError_tPvRmT3_T4_T5_T6_T7_T9_mT8_P12ihipStream_tbDpT10_ENKUlT_T0_E_clISt17integral_constantIbLb1EES1G_EEDaS1B_S1C_EUlS1B_E_NS1_11comp_targetILNS1_3genE2ELNS1_11target_archE906ELNS1_3gpuE6ELNS1_3repE0EEENS1_30default_config_static_selectorELNS0_4arch9wavefront6targetE0EEEvT1_
                                        ; -- End function
	.section	.AMDGPU.csdata,"",@progbits
; Kernel info:
; codeLenInByte = 0
; NumSgprs: 0
; NumVgprs: 0
; ScratchSize: 0
; MemoryBound: 0
; FloatMode: 240
; IeeeMode: 1
; LDSByteSize: 0 bytes/workgroup (compile time only)
; SGPRBlocks: 0
; VGPRBlocks: 0
; NumSGPRsForWavesPerEU: 1
; NumVGPRsForWavesPerEU: 1
; Occupancy: 15
; WaveLimiterHint : 0
; COMPUTE_PGM_RSRC2:SCRATCH_EN: 0
; COMPUTE_PGM_RSRC2:USER_SGPR: 15
; COMPUTE_PGM_RSRC2:TRAP_HANDLER: 0
; COMPUTE_PGM_RSRC2:TGID_X_EN: 1
; COMPUTE_PGM_RSRC2:TGID_Y_EN: 0
; COMPUTE_PGM_RSRC2:TGID_Z_EN: 0
; COMPUTE_PGM_RSRC2:TIDIG_COMP_CNT: 0
	.section	.text._ZN7rocprim17ROCPRIM_400000_NS6detail17trampoline_kernelINS0_14default_configENS1_25partition_config_selectorILNS1_17partition_subalgoE9EN6thrust23THRUST_200600_302600_NS4pairIiN12_GLOBAL__N_15EntryEEESA_bEEZZNS1_14partition_implILS5_9ELb0ES3_jNS7_6detail15normal_iteratorINS7_10device_ptrIKSB_EEEENSF_INSG_ISA_EEEEPNS0_10empty_typeENS0_5tupleIJNSF_INSG_ISB_EEEESM_EEENSO_IJSL_SN_EEENS0_18inequality_wrapperINS9_12CompareFirstEEEPmJSM_EEE10hipError_tPvRmT3_T4_T5_T6_T7_T9_mT8_P12ihipStream_tbDpT10_ENKUlT_T0_E_clISt17integral_constantIbLb1EES1G_EEDaS1B_S1C_EUlS1B_E_NS1_11comp_targetILNS1_3genE10ELNS1_11target_archE1200ELNS1_3gpuE4ELNS1_3repE0EEENS1_30default_config_static_selectorELNS0_4arch9wavefront6targetE0EEEvT1_,"axG",@progbits,_ZN7rocprim17ROCPRIM_400000_NS6detail17trampoline_kernelINS0_14default_configENS1_25partition_config_selectorILNS1_17partition_subalgoE9EN6thrust23THRUST_200600_302600_NS4pairIiN12_GLOBAL__N_15EntryEEESA_bEEZZNS1_14partition_implILS5_9ELb0ES3_jNS7_6detail15normal_iteratorINS7_10device_ptrIKSB_EEEENSF_INSG_ISA_EEEEPNS0_10empty_typeENS0_5tupleIJNSF_INSG_ISB_EEEESM_EEENSO_IJSL_SN_EEENS0_18inequality_wrapperINS9_12CompareFirstEEEPmJSM_EEE10hipError_tPvRmT3_T4_T5_T6_T7_T9_mT8_P12ihipStream_tbDpT10_ENKUlT_T0_E_clISt17integral_constantIbLb1EES1G_EEDaS1B_S1C_EUlS1B_E_NS1_11comp_targetILNS1_3genE10ELNS1_11target_archE1200ELNS1_3gpuE4ELNS1_3repE0EEENS1_30default_config_static_selectorELNS0_4arch9wavefront6targetE0EEEvT1_,comdat
	.globl	_ZN7rocprim17ROCPRIM_400000_NS6detail17trampoline_kernelINS0_14default_configENS1_25partition_config_selectorILNS1_17partition_subalgoE9EN6thrust23THRUST_200600_302600_NS4pairIiN12_GLOBAL__N_15EntryEEESA_bEEZZNS1_14partition_implILS5_9ELb0ES3_jNS7_6detail15normal_iteratorINS7_10device_ptrIKSB_EEEENSF_INSG_ISA_EEEEPNS0_10empty_typeENS0_5tupleIJNSF_INSG_ISB_EEEESM_EEENSO_IJSL_SN_EEENS0_18inequality_wrapperINS9_12CompareFirstEEEPmJSM_EEE10hipError_tPvRmT3_T4_T5_T6_T7_T9_mT8_P12ihipStream_tbDpT10_ENKUlT_T0_E_clISt17integral_constantIbLb1EES1G_EEDaS1B_S1C_EUlS1B_E_NS1_11comp_targetILNS1_3genE10ELNS1_11target_archE1200ELNS1_3gpuE4ELNS1_3repE0EEENS1_30default_config_static_selectorELNS0_4arch9wavefront6targetE0EEEvT1_ ; -- Begin function _ZN7rocprim17ROCPRIM_400000_NS6detail17trampoline_kernelINS0_14default_configENS1_25partition_config_selectorILNS1_17partition_subalgoE9EN6thrust23THRUST_200600_302600_NS4pairIiN12_GLOBAL__N_15EntryEEESA_bEEZZNS1_14partition_implILS5_9ELb0ES3_jNS7_6detail15normal_iteratorINS7_10device_ptrIKSB_EEEENSF_INSG_ISA_EEEEPNS0_10empty_typeENS0_5tupleIJNSF_INSG_ISB_EEEESM_EEENSO_IJSL_SN_EEENS0_18inequality_wrapperINS9_12CompareFirstEEEPmJSM_EEE10hipError_tPvRmT3_T4_T5_T6_T7_T9_mT8_P12ihipStream_tbDpT10_ENKUlT_T0_E_clISt17integral_constantIbLb1EES1G_EEDaS1B_S1C_EUlS1B_E_NS1_11comp_targetILNS1_3genE10ELNS1_11target_archE1200ELNS1_3gpuE4ELNS1_3repE0EEENS1_30default_config_static_selectorELNS0_4arch9wavefront6targetE0EEEvT1_
	.p2align	8
	.type	_ZN7rocprim17ROCPRIM_400000_NS6detail17trampoline_kernelINS0_14default_configENS1_25partition_config_selectorILNS1_17partition_subalgoE9EN6thrust23THRUST_200600_302600_NS4pairIiN12_GLOBAL__N_15EntryEEESA_bEEZZNS1_14partition_implILS5_9ELb0ES3_jNS7_6detail15normal_iteratorINS7_10device_ptrIKSB_EEEENSF_INSG_ISA_EEEEPNS0_10empty_typeENS0_5tupleIJNSF_INSG_ISB_EEEESM_EEENSO_IJSL_SN_EEENS0_18inequality_wrapperINS9_12CompareFirstEEEPmJSM_EEE10hipError_tPvRmT3_T4_T5_T6_T7_T9_mT8_P12ihipStream_tbDpT10_ENKUlT_T0_E_clISt17integral_constantIbLb1EES1G_EEDaS1B_S1C_EUlS1B_E_NS1_11comp_targetILNS1_3genE10ELNS1_11target_archE1200ELNS1_3gpuE4ELNS1_3repE0EEENS1_30default_config_static_selectorELNS0_4arch9wavefront6targetE0EEEvT1_,@function
_ZN7rocprim17ROCPRIM_400000_NS6detail17trampoline_kernelINS0_14default_configENS1_25partition_config_selectorILNS1_17partition_subalgoE9EN6thrust23THRUST_200600_302600_NS4pairIiN12_GLOBAL__N_15EntryEEESA_bEEZZNS1_14partition_implILS5_9ELb0ES3_jNS7_6detail15normal_iteratorINS7_10device_ptrIKSB_EEEENSF_INSG_ISA_EEEEPNS0_10empty_typeENS0_5tupleIJNSF_INSG_ISB_EEEESM_EEENSO_IJSL_SN_EEENS0_18inequality_wrapperINS9_12CompareFirstEEEPmJSM_EEE10hipError_tPvRmT3_T4_T5_T6_T7_T9_mT8_P12ihipStream_tbDpT10_ENKUlT_T0_E_clISt17integral_constantIbLb1EES1G_EEDaS1B_S1C_EUlS1B_E_NS1_11comp_targetILNS1_3genE10ELNS1_11target_archE1200ELNS1_3gpuE4ELNS1_3repE0EEENS1_30default_config_static_selectorELNS0_4arch9wavefront6targetE0EEEvT1_: ; @_ZN7rocprim17ROCPRIM_400000_NS6detail17trampoline_kernelINS0_14default_configENS1_25partition_config_selectorILNS1_17partition_subalgoE9EN6thrust23THRUST_200600_302600_NS4pairIiN12_GLOBAL__N_15EntryEEESA_bEEZZNS1_14partition_implILS5_9ELb0ES3_jNS7_6detail15normal_iteratorINS7_10device_ptrIKSB_EEEENSF_INSG_ISA_EEEEPNS0_10empty_typeENS0_5tupleIJNSF_INSG_ISB_EEEESM_EEENSO_IJSL_SN_EEENS0_18inequality_wrapperINS9_12CompareFirstEEEPmJSM_EEE10hipError_tPvRmT3_T4_T5_T6_T7_T9_mT8_P12ihipStream_tbDpT10_ENKUlT_T0_E_clISt17integral_constantIbLb1EES1G_EEDaS1B_S1C_EUlS1B_E_NS1_11comp_targetILNS1_3genE10ELNS1_11target_archE1200ELNS1_3gpuE4ELNS1_3repE0EEENS1_30default_config_static_selectorELNS0_4arch9wavefront6targetE0EEEvT1_
; %bb.0:
	.section	.rodata,"a",@progbits
	.p2align	6, 0x0
	.amdhsa_kernel _ZN7rocprim17ROCPRIM_400000_NS6detail17trampoline_kernelINS0_14default_configENS1_25partition_config_selectorILNS1_17partition_subalgoE9EN6thrust23THRUST_200600_302600_NS4pairIiN12_GLOBAL__N_15EntryEEESA_bEEZZNS1_14partition_implILS5_9ELb0ES3_jNS7_6detail15normal_iteratorINS7_10device_ptrIKSB_EEEENSF_INSG_ISA_EEEEPNS0_10empty_typeENS0_5tupleIJNSF_INSG_ISB_EEEESM_EEENSO_IJSL_SN_EEENS0_18inequality_wrapperINS9_12CompareFirstEEEPmJSM_EEE10hipError_tPvRmT3_T4_T5_T6_T7_T9_mT8_P12ihipStream_tbDpT10_ENKUlT_T0_E_clISt17integral_constantIbLb1EES1G_EEDaS1B_S1C_EUlS1B_E_NS1_11comp_targetILNS1_3genE10ELNS1_11target_archE1200ELNS1_3gpuE4ELNS1_3repE0EEENS1_30default_config_static_selectorELNS0_4arch9wavefront6targetE0EEEvT1_
		.amdhsa_group_segment_fixed_size 0
		.amdhsa_private_segment_fixed_size 0
		.amdhsa_kernarg_size 128
		.amdhsa_user_sgpr_count 15
		.amdhsa_user_sgpr_dispatch_ptr 0
		.amdhsa_user_sgpr_queue_ptr 0
		.amdhsa_user_sgpr_kernarg_segment_ptr 1
		.amdhsa_user_sgpr_dispatch_id 0
		.amdhsa_user_sgpr_private_segment_size 0
		.amdhsa_wavefront_size32 1
		.amdhsa_uses_dynamic_stack 0
		.amdhsa_enable_private_segment 0
		.amdhsa_system_sgpr_workgroup_id_x 1
		.amdhsa_system_sgpr_workgroup_id_y 0
		.amdhsa_system_sgpr_workgroup_id_z 0
		.amdhsa_system_sgpr_workgroup_info 0
		.amdhsa_system_vgpr_workitem_id 0
		.amdhsa_next_free_vgpr 1
		.amdhsa_next_free_sgpr 1
		.amdhsa_reserve_vcc 0
		.amdhsa_float_round_mode_32 0
		.amdhsa_float_round_mode_16_64 0
		.amdhsa_float_denorm_mode_32 3
		.amdhsa_float_denorm_mode_16_64 3
		.amdhsa_dx10_clamp 1
		.amdhsa_ieee_mode 1
		.amdhsa_fp16_overflow 0
		.amdhsa_workgroup_processor_mode 1
		.amdhsa_memory_ordered 1
		.amdhsa_forward_progress 0
		.amdhsa_shared_vgpr_count 0
		.amdhsa_exception_fp_ieee_invalid_op 0
		.amdhsa_exception_fp_denorm_src 0
		.amdhsa_exception_fp_ieee_div_zero 0
		.amdhsa_exception_fp_ieee_overflow 0
		.amdhsa_exception_fp_ieee_underflow 0
		.amdhsa_exception_fp_ieee_inexact 0
		.amdhsa_exception_int_div_zero 0
	.end_amdhsa_kernel
	.section	.text._ZN7rocprim17ROCPRIM_400000_NS6detail17trampoline_kernelINS0_14default_configENS1_25partition_config_selectorILNS1_17partition_subalgoE9EN6thrust23THRUST_200600_302600_NS4pairIiN12_GLOBAL__N_15EntryEEESA_bEEZZNS1_14partition_implILS5_9ELb0ES3_jNS7_6detail15normal_iteratorINS7_10device_ptrIKSB_EEEENSF_INSG_ISA_EEEEPNS0_10empty_typeENS0_5tupleIJNSF_INSG_ISB_EEEESM_EEENSO_IJSL_SN_EEENS0_18inequality_wrapperINS9_12CompareFirstEEEPmJSM_EEE10hipError_tPvRmT3_T4_T5_T6_T7_T9_mT8_P12ihipStream_tbDpT10_ENKUlT_T0_E_clISt17integral_constantIbLb1EES1G_EEDaS1B_S1C_EUlS1B_E_NS1_11comp_targetILNS1_3genE10ELNS1_11target_archE1200ELNS1_3gpuE4ELNS1_3repE0EEENS1_30default_config_static_selectorELNS0_4arch9wavefront6targetE0EEEvT1_,"axG",@progbits,_ZN7rocprim17ROCPRIM_400000_NS6detail17trampoline_kernelINS0_14default_configENS1_25partition_config_selectorILNS1_17partition_subalgoE9EN6thrust23THRUST_200600_302600_NS4pairIiN12_GLOBAL__N_15EntryEEESA_bEEZZNS1_14partition_implILS5_9ELb0ES3_jNS7_6detail15normal_iteratorINS7_10device_ptrIKSB_EEEENSF_INSG_ISA_EEEEPNS0_10empty_typeENS0_5tupleIJNSF_INSG_ISB_EEEESM_EEENSO_IJSL_SN_EEENS0_18inequality_wrapperINS9_12CompareFirstEEEPmJSM_EEE10hipError_tPvRmT3_T4_T5_T6_T7_T9_mT8_P12ihipStream_tbDpT10_ENKUlT_T0_E_clISt17integral_constantIbLb1EES1G_EEDaS1B_S1C_EUlS1B_E_NS1_11comp_targetILNS1_3genE10ELNS1_11target_archE1200ELNS1_3gpuE4ELNS1_3repE0EEENS1_30default_config_static_selectorELNS0_4arch9wavefront6targetE0EEEvT1_,comdat
.Lfunc_end1317:
	.size	_ZN7rocprim17ROCPRIM_400000_NS6detail17trampoline_kernelINS0_14default_configENS1_25partition_config_selectorILNS1_17partition_subalgoE9EN6thrust23THRUST_200600_302600_NS4pairIiN12_GLOBAL__N_15EntryEEESA_bEEZZNS1_14partition_implILS5_9ELb0ES3_jNS7_6detail15normal_iteratorINS7_10device_ptrIKSB_EEEENSF_INSG_ISA_EEEEPNS0_10empty_typeENS0_5tupleIJNSF_INSG_ISB_EEEESM_EEENSO_IJSL_SN_EEENS0_18inequality_wrapperINS9_12CompareFirstEEEPmJSM_EEE10hipError_tPvRmT3_T4_T5_T6_T7_T9_mT8_P12ihipStream_tbDpT10_ENKUlT_T0_E_clISt17integral_constantIbLb1EES1G_EEDaS1B_S1C_EUlS1B_E_NS1_11comp_targetILNS1_3genE10ELNS1_11target_archE1200ELNS1_3gpuE4ELNS1_3repE0EEENS1_30default_config_static_selectorELNS0_4arch9wavefront6targetE0EEEvT1_, .Lfunc_end1317-_ZN7rocprim17ROCPRIM_400000_NS6detail17trampoline_kernelINS0_14default_configENS1_25partition_config_selectorILNS1_17partition_subalgoE9EN6thrust23THRUST_200600_302600_NS4pairIiN12_GLOBAL__N_15EntryEEESA_bEEZZNS1_14partition_implILS5_9ELb0ES3_jNS7_6detail15normal_iteratorINS7_10device_ptrIKSB_EEEENSF_INSG_ISA_EEEEPNS0_10empty_typeENS0_5tupleIJNSF_INSG_ISB_EEEESM_EEENSO_IJSL_SN_EEENS0_18inequality_wrapperINS9_12CompareFirstEEEPmJSM_EEE10hipError_tPvRmT3_T4_T5_T6_T7_T9_mT8_P12ihipStream_tbDpT10_ENKUlT_T0_E_clISt17integral_constantIbLb1EES1G_EEDaS1B_S1C_EUlS1B_E_NS1_11comp_targetILNS1_3genE10ELNS1_11target_archE1200ELNS1_3gpuE4ELNS1_3repE0EEENS1_30default_config_static_selectorELNS0_4arch9wavefront6targetE0EEEvT1_
                                        ; -- End function
	.section	.AMDGPU.csdata,"",@progbits
; Kernel info:
; codeLenInByte = 0
; NumSgprs: 0
; NumVgprs: 0
; ScratchSize: 0
; MemoryBound: 0
; FloatMode: 240
; IeeeMode: 1
; LDSByteSize: 0 bytes/workgroup (compile time only)
; SGPRBlocks: 0
; VGPRBlocks: 0
; NumSGPRsForWavesPerEU: 1
; NumVGPRsForWavesPerEU: 1
; Occupancy: 16
; WaveLimiterHint : 0
; COMPUTE_PGM_RSRC2:SCRATCH_EN: 0
; COMPUTE_PGM_RSRC2:USER_SGPR: 15
; COMPUTE_PGM_RSRC2:TRAP_HANDLER: 0
; COMPUTE_PGM_RSRC2:TGID_X_EN: 1
; COMPUTE_PGM_RSRC2:TGID_Y_EN: 0
; COMPUTE_PGM_RSRC2:TGID_Z_EN: 0
; COMPUTE_PGM_RSRC2:TIDIG_COMP_CNT: 0
	.section	.text._ZN7rocprim17ROCPRIM_400000_NS6detail17trampoline_kernelINS0_14default_configENS1_25partition_config_selectorILNS1_17partition_subalgoE9EN6thrust23THRUST_200600_302600_NS4pairIiN12_GLOBAL__N_15EntryEEESA_bEEZZNS1_14partition_implILS5_9ELb0ES3_jNS7_6detail15normal_iteratorINS7_10device_ptrIKSB_EEEENSF_INSG_ISA_EEEEPNS0_10empty_typeENS0_5tupleIJNSF_INSG_ISB_EEEESM_EEENSO_IJSL_SN_EEENS0_18inequality_wrapperINS9_12CompareFirstEEEPmJSM_EEE10hipError_tPvRmT3_T4_T5_T6_T7_T9_mT8_P12ihipStream_tbDpT10_ENKUlT_T0_E_clISt17integral_constantIbLb1EES1G_EEDaS1B_S1C_EUlS1B_E_NS1_11comp_targetILNS1_3genE9ELNS1_11target_archE1100ELNS1_3gpuE3ELNS1_3repE0EEENS1_30default_config_static_selectorELNS0_4arch9wavefront6targetE0EEEvT1_,"axG",@progbits,_ZN7rocprim17ROCPRIM_400000_NS6detail17trampoline_kernelINS0_14default_configENS1_25partition_config_selectorILNS1_17partition_subalgoE9EN6thrust23THRUST_200600_302600_NS4pairIiN12_GLOBAL__N_15EntryEEESA_bEEZZNS1_14partition_implILS5_9ELb0ES3_jNS7_6detail15normal_iteratorINS7_10device_ptrIKSB_EEEENSF_INSG_ISA_EEEEPNS0_10empty_typeENS0_5tupleIJNSF_INSG_ISB_EEEESM_EEENSO_IJSL_SN_EEENS0_18inequality_wrapperINS9_12CompareFirstEEEPmJSM_EEE10hipError_tPvRmT3_T4_T5_T6_T7_T9_mT8_P12ihipStream_tbDpT10_ENKUlT_T0_E_clISt17integral_constantIbLb1EES1G_EEDaS1B_S1C_EUlS1B_E_NS1_11comp_targetILNS1_3genE9ELNS1_11target_archE1100ELNS1_3gpuE3ELNS1_3repE0EEENS1_30default_config_static_selectorELNS0_4arch9wavefront6targetE0EEEvT1_,comdat
	.globl	_ZN7rocprim17ROCPRIM_400000_NS6detail17trampoline_kernelINS0_14default_configENS1_25partition_config_selectorILNS1_17partition_subalgoE9EN6thrust23THRUST_200600_302600_NS4pairIiN12_GLOBAL__N_15EntryEEESA_bEEZZNS1_14partition_implILS5_9ELb0ES3_jNS7_6detail15normal_iteratorINS7_10device_ptrIKSB_EEEENSF_INSG_ISA_EEEEPNS0_10empty_typeENS0_5tupleIJNSF_INSG_ISB_EEEESM_EEENSO_IJSL_SN_EEENS0_18inequality_wrapperINS9_12CompareFirstEEEPmJSM_EEE10hipError_tPvRmT3_T4_T5_T6_T7_T9_mT8_P12ihipStream_tbDpT10_ENKUlT_T0_E_clISt17integral_constantIbLb1EES1G_EEDaS1B_S1C_EUlS1B_E_NS1_11comp_targetILNS1_3genE9ELNS1_11target_archE1100ELNS1_3gpuE3ELNS1_3repE0EEENS1_30default_config_static_selectorELNS0_4arch9wavefront6targetE0EEEvT1_ ; -- Begin function _ZN7rocprim17ROCPRIM_400000_NS6detail17trampoline_kernelINS0_14default_configENS1_25partition_config_selectorILNS1_17partition_subalgoE9EN6thrust23THRUST_200600_302600_NS4pairIiN12_GLOBAL__N_15EntryEEESA_bEEZZNS1_14partition_implILS5_9ELb0ES3_jNS7_6detail15normal_iteratorINS7_10device_ptrIKSB_EEEENSF_INSG_ISA_EEEEPNS0_10empty_typeENS0_5tupleIJNSF_INSG_ISB_EEEESM_EEENSO_IJSL_SN_EEENS0_18inequality_wrapperINS9_12CompareFirstEEEPmJSM_EEE10hipError_tPvRmT3_T4_T5_T6_T7_T9_mT8_P12ihipStream_tbDpT10_ENKUlT_T0_E_clISt17integral_constantIbLb1EES1G_EEDaS1B_S1C_EUlS1B_E_NS1_11comp_targetILNS1_3genE9ELNS1_11target_archE1100ELNS1_3gpuE3ELNS1_3repE0EEENS1_30default_config_static_selectorELNS0_4arch9wavefront6targetE0EEEvT1_
	.p2align	8
	.type	_ZN7rocprim17ROCPRIM_400000_NS6detail17trampoline_kernelINS0_14default_configENS1_25partition_config_selectorILNS1_17partition_subalgoE9EN6thrust23THRUST_200600_302600_NS4pairIiN12_GLOBAL__N_15EntryEEESA_bEEZZNS1_14partition_implILS5_9ELb0ES3_jNS7_6detail15normal_iteratorINS7_10device_ptrIKSB_EEEENSF_INSG_ISA_EEEEPNS0_10empty_typeENS0_5tupleIJNSF_INSG_ISB_EEEESM_EEENSO_IJSL_SN_EEENS0_18inequality_wrapperINS9_12CompareFirstEEEPmJSM_EEE10hipError_tPvRmT3_T4_T5_T6_T7_T9_mT8_P12ihipStream_tbDpT10_ENKUlT_T0_E_clISt17integral_constantIbLb1EES1G_EEDaS1B_S1C_EUlS1B_E_NS1_11comp_targetILNS1_3genE9ELNS1_11target_archE1100ELNS1_3gpuE3ELNS1_3repE0EEENS1_30default_config_static_selectorELNS0_4arch9wavefront6targetE0EEEvT1_,@function
_ZN7rocprim17ROCPRIM_400000_NS6detail17trampoline_kernelINS0_14default_configENS1_25partition_config_selectorILNS1_17partition_subalgoE9EN6thrust23THRUST_200600_302600_NS4pairIiN12_GLOBAL__N_15EntryEEESA_bEEZZNS1_14partition_implILS5_9ELb0ES3_jNS7_6detail15normal_iteratorINS7_10device_ptrIKSB_EEEENSF_INSG_ISA_EEEEPNS0_10empty_typeENS0_5tupleIJNSF_INSG_ISB_EEEESM_EEENSO_IJSL_SN_EEENS0_18inequality_wrapperINS9_12CompareFirstEEEPmJSM_EEE10hipError_tPvRmT3_T4_T5_T6_T7_T9_mT8_P12ihipStream_tbDpT10_ENKUlT_T0_E_clISt17integral_constantIbLb1EES1G_EEDaS1B_S1C_EUlS1B_E_NS1_11comp_targetILNS1_3genE9ELNS1_11target_archE1100ELNS1_3gpuE3ELNS1_3repE0EEENS1_30default_config_static_selectorELNS0_4arch9wavefront6targetE0EEEvT1_: ; @_ZN7rocprim17ROCPRIM_400000_NS6detail17trampoline_kernelINS0_14default_configENS1_25partition_config_selectorILNS1_17partition_subalgoE9EN6thrust23THRUST_200600_302600_NS4pairIiN12_GLOBAL__N_15EntryEEESA_bEEZZNS1_14partition_implILS5_9ELb0ES3_jNS7_6detail15normal_iteratorINS7_10device_ptrIKSB_EEEENSF_INSG_ISA_EEEEPNS0_10empty_typeENS0_5tupleIJNSF_INSG_ISB_EEEESM_EEENSO_IJSL_SN_EEENS0_18inequality_wrapperINS9_12CompareFirstEEEPmJSM_EEE10hipError_tPvRmT3_T4_T5_T6_T7_T9_mT8_P12ihipStream_tbDpT10_ENKUlT_T0_E_clISt17integral_constantIbLb1EES1G_EEDaS1B_S1C_EUlS1B_E_NS1_11comp_targetILNS1_3genE9ELNS1_11target_archE1100ELNS1_3gpuE3ELNS1_3repE0EEENS1_30default_config_static_selectorELNS0_4arch9wavefront6targetE0EEEvT1_
; %bb.0:
	s_clause 0x4
	s_load_b128 s[4:7], s[0:1], 0x8
	s_load_b64 s[18:19], s[0:1], 0x18
	s_load_b128 s[8:11], s[0:1], 0x40
	s_load_b64 s[20:21], s[0:1], 0x50
	s_load_b64 s[16:17], s[0:1], 0x60
	v_cmp_ne_u32_e64 s3, 0, v0
	v_cmp_eq_u32_e64 s2, 0, v0
	s_delay_alu instid0(VALU_DEP_1)
	s_and_saveexec_b32 s12, s2
	s_cbranch_execz .LBB1318_4
; %bb.1:
	s_mov_b32 s14, exec_lo
	s_mov_b32 s13, exec_lo
	v_mbcnt_lo_u32_b32 v1, s14, 0
                                        ; implicit-def: $vgpr2
	s_delay_alu instid0(VALU_DEP_1)
	v_cmpx_eq_u32_e32 0, v1
	s_cbranch_execz .LBB1318_3
; %bb.2:
	s_load_b64 s[22:23], s[0:1], 0x70
	s_bcnt1_i32_b32 s14, s14
	s_delay_alu instid0(SALU_CYCLE_1)
	v_dual_mov_b32 v2, 0 :: v_dual_mov_b32 v3, s14
	s_waitcnt lgkmcnt(0)
	global_atomic_add_u32 v2, v2, v3, s[22:23] glc
.LBB1318_3:
	s_or_b32 exec_lo, exec_lo, s13
	s_waitcnt vmcnt(0)
	v_readfirstlane_b32 s13, v2
	s_delay_alu instid0(VALU_DEP_1)
	v_dual_mov_b32 v2, 0 :: v_dual_add_nc_u32 v1, s13, v1
	ds_store_b32 v2, v1
.LBB1318_4:
	s_or_b32 exec_lo, exec_lo, s12
	v_mov_b32_e32 v27, 0
	s_clause 0x1
	s_load_b128 s[12:15], s[0:1], 0x28
	s_load_b32 s0, s[0:1], 0x68
	s_waitcnt lgkmcnt(0)
	s_barrier
	buffer_gl0_inv
	ds_load_b32 v3, v27
	s_waitcnt lgkmcnt(0)
	s_barrier
	buffer_gl0_inv
	s_mul_i32 s1, s7, 12
	v_lshrrev_b32_e32 v14, 5, v0
	v_or_b32_e32 v29, 0x200, v0
	v_or_b32_e32 v19, 0x400, v0
	;; [unrolled: 1-line block ×3, first 2 shown]
	v_lshlrev_b32_e32 v26, 11, v3
	global_load_b64 v[1:2], v27, s[10:11]
	s_mul_hi_u32 s10, s6, 12
	s_mul_i32 s11, s6, 12
	s_add_i32 s10, s10, s1
	s_add_u32 s4, s4, s11
	s_addc_u32 s5, s5, s10
	s_add_i32 s10, s0, -1
	s_lshl_b32 s0, s0, 11
	s_lshl_b32 s1, s10, 11
	v_readfirstlane_b32 s22, v3
	s_add_i32 s1, s6, s1
	v_mul_lo_u32 v3, 0x6000, v3
	s_sub_i32 s23, s20, s1
	s_add_u32 s0, s6, s0
	s_addc_u32 s1, s7, 0
	v_mul_hi_u32 v4, v26, 12
	v_cmp_ge_u64_e64 s0, s[0:1], s[20:21]
	s_cmp_eq_u32 s22, s10
	s_mov_b32 s1, -1
	s_cselect_b32 s20, -1, 0
	v_add_co_u32 v24, vcc_lo, s4, v3
	s_delay_alu instid0(VALU_DEP_2) | instskip(NEXT) | instid1(VALU_DEP_3)
	s_and_b32 s24, s0, s20
	v_add_co_ci_u32_e32 v25, vcc_lo, s5, v4, vcc_lo
	s_xor_b32 s21, s24, -1
	s_delay_alu instid0(SALU_CYCLE_1)
	s_and_b32 vcc_lo, exec_lo, s21
	s_waitcnt vmcnt(0)
	v_readfirstlane_b32 s10, v1
	v_readfirstlane_b32 s11, v2
	s_cbranch_vccz .LBB1318_6
; %bb.5:
	v_mad_u64_u32 v[4:5], null, v0, 12, v[24:25]
	v_mul_u32_u24_e32 v13, 12, v0
	v_lshrrev_b32_e32 v15, 5, v29
	v_lshrrev_b32_e32 v16, 5, v19
	;; [unrolled: 1-line block ×3, first 2 shown]
	s_mov_b32 s1, 0
	s_delay_alu instid0(VALU_DEP_3)
	v_mad_u32_u24 v15, v15, 12, v13
	v_add_co_u32 v6, vcc_lo, 0x1000, v4
	v_add_co_ci_u32_e32 v7, vcc_lo, 0, v5, vcc_lo
	v_add_co_u32 v8, vcc_lo, 0x3000, v4
	v_add_co_ci_u32_e32 v9, vcc_lo, 0, v5, vcc_lo
	;; [unrolled: 2-line block ×3, first 2 shown]
	s_clause 0x3
	flat_load_b96 v[1:3], v[4:5]
	flat_load_b96 v[4:6], v[6:7] offset:2048
	flat_load_b96 v[7:9], v[8:9]
	flat_load_b96 v[10:12], v[10:11] offset:2048
	v_mad_u32_u24 v16, v16, 12, v13
	v_mad_u32_u24 v17, v17, 12, v13
	;; [unrolled: 1-line block ×3, first 2 shown]
	v_add_nc_u32_e32 v18, 0x1800, v15
	s_delay_alu instid0(VALU_DEP_4) | instskip(NEXT) | instid1(VALU_DEP_4)
	v_add_nc_u32_e32 v20, 0x3000, v16
	v_add_nc_u32_e32 v21, 0x4800, v17
	s_waitcnt vmcnt(3) lgkmcnt(3)
	ds_store_2addr_b32 v13, v1, v2 offset1:1
	ds_store_b32 v13, v3 offset:8
	s_waitcnt vmcnt(2) lgkmcnt(4)
	ds_store_2addr_b32 v18, v4, v5 offset1:1
	ds_store_b32 v15, v6 offset:6152
	;; [unrolled: 3-line block ×4, first 2 shown]
	s_waitcnt lgkmcnt(0)
	s_barrier
.LBB1318_6:
	v_cmp_gt_u32_e64 s0, s23, v0
	s_and_not1_b32 vcc_lo, exec_lo, s1
	s_cbranch_vccnz .LBB1318_16
; %bb.7:
	v_dual_mov_b32 v3, 0 :: v_dual_mov_b32 v6, 0
	v_dual_mov_b32 v5, 0 :: v_dual_mov_b32 v4, 0
	s_and_saveexec_b32 s1, s0
	s_cbranch_execz .LBB1318_9
; %bb.8:
	v_mad_u64_u32 v[1:2], null, v0, 12, v[24:25]
	flat_load_b96 v[4:6], v[1:2]
.LBB1318_9:
	s_or_b32 exec_lo, exec_lo, s1
	v_dual_mov_b32 v2, 0 :: v_dual_mov_b32 v1, 0
	s_mov_b32 s0, exec_lo
	v_cmpx_gt_u32_e64 s23, v29
	s_cbranch_execz .LBB1318_11
; %bb.10:
	v_mad_u64_u32 v[1:2], null, v29, 12, v[24:25]
	flat_load_b96 v[1:3], v[1:2]
.LBB1318_11:
	s_or_b32 exec_lo, exec_lo, s0
	v_dual_mov_b32 v9, 0 :: v_dual_mov_b32 v12, 0
	v_dual_mov_b32 v11, 0 :: v_dual_mov_b32 v10, 0
	s_mov_b32 s0, exec_lo
	v_cmpx_gt_u32_e64 s23, v19
	s_cbranch_execz .LBB1318_13
; %bb.12:
	v_mad_u64_u32 v[7:8], null, v19, 12, v[24:25]
	flat_load_b96 v[10:12], v[7:8]
.LBB1318_13:
	s_or_b32 exec_lo, exec_lo, s0
	v_dual_mov_b32 v8, 0 :: v_dual_mov_b32 v7, 0
	s_mov_b32 s0, exec_lo
	v_cmpx_gt_u32_e64 s23, v28
	s_cbranch_execz .LBB1318_15
; %bb.14:
	v_mad_u64_u32 v[7:8], null, v28, 12, v[24:25]
	flat_load_b96 v[7:9], v[7:8]
.LBB1318_15:
	s_or_b32 exec_lo, exec_lo, s0
	v_mul_u32_u24_e32 v13, 12, v0
	v_lshrrev_b32_e32 v15, 5, v29
	v_lshrrev_b32_e32 v16, 5, v19
	;; [unrolled: 1-line block ×3, first 2 shown]
	s_delay_alu instid0(VALU_DEP_4) | instskip(NEXT) | instid1(VALU_DEP_4)
	v_mad_u32_u24 v18, v14, 12, v13
	v_mad_u32_u24 v15, v15, 12, v13
	s_delay_alu instid0(VALU_DEP_4) | instskip(NEXT) | instid1(VALU_DEP_4)
	v_mad_u32_u24 v16, v16, 12, v13
	v_mad_u32_u24 v13, v17, 12, v13
	s_waitcnt vmcnt(0) lgkmcnt(0)
	ds_store_2addr_b32 v18, v4, v5 offset1:1
	ds_store_b32 v18, v6 offset:8
	v_add_nc_u32_e32 v17, 0x1800, v15
	v_add_nc_u32_e32 v20, 0x3000, v16
	v_add_nc_u32_e32 v4, 0x4800, v13
	ds_store_2addr_b32 v17, v1, v2 offset1:1
	ds_store_b32 v15, v3 offset:6152
	ds_store_2addr_b32 v20, v10, v11 offset1:1
	ds_store_b32 v16, v12 offset:12296
	;; [unrolled: 2-line block ×3, first 2 shown]
	s_waitcnt lgkmcnt(0)
	s_barrier
.LBB1318_16:
	v_lshlrev_b32_e32 v9, 2, v0
	v_lshrrev_b32_e32 v1, 3, v0
	buffer_gl0_inv
	s_lshl_b64 s[0:1], s[6:7], 3
	s_delay_alu instid0(SALU_CYCLE_1) | instskip(SKIP_4) | instid1(VALU_DEP_3)
	s_add_u32 s0, s18, s0
	v_add_nc_u32_e32 v30, v1, v9
	v_lshlrev_b64 v[1:2], 3, v[26:27]
	s_addc_u32 s1, s19, s1
	v_lshrrev_b32_e32 v26, 2, v0
	v_mul_u32_u24_e32 v31, 12, v30
	ds_load_2addr_b32 v[17:18], v31 offset1:1
	ds_load_2addr_b32 v[22:23], v31 offset0:2 offset1:3
	ds_load_2addr_b32 v[20:21], v31 offset0:8 offset1:9
	;; [unrolled: 1-line block ×5, first 2 shown]
	v_add_co_u32 v8, vcc_lo, s0, v1
	v_add_co_ci_u32_e32 v27, vcc_lo, s1, v2, vcc_lo
	s_and_b32 vcc_lo, exec_lo, s21
	s_mov_b32 s0, -1
	s_waitcnt lgkmcnt(0)
	s_barrier
	buffer_gl0_inv
	s_cbranch_vccz .LBB1318_18
; %bb.17:
	v_lshlrev_b32_e32 v7, 3, v0
	v_lshrrev_b32_e32 v34, 2, v29
	v_lshrrev_b32_e32 v35, 2, v19
	;; [unrolled: 1-line block ×3, first 2 shown]
	v_and_b32_e32 v37, 0x78, v26
	v_add_co_u32 v1, vcc_lo, v8, v7
	v_add_co_ci_u32_e32 v2, vcc_lo, 0, v27, vcc_lo
	v_and_b32_e32 v34, 0xf8, v34
	s_delay_alu instid0(VALU_DEP_3) | instskip(NEXT) | instid1(VALU_DEP_3)
	v_add_co_u32 v3, vcc_lo, 0x1000, v1
	v_add_co_ci_u32_e32 v4, vcc_lo, 0, v2, vcc_lo
	v_add_co_u32 v5, vcc_lo, 0x2000, v1
	v_add_co_ci_u32_e32 v6, vcc_lo, 0, v2, vcc_lo
	;; [unrolled: 2-line block ×3, first 2 shown]
	s_clause 0x3
	flat_load_b64 v[1:2], v[1:2]
	flat_load_b64 v[3:4], v[3:4]
	flat_load_b64 v[5:6], v[5:6]
	flat_load_b64 v[32:33], v[32:33]
	v_and_b32_e32 v35, 0x178, v35
	v_and_b32_e32 v36, 0x1f8, v36
	v_add_nc_u32_e32 v37, v37, v7
	v_add_nc_u32_e32 v34, v34, v7
	s_mov_b32 s0, 0
	v_add_nc_u32_e32 v35, v35, v7
	v_add_nc_u32_e32 v7, v36, v7
	s_waitcnt vmcnt(3) lgkmcnt(3)
	ds_store_b64 v37, v[1:2]
	s_waitcnt vmcnt(2) lgkmcnt(3)
	ds_store_b64 v34, v[3:4] offset:4096
	s_waitcnt vmcnt(1) lgkmcnt(3)
	ds_store_b64 v35, v[5:6] offset:8192
	;; [unrolled: 2-line block ×3, first 2 shown]
	s_waitcnt lgkmcnt(0)
	s_barrier
.LBB1318_18:
	s_and_not1_b32 vcc_lo, exec_lo, s0
	s_cbranch_vccnz .LBB1318_28
; %bb.19:
	s_mov_b32 s0, exec_lo
                                        ; implicit-def: $vgpr1_vgpr2
	v_cmpx_gt_u32_e64 s23, v0
                                        ; implicit-def: $vgpr4
	s_cbranch_execz .LBB1318_21
; %bb.20:
	v_lshlrev_b32_e32 v1, 3, v0
	s_delay_alu instid0(VALU_DEP_1)
	v_add_co_u32 v1, vcc_lo, v8, v1
	v_add_co_ci_u32_e32 v2, vcc_lo, 0, v27, vcc_lo
	flat_load_b64 v[1:2], v[1:2]
.LBB1318_21:
	s_or_b32 exec_lo, exec_lo, s0
	s_delay_alu instid0(SALU_CYCLE_1)
	s_mov_b32 s0, exec_lo
                                        ; implicit-def: $vgpr3
	v_cmpx_gt_u32_e64 s23, v29
                                        ; implicit-def: $vgpr6
	s_cbranch_execz .LBB1318_23
; %bb.22:
	v_lshlrev_b32_e32 v3, 3, v29
	s_delay_alu instid0(VALU_DEP_1)
	v_add_co_u32 v3, vcc_lo, v8, v3
	v_add_co_ci_u32_e32 v4, vcc_lo, 0, v27, vcc_lo
	flat_load_b64 v[3:4], v[3:4]
.LBB1318_23:
	s_or_b32 exec_lo, exec_lo, s0
	s_delay_alu instid0(SALU_CYCLE_1)
	s_mov_b32 s0, exec_lo
                                        ; implicit-def: $vgpr5
	v_cmpx_gt_u32_e64 s23, v19
	s_cbranch_execz .LBB1318_25
; %bb.24:
	v_lshlrev_b32_e32 v5, 3, v19
	s_delay_alu instid0(VALU_DEP_1)
	v_add_co_u32 v5, vcc_lo, v8, v5
	v_add_co_ci_u32_e32 v6, vcc_lo, 0, v27, vcc_lo
	flat_load_b64 v[5:6], v[5:6]
.LBB1318_25:
	s_or_b32 exec_lo, exec_lo, s0
	s_delay_alu instid0(SALU_CYCLE_1)
	s_mov_b32 s0, exec_lo
                                        ; implicit-def: $vgpr7
	v_cmpx_gt_u32_e64 s23, v28
	s_cbranch_execz .LBB1318_27
; %bb.26:
	v_lshlrev_b32_e32 v7, 3, v28
	s_delay_alu instid0(VALU_DEP_1)
	v_add_co_u32 v7, vcc_lo, v8, v7
	v_add_co_ci_u32_e32 v8, vcc_lo, 0, v27, vcc_lo
	flat_load_b64 v[7:8], v[7:8]
.LBB1318_27:
	s_or_b32 exec_lo, exec_lo, s0
	v_lshrrev_b32_e32 v27, 2, v29
	v_lshrrev_b32_e32 v19, 2, v19
	;; [unrolled: 1-line block ×3, first 2 shown]
	v_and_b32_e32 v26, 0x78, v26
	v_lshlrev_b32_e32 v29, 3, v0
	v_and_b32_e32 v27, 0xf8, v27
	v_and_b32_e32 v19, 0x1f8, v19
	;; [unrolled: 1-line block ×3, first 2 shown]
	s_delay_alu instid0(VALU_DEP_4) | instskip(NEXT) | instid1(VALU_DEP_4)
	v_add_nc_u32_e32 v26, v26, v29
	v_add_nc_u32_e32 v27, v27, v29
	s_delay_alu instid0(VALU_DEP_4) | instskip(NEXT) | instid1(VALU_DEP_4)
	v_add_nc_u32_e32 v19, v19, v29
	v_add_nc_u32_e32 v28, v28, v29
	s_waitcnt vmcnt(0) lgkmcnt(0)
	ds_store_b64 v26, v[1:2]
	ds_store_b64 v27, v[3:4] offset:4096
	ds_store_b64 v19, v[5:6] offset:8192
	;; [unrolled: 1-line block ×3, first 2 shown]
	s_waitcnt lgkmcnt(0)
	s_barrier
.LBB1318_28:
	v_lshlrev_b32_e32 v1, 2, v30
	buffer_gl0_inv
	s_cmp_lg_u32 s22, 0
	s_cselect_b32 s18, -1, 0
	v_sub_nc_u32_e32 v1, v31, v1
	s_cmp_lg_u64 s[6:7], 0
	s_mov_b32 s7, 0
	s_cselect_b32 s0, -1, 0
	ds_load_2addr_b64 v[5:8], v1 offset1:1
	ds_load_2addr_b64 v[1:4], v1 offset0:2 offset1:3
	s_or_b32 s0, s0, s18
	s_waitcnt lgkmcnt(0)
	s_and_b32 vcc_lo, exec_lo, s0
	s_barrier
	buffer_gl0_inv
	s_cbranch_vccz .LBB1318_33
; %bb.29:
	v_add_co_u32 v24, vcc_lo, -12, v24
	v_add_co_ci_u32_e32 v25, vcc_lo, -1, v25, vcc_lo
	s_mov_b32 s1, -1
	s_and_b32 vcc_lo, exec_lo, s21
	flat_load_b32 v19, v[24:25]
	v_mul_u32_u24_e32 v24, 12, v0
	ds_store_2addr_b32 v24, v21, v10 offset1:1
	ds_store_b32 v24, v11 offset:8
	s_cbranch_vccz .LBB1318_34
; %bb.30:
	s_waitcnt vmcnt(0) lgkmcnt(2)
	v_mov_b32_e32 v25, v19
	s_waitcnt lgkmcnt(0)
	s_barrier
	buffer_gl0_inv
	s_and_saveexec_b32 s0, s3
	s_cbranch_execz .LBB1318_32
; %bb.31:
	v_add_nc_u32_e32 v25, -12, v24
	ds_load_b32 v25, v25
.LBB1318_32:
	s_or_b32 exec_lo, exec_lo, s0
	v_cmp_ne_u32_e32 vcc_lo, v12, v21
	s_waitcnt lgkmcnt(0)
	v_cmp_ne_u32_e64 s0, v25, v17
	v_cndmask_b32_e64 v26, 0, 1, vcc_lo
	v_cmp_ne_u32_e32 vcc_lo, v23, v12
	s_delay_alu instid0(VALU_DEP_2) | instskip(SKIP_2) | instid1(VALU_DEP_2)
	v_lshlrev_b16 v26, 8, v26
	v_cndmask_b32_e64 v27, 0, 1, vcc_lo
	v_cmp_ne_u32_e32 vcc_lo, v17, v23
	v_or_b32_e32 v26, v27, v26
	v_cndmask_b32_e64 v28, 0, 1, vcc_lo
	s_delay_alu instid0(VALU_DEP_2) | instskip(NEXT) | instid1(VALU_DEP_2)
	v_lshlrev_b32_e32 v26, 16, v26
	v_lshlrev_b16 v28, 8, v28
	s_delay_alu instid0(VALU_DEP_1) | instskip(NEXT) | instid1(VALU_DEP_1)
	v_and_b32_e32 v27, 0xffff, v28
	v_or_b32_e32 v31, v27, v26
	s_branch .LBB1318_38
.LBB1318_33:
                                        ; implicit-def: $sgpr0
                                        ; implicit-def: $vgpr31
	s_branch .LBB1318_39
.LBB1318_34:
                                        ; implicit-def: $sgpr0
                                        ; implicit-def: $vgpr31
	s_and_b32 vcc_lo, exec_lo, s1
	s_cbranch_vccz .LBB1318_38
; %bb.35:
	s_waitcnt vmcnt(0) lgkmcnt(0)
	s_barrier
	buffer_gl0_inv
	s_and_saveexec_b32 s0, s3
	s_cbranch_execz .LBB1318_37
; %bb.36:
	v_add_nc_u32_e32 v19, -12, v24
	ds_load_b32 v19, v19
.LBB1318_37:
	s_or_b32 exec_lo, exec_lo, s0
	v_or_b32_e32 v24, 3, v9
	v_or_b32_e32 v25, 2, v9
	v_cmp_ne_u32_e32 vcc_lo, v12, v21
	v_cmp_ne_u32_e64 s1, v23, v12
	v_cmp_ne_u32_e64 s4, v17, v23
	v_cmp_gt_u32_e64 s0, s23, v24
	v_or_b32_e32 v24, 1, v9
	v_cmp_gt_u32_e64 s5, s23, v25
	s_delay_alu instid0(VALU_DEP_3) | instskip(NEXT) | instid1(VALU_DEP_2)
	s_and_b32 s0, s0, vcc_lo
	v_cmp_gt_u32_e32 vcc_lo, s23, v24
	v_cndmask_b32_e64 v25, 0, 1, s0
	s_delay_alu instid0(VALU_DEP_3) | instskip(NEXT) | instid1(SALU_CYCLE_1)
	s_and_b32 s0, s5, s1
	v_cndmask_b32_e64 v24, 0, 1, s0
	s_and_b32 s0, vcc_lo, s4
	s_delay_alu instid0(VALU_DEP_2)
	v_lshlrev_b16 v25, 8, v25
	v_cndmask_b32_e64 v26, 0, 1, s0
	v_cmp_gt_u32_e32 vcc_lo, s23, v9
	s_waitcnt lgkmcnt(0)
	v_cmp_ne_u32_e64 s0, v19, v17
	v_or_b32_e32 v24, v24, v25
	v_lshlrev_b16 v25, 8, v26
	s_delay_alu instid0(VALU_DEP_3) | instskip(NEXT) | instid1(VALU_DEP_2)
	s_and_b32 s0, vcc_lo, s0
	v_lshlrev_b32_e32 v24, 16, v24
	s_delay_alu instid0(VALU_DEP_2) | instskip(NEXT) | instid1(VALU_DEP_1)
	v_and_b32_e32 v25, 0xffff, v25
	v_or_b32_e32 v31, v25, v24
.LBB1318_38:
	s_mov_b32 s7, -1
	s_cbranch_execnz .LBB1318_47
.LBB1318_39:
	s_waitcnt vmcnt(0) lgkmcnt(2)
	v_mul_u32_u24_e32 v19, 12, v0
	v_cmp_ne_u32_e64 s1, v12, v21
	v_cmp_ne_u32_e64 s0, v23, v12
	;; [unrolled: 1-line block ×3, first 2 shown]
	s_and_b32 vcc_lo, exec_lo, s21
	ds_store_2addr_b32 v19, v21, v10 offset1:1
	ds_store_b32 v19, v11 offset:8
	s_cbranch_vccz .LBB1318_43
; %bb.40:
	v_cndmask_b32_e64 v24, 0, 1, s1
	v_cndmask_b32_e64 v25, 0, 1, s4
	;; [unrolled: 1-line block ×3, first 2 shown]
	s_waitcnt lgkmcnt(0)
	s_barrier
	v_lshlrev_b16 v24, 8, v24
	v_lshlrev_b16 v25, 8, v25
	buffer_gl0_inv
                                        ; implicit-def: $sgpr0
	v_or_b32_e32 v24, v26, v24
	v_or_b32_e32 v25, 1, v25
	s_delay_alu instid0(VALU_DEP_2) | instskip(NEXT) | instid1(VALU_DEP_2)
	v_lshlrev_b32_e32 v24, 16, v24
	v_and_b32_e32 v25, 0xffff, v25
	s_delay_alu instid0(VALU_DEP_1) | instskip(SKIP_1) | instid1(SALU_CYCLE_1)
	v_or_b32_e32 v31, v25, v24
	s_and_saveexec_b32 s1, s3
	s_xor_b32 s1, exec_lo, s1
	s_cbranch_execz .LBB1318_42
; %bb.41:
	v_add_nc_u32_e32 v24, -12, v19
	s_or_b32 s7, s7, exec_lo
	ds_load_b32 v24, v24
	s_waitcnt lgkmcnt(0)
	v_cmp_ne_u32_e32 vcc_lo, v24, v17
	s_and_b32 s0, vcc_lo, exec_lo
.LBB1318_42:
	s_or_b32 exec_lo, exec_lo, s1
	s_branch .LBB1318_47
.LBB1318_43:
                                        ; implicit-def: $sgpr0
                                        ; implicit-def: $vgpr31
	s_cbranch_execz .LBB1318_47
; %bb.44:
	v_or_b32_e32 v24, 3, v9
	v_or_b32_e32 v25, 1, v9
	v_cmp_ne_u32_e32 vcc_lo, v12, v21
	v_or_b32_e32 v26, 2, v9
	v_cmp_ne_u32_e64 s1, v17, v23
	v_cmp_gt_u32_e64 s0, s23, v24
	v_cmp_gt_u32_e64 s4, s23, v25
	v_cmp_ne_u32_e64 s5, v23, v12
	v_cmp_gt_u32_e64 s6, s23, v26
	s_waitcnt lgkmcnt(0)
	s_and_b32 s0, s0, vcc_lo
	s_barrier
	v_cndmask_b32_e64 v24, 0, 1, s0
	s_and_b32 s0, s4, s1
	buffer_gl0_inv
	v_cndmask_b32_e64 v25, 0, 1, s0
	s_and_b32 s0, s6, s5
	v_lshlrev_b16 v24, 8, v24
	v_cndmask_b32_e64 v26, 0, 1, s0
                                        ; implicit-def: $sgpr0
	s_delay_alu instid0(VALU_DEP_3) | instskip(NEXT) | instid1(VALU_DEP_2)
	v_lshlrev_b16 v25, 8, v25
	v_or_b32_e32 v24, v26, v24
	s_delay_alu instid0(VALU_DEP_2) | instskip(NEXT) | instid1(VALU_DEP_2)
	v_or_b32_e32 v25, 1, v25
	v_lshlrev_b32_e32 v24, 16, v24
	s_delay_alu instid0(VALU_DEP_2) | instskip(NEXT) | instid1(VALU_DEP_1)
	v_and_b32_e32 v25, 0xffff, v25
	v_or_b32_e32 v31, v25, v24
	s_and_saveexec_b32 s1, s3
	s_cbranch_execz .LBB1318_46
; %bb.45:
	v_add_nc_u32_e32 v19, -12, v19
	v_cmp_gt_u32_e32 vcc_lo, s23, v9
	s_or_b32 s7, s7, exec_lo
	ds_load_b32 v19, v19
	s_waitcnt lgkmcnt(0)
	v_cmp_ne_u32_e64 s0, v19, v17
	s_delay_alu instid0(VALU_DEP_1) | instskip(NEXT) | instid1(SALU_CYCLE_1)
	s_and_b32 s0, vcc_lo, s0
	s_and_b32 s0, s0, exec_lo
.LBB1318_46:
	s_or_b32 exec_lo, exec_lo, s1
.LBB1318_47:
	s_and_saveexec_b32 s1, s7
	s_cbranch_execz .LBB1318_49
; %bb.48:
	s_waitcnt vmcnt(0) lgkmcnt(2)
	v_and_b32_e32 v19, 0xffffff00, v31
	v_cndmask_b32_e64 v24, 0, 1, s0
	s_delay_alu instid0(VALU_DEP_1) | instskip(NEXT) | instid1(VALU_DEP_1)
	v_or_b32_e32 v19, v24, v19
	v_and_b32_e32 v19, 0xffff, v19
	s_delay_alu instid0(VALU_DEP_1)
	v_and_or_b32 v31, 0xffff0000, v31, v19
.LBB1318_49:
	s_or_b32 exec_lo, exec_lo, s1
	s_delay_alu instid0(SALU_CYCLE_1)
	s_and_not1_b32 vcc_lo, exec_lo, s24
	s_cbranch_vccnz .LBB1318_51
; %bb.50:
	v_cmp_gt_u32_e32 vcc_lo, s23, v9
	v_or_b32_e32 v24, 1, v9
	s_waitcnt vmcnt(0) lgkmcnt(2)
	v_cndmask_b32_e32 v19, 0, v31, vcc_lo
	s_delay_alu instid0(VALU_DEP_2) | instskip(SKIP_1) | instid1(VALU_DEP_3)
	v_cmp_gt_u32_e32 vcc_lo, s23, v24
	v_or_b32_e32 v24, 2, v9
	v_and_b32_e32 v19, 0xff, v19
	s_delay_alu instid0(VALU_DEP_1) | instskip(NEXT) | instid1(VALU_DEP_3)
	v_cndmask_b32_e32 v19, v19, v31, vcc_lo
	v_cmp_gt_u32_e32 vcc_lo, s23, v24
	v_or_b32_e32 v24, 3, v9
	s_delay_alu instid0(VALU_DEP_3) | instskip(NEXT) | instid1(VALU_DEP_1)
	v_and_b32_e32 v19, 0xffff, v19
	v_cndmask_b32_e32 v19, v19, v31, vcc_lo
	s_delay_alu instid0(VALU_DEP_3) | instskip(NEXT) | instid1(VALU_DEP_2)
	v_cmp_gt_u32_e32 vcc_lo, s23, v24
	v_and_b32_e32 v19, 0xffffff, v19
	s_delay_alu instid0(VALU_DEP_1)
	v_cndmask_b32_e32 v31, v19, v31, vcc_lo
.LBB1318_51:
	s_waitcnt vmcnt(0) lgkmcnt(2)
	s_delay_alu instid0(VALU_DEP_1)
	v_and_b32_e32 v19, 0xff, v31
	v_bfe_u32 v33, v31, 8, 8
	v_mbcnt_lo_u32_b32 v36, -1, 0
	v_bfe_u32 v35, v31, 16, 8
	v_lshrrev_b32_e32 v34, 24, v31
	v_or_b32_e32 v26, 31, v0
	v_add_nc_u32_e32 v24, v33, v19
	v_and_b32_e32 v25, 15, v36
	s_and_b32 vcc_lo, exec_lo, s18
	s_mov_b32 s7, -1
	v_cmp_eq_u32_e64 s5, v26, v0
	v_add3_u32 v37, v24, v35, v34
	v_and_b32_e32 v24, 16, v36
	v_cmp_eq_u32_e64 s0, 0, v25
	v_cmp_lt_u32_e64 s4, 1, v25
	v_cmp_lt_u32_e64 s3, 3, v25
	;; [unrolled: 1-line block ×3, first 2 shown]
	v_cmp_eq_u32_e64 s6, 0, v24
	s_waitcnt lgkmcnt(0)
	s_barrier
	buffer_gl0_inv
	s_cbranch_vccz .LBB1318_82
; %bb.52:
	v_mov_b32_dpp v24, v37 row_shr:1 row_mask:0xf bank_mask:0xf
	s_delay_alu instid0(VALU_DEP_1) | instskip(NEXT) | instid1(VALU_DEP_1)
	v_cndmask_b32_e64 v24, v24, 0, s0
	v_add_nc_u32_e32 v24, v24, v37
	s_delay_alu instid0(VALU_DEP_1) | instskip(NEXT) | instid1(VALU_DEP_1)
	v_mov_b32_dpp v25, v24 row_shr:2 row_mask:0xf bank_mask:0xf
	v_cndmask_b32_e64 v25, 0, v25, s4
	s_delay_alu instid0(VALU_DEP_1) | instskip(NEXT) | instid1(VALU_DEP_1)
	v_add_nc_u32_e32 v24, v24, v25
	v_mov_b32_dpp v25, v24 row_shr:4 row_mask:0xf bank_mask:0xf
	s_delay_alu instid0(VALU_DEP_1) | instskip(NEXT) | instid1(VALU_DEP_1)
	v_cndmask_b32_e64 v25, 0, v25, s3
	v_add_nc_u32_e32 v24, v24, v25
	s_delay_alu instid0(VALU_DEP_1) | instskip(NEXT) | instid1(VALU_DEP_1)
	v_mov_b32_dpp v25, v24 row_shr:8 row_mask:0xf bank_mask:0xf
	v_cndmask_b32_e64 v25, 0, v25, s1
	s_delay_alu instid0(VALU_DEP_1) | instskip(SKIP_3) | instid1(VALU_DEP_1)
	v_add_nc_u32_e32 v24, v24, v25
	ds_swizzle_b32 v25, v24 offset:swizzle(BROADCAST,32,15)
	s_waitcnt lgkmcnt(0)
	v_cndmask_b32_e64 v25, v25, 0, s6
	v_add_nc_u32_e32 v24, v24, v25
	s_and_saveexec_b32 s7, s5
	s_cbranch_execz .LBB1318_54
; %bb.53:
	v_lshlrev_b32_e32 v25, 2, v14
	ds_store_b32 v25, v24
.LBB1318_54:
	s_or_b32 exec_lo, exec_lo, s7
	s_delay_alu instid0(SALU_CYCLE_1)
	s_mov_b32 s7, exec_lo
	s_waitcnt lgkmcnt(0)
	s_barrier
	buffer_gl0_inv
	v_cmpx_gt_u32_e32 16, v0
	s_cbranch_execz .LBB1318_56
; %bb.55:
	ds_load_b32 v25, v9
	s_waitcnt lgkmcnt(0)
	v_mov_b32_dpp v26, v25 row_shr:1 row_mask:0xf bank_mask:0xf
	s_delay_alu instid0(VALU_DEP_1) | instskip(NEXT) | instid1(VALU_DEP_1)
	v_cndmask_b32_e64 v26, v26, 0, s0
	v_add_nc_u32_e32 v25, v26, v25
	s_delay_alu instid0(VALU_DEP_1) | instskip(NEXT) | instid1(VALU_DEP_1)
	v_mov_b32_dpp v26, v25 row_shr:2 row_mask:0xf bank_mask:0xf
	v_cndmask_b32_e64 v26, 0, v26, s4
	s_delay_alu instid0(VALU_DEP_1) | instskip(NEXT) | instid1(VALU_DEP_1)
	v_add_nc_u32_e32 v25, v25, v26
	v_mov_b32_dpp v26, v25 row_shr:4 row_mask:0xf bank_mask:0xf
	s_delay_alu instid0(VALU_DEP_1) | instskip(NEXT) | instid1(VALU_DEP_1)
	v_cndmask_b32_e64 v26, 0, v26, s3
	v_add_nc_u32_e32 v25, v25, v26
	s_delay_alu instid0(VALU_DEP_1) | instskip(NEXT) | instid1(VALU_DEP_1)
	v_mov_b32_dpp v26, v25 row_shr:8 row_mask:0xf bank_mask:0xf
	v_cndmask_b32_e64 v26, 0, v26, s1
	s_delay_alu instid0(VALU_DEP_1)
	v_add_nc_u32_e32 v25, v25, v26
	ds_store_b32 v9, v25
.LBB1318_56:
	s_or_b32 exec_lo, exec_lo, s7
	v_cmp_gt_u32_e32 vcc_lo, 32, v0
	s_mov_b32 s18, exec_lo
	s_waitcnt lgkmcnt(0)
	s_barrier
	buffer_gl0_inv
                                        ; implicit-def: $vgpr32
	v_cmpx_lt_u32_e32 31, v0
	s_cbranch_execz .LBB1318_58
; %bb.57:
	v_lshl_add_u32 v25, v14, 2, -4
	ds_load_b32 v32, v25
	s_waitcnt lgkmcnt(0)
	v_add_nc_u32_e32 v24, v32, v24
.LBB1318_58:
	s_or_b32 exec_lo, exec_lo, s18
	v_add_nc_u32_e32 v25, -1, v36
	s_delay_alu instid0(VALU_DEP_1) | instskip(NEXT) | instid1(VALU_DEP_1)
	v_cmp_gt_i32_e64 s7, 0, v25
	v_cndmask_b32_e64 v25, v25, v36, s7
	v_cmp_eq_u32_e64 s7, 0, v36
	s_delay_alu instid0(VALU_DEP_2)
	v_lshlrev_b32_e32 v25, 2, v25
	ds_bpermute_b32 v38, v25, v24
	s_and_saveexec_b32 s18, vcc_lo
	s_cbranch_execz .LBB1318_81
; %bb.59:
	v_mov_b32_e32 v27, 0
	ds_load_b32 v24, v27 offset:60
	s_and_saveexec_b32 s19, s7
	s_cbranch_execz .LBB1318_61
; %bb.60:
	s_add_i32 s24, s22, 32
	s_mov_b32 s25, 0
	v_mov_b32_e32 v25, 1
	s_lshl_b64 s[24:25], s[24:25], 3
	s_delay_alu instid0(SALU_CYCLE_1)
	s_add_u32 s24, s16, s24
	s_addc_u32 s25, s17, s25
	s_waitcnt lgkmcnt(0)
	global_store_b64 v27, v[24:25], s[24:25]
.LBB1318_61:
	s_or_b32 exec_lo, exec_lo, s19
	v_xad_u32 v25, v36, -1, s22
	s_mov_b32 s23, 0
	s_mov_b32 s19, exec_lo
	s_delay_alu instid0(VALU_DEP_1) | instskip(NEXT) | instid1(VALU_DEP_1)
	v_add_nc_u32_e32 v26, 32, v25
	v_lshlrev_b64 v[26:27], 3, v[26:27]
	s_delay_alu instid0(VALU_DEP_1) | instskip(NEXT) | instid1(VALU_DEP_2)
	v_add_co_u32 v29, vcc_lo, s16, v26
	v_add_co_ci_u32_e32 v30, vcc_lo, s17, v27, vcc_lo
	global_load_b64 v[27:28], v[29:30], off glc
	s_waitcnt vmcnt(0)
	v_and_b32_e32 v26, 0xff, v28
	s_delay_alu instid0(VALU_DEP_1)
	v_cmpx_eq_u16_e32 0, v26
	s_cbranch_execz .LBB1318_67
; %bb.62:
	s_mov_b32 s24, 1
	.p2align	6
.LBB1318_63:                            ; =>This Loop Header: Depth=1
                                        ;     Child Loop BB1318_64 Depth 2
	s_delay_alu instid0(SALU_CYCLE_1)
	s_max_u32 s25, s24, 1
.LBB1318_64:                            ;   Parent Loop BB1318_63 Depth=1
                                        ; =>  This Inner Loop Header: Depth=2
	s_delay_alu instid0(SALU_CYCLE_1)
	s_add_i32 s25, s25, -1
	s_sleep 1
	s_cmp_eq_u32 s25, 0
	s_cbranch_scc0 .LBB1318_64
; %bb.65:                               ;   in Loop: Header=BB1318_63 Depth=1
	global_load_b64 v[27:28], v[29:30], off glc
	s_cmp_lt_u32 s24, 32
	s_cselect_b32 s25, -1, 0
	s_delay_alu instid0(SALU_CYCLE_1) | instskip(SKIP_3) | instid1(VALU_DEP_1)
	s_cmp_lg_u32 s25, 0
	s_addc_u32 s24, s24, 0
	s_waitcnt vmcnt(0)
	v_and_b32_e32 v26, 0xff, v28
	v_cmp_ne_u16_e32 vcc_lo, 0, v26
	s_or_b32 s23, vcc_lo, s23
	s_delay_alu instid0(SALU_CYCLE_1)
	s_and_not1_b32 exec_lo, exec_lo, s23
	s_cbranch_execnz .LBB1318_63
; %bb.66:
	s_or_b32 exec_lo, exec_lo, s23
.LBB1318_67:
	s_delay_alu instid0(SALU_CYCLE_1)
	s_or_b32 exec_lo, exec_lo, s19
	v_cmp_ne_u32_e32 vcc_lo, 31, v36
	v_lshlrev_b32_e64 v40, v36, -1
	v_add_nc_u32_e32 v42, 2, v36
	v_add_nc_u32_e32 v44, 4, v36
	v_add_nc_u32_e32 v47, 8, v36
	v_add_co_ci_u32_e32 v26, vcc_lo, 0, v36, vcc_lo
	v_add_nc_u32_e32 v49, 16, v36
	s_delay_alu instid0(VALU_DEP_2) | instskip(SKIP_2) | instid1(VALU_DEP_1)
	v_lshlrev_b32_e32 v39, 2, v26
	ds_bpermute_b32 v29, v39, v27
	v_and_b32_e32 v26, 0xff, v28
	v_cmp_eq_u16_e32 vcc_lo, 2, v26
	v_and_or_b32 v26, vcc_lo, v40, 0x80000000
	v_cmp_gt_u32_e32 vcc_lo, 30, v36
	s_delay_alu instid0(VALU_DEP_2) | instskip(SKIP_1) | instid1(VALU_DEP_2)
	v_ctz_i32_b32_e32 v26, v26
	v_cndmask_b32_e64 v30, 0, 1, vcc_lo
	v_cmp_lt_u32_e32 vcc_lo, v36, v26
	s_waitcnt lgkmcnt(0)
	s_delay_alu instid0(VALU_DEP_2) | instskip(NEXT) | instid1(VALU_DEP_1)
	v_dual_cndmask_b32 v29, 0, v29 :: v_dual_lshlrev_b32 v30, 1, v30
	v_add_lshl_u32 v41, v30, v36, 2
	v_cmp_gt_u32_e32 vcc_lo, 28, v36
	s_delay_alu instid0(VALU_DEP_3) | instskip(SKIP_4) | instid1(VALU_DEP_1)
	v_add_nc_u32_e32 v27, v29, v27
	v_cndmask_b32_e64 v30, 0, 1, vcc_lo
	v_cmp_le_u32_e32 vcc_lo, v42, v26
	ds_bpermute_b32 v29, v41, v27
	v_lshlrev_b32_e32 v30, 2, v30
	v_add_lshl_u32 v43, v30, v36, 2
	s_waitcnt lgkmcnt(0)
	v_cndmask_b32_e32 v29, 0, v29, vcc_lo
	v_cmp_gt_u32_e32 vcc_lo, 24, v36
	s_delay_alu instid0(VALU_DEP_2) | instskip(SKIP_4) | instid1(VALU_DEP_1)
	v_add_nc_u32_e32 v27, v27, v29
	v_cndmask_b32_e64 v30, 0, 1, vcc_lo
	v_cmp_le_u32_e32 vcc_lo, v44, v26
	ds_bpermute_b32 v29, v43, v27
	v_lshlrev_b32_e32 v30, 3, v30
	v_add_lshl_u32 v46, v30, v36, 2
	s_waitcnt lgkmcnt(0)
	v_cndmask_b32_e32 v29, 0, v29, vcc_lo
	v_cmp_gt_u32_e32 vcc_lo, 16, v36
	s_delay_alu instid0(VALU_DEP_2) | instskip(SKIP_4) | instid1(VALU_DEP_1)
	v_add_nc_u32_e32 v27, v27, v29
	v_cndmask_b32_e64 v30, 0, 1, vcc_lo
	v_cmp_le_u32_e32 vcc_lo, v47, v26
	ds_bpermute_b32 v29, v46, v27
	v_lshlrev_b32_e32 v30, 4, v30
	v_add_lshl_u32 v48, v30, v36, 2
	s_waitcnt lgkmcnt(0)
	v_cndmask_b32_e32 v29, 0, v29, vcc_lo
	v_cmp_le_u32_e32 vcc_lo, v49, v26
	s_delay_alu instid0(VALU_DEP_2) | instskip(SKIP_3) | instid1(VALU_DEP_1)
	v_add_nc_u32_e32 v27, v27, v29
	ds_bpermute_b32 v29, v48, v27
	s_waitcnt lgkmcnt(0)
	v_cndmask_b32_e32 v26, 0, v29, vcc_lo
	v_dual_mov_b32 v26, 0 :: v_dual_add_nc_u32 v27, v27, v26
	s_branch .LBB1318_69
.LBB1318_68:                            ;   in Loop: Header=BB1318_69 Depth=1
	s_or_b32 exec_lo, exec_lo, s19
	ds_bpermute_b32 v30, v39, v27
	v_and_b32_e32 v29, 0xff, v28
	v_subrev_nc_u32_e32 v25, 32, v25
	s_delay_alu instid0(VALU_DEP_2) | instskip(SKIP_1) | instid1(VALU_DEP_1)
	v_cmp_eq_u16_e32 vcc_lo, 2, v29
	v_and_or_b32 v29, vcc_lo, v40, 0x80000000
	v_ctz_i32_b32_e32 v29, v29
	s_delay_alu instid0(VALU_DEP_1) | instskip(SKIP_3) | instid1(VALU_DEP_2)
	v_cmp_lt_u32_e32 vcc_lo, v36, v29
	s_waitcnt lgkmcnt(0)
	v_cndmask_b32_e32 v30, 0, v30, vcc_lo
	v_cmp_le_u32_e32 vcc_lo, v42, v29
	v_add_nc_u32_e32 v27, v30, v27
	ds_bpermute_b32 v30, v41, v27
	s_waitcnt lgkmcnt(0)
	v_cndmask_b32_e32 v30, 0, v30, vcc_lo
	v_cmp_le_u32_e32 vcc_lo, v44, v29
	s_delay_alu instid0(VALU_DEP_2) | instskip(SKIP_4) | instid1(VALU_DEP_2)
	v_add_nc_u32_e32 v27, v27, v30
	ds_bpermute_b32 v30, v43, v27
	s_waitcnt lgkmcnt(0)
	v_cndmask_b32_e32 v30, 0, v30, vcc_lo
	v_cmp_le_u32_e32 vcc_lo, v47, v29
	v_add_nc_u32_e32 v27, v27, v30
	ds_bpermute_b32 v30, v46, v27
	s_waitcnt lgkmcnt(0)
	v_cndmask_b32_e32 v30, 0, v30, vcc_lo
	v_cmp_le_u32_e32 vcc_lo, v49, v29
	s_delay_alu instid0(VALU_DEP_2) | instskip(SKIP_3) | instid1(VALU_DEP_1)
	v_add_nc_u32_e32 v27, v27, v30
	ds_bpermute_b32 v30, v48, v27
	s_waitcnt lgkmcnt(0)
	v_cndmask_b32_e32 v29, 0, v30, vcc_lo
	v_add3_u32 v27, v29, v45, v27
.LBB1318_69:                            ; =>This Loop Header: Depth=1
                                        ;     Child Loop BB1318_72 Depth 2
                                        ;       Child Loop BB1318_73 Depth 3
	s_delay_alu instid0(VALU_DEP_1) | instskip(NEXT) | instid1(VALU_DEP_1)
	v_dual_mov_b32 v45, v27 :: v_dual_and_b32 v28, 0xff, v28
	v_cmp_ne_u16_e32 vcc_lo, 2, v28
	v_cndmask_b32_e64 v28, 0, 1, vcc_lo
	;;#ASMSTART
	;;#ASMEND
	s_delay_alu instid0(VALU_DEP_1)
	v_cmp_ne_u32_e32 vcc_lo, 0, v28
	s_cmp_lg_u32 vcc_lo, exec_lo
	s_cbranch_scc1 .LBB1318_76
; %bb.70:                               ;   in Loop: Header=BB1318_69 Depth=1
	v_lshlrev_b64 v[27:28], 3, v[25:26]
	s_mov_b32 s19, exec_lo
	s_delay_alu instid0(VALU_DEP_1) | instskip(NEXT) | instid1(VALU_DEP_2)
	v_add_co_u32 v29, vcc_lo, s16, v27
	v_add_co_ci_u32_e32 v30, vcc_lo, s17, v28, vcc_lo
	global_load_b64 v[27:28], v[29:30], off glc
	s_waitcnt vmcnt(0)
	v_and_b32_e32 v50, 0xff, v28
	s_delay_alu instid0(VALU_DEP_1)
	v_cmpx_eq_u16_e32 0, v50
	s_cbranch_execz .LBB1318_68
; %bb.71:                               ;   in Loop: Header=BB1318_69 Depth=1
	s_mov_b32 s24, 1
	s_mov_b32 s23, 0
	.p2align	6
.LBB1318_72:                            ;   Parent Loop BB1318_69 Depth=1
                                        ; =>  This Loop Header: Depth=2
                                        ;       Child Loop BB1318_73 Depth 3
	s_max_u32 s25, s24, 1
.LBB1318_73:                            ;   Parent Loop BB1318_69 Depth=1
                                        ;     Parent Loop BB1318_72 Depth=2
                                        ; =>    This Inner Loop Header: Depth=3
	s_delay_alu instid0(SALU_CYCLE_1)
	s_add_i32 s25, s25, -1
	s_sleep 1
	s_cmp_eq_u32 s25, 0
	s_cbranch_scc0 .LBB1318_73
; %bb.74:                               ;   in Loop: Header=BB1318_72 Depth=2
	global_load_b64 v[27:28], v[29:30], off glc
	s_cmp_lt_u32 s24, 32
	s_cselect_b32 s25, -1, 0
	s_delay_alu instid0(SALU_CYCLE_1) | instskip(SKIP_3) | instid1(VALU_DEP_1)
	s_cmp_lg_u32 s25, 0
	s_addc_u32 s24, s24, 0
	s_waitcnt vmcnt(0)
	v_and_b32_e32 v50, 0xff, v28
	v_cmp_ne_u16_e32 vcc_lo, 0, v50
	s_or_b32 s23, vcc_lo, s23
	s_delay_alu instid0(SALU_CYCLE_1)
	s_and_not1_b32 exec_lo, exec_lo, s23
	s_cbranch_execnz .LBB1318_72
; %bb.75:                               ;   in Loop: Header=BB1318_69 Depth=1
	s_or_b32 exec_lo, exec_lo, s23
	s_branch .LBB1318_68
.LBB1318_76:                            ;   in Loop: Header=BB1318_69 Depth=1
                                        ; implicit-def: $vgpr27
                                        ; implicit-def: $vgpr28
	s_cbranch_execz .LBB1318_69
; %bb.77:
	s_and_saveexec_b32 s19, s7
	s_cbranch_execz .LBB1318_79
; %bb.78:
	s_add_i32 s22, s22, 32
	s_mov_b32 s23, 0
	v_dual_mov_b32 v26, 2 :: v_dual_add_nc_u32 v25, v45, v24
	s_lshl_b64 s[22:23], s[22:23], 3
	v_mov_b32_e32 v27, 0
	v_add_nc_u32_e64 v28, 0x6000, 0
	s_add_u32 s22, s16, s22
	s_addc_u32 s23, s17, s23
	global_store_b64 v27, v[25:26], s[22:23]
	ds_store_2addr_b32 v28, v24, v45 offset0:192 offset1:194
.LBB1318_79:
	s_or_b32 exec_lo, exec_lo, s19
	s_delay_alu instid0(SALU_CYCLE_1)
	s_and_b32 exec_lo, exec_lo, s2
	s_cbranch_execz .LBB1318_81
; %bb.80:
	v_mov_b32_e32 v24, 0
	ds_store_b32 v24, v45 offset:60
.LBB1318_81:
	s_or_b32 exec_lo, exec_lo, s18
	v_mov_b32_e32 v24, 0
	s_waitcnt lgkmcnt(0)
	s_waitcnt_vscnt null, 0x0
	s_barrier
	buffer_gl0_inv
	v_add_nc_u32_e64 v25, 0x6000, 0
	ds_load_b32 v26, v24 offset:60
	v_cndmask_b32_e64 v24, v38, v32, s7
	s_waitcnt lgkmcnt(0)
	s_barrier
	buffer_gl0_inv
	v_cndmask_b32_e64 v27, v24, 0, s2
	ds_load_2addr_b32 v[24:25], v25 offset0:192 offset1:194
	v_add_nc_u32_e32 v32, v26, v27
	s_delay_alu instid0(VALU_DEP_1) | instskip(SKIP_2) | instid1(VALU_DEP_2)
	v_add_nc_u32_e32 v30, v32, v19
	s_waitcnt lgkmcnt(0)
	v_readfirstlane_b32 s18, v25
	v_add_nc_u32_e32 v28, v30, v33
	s_delay_alu instid0(VALU_DEP_1)
	v_add_nc_u32_e32 v26, v28, v35
	s_branch .LBB1318_92
.LBB1318_82:
                                        ; implicit-def: $vgpr26
                                        ; implicit-def: $vgpr28
                                        ; implicit-def: $vgpr30
                                        ; implicit-def: $vgpr32
                                        ; implicit-def: $sgpr18
                                        ; implicit-def: $vgpr24
	s_and_b32 vcc_lo, exec_lo, s7
	s_cbranch_vccz .LBB1318_92
; %bb.83:
	v_mov_b32_dpp v24, v37 row_shr:1 row_mask:0xf bank_mask:0xf
	s_delay_alu instid0(VALU_DEP_1) | instskip(NEXT) | instid1(VALU_DEP_1)
	v_cndmask_b32_e64 v24, v24, 0, s0
	v_add_nc_u32_e32 v24, v24, v37
	s_delay_alu instid0(VALU_DEP_1) | instskip(NEXT) | instid1(VALU_DEP_1)
	v_mov_b32_dpp v25, v24 row_shr:2 row_mask:0xf bank_mask:0xf
	v_cndmask_b32_e64 v25, 0, v25, s4
	s_delay_alu instid0(VALU_DEP_1) | instskip(NEXT) | instid1(VALU_DEP_1)
	v_add_nc_u32_e32 v24, v24, v25
	v_mov_b32_dpp v25, v24 row_shr:4 row_mask:0xf bank_mask:0xf
	s_delay_alu instid0(VALU_DEP_1) | instskip(NEXT) | instid1(VALU_DEP_1)
	v_cndmask_b32_e64 v25, 0, v25, s3
	v_add_nc_u32_e32 v24, v24, v25
	s_delay_alu instid0(VALU_DEP_1) | instskip(NEXT) | instid1(VALU_DEP_1)
	v_mov_b32_dpp v25, v24 row_shr:8 row_mask:0xf bank_mask:0xf
	v_cndmask_b32_e64 v25, 0, v25, s1
	s_delay_alu instid0(VALU_DEP_1) | instskip(SKIP_3) | instid1(VALU_DEP_1)
	v_add_nc_u32_e32 v24, v24, v25
	ds_swizzle_b32 v25, v24 offset:swizzle(BROADCAST,32,15)
	s_waitcnt lgkmcnt(0)
	v_cndmask_b32_e64 v25, v25, 0, s6
	v_add_nc_u32_e32 v24, v24, v25
	s_and_saveexec_b32 s6, s5
	s_cbranch_execz .LBB1318_85
; %bb.84:
	v_lshlrev_b32_e32 v25, 2, v14
	ds_store_b32 v25, v24
.LBB1318_85:
	s_or_b32 exec_lo, exec_lo, s6
	s_delay_alu instid0(SALU_CYCLE_1)
	s_mov_b32 s5, exec_lo
	s_waitcnt lgkmcnt(0)
	s_barrier
	buffer_gl0_inv
	v_cmpx_gt_u32_e32 16, v0
	s_cbranch_execz .LBB1318_87
; %bb.86:
	ds_load_b32 v25, v9
	s_waitcnt lgkmcnt(0)
	v_mov_b32_dpp v26, v25 row_shr:1 row_mask:0xf bank_mask:0xf
	s_delay_alu instid0(VALU_DEP_1) | instskip(NEXT) | instid1(VALU_DEP_1)
	v_cndmask_b32_e64 v26, v26, 0, s0
	v_add_nc_u32_e32 v25, v26, v25
	s_delay_alu instid0(VALU_DEP_1) | instskip(NEXT) | instid1(VALU_DEP_1)
	v_mov_b32_dpp v26, v25 row_shr:2 row_mask:0xf bank_mask:0xf
	v_cndmask_b32_e64 v26, 0, v26, s4
	s_delay_alu instid0(VALU_DEP_1) | instskip(NEXT) | instid1(VALU_DEP_1)
	v_add_nc_u32_e32 v25, v25, v26
	v_mov_b32_dpp v26, v25 row_shr:4 row_mask:0xf bank_mask:0xf
	s_delay_alu instid0(VALU_DEP_1) | instskip(NEXT) | instid1(VALU_DEP_1)
	v_cndmask_b32_e64 v26, 0, v26, s3
	v_add_nc_u32_e32 v25, v25, v26
	s_delay_alu instid0(VALU_DEP_1) | instskip(NEXT) | instid1(VALU_DEP_1)
	v_mov_b32_dpp v26, v25 row_shr:8 row_mask:0xf bank_mask:0xf
	v_cndmask_b32_e64 v26, 0, v26, s1
	s_delay_alu instid0(VALU_DEP_1)
	v_add_nc_u32_e32 v25, v25, v26
	ds_store_b32 v9, v25
.LBB1318_87:
	s_or_b32 exec_lo, exec_lo, s5
	v_mov_b32_e32 v25, 0
	v_mov_b32_e32 v9, 0
	s_mov_b32 s0, exec_lo
	s_waitcnt lgkmcnt(0)
	s_barrier
	buffer_gl0_inv
	v_cmpx_lt_u32_e32 31, v0
	s_cbranch_execz .LBB1318_89
; %bb.88:
	v_lshl_add_u32 v9, v14, 2, -4
	ds_load_b32 v9, v9
.LBB1318_89:
	s_or_b32 exec_lo, exec_lo, s0
	v_add_nc_u32_e32 v14, -1, v36
	s_waitcnt lgkmcnt(0)
	v_add_nc_u32_e32 v24, v9, v24
	s_mov_b32 s18, 0
	s_delay_alu instid0(VALU_DEP_2) | instskip(SKIP_1) | instid1(VALU_DEP_1)
	v_cmp_gt_i32_e32 vcc_lo, 0, v14
	v_cndmask_b32_e32 v14, v14, v36, vcc_lo
	v_lshlrev_b32_e32 v14, 2, v14
	ds_bpermute_b32 v14, v14, v24
	ds_load_b32 v24, v25 offset:60
	s_and_saveexec_b32 s0, s2
	s_cbranch_execz .LBB1318_91
; %bb.90:
	v_dual_mov_b32 v26, 0 :: v_dual_mov_b32 v25, 2
	s_waitcnt lgkmcnt(0)
	global_store_b64 v26, v[24:25], s[16:17] offset:256
.LBB1318_91:
	s_or_b32 exec_lo, exec_lo, s0
	v_cmp_eq_u32_e32 vcc_lo, 0, v36
	s_waitcnt lgkmcnt(0)
	s_waitcnt_vscnt null, 0x0
	s_barrier
	buffer_gl0_inv
	v_cndmask_b32_e32 v9, v14, v9, vcc_lo
	s_delay_alu instid0(VALU_DEP_1) | instskip(NEXT) | instid1(VALU_DEP_1)
	v_cndmask_b32_e64 v32, v9, 0, s2
	v_add_nc_u32_e32 v30, v32, v19
	s_delay_alu instid0(VALU_DEP_1) | instskip(NEXT) | instid1(VALU_DEP_1)
	v_add_nc_u32_e32 v28, v30, v33
	v_add_nc_u32_e32 v26, v28, v35
.LBB1318_92:
	s_delay_alu instid0(VALU_DEP_3)
	v_add_nc_u32_e32 v27, s18, v24
	v_cmp_gt_u32_e64 s0, 0x201, v24
	v_lshrrev_b32_e32 v25, 16, v31
	v_lshrrev_b32_e32 v35, 8, v31
	s_mov_b32 s3, -1
	v_cmp_lt_u32_e64 s1, v32, v27
	s_and_b32 vcc_lo, exec_lo, s0
	s_cbranch_vccz .LBB1318_106
; %bb.93:
	s_delay_alu instid0(VALU_DEP_1) | instskip(NEXT) | instid1(SALU_CYCLE_1)
	s_or_b32 s3, s21, s1
	s_and_saveexec_b32 s1, s3
	s_cbranch_execz .LBB1318_96
; %bb.94:
	v_and_b32_e32 v9, 1, v31
	s_delay_alu instid0(VALU_DEP_1)
	v_cmp_eq_u32_e32 vcc_lo, 1, v9
	s_and_b32 exec_lo, exec_lo, vcc_lo
	s_cbranch_execz .LBB1318_96
; %bb.95:
	s_mul_i32 s3, s11, 12
	s_mul_hi_u32 s4, s10, 12
	s_mul_i32 s5, s10, 12
	s_add_i32 s3, s4, s3
	s_add_u32 s4, s12, s5
	s_addc_u32 s5, s13, s3
	v_mov_b32_e32 v19, v22
	v_mad_u64_u32 v[36:37], null, v32, 12, s[4:5]
	global_store_b96 v[36:37], v[17:19], off
.LBB1318_96:
	s_or_b32 exec_lo, exec_lo, s1
	v_cmp_lt_u32_e32 vcc_lo, v30, v27
	s_or_b32 s3, s21, vcc_lo
	s_delay_alu instid0(SALU_CYCLE_1)
	s_and_saveexec_b32 s1, s3
	s_cbranch_execz .LBB1318_99
; %bb.97:
	v_and_b32_e32 v9, 1, v35
	s_delay_alu instid0(VALU_DEP_1)
	v_cmp_eq_u32_e32 vcc_lo, 1, v9
	s_and_b32 exec_lo, exec_lo, vcc_lo
	s_cbranch_execz .LBB1318_99
; %bb.98:
	s_mul_i32 s3, s11, 12
	s_mul_hi_u32 s4, s10, 12
	s_mul_i32 s5, s10, 12
	s_add_i32 s3, s4, s3
	s_add_u32 s4, s12, s5
	s_addc_u32 s5, s13, s3
	v_mov_b32_e32 v14, v23
	v_mad_u64_u32 v[36:37], null, v30, 12, s[4:5]
	global_store_b96 v[36:37], v[14:16], off
.LBB1318_99:
	s_or_b32 exec_lo, exec_lo, s1
	v_cmp_lt_u32_e32 vcc_lo, v28, v27
	s_or_b32 s3, s21, vcc_lo
	s_delay_alu instid0(SALU_CYCLE_1)
	;; [unrolled: 23-line block ×3, first 2 shown]
	s_and_saveexec_b32 s1, s3
	s_cbranch_execz .LBB1318_105
; %bb.103:
	v_and_b32_e32 v9, 1, v34
	s_delay_alu instid0(VALU_DEP_1)
	v_cmp_eq_u32_e32 vcc_lo, 1, v9
	s_and_b32 exec_lo, exec_lo, vcc_lo
	s_cbranch_execz .LBB1318_105
; %bb.104:
	s_mul_i32 s3, s11, 12
	s_mul_hi_u32 s4, s10, 12
	s_mul_i32 s5, s10, 12
	s_add_i32 s3, s4, s3
	s_add_u32 s4, s12, s5
	s_addc_u32 s5, s13, s3
	v_mov_b32_e32 v9, v21
	v_mad_u64_u32 v[36:37], null, v26, 12, s[4:5]
	global_store_b96 v[36:37], v[9:11], off
.LBB1318_105:
	s_or_b32 exec_lo, exec_lo, s1
	s_mov_b32 s3, 0
.LBB1318_106:
	v_and_b32_e32 v9, 1, v31
	s_and_b32 vcc_lo, exec_lo, s3
	s_delay_alu instid0(VALU_DEP_1)
	v_cmp_eq_u32_e64 s1, 1, v9
	s_cbranch_vccz .LBB1318_119
; %bb.107:
	s_delay_alu instid0(VALU_DEP_1)
	s_and_saveexec_b32 s3, s1
	s_cbranch_execz .LBB1318_109
; %bb.108:
	v_subrev_nc_u32_e32 v14, s18, v32
	s_delay_alu instid0(VALU_DEP_1)
	v_mul_lo_u32 v14, v14, 12
	ds_store_2addr_b32 v14, v17, v18 offset1:1
	ds_store_b32 v14, v22 offset:8
.LBB1318_109:
	s_or_b32 exec_lo, exec_lo, s3
	v_and_b32_e32 v14, 1, v35
	s_mov_b32 s1, exec_lo
	s_delay_alu instid0(VALU_DEP_1)
	v_cmpx_eq_u32_e32 1, v14
	s_cbranch_execz .LBB1318_111
; %bb.110:
	v_subrev_nc_u32_e32 v14, s18, v30
	s_delay_alu instid0(VALU_DEP_1)
	v_mul_lo_u32 v14, v14, 12
	ds_store_2addr_b32 v14, v23, v15 offset1:1
	ds_store_b32 v14, v16 offset:8
.LBB1318_111:
	s_or_b32 exec_lo, exec_lo, s1
	v_and_b32_e32 v14, 1, v25
	s_mov_b32 s1, exec_lo
	s_delay_alu instid0(VALU_DEP_1)
	v_cmpx_eq_u32_e32 1, v14
	;; [unrolled: 13-line block ×3, first 2 shown]
	s_cbranch_execz .LBB1318_115
; %bb.114:
	v_subrev_nc_u32_e32 v12, s18, v26
	s_delay_alu instid0(VALU_DEP_1)
	v_mul_lo_u32 v12, v12, 12
	ds_store_2addr_b32 v12, v21, v10 offset1:1
	ds_store_b32 v12, v11 offset:8
.LBB1318_115:
	s_or_b32 exec_lo, exec_lo, s1
	s_delay_alu instid0(SALU_CYCLE_1)
	s_mov_b32 s1, exec_lo
	s_waitcnt lgkmcnt(0)
	s_waitcnt_vscnt null, 0x0
	s_barrier
	buffer_gl0_inv
	v_cmpx_lt_u32_e64 v0, v24
	s_cbranch_execz .LBB1318_118
; %bb.116:
	s_mul_i32 s3, s18, 12
	s_mul_hi_u32 s4, s18, 12
	s_add_u32 s3, s12, s3
	s_mul_i32 s5, s11, 12
	s_mul_hi_u32 s6, s10, 12
	s_addc_u32 s7, s13, s4
	s_mul_i32 s4, s10, 12
	v_mul_u32_u24_e32 v10, 12, v0
	v_mov_b32_e32 v11, v0
	s_add_i32 s6, s6, s5
	s_add_u32 s4, s3, s4
	s_addc_u32 s5, s7, s6
	s_mov_b32 s3, 0
.LBB1318_117:                           ; =>This Inner Loop Header: Depth=1
	ds_load_2addr_b32 v[12:13], v10 offset1:1
	ds_load_b32 v14, v10 offset:8
	v_mad_u64_u32 v[15:16], null, v11, 12, s[4:5]
	v_add_nc_u32_e32 v11, 0x200, v11
	v_add_nc_u32_e32 v10, 0x1800, v10
	s_delay_alu instid0(VALU_DEP_2)
	v_cmp_ge_u32_e32 vcc_lo, v11, v24
	s_or_b32 s3, vcc_lo, s3
	s_waitcnt lgkmcnt(0)
	global_store_b96 v[15:16], v[12:14], off
	s_and_not1_b32 exec_lo, exec_lo, s3
	s_cbranch_execnz .LBB1318_117
.LBB1318_118:
	s_or_b32 exec_lo, exec_lo, s1
.LBB1318_119:
	s_delay_alu instid0(SALU_CYCLE_1)
	s_and_b32 vcc_lo, exec_lo, s0
	s_mov_b32 s0, -1
	s_waitcnt_vscnt null, 0x0
	s_barrier
	buffer_gl0_inv
	s_cbranch_vccz .LBB1318_135
; %bb.120:
	v_cmp_lt_u32_e32 vcc_lo, v32, v27
	s_or_b32 s1, s21, vcc_lo
	s_delay_alu instid0(SALU_CYCLE_1)
	s_and_saveexec_b32 s0, s1
	s_cbranch_execz .LBB1318_123
; %bb.121:
	v_cmp_eq_u32_e32 vcc_lo, 1, v9
	s_and_b32 exec_lo, exec_lo, vcc_lo
	s_cbranch_execz .LBB1318_123
; %bb.122:
	v_mov_b32_e32 v33, 0
	s_lshl_b64 s[4:5], s[10:11], 3
	s_delay_alu instid0(SALU_CYCLE_1) | instskip(SKIP_1) | instid1(VALU_DEP_1)
	s_add_u32 s1, s14, s4
	s_addc_u32 s3, s15, s5
	v_lshlrev_b64 v[10:11], 3, v[32:33]
	s_delay_alu instid0(VALU_DEP_1) | instskip(NEXT) | instid1(VALU_DEP_2)
	v_add_co_u32 v10, vcc_lo, s1, v10
	v_add_co_ci_u32_e32 v11, vcc_lo, s3, v11, vcc_lo
	global_store_b64 v[10:11], v[5:6], off
.LBB1318_123:
	s_or_b32 exec_lo, exec_lo, s0
	v_cmp_lt_u32_e32 vcc_lo, v30, v27
	s_or_b32 s1, s21, vcc_lo
	s_delay_alu instid0(SALU_CYCLE_1)
	s_and_saveexec_b32 s0, s1
	s_cbranch_execz .LBB1318_126
; %bb.124:
	v_and_b32_e32 v10, 1, v35
	s_delay_alu instid0(VALU_DEP_1)
	v_cmp_eq_u32_e32 vcc_lo, 1, v10
	s_and_b32 exec_lo, exec_lo, vcc_lo
	s_cbranch_execz .LBB1318_126
; %bb.125:
	v_mov_b32_e32 v31, 0
	s_lshl_b64 s[4:5], s[10:11], 3
	s_delay_alu instid0(SALU_CYCLE_1) | instskip(SKIP_1) | instid1(VALU_DEP_1)
	s_add_u32 s1, s14, s4
	s_addc_u32 s3, s15, s5
	v_lshlrev_b64 v[10:11], 3, v[30:31]
	s_delay_alu instid0(VALU_DEP_1) | instskip(NEXT) | instid1(VALU_DEP_2)
	v_add_co_u32 v10, vcc_lo, s1, v10
	v_add_co_ci_u32_e32 v11, vcc_lo, s3, v11, vcc_lo
	global_store_b64 v[10:11], v[7:8], off
.LBB1318_126:
	s_or_b32 exec_lo, exec_lo, s0
	v_cmp_lt_u32_e32 vcc_lo, v28, v27
	s_or_b32 s1, s21, vcc_lo
	s_delay_alu instid0(SALU_CYCLE_1)
	s_and_saveexec_b32 s0, s1
	s_cbranch_execz .LBB1318_129
; %bb.127:
	v_and_b32_e32 v10, 1, v25
	s_delay_alu instid0(VALU_DEP_1)
	v_cmp_eq_u32_e32 vcc_lo, 1, v10
	s_and_b32 exec_lo, exec_lo, vcc_lo
	s_cbranch_execz .LBB1318_129
; %bb.128:
	v_mov_b32_e32 v29, 0
	s_lshl_b64 s[4:5], s[10:11], 3
	s_delay_alu instid0(SALU_CYCLE_1) | instskip(SKIP_1) | instid1(VALU_DEP_1)
	s_add_u32 s1, s14, s4
	s_addc_u32 s3, s15, s5
	v_lshlrev_b64 v[10:11], 3, v[28:29]
	s_delay_alu instid0(VALU_DEP_1) | instskip(NEXT) | instid1(VALU_DEP_2)
	v_add_co_u32 v10, vcc_lo, s1, v10
	v_add_co_ci_u32_e32 v11, vcc_lo, s3, v11, vcc_lo
	global_store_b64 v[10:11], v[1:2], off
.LBB1318_129:
	;; [unrolled: 24-line block ×3, first 2 shown]
	s_or_b32 exec_lo, exec_lo, s0
.LBB1318_133:
	s_and_b32 s0, s2, s20
	s_delay_alu instid0(SALU_CYCLE_1)
	s_and_saveexec_b32 s1, s0
	s_cbranch_execz .LBB1318_148
.LBB1318_134:
	v_add_co_u32 v0, s0, s10, v24
	s_delay_alu instid0(VALU_DEP_1) | instskip(SKIP_1) | instid1(VALU_DEP_3)
	v_add_co_ci_u32_e64 v1, null, s11, 0, s0
	v_mov_b32_e32 v2, 0
	v_add_co_u32 v0, vcc_lo, v0, s18
	s_delay_alu instid0(VALU_DEP_3)
	v_add_co_ci_u32_e32 v1, vcc_lo, 0, v1, vcc_lo
	global_store_b64 v2, v[0:1], s[8:9]
	s_nop 0
	s_sendmsg sendmsg(MSG_DEALLOC_VGPRS)
	s_endpgm
.LBB1318_135:
	s_and_b32 vcc_lo, exec_lo, s0
	s_cbranch_vccz .LBB1318_133
; %bb.136:
	s_mov_b32 s0, exec_lo
	v_cmpx_eq_u32_e32 1, v9
	s_cbranch_execz .LBB1318_138
; %bb.137:
	v_subrev_nc_u32_e32 v9, s18, v32
	s_delay_alu instid0(VALU_DEP_1)
	v_lshlrev_b32_e32 v9, 3, v9
	ds_store_b64 v9, v[5:6]
.LBB1318_138:
	s_or_b32 exec_lo, exec_lo, s0
	v_and_b32_e32 v5, 1, v35
	s_mov_b32 s0, exec_lo
	s_delay_alu instid0(VALU_DEP_1)
	v_cmpx_eq_u32_e32 1, v5
	s_cbranch_execz .LBB1318_140
; %bb.139:
	v_subrev_nc_u32_e32 v5, s18, v30
	s_delay_alu instid0(VALU_DEP_1)
	v_lshlrev_b32_e32 v5, 3, v5
	ds_store_b64 v5, v[7:8]
.LBB1318_140:
	s_or_b32 exec_lo, exec_lo, s0
	v_and_b32_e32 v5, 1, v25
	s_mov_b32 s0, exec_lo
	s_delay_alu instid0(VALU_DEP_1)
	;; [unrolled: 12-line block ×3, first 2 shown]
	v_cmpx_eq_u32_e32 1, v1
	s_cbranch_execz .LBB1318_144
; %bb.143:
	v_subrev_nc_u32_e32 v1, s18, v26
	s_delay_alu instid0(VALU_DEP_1)
	v_lshlrev_b32_e32 v1, 3, v1
	ds_store_b64 v1, v[3:4]
.LBB1318_144:
	s_or_b32 exec_lo, exec_lo, s0
	s_delay_alu instid0(SALU_CYCLE_1)
	s_mov_b32 s1, exec_lo
	s_waitcnt lgkmcnt(0)
	s_waitcnt_vscnt null, 0x0
	s_barrier
	buffer_gl0_inv
	v_cmpx_lt_u32_e64 v0, v24
	s_cbranch_execz .LBB1318_147
; %bb.145:
	s_mov_b32 s19, 0
	s_lshl_b64 s[4:5], s[10:11], 3
	s_lshl_b64 s[6:7], s[18:19], 3
	v_lshlrev_b32_e32 v3, 3, v0
	s_add_u32 s0, s4, s6
	s_addc_u32 s3, s5, s7
	s_add_u32 s0, s14, s0
	s_addc_u32 s3, s15, s3
	v_add_co_u32 v1, s0, s0, v3
	s_delay_alu instid0(VALU_DEP_1)
	v_add_co_ci_u32_e64 v2, null, s3, 0, s0
	.p2align	6
.LBB1318_146:                           ; =>This Inner Loop Header: Depth=1
	ds_load_b64 v[4:5], v3
	v_add_nc_u32_e32 v0, 0x200, v0
	v_add_nc_u32_e32 v3, 0x1000, v3
	s_delay_alu instid0(VALU_DEP_2) | instskip(SKIP_4) | instid1(VALU_DEP_1)
	v_cmp_ge_u32_e32 vcc_lo, v0, v24
	s_or_b32 s19, vcc_lo, s19
	s_waitcnt lgkmcnt(0)
	global_store_b64 v[1:2], v[4:5], off
	v_add_co_u32 v1, s0, 0x1000, v1
	v_add_co_ci_u32_e64 v2, s0, 0, v2, s0
	s_and_not1_b32 exec_lo, exec_lo, s19
	s_cbranch_execnz .LBB1318_146
.LBB1318_147:
	s_or_b32 exec_lo, exec_lo, s1
	s_and_b32 s0, s2, s20
	s_delay_alu instid0(SALU_CYCLE_1)
	s_and_saveexec_b32 s1, s0
	s_cbranch_execnz .LBB1318_134
.LBB1318_148:
	s_nop 0
	s_sendmsg sendmsg(MSG_DEALLOC_VGPRS)
	s_endpgm
	.section	.rodata,"a",@progbits
	.p2align	6, 0x0
	.amdhsa_kernel _ZN7rocprim17ROCPRIM_400000_NS6detail17trampoline_kernelINS0_14default_configENS1_25partition_config_selectorILNS1_17partition_subalgoE9EN6thrust23THRUST_200600_302600_NS4pairIiN12_GLOBAL__N_15EntryEEESA_bEEZZNS1_14partition_implILS5_9ELb0ES3_jNS7_6detail15normal_iteratorINS7_10device_ptrIKSB_EEEENSF_INSG_ISA_EEEEPNS0_10empty_typeENS0_5tupleIJNSF_INSG_ISB_EEEESM_EEENSO_IJSL_SN_EEENS0_18inequality_wrapperINS9_12CompareFirstEEEPmJSM_EEE10hipError_tPvRmT3_T4_T5_T6_T7_T9_mT8_P12ihipStream_tbDpT10_ENKUlT_T0_E_clISt17integral_constantIbLb1EES1G_EEDaS1B_S1C_EUlS1B_E_NS1_11comp_targetILNS1_3genE9ELNS1_11target_archE1100ELNS1_3gpuE3ELNS1_3repE0EEENS1_30default_config_static_selectorELNS0_4arch9wavefront6targetE0EEEvT1_
		.amdhsa_group_segment_fixed_size 25356
		.amdhsa_private_segment_fixed_size 0
		.amdhsa_kernarg_size 128
		.amdhsa_user_sgpr_count 15
		.amdhsa_user_sgpr_dispatch_ptr 0
		.amdhsa_user_sgpr_queue_ptr 0
		.amdhsa_user_sgpr_kernarg_segment_ptr 1
		.amdhsa_user_sgpr_dispatch_id 0
		.amdhsa_user_sgpr_private_segment_size 0
		.amdhsa_wavefront_size32 1
		.amdhsa_uses_dynamic_stack 0
		.amdhsa_enable_private_segment 0
		.amdhsa_system_sgpr_workgroup_id_x 1
		.amdhsa_system_sgpr_workgroup_id_y 0
		.amdhsa_system_sgpr_workgroup_id_z 0
		.amdhsa_system_sgpr_workgroup_info 0
		.amdhsa_system_vgpr_workitem_id 0
		.amdhsa_next_free_vgpr 51
		.amdhsa_next_free_sgpr 26
		.amdhsa_reserve_vcc 1
		.amdhsa_float_round_mode_32 0
		.amdhsa_float_round_mode_16_64 0
		.amdhsa_float_denorm_mode_32 3
		.amdhsa_float_denorm_mode_16_64 3
		.amdhsa_dx10_clamp 1
		.amdhsa_ieee_mode 1
		.amdhsa_fp16_overflow 0
		.amdhsa_workgroup_processor_mode 1
		.amdhsa_memory_ordered 1
		.amdhsa_forward_progress 0
		.amdhsa_shared_vgpr_count 0
		.amdhsa_exception_fp_ieee_invalid_op 0
		.amdhsa_exception_fp_denorm_src 0
		.amdhsa_exception_fp_ieee_div_zero 0
		.amdhsa_exception_fp_ieee_overflow 0
		.amdhsa_exception_fp_ieee_underflow 0
		.amdhsa_exception_fp_ieee_inexact 0
		.amdhsa_exception_int_div_zero 0
	.end_amdhsa_kernel
	.section	.text._ZN7rocprim17ROCPRIM_400000_NS6detail17trampoline_kernelINS0_14default_configENS1_25partition_config_selectorILNS1_17partition_subalgoE9EN6thrust23THRUST_200600_302600_NS4pairIiN12_GLOBAL__N_15EntryEEESA_bEEZZNS1_14partition_implILS5_9ELb0ES3_jNS7_6detail15normal_iteratorINS7_10device_ptrIKSB_EEEENSF_INSG_ISA_EEEEPNS0_10empty_typeENS0_5tupleIJNSF_INSG_ISB_EEEESM_EEENSO_IJSL_SN_EEENS0_18inequality_wrapperINS9_12CompareFirstEEEPmJSM_EEE10hipError_tPvRmT3_T4_T5_T6_T7_T9_mT8_P12ihipStream_tbDpT10_ENKUlT_T0_E_clISt17integral_constantIbLb1EES1G_EEDaS1B_S1C_EUlS1B_E_NS1_11comp_targetILNS1_3genE9ELNS1_11target_archE1100ELNS1_3gpuE3ELNS1_3repE0EEENS1_30default_config_static_selectorELNS0_4arch9wavefront6targetE0EEEvT1_,"axG",@progbits,_ZN7rocprim17ROCPRIM_400000_NS6detail17trampoline_kernelINS0_14default_configENS1_25partition_config_selectorILNS1_17partition_subalgoE9EN6thrust23THRUST_200600_302600_NS4pairIiN12_GLOBAL__N_15EntryEEESA_bEEZZNS1_14partition_implILS5_9ELb0ES3_jNS7_6detail15normal_iteratorINS7_10device_ptrIKSB_EEEENSF_INSG_ISA_EEEEPNS0_10empty_typeENS0_5tupleIJNSF_INSG_ISB_EEEESM_EEENSO_IJSL_SN_EEENS0_18inequality_wrapperINS9_12CompareFirstEEEPmJSM_EEE10hipError_tPvRmT3_T4_T5_T6_T7_T9_mT8_P12ihipStream_tbDpT10_ENKUlT_T0_E_clISt17integral_constantIbLb1EES1G_EEDaS1B_S1C_EUlS1B_E_NS1_11comp_targetILNS1_3genE9ELNS1_11target_archE1100ELNS1_3gpuE3ELNS1_3repE0EEENS1_30default_config_static_selectorELNS0_4arch9wavefront6targetE0EEEvT1_,comdat
.Lfunc_end1318:
	.size	_ZN7rocprim17ROCPRIM_400000_NS6detail17trampoline_kernelINS0_14default_configENS1_25partition_config_selectorILNS1_17partition_subalgoE9EN6thrust23THRUST_200600_302600_NS4pairIiN12_GLOBAL__N_15EntryEEESA_bEEZZNS1_14partition_implILS5_9ELb0ES3_jNS7_6detail15normal_iteratorINS7_10device_ptrIKSB_EEEENSF_INSG_ISA_EEEEPNS0_10empty_typeENS0_5tupleIJNSF_INSG_ISB_EEEESM_EEENSO_IJSL_SN_EEENS0_18inequality_wrapperINS9_12CompareFirstEEEPmJSM_EEE10hipError_tPvRmT3_T4_T5_T6_T7_T9_mT8_P12ihipStream_tbDpT10_ENKUlT_T0_E_clISt17integral_constantIbLb1EES1G_EEDaS1B_S1C_EUlS1B_E_NS1_11comp_targetILNS1_3genE9ELNS1_11target_archE1100ELNS1_3gpuE3ELNS1_3repE0EEENS1_30default_config_static_selectorELNS0_4arch9wavefront6targetE0EEEvT1_, .Lfunc_end1318-_ZN7rocprim17ROCPRIM_400000_NS6detail17trampoline_kernelINS0_14default_configENS1_25partition_config_selectorILNS1_17partition_subalgoE9EN6thrust23THRUST_200600_302600_NS4pairIiN12_GLOBAL__N_15EntryEEESA_bEEZZNS1_14partition_implILS5_9ELb0ES3_jNS7_6detail15normal_iteratorINS7_10device_ptrIKSB_EEEENSF_INSG_ISA_EEEEPNS0_10empty_typeENS0_5tupleIJNSF_INSG_ISB_EEEESM_EEENSO_IJSL_SN_EEENS0_18inequality_wrapperINS9_12CompareFirstEEEPmJSM_EEE10hipError_tPvRmT3_T4_T5_T6_T7_T9_mT8_P12ihipStream_tbDpT10_ENKUlT_T0_E_clISt17integral_constantIbLb1EES1G_EEDaS1B_S1C_EUlS1B_E_NS1_11comp_targetILNS1_3genE9ELNS1_11target_archE1100ELNS1_3gpuE3ELNS1_3repE0EEENS1_30default_config_static_selectorELNS0_4arch9wavefront6targetE0EEEvT1_
                                        ; -- End function
	.section	.AMDGPU.csdata,"",@progbits
; Kernel info:
; codeLenInByte = 6736
; NumSgprs: 28
; NumVgprs: 51
; ScratchSize: 0
; MemoryBound: 0
; FloatMode: 240
; IeeeMode: 1
; LDSByteSize: 25356 bytes/workgroup (compile time only)
; SGPRBlocks: 3
; VGPRBlocks: 6
; NumSGPRsForWavesPerEU: 28
; NumVGPRsForWavesPerEU: 51
; Occupancy: 16
; WaveLimiterHint : 1
; COMPUTE_PGM_RSRC2:SCRATCH_EN: 0
; COMPUTE_PGM_RSRC2:USER_SGPR: 15
; COMPUTE_PGM_RSRC2:TRAP_HANDLER: 0
; COMPUTE_PGM_RSRC2:TGID_X_EN: 1
; COMPUTE_PGM_RSRC2:TGID_Y_EN: 0
; COMPUTE_PGM_RSRC2:TGID_Z_EN: 0
; COMPUTE_PGM_RSRC2:TIDIG_COMP_CNT: 0
	.section	.text._ZN7rocprim17ROCPRIM_400000_NS6detail17trampoline_kernelINS0_14default_configENS1_25partition_config_selectorILNS1_17partition_subalgoE9EN6thrust23THRUST_200600_302600_NS4pairIiN12_GLOBAL__N_15EntryEEESA_bEEZZNS1_14partition_implILS5_9ELb0ES3_jNS7_6detail15normal_iteratorINS7_10device_ptrIKSB_EEEENSF_INSG_ISA_EEEEPNS0_10empty_typeENS0_5tupleIJNSF_INSG_ISB_EEEESM_EEENSO_IJSL_SN_EEENS0_18inequality_wrapperINS9_12CompareFirstEEEPmJSM_EEE10hipError_tPvRmT3_T4_T5_T6_T7_T9_mT8_P12ihipStream_tbDpT10_ENKUlT_T0_E_clISt17integral_constantIbLb1EES1G_EEDaS1B_S1C_EUlS1B_E_NS1_11comp_targetILNS1_3genE8ELNS1_11target_archE1030ELNS1_3gpuE2ELNS1_3repE0EEENS1_30default_config_static_selectorELNS0_4arch9wavefront6targetE0EEEvT1_,"axG",@progbits,_ZN7rocprim17ROCPRIM_400000_NS6detail17trampoline_kernelINS0_14default_configENS1_25partition_config_selectorILNS1_17partition_subalgoE9EN6thrust23THRUST_200600_302600_NS4pairIiN12_GLOBAL__N_15EntryEEESA_bEEZZNS1_14partition_implILS5_9ELb0ES3_jNS7_6detail15normal_iteratorINS7_10device_ptrIKSB_EEEENSF_INSG_ISA_EEEEPNS0_10empty_typeENS0_5tupleIJNSF_INSG_ISB_EEEESM_EEENSO_IJSL_SN_EEENS0_18inequality_wrapperINS9_12CompareFirstEEEPmJSM_EEE10hipError_tPvRmT3_T4_T5_T6_T7_T9_mT8_P12ihipStream_tbDpT10_ENKUlT_T0_E_clISt17integral_constantIbLb1EES1G_EEDaS1B_S1C_EUlS1B_E_NS1_11comp_targetILNS1_3genE8ELNS1_11target_archE1030ELNS1_3gpuE2ELNS1_3repE0EEENS1_30default_config_static_selectorELNS0_4arch9wavefront6targetE0EEEvT1_,comdat
	.globl	_ZN7rocprim17ROCPRIM_400000_NS6detail17trampoline_kernelINS0_14default_configENS1_25partition_config_selectorILNS1_17partition_subalgoE9EN6thrust23THRUST_200600_302600_NS4pairIiN12_GLOBAL__N_15EntryEEESA_bEEZZNS1_14partition_implILS5_9ELb0ES3_jNS7_6detail15normal_iteratorINS7_10device_ptrIKSB_EEEENSF_INSG_ISA_EEEEPNS0_10empty_typeENS0_5tupleIJNSF_INSG_ISB_EEEESM_EEENSO_IJSL_SN_EEENS0_18inequality_wrapperINS9_12CompareFirstEEEPmJSM_EEE10hipError_tPvRmT3_T4_T5_T6_T7_T9_mT8_P12ihipStream_tbDpT10_ENKUlT_T0_E_clISt17integral_constantIbLb1EES1G_EEDaS1B_S1C_EUlS1B_E_NS1_11comp_targetILNS1_3genE8ELNS1_11target_archE1030ELNS1_3gpuE2ELNS1_3repE0EEENS1_30default_config_static_selectorELNS0_4arch9wavefront6targetE0EEEvT1_ ; -- Begin function _ZN7rocprim17ROCPRIM_400000_NS6detail17trampoline_kernelINS0_14default_configENS1_25partition_config_selectorILNS1_17partition_subalgoE9EN6thrust23THRUST_200600_302600_NS4pairIiN12_GLOBAL__N_15EntryEEESA_bEEZZNS1_14partition_implILS5_9ELb0ES3_jNS7_6detail15normal_iteratorINS7_10device_ptrIKSB_EEEENSF_INSG_ISA_EEEEPNS0_10empty_typeENS0_5tupleIJNSF_INSG_ISB_EEEESM_EEENSO_IJSL_SN_EEENS0_18inequality_wrapperINS9_12CompareFirstEEEPmJSM_EEE10hipError_tPvRmT3_T4_T5_T6_T7_T9_mT8_P12ihipStream_tbDpT10_ENKUlT_T0_E_clISt17integral_constantIbLb1EES1G_EEDaS1B_S1C_EUlS1B_E_NS1_11comp_targetILNS1_3genE8ELNS1_11target_archE1030ELNS1_3gpuE2ELNS1_3repE0EEENS1_30default_config_static_selectorELNS0_4arch9wavefront6targetE0EEEvT1_
	.p2align	8
	.type	_ZN7rocprim17ROCPRIM_400000_NS6detail17trampoline_kernelINS0_14default_configENS1_25partition_config_selectorILNS1_17partition_subalgoE9EN6thrust23THRUST_200600_302600_NS4pairIiN12_GLOBAL__N_15EntryEEESA_bEEZZNS1_14partition_implILS5_9ELb0ES3_jNS7_6detail15normal_iteratorINS7_10device_ptrIKSB_EEEENSF_INSG_ISA_EEEEPNS0_10empty_typeENS0_5tupleIJNSF_INSG_ISB_EEEESM_EEENSO_IJSL_SN_EEENS0_18inequality_wrapperINS9_12CompareFirstEEEPmJSM_EEE10hipError_tPvRmT3_T4_T5_T6_T7_T9_mT8_P12ihipStream_tbDpT10_ENKUlT_T0_E_clISt17integral_constantIbLb1EES1G_EEDaS1B_S1C_EUlS1B_E_NS1_11comp_targetILNS1_3genE8ELNS1_11target_archE1030ELNS1_3gpuE2ELNS1_3repE0EEENS1_30default_config_static_selectorELNS0_4arch9wavefront6targetE0EEEvT1_,@function
_ZN7rocprim17ROCPRIM_400000_NS6detail17trampoline_kernelINS0_14default_configENS1_25partition_config_selectorILNS1_17partition_subalgoE9EN6thrust23THRUST_200600_302600_NS4pairIiN12_GLOBAL__N_15EntryEEESA_bEEZZNS1_14partition_implILS5_9ELb0ES3_jNS7_6detail15normal_iteratorINS7_10device_ptrIKSB_EEEENSF_INSG_ISA_EEEEPNS0_10empty_typeENS0_5tupleIJNSF_INSG_ISB_EEEESM_EEENSO_IJSL_SN_EEENS0_18inequality_wrapperINS9_12CompareFirstEEEPmJSM_EEE10hipError_tPvRmT3_T4_T5_T6_T7_T9_mT8_P12ihipStream_tbDpT10_ENKUlT_T0_E_clISt17integral_constantIbLb1EES1G_EEDaS1B_S1C_EUlS1B_E_NS1_11comp_targetILNS1_3genE8ELNS1_11target_archE1030ELNS1_3gpuE2ELNS1_3repE0EEENS1_30default_config_static_selectorELNS0_4arch9wavefront6targetE0EEEvT1_: ; @_ZN7rocprim17ROCPRIM_400000_NS6detail17trampoline_kernelINS0_14default_configENS1_25partition_config_selectorILNS1_17partition_subalgoE9EN6thrust23THRUST_200600_302600_NS4pairIiN12_GLOBAL__N_15EntryEEESA_bEEZZNS1_14partition_implILS5_9ELb0ES3_jNS7_6detail15normal_iteratorINS7_10device_ptrIKSB_EEEENSF_INSG_ISA_EEEEPNS0_10empty_typeENS0_5tupleIJNSF_INSG_ISB_EEEESM_EEENSO_IJSL_SN_EEENS0_18inequality_wrapperINS9_12CompareFirstEEEPmJSM_EEE10hipError_tPvRmT3_T4_T5_T6_T7_T9_mT8_P12ihipStream_tbDpT10_ENKUlT_T0_E_clISt17integral_constantIbLb1EES1G_EEDaS1B_S1C_EUlS1B_E_NS1_11comp_targetILNS1_3genE8ELNS1_11target_archE1030ELNS1_3gpuE2ELNS1_3repE0EEENS1_30default_config_static_selectorELNS0_4arch9wavefront6targetE0EEEvT1_
; %bb.0:
	.section	.rodata,"a",@progbits
	.p2align	6, 0x0
	.amdhsa_kernel _ZN7rocprim17ROCPRIM_400000_NS6detail17trampoline_kernelINS0_14default_configENS1_25partition_config_selectorILNS1_17partition_subalgoE9EN6thrust23THRUST_200600_302600_NS4pairIiN12_GLOBAL__N_15EntryEEESA_bEEZZNS1_14partition_implILS5_9ELb0ES3_jNS7_6detail15normal_iteratorINS7_10device_ptrIKSB_EEEENSF_INSG_ISA_EEEEPNS0_10empty_typeENS0_5tupleIJNSF_INSG_ISB_EEEESM_EEENSO_IJSL_SN_EEENS0_18inequality_wrapperINS9_12CompareFirstEEEPmJSM_EEE10hipError_tPvRmT3_T4_T5_T6_T7_T9_mT8_P12ihipStream_tbDpT10_ENKUlT_T0_E_clISt17integral_constantIbLb1EES1G_EEDaS1B_S1C_EUlS1B_E_NS1_11comp_targetILNS1_3genE8ELNS1_11target_archE1030ELNS1_3gpuE2ELNS1_3repE0EEENS1_30default_config_static_selectorELNS0_4arch9wavefront6targetE0EEEvT1_
		.amdhsa_group_segment_fixed_size 0
		.amdhsa_private_segment_fixed_size 0
		.amdhsa_kernarg_size 128
		.amdhsa_user_sgpr_count 15
		.amdhsa_user_sgpr_dispatch_ptr 0
		.amdhsa_user_sgpr_queue_ptr 0
		.amdhsa_user_sgpr_kernarg_segment_ptr 1
		.amdhsa_user_sgpr_dispatch_id 0
		.amdhsa_user_sgpr_private_segment_size 0
		.amdhsa_wavefront_size32 1
		.amdhsa_uses_dynamic_stack 0
		.amdhsa_enable_private_segment 0
		.amdhsa_system_sgpr_workgroup_id_x 1
		.amdhsa_system_sgpr_workgroup_id_y 0
		.amdhsa_system_sgpr_workgroup_id_z 0
		.amdhsa_system_sgpr_workgroup_info 0
		.amdhsa_system_vgpr_workitem_id 0
		.amdhsa_next_free_vgpr 1
		.amdhsa_next_free_sgpr 1
		.amdhsa_reserve_vcc 0
		.amdhsa_float_round_mode_32 0
		.amdhsa_float_round_mode_16_64 0
		.amdhsa_float_denorm_mode_32 3
		.amdhsa_float_denorm_mode_16_64 3
		.amdhsa_dx10_clamp 1
		.amdhsa_ieee_mode 1
		.amdhsa_fp16_overflow 0
		.amdhsa_workgroup_processor_mode 1
		.amdhsa_memory_ordered 1
		.amdhsa_forward_progress 0
		.amdhsa_shared_vgpr_count 0
		.amdhsa_exception_fp_ieee_invalid_op 0
		.amdhsa_exception_fp_denorm_src 0
		.amdhsa_exception_fp_ieee_div_zero 0
		.amdhsa_exception_fp_ieee_overflow 0
		.amdhsa_exception_fp_ieee_underflow 0
		.amdhsa_exception_fp_ieee_inexact 0
		.amdhsa_exception_int_div_zero 0
	.end_amdhsa_kernel
	.section	.text._ZN7rocprim17ROCPRIM_400000_NS6detail17trampoline_kernelINS0_14default_configENS1_25partition_config_selectorILNS1_17partition_subalgoE9EN6thrust23THRUST_200600_302600_NS4pairIiN12_GLOBAL__N_15EntryEEESA_bEEZZNS1_14partition_implILS5_9ELb0ES3_jNS7_6detail15normal_iteratorINS7_10device_ptrIKSB_EEEENSF_INSG_ISA_EEEEPNS0_10empty_typeENS0_5tupleIJNSF_INSG_ISB_EEEESM_EEENSO_IJSL_SN_EEENS0_18inequality_wrapperINS9_12CompareFirstEEEPmJSM_EEE10hipError_tPvRmT3_T4_T5_T6_T7_T9_mT8_P12ihipStream_tbDpT10_ENKUlT_T0_E_clISt17integral_constantIbLb1EES1G_EEDaS1B_S1C_EUlS1B_E_NS1_11comp_targetILNS1_3genE8ELNS1_11target_archE1030ELNS1_3gpuE2ELNS1_3repE0EEENS1_30default_config_static_selectorELNS0_4arch9wavefront6targetE0EEEvT1_,"axG",@progbits,_ZN7rocprim17ROCPRIM_400000_NS6detail17trampoline_kernelINS0_14default_configENS1_25partition_config_selectorILNS1_17partition_subalgoE9EN6thrust23THRUST_200600_302600_NS4pairIiN12_GLOBAL__N_15EntryEEESA_bEEZZNS1_14partition_implILS5_9ELb0ES3_jNS7_6detail15normal_iteratorINS7_10device_ptrIKSB_EEEENSF_INSG_ISA_EEEEPNS0_10empty_typeENS0_5tupleIJNSF_INSG_ISB_EEEESM_EEENSO_IJSL_SN_EEENS0_18inequality_wrapperINS9_12CompareFirstEEEPmJSM_EEE10hipError_tPvRmT3_T4_T5_T6_T7_T9_mT8_P12ihipStream_tbDpT10_ENKUlT_T0_E_clISt17integral_constantIbLb1EES1G_EEDaS1B_S1C_EUlS1B_E_NS1_11comp_targetILNS1_3genE8ELNS1_11target_archE1030ELNS1_3gpuE2ELNS1_3repE0EEENS1_30default_config_static_selectorELNS0_4arch9wavefront6targetE0EEEvT1_,comdat
.Lfunc_end1319:
	.size	_ZN7rocprim17ROCPRIM_400000_NS6detail17trampoline_kernelINS0_14default_configENS1_25partition_config_selectorILNS1_17partition_subalgoE9EN6thrust23THRUST_200600_302600_NS4pairIiN12_GLOBAL__N_15EntryEEESA_bEEZZNS1_14partition_implILS5_9ELb0ES3_jNS7_6detail15normal_iteratorINS7_10device_ptrIKSB_EEEENSF_INSG_ISA_EEEEPNS0_10empty_typeENS0_5tupleIJNSF_INSG_ISB_EEEESM_EEENSO_IJSL_SN_EEENS0_18inequality_wrapperINS9_12CompareFirstEEEPmJSM_EEE10hipError_tPvRmT3_T4_T5_T6_T7_T9_mT8_P12ihipStream_tbDpT10_ENKUlT_T0_E_clISt17integral_constantIbLb1EES1G_EEDaS1B_S1C_EUlS1B_E_NS1_11comp_targetILNS1_3genE8ELNS1_11target_archE1030ELNS1_3gpuE2ELNS1_3repE0EEENS1_30default_config_static_selectorELNS0_4arch9wavefront6targetE0EEEvT1_, .Lfunc_end1319-_ZN7rocprim17ROCPRIM_400000_NS6detail17trampoline_kernelINS0_14default_configENS1_25partition_config_selectorILNS1_17partition_subalgoE9EN6thrust23THRUST_200600_302600_NS4pairIiN12_GLOBAL__N_15EntryEEESA_bEEZZNS1_14partition_implILS5_9ELb0ES3_jNS7_6detail15normal_iteratorINS7_10device_ptrIKSB_EEEENSF_INSG_ISA_EEEEPNS0_10empty_typeENS0_5tupleIJNSF_INSG_ISB_EEEESM_EEENSO_IJSL_SN_EEENS0_18inequality_wrapperINS9_12CompareFirstEEEPmJSM_EEE10hipError_tPvRmT3_T4_T5_T6_T7_T9_mT8_P12ihipStream_tbDpT10_ENKUlT_T0_E_clISt17integral_constantIbLb1EES1G_EEDaS1B_S1C_EUlS1B_E_NS1_11comp_targetILNS1_3genE8ELNS1_11target_archE1030ELNS1_3gpuE2ELNS1_3repE0EEENS1_30default_config_static_selectorELNS0_4arch9wavefront6targetE0EEEvT1_
                                        ; -- End function
	.section	.AMDGPU.csdata,"",@progbits
; Kernel info:
; codeLenInByte = 0
; NumSgprs: 0
; NumVgprs: 0
; ScratchSize: 0
; MemoryBound: 0
; FloatMode: 240
; IeeeMode: 1
; LDSByteSize: 0 bytes/workgroup (compile time only)
; SGPRBlocks: 0
; VGPRBlocks: 0
; NumSGPRsForWavesPerEU: 1
; NumVGPRsForWavesPerEU: 1
; Occupancy: 16
; WaveLimiterHint : 0
; COMPUTE_PGM_RSRC2:SCRATCH_EN: 0
; COMPUTE_PGM_RSRC2:USER_SGPR: 15
; COMPUTE_PGM_RSRC2:TRAP_HANDLER: 0
; COMPUTE_PGM_RSRC2:TGID_X_EN: 1
; COMPUTE_PGM_RSRC2:TGID_Y_EN: 0
; COMPUTE_PGM_RSRC2:TGID_Z_EN: 0
; COMPUTE_PGM_RSRC2:TIDIG_COMP_CNT: 0
	.section	.text._ZN7rocprim17ROCPRIM_400000_NS6detail17trampoline_kernelINS0_14default_configENS1_25partition_config_selectorILNS1_17partition_subalgoE9EN6thrust23THRUST_200600_302600_NS4pairIiN12_GLOBAL__N_15EntryEEESA_bEEZZNS1_14partition_implILS5_9ELb0ES3_jNS7_6detail15normal_iteratorINS7_10device_ptrIKSB_EEEENSF_INSG_ISA_EEEEPNS0_10empty_typeENS0_5tupleIJNSF_INSG_ISB_EEEESM_EEENSO_IJSL_SN_EEENS0_18inequality_wrapperINS9_12CompareFirstEEEPmJSM_EEE10hipError_tPvRmT3_T4_T5_T6_T7_T9_mT8_P12ihipStream_tbDpT10_ENKUlT_T0_E_clISt17integral_constantIbLb1EES1F_IbLb0EEEEDaS1B_S1C_EUlS1B_E_NS1_11comp_targetILNS1_3genE0ELNS1_11target_archE4294967295ELNS1_3gpuE0ELNS1_3repE0EEENS1_30default_config_static_selectorELNS0_4arch9wavefront6targetE0EEEvT1_,"axG",@progbits,_ZN7rocprim17ROCPRIM_400000_NS6detail17trampoline_kernelINS0_14default_configENS1_25partition_config_selectorILNS1_17partition_subalgoE9EN6thrust23THRUST_200600_302600_NS4pairIiN12_GLOBAL__N_15EntryEEESA_bEEZZNS1_14partition_implILS5_9ELb0ES3_jNS7_6detail15normal_iteratorINS7_10device_ptrIKSB_EEEENSF_INSG_ISA_EEEEPNS0_10empty_typeENS0_5tupleIJNSF_INSG_ISB_EEEESM_EEENSO_IJSL_SN_EEENS0_18inequality_wrapperINS9_12CompareFirstEEEPmJSM_EEE10hipError_tPvRmT3_T4_T5_T6_T7_T9_mT8_P12ihipStream_tbDpT10_ENKUlT_T0_E_clISt17integral_constantIbLb1EES1F_IbLb0EEEEDaS1B_S1C_EUlS1B_E_NS1_11comp_targetILNS1_3genE0ELNS1_11target_archE4294967295ELNS1_3gpuE0ELNS1_3repE0EEENS1_30default_config_static_selectorELNS0_4arch9wavefront6targetE0EEEvT1_,comdat
	.globl	_ZN7rocprim17ROCPRIM_400000_NS6detail17trampoline_kernelINS0_14default_configENS1_25partition_config_selectorILNS1_17partition_subalgoE9EN6thrust23THRUST_200600_302600_NS4pairIiN12_GLOBAL__N_15EntryEEESA_bEEZZNS1_14partition_implILS5_9ELb0ES3_jNS7_6detail15normal_iteratorINS7_10device_ptrIKSB_EEEENSF_INSG_ISA_EEEEPNS0_10empty_typeENS0_5tupleIJNSF_INSG_ISB_EEEESM_EEENSO_IJSL_SN_EEENS0_18inequality_wrapperINS9_12CompareFirstEEEPmJSM_EEE10hipError_tPvRmT3_T4_T5_T6_T7_T9_mT8_P12ihipStream_tbDpT10_ENKUlT_T0_E_clISt17integral_constantIbLb1EES1F_IbLb0EEEEDaS1B_S1C_EUlS1B_E_NS1_11comp_targetILNS1_3genE0ELNS1_11target_archE4294967295ELNS1_3gpuE0ELNS1_3repE0EEENS1_30default_config_static_selectorELNS0_4arch9wavefront6targetE0EEEvT1_ ; -- Begin function _ZN7rocprim17ROCPRIM_400000_NS6detail17trampoline_kernelINS0_14default_configENS1_25partition_config_selectorILNS1_17partition_subalgoE9EN6thrust23THRUST_200600_302600_NS4pairIiN12_GLOBAL__N_15EntryEEESA_bEEZZNS1_14partition_implILS5_9ELb0ES3_jNS7_6detail15normal_iteratorINS7_10device_ptrIKSB_EEEENSF_INSG_ISA_EEEEPNS0_10empty_typeENS0_5tupleIJNSF_INSG_ISB_EEEESM_EEENSO_IJSL_SN_EEENS0_18inequality_wrapperINS9_12CompareFirstEEEPmJSM_EEE10hipError_tPvRmT3_T4_T5_T6_T7_T9_mT8_P12ihipStream_tbDpT10_ENKUlT_T0_E_clISt17integral_constantIbLb1EES1F_IbLb0EEEEDaS1B_S1C_EUlS1B_E_NS1_11comp_targetILNS1_3genE0ELNS1_11target_archE4294967295ELNS1_3gpuE0ELNS1_3repE0EEENS1_30default_config_static_selectorELNS0_4arch9wavefront6targetE0EEEvT1_
	.p2align	8
	.type	_ZN7rocprim17ROCPRIM_400000_NS6detail17trampoline_kernelINS0_14default_configENS1_25partition_config_selectorILNS1_17partition_subalgoE9EN6thrust23THRUST_200600_302600_NS4pairIiN12_GLOBAL__N_15EntryEEESA_bEEZZNS1_14partition_implILS5_9ELb0ES3_jNS7_6detail15normal_iteratorINS7_10device_ptrIKSB_EEEENSF_INSG_ISA_EEEEPNS0_10empty_typeENS0_5tupleIJNSF_INSG_ISB_EEEESM_EEENSO_IJSL_SN_EEENS0_18inequality_wrapperINS9_12CompareFirstEEEPmJSM_EEE10hipError_tPvRmT3_T4_T5_T6_T7_T9_mT8_P12ihipStream_tbDpT10_ENKUlT_T0_E_clISt17integral_constantIbLb1EES1F_IbLb0EEEEDaS1B_S1C_EUlS1B_E_NS1_11comp_targetILNS1_3genE0ELNS1_11target_archE4294967295ELNS1_3gpuE0ELNS1_3repE0EEENS1_30default_config_static_selectorELNS0_4arch9wavefront6targetE0EEEvT1_,@function
_ZN7rocprim17ROCPRIM_400000_NS6detail17trampoline_kernelINS0_14default_configENS1_25partition_config_selectorILNS1_17partition_subalgoE9EN6thrust23THRUST_200600_302600_NS4pairIiN12_GLOBAL__N_15EntryEEESA_bEEZZNS1_14partition_implILS5_9ELb0ES3_jNS7_6detail15normal_iteratorINS7_10device_ptrIKSB_EEEENSF_INSG_ISA_EEEEPNS0_10empty_typeENS0_5tupleIJNSF_INSG_ISB_EEEESM_EEENSO_IJSL_SN_EEENS0_18inequality_wrapperINS9_12CompareFirstEEEPmJSM_EEE10hipError_tPvRmT3_T4_T5_T6_T7_T9_mT8_P12ihipStream_tbDpT10_ENKUlT_T0_E_clISt17integral_constantIbLb1EES1F_IbLb0EEEEDaS1B_S1C_EUlS1B_E_NS1_11comp_targetILNS1_3genE0ELNS1_11target_archE4294967295ELNS1_3gpuE0ELNS1_3repE0EEENS1_30default_config_static_selectorELNS0_4arch9wavefront6targetE0EEEvT1_: ; @_ZN7rocprim17ROCPRIM_400000_NS6detail17trampoline_kernelINS0_14default_configENS1_25partition_config_selectorILNS1_17partition_subalgoE9EN6thrust23THRUST_200600_302600_NS4pairIiN12_GLOBAL__N_15EntryEEESA_bEEZZNS1_14partition_implILS5_9ELb0ES3_jNS7_6detail15normal_iteratorINS7_10device_ptrIKSB_EEEENSF_INSG_ISA_EEEEPNS0_10empty_typeENS0_5tupleIJNSF_INSG_ISB_EEEESM_EEENSO_IJSL_SN_EEENS0_18inequality_wrapperINS9_12CompareFirstEEEPmJSM_EEE10hipError_tPvRmT3_T4_T5_T6_T7_T9_mT8_P12ihipStream_tbDpT10_ENKUlT_T0_E_clISt17integral_constantIbLb1EES1F_IbLb0EEEEDaS1B_S1C_EUlS1B_E_NS1_11comp_targetILNS1_3genE0ELNS1_11target_archE4294967295ELNS1_3gpuE0ELNS1_3repE0EEENS1_30default_config_static_selectorELNS0_4arch9wavefront6targetE0EEEvT1_
; %bb.0:
	.section	.rodata,"a",@progbits
	.p2align	6, 0x0
	.amdhsa_kernel _ZN7rocprim17ROCPRIM_400000_NS6detail17trampoline_kernelINS0_14default_configENS1_25partition_config_selectorILNS1_17partition_subalgoE9EN6thrust23THRUST_200600_302600_NS4pairIiN12_GLOBAL__N_15EntryEEESA_bEEZZNS1_14partition_implILS5_9ELb0ES3_jNS7_6detail15normal_iteratorINS7_10device_ptrIKSB_EEEENSF_INSG_ISA_EEEEPNS0_10empty_typeENS0_5tupleIJNSF_INSG_ISB_EEEESM_EEENSO_IJSL_SN_EEENS0_18inequality_wrapperINS9_12CompareFirstEEEPmJSM_EEE10hipError_tPvRmT3_T4_T5_T6_T7_T9_mT8_P12ihipStream_tbDpT10_ENKUlT_T0_E_clISt17integral_constantIbLb1EES1F_IbLb0EEEEDaS1B_S1C_EUlS1B_E_NS1_11comp_targetILNS1_3genE0ELNS1_11target_archE4294967295ELNS1_3gpuE0ELNS1_3repE0EEENS1_30default_config_static_selectorELNS0_4arch9wavefront6targetE0EEEvT1_
		.amdhsa_group_segment_fixed_size 0
		.amdhsa_private_segment_fixed_size 0
		.amdhsa_kernarg_size 112
		.amdhsa_user_sgpr_count 15
		.amdhsa_user_sgpr_dispatch_ptr 0
		.amdhsa_user_sgpr_queue_ptr 0
		.amdhsa_user_sgpr_kernarg_segment_ptr 1
		.amdhsa_user_sgpr_dispatch_id 0
		.amdhsa_user_sgpr_private_segment_size 0
		.amdhsa_wavefront_size32 1
		.amdhsa_uses_dynamic_stack 0
		.amdhsa_enable_private_segment 0
		.amdhsa_system_sgpr_workgroup_id_x 1
		.amdhsa_system_sgpr_workgroup_id_y 0
		.amdhsa_system_sgpr_workgroup_id_z 0
		.amdhsa_system_sgpr_workgroup_info 0
		.amdhsa_system_vgpr_workitem_id 0
		.amdhsa_next_free_vgpr 1
		.amdhsa_next_free_sgpr 1
		.amdhsa_reserve_vcc 0
		.amdhsa_float_round_mode_32 0
		.amdhsa_float_round_mode_16_64 0
		.amdhsa_float_denorm_mode_32 3
		.amdhsa_float_denorm_mode_16_64 3
		.amdhsa_dx10_clamp 1
		.amdhsa_ieee_mode 1
		.amdhsa_fp16_overflow 0
		.amdhsa_workgroup_processor_mode 1
		.amdhsa_memory_ordered 1
		.amdhsa_forward_progress 0
		.amdhsa_shared_vgpr_count 0
		.amdhsa_exception_fp_ieee_invalid_op 0
		.amdhsa_exception_fp_denorm_src 0
		.amdhsa_exception_fp_ieee_div_zero 0
		.amdhsa_exception_fp_ieee_overflow 0
		.amdhsa_exception_fp_ieee_underflow 0
		.amdhsa_exception_fp_ieee_inexact 0
		.amdhsa_exception_int_div_zero 0
	.end_amdhsa_kernel
	.section	.text._ZN7rocprim17ROCPRIM_400000_NS6detail17trampoline_kernelINS0_14default_configENS1_25partition_config_selectorILNS1_17partition_subalgoE9EN6thrust23THRUST_200600_302600_NS4pairIiN12_GLOBAL__N_15EntryEEESA_bEEZZNS1_14partition_implILS5_9ELb0ES3_jNS7_6detail15normal_iteratorINS7_10device_ptrIKSB_EEEENSF_INSG_ISA_EEEEPNS0_10empty_typeENS0_5tupleIJNSF_INSG_ISB_EEEESM_EEENSO_IJSL_SN_EEENS0_18inequality_wrapperINS9_12CompareFirstEEEPmJSM_EEE10hipError_tPvRmT3_T4_T5_T6_T7_T9_mT8_P12ihipStream_tbDpT10_ENKUlT_T0_E_clISt17integral_constantIbLb1EES1F_IbLb0EEEEDaS1B_S1C_EUlS1B_E_NS1_11comp_targetILNS1_3genE0ELNS1_11target_archE4294967295ELNS1_3gpuE0ELNS1_3repE0EEENS1_30default_config_static_selectorELNS0_4arch9wavefront6targetE0EEEvT1_,"axG",@progbits,_ZN7rocprim17ROCPRIM_400000_NS6detail17trampoline_kernelINS0_14default_configENS1_25partition_config_selectorILNS1_17partition_subalgoE9EN6thrust23THRUST_200600_302600_NS4pairIiN12_GLOBAL__N_15EntryEEESA_bEEZZNS1_14partition_implILS5_9ELb0ES3_jNS7_6detail15normal_iteratorINS7_10device_ptrIKSB_EEEENSF_INSG_ISA_EEEEPNS0_10empty_typeENS0_5tupleIJNSF_INSG_ISB_EEEESM_EEENSO_IJSL_SN_EEENS0_18inequality_wrapperINS9_12CompareFirstEEEPmJSM_EEE10hipError_tPvRmT3_T4_T5_T6_T7_T9_mT8_P12ihipStream_tbDpT10_ENKUlT_T0_E_clISt17integral_constantIbLb1EES1F_IbLb0EEEEDaS1B_S1C_EUlS1B_E_NS1_11comp_targetILNS1_3genE0ELNS1_11target_archE4294967295ELNS1_3gpuE0ELNS1_3repE0EEENS1_30default_config_static_selectorELNS0_4arch9wavefront6targetE0EEEvT1_,comdat
.Lfunc_end1320:
	.size	_ZN7rocprim17ROCPRIM_400000_NS6detail17trampoline_kernelINS0_14default_configENS1_25partition_config_selectorILNS1_17partition_subalgoE9EN6thrust23THRUST_200600_302600_NS4pairIiN12_GLOBAL__N_15EntryEEESA_bEEZZNS1_14partition_implILS5_9ELb0ES3_jNS7_6detail15normal_iteratorINS7_10device_ptrIKSB_EEEENSF_INSG_ISA_EEEEPNS0_10empty_typeENS0_5tupleIJNSF_INSG_ISB_EEEESM_EEENSO_IJSL_SN_EEENS0_18inequality_wrapperINS9_12CompareFirstEEEPmJSM_EEE10hipError_tPvRmT3_T4_T5_T6_T7_T9_mT8_P12ihipStream_tbDpT10_ENKUlT_T0_E_clISt17integral_constantIbLb1EES1F_IbLb0EEEEDaS1B_S1C_EUlS1B_E_NS1_11comp_targetILNS1_3genE0ELNS1_11target_archE4294967295ELNS1_3gpuE0ELNS1_3repE0EEENS1_30default_config_static_selectorELNS0_4arch9wavefront6targetE0EEEvT1_, .Lfunc_end1320-_ZN7rocprim17ROCPRIM_400000_NS6detail17trampoline_kernelINS0_14default_configENS1_25partition_config_selectorILNS1_17partition_subalgoE9EN6thrust23THRUST_200600_302600_NS4pairIiN12_GLOBAL__N_15EntryEEESA_bEEZZNS1_14partition_implILS5_9ELb0ES3_jNS7_6detail15normal_iteratorINS7_10device_ptrIKSB_EEEENSF_INSG_ISA_EEEEPNS0_10empty_typeENS0_5tupleIJNSF_INSG_ISB_EEEESM_EEENSO_IJSL_SN_EEENS0_18inequality_wrapperINS9_12CompareFirstEEEPmJSM_EEE10hipError_tPvRmT3_T4_T5_T6_T7_T9_mT8_P12ihipStream_tbDpT10_ENKUlT_T0_E_clISt17integral_constantIbLb1EES1F_IbLb0EEEEDaS1B_S1C_EUlS1B_E_NS1_11comp_targetILNS1_3genE0ELNS1_11target_archE4294967295ELNS1_3gpuE0ELNS1_3repE0EEENS1_30default_config_static_selectorELNS0_4arch9wavefront6targetE0EEEvT1_
                                        ; -- End function
	.section	.AMDGPU.csdata,"",@progbits
; Kernel info:
; codeLenInByte = 0
; NumSgprs: 0
; NumVgprs: 0
; ScratchSize: 0
; MemoryBound: 0
; FloatMode: 240
; IeeeMode: 1
; LDSByteSize: 0 bytes/workgroup (compile time only)
; SGPRBlocks: 0
; VGPRBlocks: 0
; NumSGPRsForWavesPerEU: 1
; NumVGPRsForWavesPerEU: 1
; Occupancy: 15
; WaveLimiterHint : 0
; COMPUTE_PGM_RSRC2:SCRATCH_EN: 0
; COMPUTE_PGM_RSRC2:USER_SGPR: 15
; COMPUTE_PGM_RSRC2:TRAP_HANDLER: 0
; COMPUTE_PGM_RSRC2:TGID_X_EN: 1
; COMPUTE_PGM_RSRC2:TGID_Y_EN: 0
; COMPUTE_PGM_RSRC2:TGID_Z_EN: 0
; COMPUTE_PGM_RSRC2:TIDIG_COMP_CNT: 0
	.section	.text._ZN7rocprim17ROCPRIM_400000_NS6detail17trampoline_kernelINS0_14default_configENS1_25partition_config_selectorILNS1_17partition_subalgoE9EN6thrust23THRUST_200600_302600_NS4pairIiN12_GLOBAL__N_15EntryEEESA_bEEZZNS1_14partition_implILS5_9ELb0ES3_jNS7_6detail15normal_iteratorINS7_10device_ptrIKSB_EEEENSF_INSG_ISA_EEEEPNS0_10empty_typeENS0_5tupleIJNSF_INSG_ISB_EEEESM_EEENSO_IJSL_SN_EEENS0_18inequality_wrapperINS9_12CompareFirstEEEPmJSM_EEE10hipError_tPvRmT3_T4_T5_T6_T7_T9_mT8_P12ihipStream_tbDpT10_ENKUlT_T0_E_clISt17integral_constantIbLb1EES1F_IbLb0EEEEDaS1B_S1C_EUlS1B_E_NS1_11comp_targetILNS1_3genE5ELNS1_11target_archE942ELNS1_3gpuE9ELNS1_3repE0EEENS1_30default_config_static_selectorELNS0_4arch9wavefront6targetE0EEEvT1_,"axG",@progbits,_ZN7rocprim17ROCPRIM_400000_NS6detail17trampoline_kernelINS0_14default_configENS1_25partition_config_selectorILNS1_17partition_subalgoE9EN6thrust23THRUST_200600_302600_NS4pairIiN12_GLOBAL__N_15EntryEEESA_bEEZZNS1_14partition_implILS5_9ELb0ES3_jNS7_6detail15normal_iteratorINS7_10device_ptrIKSB_EEEENSF_INSG_ISA_EEEEPNS0_10empty_typeENS0_5tupleIJNSF_INSG_ISB_EEEESM_EEENSO_IJSL_SN_EEENS0_18inequality_wrapperINS9_12CompareFirstEEEPmJSM_EEE10hipError_tPvRmT3_T4_T5_T6_T7_T9_mT8_P12ihipStream_tbDpT10_ENKUlT_T0_E_clISt17integral_constantIbLb1EES1F_IbLb0EEEEDaS1B_S1C_EUlS1B_E_NS1_11comp_targetILNS1_3genE5ELNS1_11target_archE942ELNS1_3gpuE9ELNS1_3repE0EEENS1_30default_config_static_selectorELNS0_4arch9wavefront6targetE0EEEvT1_,comdat
	.globl	_ZN7rocprim17ROCPRIM_400000_NS6detail17trampoline_kernelINS0_14default_configENS1_25partition_config_selectorILNS1_17partition_subalgoE9EN6thrust23THRUST_200600_302600_NS4pairIiN12_GLOBAL__N_15EntryEEESA_bEEZZNS1_14partition_implILS5_9ELb0ES3_jNS7_6detail15normal_iteratorINS7_10device_ptrIKSB_EEEENSF_INSG_ISA_EEEEPNS0_10empty_typeENS0_5tupleIJNSF_INSG_ISB_EEEESM_EEENSO_IJSL_SN_EEENS0_18inequality_wrapperINS9_12CompareFirstEEEPmJSM_EEE10hipError_tPvRmT3_T4_T5_T6_T7_T9_mT8_P12ihipStream_tbDpT10_ENKUlT_T0_E_clISt17integral_constantIbLb1EES1F_IbLb0EEEEDaS1B_S1C_EUlS1B_E_NS1_11comp_targetILNS1_3genE5ELNS1_11target_archE942ELNS1_3gpuE9ELNS1_3repE0EEENS1_30default_config_static_selectorELNS0_4arch9wavefront6targetE0EEEvT1_ ; -- Begin function _ZN7rocprim17ROCPRIM_400000_NS6detail17trampoline_kernelINS0_14default_configENS1_25partition_config_selectorILNS1_17partition_subalgoE9EN6thrust23THRUST_200600_302600_NS4pairIiN12_GLOBAL__N_15EntryEEESA_bEEZZNS1_14partition_implILS5_9ELb0ES3_jNS7_6detail15normal_iteratorINS7_10device_ptrIKSB_EEEENSF_INSG_ISA_EEEEPNS0_10empty_typeENS0_5tupleIJNSF_INSG_ISB_EEEESM_EEENSO_IJSL_SN_EEENS0_18inequality_wrapperINS9_12CompareFirstEEEPmJSM_EEE10hipError_tPvRmT3_T4_T5_T6_T7_T9_mT8_P12ihipStream_tbDpT10_ENKUlT_T0_E_clISt17integral_constantIbLb1EES1F_IbLb0EEEEDaS1B_S1C_EUlS1B_E_NS1_11comp_targetILNS1_3genE5ELNS1_11target_archE942ELNS1_3gpuE9ELNS1_3repE0EEENS1_30default_config_static_selectorELNS0_4arch9wavefront6targetE0EEEvT1_
	.p2align	8
	.type	_ZN7rocprim17ROCPRIM_400000_NS6detail17trampoline_kernelINS0_14default_configENS1_25partition_config_selectorILNS1_17partition_subalgoE9EN6thrust23THRUST_200600_302600_NS4pairIiN12_GLOBAL__N_15EntryEEESA_bEEZZNS1_14partition_implILS5_9ELb0ES3_jNS7_6detail15normal_iteratorINS7_10device_ptrIKSB_EEEENSF_INSG_ISA_EEEEPNS0_10empty_typeENS0_5tupleIJNSF_INSG_ISB_EEEESM_EEENSO_IJSL_SN_EEENS0_18inequality_wrapperINS9_12CompareFirstEEEPmJSM_EEE10hipError_tPvRmT3_T4_T5_T6_T7_T9_mT8_P12ihipStream_tbDpT10_ENKUlT_T0_E_clISt17integral_constantIbLb1EES1F_IbLb0EEEEDaS1B_S1C_EUlS1B_E_NS1_11comp_targetILNS1_3genE5ELNS1_11target_archE942ELNS1_3gpuE9ELNS1_3repE0EEENS1_30default_config_static_selectorELNS0_4arch9wavefront6targetE0EEEvT1_,@function
_ZN7rocprim17ROCPRIM_400000_NS6detail17trampoline_kernelINS0_14default_configENS1_25partition_config_selectorILNS1_17partition_subalgoE9EN6thrust23THRUST_200600_302600_NS4pairIiN12_GLOBAL__N_15EntryEEESA_bEEZZNS1_14partition_implILS5_9ELb0ES3_jNS7_6detail15normal_iteratorINS7_10device_ptrIKSB_EEEENSF_INSG_ISA_EEEEPNS0_10empty_typeENS0_5tupleIJNSF_INSG_ISB_EEEESM_EEENSO_IJSL_SN_EEENS0_18inequality_wrapperINS9_12CompareFirstEEEPmJSM_EEE10hipError_tPvRmT3_T4_T5_T6_T7_T9_mT8_P12ihipStream_tbDpT10_ENKUlT_T0_E_clISt17integral_constantIbLb1EES1F_IbLb0EEEEDaS1B_S1C_EUlS1B_E_NS1_11comp_targetILNS1_3genE5ELNS1_11target_archE942ELNS1_3gpuE9ELNS1_3repE0EEENS1_30default_config_static_selectorELNS0_4arch9wavefront6targetE0EEEvT1_: ; @_ZN7rocprim17ROCPRIM_400000_NS6detail17trampoline_kernelINS0_14default_configENS1_25partition_config_selectorILNS1_17partition_subalgoE9EN6thrust23THRUST_200600_302600_NS4pairIiN12_GLOBAL__N_15EntryEEESA_bEEZZNS1_14partition_implILS5_9ELb0ES3_jNS7_6detail15normal_iteratorINS7_10device_ptrIKSB_EEEENSF_INSG_ISA_EEEEPNS0_10empty_typeENS0_5tupleIJNSF_INSG_ISB_EEEESM_EEENSO_IJSL_SN_EEENS0_18inequality_wrapperINS9_12CompareFirstEEEPmJSM_EEE10hipError_tPvRmT3_T4_T5_T6_T7_T9_mT8_P12ihipStream_tbDpT10_ENKUlT_T0_E_clISt17integral_constantIbLb1EES1F_IbLb0EEEEDaS1B_S1C_EUlS1B_E_NS1_11comp_targetILNS1_3genE5ELNS1_11target_archE942ELNS1_3gpuE9ELNS1_3repE0EEENS1_30default_config_static_selectorELNS0_4arch9wavefront6targetE0EEEvT1_
; %bb.0:
	.section	.rodata,"a",@progbits
	.p2align	6, 0x0
	.amdhsa_kernel _ZN7rocprim17ROCPRIM_400000_NS6detail17trampoline_kernelINS0_14default_configENS1_25partition_config_selectorILNS1_17partition_subalgoE9EN6thrust23THRUST_200600_302600_NS4pairIiN12_GLOBAL__N_15EntryEEESA_bEEZZNS1_14partition_implILS5_9ELb0ES3_jNS7_6detail15normal_iteratorINS7_10device_ptrIKSB_EEEENSF_INSG_ISA_EEEEPNS0_10empty_typeENS0_5tupleIJNSF_INSG_ISB_EEEESM_EEENSO_IJSL_SN_EEENS0_18inequality_wrapperINS9_12CompareFirstEEEPmJSM_EEE10hipError_tPvRmT3_T4_T5_T6_T7_T9_mT8_P12ihipStream_tbDpT10_ENKUlT_T0_E_clISt17integral_constantIbLb1EES1F_IbLb0EEEEDaS1B_S1C_EUlS1B_E_NS1_11comp_targetILNS1_3genE5ELNS1_11target_archE942ELNS1_3gpuE9ELNS1_3repE0EEENS1_30default_config_static_selectorELNS0_4arch9wavefront6targetE0EEEvT1_
		.amdhsa_group_segment_fixed_size 0
		.amdhsa_private_segment_fixed_size 0
		.amdhsa_kernarg_size 112
		.amdhsa_user_sgpr_count 15
		.amdhsa_user_sgpr_dispatch_ptr 0
		.amdhsa_user_sgpr_queue_ptr 0
		.amdhsa_user_sgpr_kernarg_segment_ptr 1
		.amdhsa_user_sgpr_dispatch_id 0
		.amdhsa_user_sgpr_private_segment_size 0
		.amdhsa_wavefront_size32 1
		.amdhsa_uses_dynamic_stack 0
		.amdhsa_enable_private_segment 0
		.amdhsa_system_sgpr_workgroup_id_x 1
		.amdhsa_system_sgpr_workgroup_id_y 0
		.amdhsa_system_sgpr_workgroup_id_z 0
		.amdhsa_system_sgpr_workgroup_info 0
		.amdhsa_system_vgpr_workitem_id 0
		.amdhsa_next_free_vgpr 1
		.amdhsa_next_free_sgpr 1
		.amdhsa_reserve_vcc 0
		.amdhsa_float_round_mode_32 0
		.amdhsa_float_round_mode_16_64 0
		.amdhsa_float_denorm_mode_32 3
		.amdhsa_float_denorm_mode_16_64 3
		.amdhsa_dx10_clamp 1
		.amdhsa_ieee_mode 1
		.amdhsa_fp16_overflow 0
		.amdhsa_workgroup_processor_mode 1
		.amdhsa_memory_ordered 1
		.amdhsa_forward_progress 0
		.amdhsa_shared_vgpr_count 0
		.amdhsa_exception_fp_ieee_invalid_op 0
		.amdhsa_exception_fp_denorm_src 0
		.amdhsa_exception_fp_ieee_div_zero 0
		.amdhsa_exception_fp_ieee_overflow 0
		.amdhsa_exception_fp_ieee_underflow 0
		.amdhsa_exception_fp_ieee_inexact 0
		.amdhsa_exception_int_div_zero 0
	.end_amdhsa_kernel
	.section	.text._ZN7rocprim17ROCPRIM_400000_NS6detail17trampoline_kernelINS0_14default_configENS1_25partition_config_selectorILNS1_17partition_subalgoE9EN6thrust23THRUST_200600_302600_NS4pairIiN12_GLOBAL__N_15EntryEEESA_bEEZZNS1_14partition_implILS5_9ELb0ES3_jNS7_6detail15normal_iteratorINS7_10device_ptrIKSB_EEEENSF_INSG_ISA_EEEEPNS0_10empty_typeENS0_5tupleIJNSF_INSG_ISB_EEEESM_EEENSO_IJSL_SN_EEENS0_18inequality_wrapperINS9_12CompareFirstEEEPmJSM_EEE10hipError_tPvRmT3_T4_T5_T6_T7_T9_mT8_P12ihipStream_tbDpT10_ENKUlT_T0_E_clISt17integral_constantIbLb1EES1F_IbLb0EEEEDaS1B_S1C_EUlS1B_E_NS1_11comp_targetILNS1_3genE5ELNS1_11target_archE942ELNS1_3gpuE9ELNS1_3repE0EEENS1_30default_config_static_selectorELNS0_4arch9wavefront6targetE0EEEvT1_,"axG",@progbits,_ZN7rocprim17ROCPRIM_400000_NS6detail17trampoline_kernelINS0_14default_configENS1_25partition_config_selectorILNS1_17partition_subalgoE9EN6thrust23THRUST_200600_302600_NS4pairIiN12_GLOBAL__N_15EntryEEESA_bEEZZNS1_14partition_implILS5_9ELb0ES3_jNS7_6detail15normal_iteratorINS7_10device_ptrIKSB_EEEENSF_INSG_ISA_EEEEPNS0_10empty_typeENS0_5tupleIJNSF_INSG_ISB_EEEESM_EEENSO_IJSL_SN_EEENS0_18inequality_wrapperINS9_12CompareFirstEEEPmJSM_EEE10hipError_tPvRmT3_T4_T5_T6_T7_T9_mT8_P12ihipStream_tbDpT10_ENKUlT_T0_E_clISt17integral_constantIbLb1EES1F_IbLb0EEEEDaS1B_S1C_EUlS1B_E_NS1_11comp_targetILNS1_3genE5ELNS1_11target_archE942ELNS1_3gpuE9ELNS1_3repE0EEENS1_30default_config_static_selectorELNS0_4arch9wavefront6targetE0EEEvT1_,comdat
.Lfunc_end1321:
	.size	_ZN7rocprim17ROCPRIM_400000_NS6detail17trampoline_kernelINS0_14default_configENS1_25partition_config_selectorILNS1_17partition_subalgoE9EN6thrust23THRUST_200600_302600_NS4pairIiN12_GLOBAL__N_15EntryEEESA_bEEZZNS1_14partition_implILS5_9ELb0ES3_jNS7_6detail15normal_iteratorINS7_10device_ptrIKSB_EEEENSF_INSG_ISA_EEEEPNS0_10empty_typeENS0_5tupleIJNSF_INSG_ISB_EEEESM_EEENSO_IJSL_SN_EEENS0_18inequality_wrapperINS9_12CompareFirstEEEPmJSM_EEE10hipError_tPvRmT3_T4_T5_T6_T7_T9_mT8_P12ihipStream_tbDpT10_ENKUlT_T0_E_clISt17integral_constantIbLb1EES1F_IbLb0EEEEDaS1B_S1C_EUlS1B_E_NS1_11comp_targetILNS1_3genE5ELNS1_11target_archE942ELNS1_3gpuE9ELNS1_3repE0EEENS1_30default_config_static_selectorELNS0_4arch9wavefront6targetE0EEEvT1_, .Lfunc_end1321-_ZN7rocprim17ROCPRIM_400000_NS6detail17trampoline_kernelINS0_14default_configENS1_25partition_config_selectorILNS1_17partition_subalgoE9EN6thrust23THRUST_200600_302600_NS4pairIiN12_GLOBAL__N_15EntryEEESA_bEEZZNS1_14partition_implILS5_9ELb0ES3_jNS7_6detail15normal_iteratorINS7_10device_ptrIKSB_EEEENSF_INSG_ISA_EEEEPNS0_10empty_typeENS0_5tupleIJNSF_INSG_ISB_EEEESM_EEENSO_IJSL_SN_EEENS0_18inequality_wrapperINS9_12CompareFirstEEEPmJSM_EEE10hipError_tPvRmT3_T4_T5_T6_T7_T9_mT8_P12ihipStream_tbDpT10_ENKUlT_T0_E_clISt17integral_constantIbLb1EES1F_IbLb0EEEEDaS1B_S1C_EUlS1B_E_NS1_11comp_targetILNS1_3genE5ELNS1_11target_archE942ELNS1_3gpuE9ELNS1_3repE0EEENS1_30default_config_static_selectorELNS0_4arch9wavefront6targetE0EEEvT1_
                                        ; -- End function
	.section	.AMDGPU.csdata,"",@progbits
; Kernel info:
; codeLenInByte = 0
; NumSgprs: 0
; NumVgprs: 0
; ScratchSize: 0
; MemoryBound: 0
; FloatMode: 240
; IeeeMode: 1
; LDSByteSize: 0 bytes/workgroup (compile time only)
; SGPRBlocks: 0
; VGPRBlocks: 0
; NumSGPRsForWavesPerEU: 1
; NumVGPRsForWavesPerEU: 1
; Occupancy: 15
; WaveLimiterHint : 0
; COMPUTE_PGM_RSRC2:SCRATCH_EN: 0
; COMPUTE_PGM_RSRC2:USER_SGPR: 15
; COMPUTE_PGM_RSRC2:TRAP_HANDLER: 0
; COMPUTE_PGM_RSRC2:TGID_X_EN: 1
; COMPUTE_PGM_RSRC2:TGID_Y_EN: 0
; COMPUTE_PGM_RSRC2:TGID_Z_EN: 0
; COMPUTE_PGM_RSRC2:TIDIG_COMP_CNT: 0
	.section	.text._ZN7rocprim17ROCPRIM_400000_NS6detail17trampoline_kernelINS0_14default_configENS1_25partition_config_selectorILNS1_17partition_subalgoE9EN6thrust23THRUST_200600_302600_NS4pairIiN12_GLOBAL__N_15EntryEEESA_bEEZZNS1_14partition_implILS5_9ELb0ES3_jNS7_6detail15normal_iteratorINS7_10device_ptrIKSB_EEEENSF_INSG_ISA_EEEEPNS0_10empty_typeENS0_5tupleIJNSF_INSG_ISB_EEEESM_EEENSO_IJSL_SN_EEENS0_18inequality_wrapperINS9_12CompareFirstEEEPmJSM_EEE10hipError_tPvRmT3_T4_T5_T6_T7_T9_mT8_P12ihipStream_tbDpT10_ENKUlT_T0_E_clISt17integral_constantIbLb1EES1F_IbLb0EEEEDaS1B_S1C_EUlS1B_E_NS1_11comp_targetILNS1_3genE4ELNS1_11target_archE910ELNS1_3gpuE8ELNS1_3repE0EEENS1_30default_config_static_selectorELNS0_4arch9wavefront6targetE0EEEvT1_,"axG",@progbits,_ZN7rocprim17ROCPRIM_400000_NS6detail17trampoline_kernelINS0_14default_configENS1_25partition_config_selectorILNS1_17partition_subalgoE9EN6thrust23THRUST_200600_302600_NS4pairIiN12_GLOBAL__N_15EntryEEESA_bEEZZNS1_14partition_implILS5_9ELb0ES3_jNS7_6detail15normal_iteratorINS7_10device_ptrIKSB_EEEENSF_INSG_ISA_EEEEPNS0_10empty_typeENS0_5tupleIJNSF_INSG_ISB_EEEESM_EEENSO_IJSL_SN_EEENS0_18inequality_wrapperINS9_12CompareFirstEEEPmJSM_EEE10hipError_tPvRmT3_T4_T5_T6_T7_T9_mT8_P12ihipStream_tbDpT10_ENKUlT_T0_E_clISt17integral_constantIbLb1EES1F_IbLb0EEEEDaS1B_S1C_EUlS1B_E_NS1_11comp_targetILNS1_3genE4ELNS1_11target_archE910ELNS1_3gpuE8ELNS1_3repE0EEENS1_30default_config_static_selectorELNS0_4arch9wavefront6targetE0EEEvT1_,comdat
	.globl	_ZN7rocprim17ROCPRIM_400000_NS6detail17trampoline_kernelINS0_14default_configENS1_25partition_config_selectorILNS1_17partition_subalgoE9EN6thrust23THRUST_200600_302600_NS4pairIiN12_GLOBAL__N_15EntryEEESA_bEEZZNS1_14partition_implILS5_9ELb0ES3_jNS7_6detail15normal_iteratorINS7_10device_ptrIKSB_EEEENSF_INSG_ISA_EEEEPNS0_10empty_typeENS0_5tupleIJNSF_INSG_ISB_EEEESM_EEENSO_IJSL_SN_EEENS0_18inequality_wrapperINS9_12CompareFirstEEEPmJSM_EEE10hipError_tPvRmT3_T4_T5_T6_T7_T9_mT8_P12ihipStream_tbDpT10_ENKUlT_T0_E_clISt17integral_constantIbLb1EES1F_IbLb0EEEEDaS1B_S1C_EUlS1B_E_NS1_11comp_targetILNS1_3genE4ELNS1_11target_archE910ELNS1_3gpuE8ELNS1_3repE0EEENS1_30default_config_static_selectorELNS0_4arch9wavefront6targetE0EEEvT1_ ; -- Begin function _ZN7rocprim17ROCPRIM_400000_NS6detail17trampoline_kernelINS0_14default_configENS1_25partition_config_selectorILNS1_17partition_subalgoE9EN6thrust23THRUST_200600_302600_NS4pairIiN12_GLOBAL__N_15EntryEEESA_bEEZZNS1_14partition_implILS5_9ELb0ES3_jNS7_6detail15normal_iteratorINS7_10device_ptrIKSB_EEEENSF_INSG_ISA_EEEEPNS0_10empty_typeENS0_5tupleIJNSF_INSG_ISB_EEEESM_EEENSO_IJSL_SN_EEENS0_18inequality_wrapperINS9_12CompareFirstEEEPmJSM_EEE10hipError_tPvRmT3_T4_T5_T6_T7_T9_mT8_P12ihipStream_tbDpT10_ENKUlT_T0_E_clISt17integral_constantIbLb1EES1F_IbLb0EEEEDaS1B_S1C_EUlS1B_E_NS1_11comp_targetILNS1_3genE4ELNS1_11target_archE910ELNS1_3gpuE8ELNS1_3repE0EEENS1_30default_config_static_selectorELNS0_4arch9wavefront6targetE0EEEvT1_
	.p2align	8
	.type	_ZN7rocprim17ROCPRIM_400000_NS6detail17trampoline_kernelINS0_14default_configENS1_25partition_config_selectorILNS1_17partition_subalgoE9EN6thrust23THRUST_200600_302600_NS4pairIiN12_GLOBAL__N_15EntryEEESA_bEEZZNS1_14partition_implILS5_9ELb0ES3_jNS7_6detail15normal_iteratorINS7_10device_ptrIKSB_EEEENSF_INSG_ISA_EEEEPNS0_10empty_typeENS0_5tupleIJNSF_INSG_ISB_EEEESM_EEENSO_IJSL_SN_EEENS0_18inequality_wrapperINS9_12CompareFirstEEEPmJSM_EEE10hipError_tPvRmT3_T4_T5_T6_T7_T9_mT8_P12ihipStream_tbDpT10_ENKUlT_T0_E_clISt17integral_constantIbLb1EES1F_IbLb0EEEEDaS1B_S1C_EUlS1B_E_NS1_11comp_targetILNS1_3genE4ELNS1_11target_archE910ELNS1_3gpuE8ELNS1_3repE0EEENS1_30default_config_static_selectorELNS0_4arch9wavefront6targetE0EEEvT1_,@function
_ZN7rocprim17ROCPRIM_400000_NS6detail17trampoline_kernelINS0_14default_configENS1_25partition_config_selectorILNS1_17partition_subalgoE9EN6thrust23THRUST_200600_302600_NS4pairIiN12_GLOBAL__N_15EntryEEESA_bEEZZNS1_14partition_implILS5_9ELb0ES3_jNS7_6detail15normal_iteratorINS7_10device_ptrIKSB_EEEENSF_INSG_ISA_EEEEPNS0_10empty_typeENS0_5tupleIJNSF_INSG_ISB_EEEESM_EEENSO_IJSL_SN_EEENS0_18inequality_wrapperINS9_12CompareFirstEEEPmJSM_EEE10hipError_tPvRmT3_T4_T5_T6_T7_T9_mT8_P12ihipStream_tbDpT10_ENKUlT_T0_E_clISt17integral_constantIbLb1EES1F_IbLb0EEEEDaS1B_S1C_EUlS1B_E_NS1_11comp_targetILNS1_3genE4ELNS1_11target_archE910ELNS1_3gpuE8ELNS1_3repE0EEENS1_30default_config_static_selectorELNS0_4arch9wavefront6targetE0EEEvT1_: ; @_ZN7rocprim17ROCPRIM_400000_NS6detail17trampoline_kernelINS0_14default_configENS1_25partition_config_selectorILNS1_17partition_subalgoE9EN6thrust23THRUST_200600_302600_NS4pairIiN12_GLOBAL__N_15EntryEEESA_bEEZZNS1_14partition_implILS5_9ELb0ES3_jNS7_6detail15normal_iteratorINS7_10device_ptrIKSB_EEEENSF_INSG_ISA_EEEEPNS0_10empty_typeENS0_5tupleIJNSF_INSG_ISB_EEEESM_EEENSO_IJSL_SN_EEENS0_18inequality_wrapperINS9_12CompareFirstEEEPmJSM_EEE10hipError_tPvRmT3_T4_T5_T6_T7_T9_mT8_P12ihipStream_tbDpT10_ENKUlT_T0_E_clISt17integral_constantIbLb1EES1F_IbLb0EEEEDaS1B_S1C_EUlS1B_E_NS1_11comp_targetILNS1_3genE4ELNS1_11target_archE910ELNS1_3gpuE8ELNS1_3repE0EEENS1_30default_config_static_selectorELNS0_4arch9wavefront6targetE0EEEvT1_
; %bb.0:
	.section	.rodata,"a",@progbits
	.p2align	6, 0x0
	.amdhsa_kernel _ZN7rocprim17ROCPRIM_400000_NS6detail17trampoline_kernelINS0_14default_configENS1_25partition_config_selectorILNS1_17partition_subalgoE9EN6thrust23THRUST_200600_302600_NS4pairIiN12_GLOBAL__N_15EntryEEESA_bEEZZNS1_14partition_implILS5_9ELb0ES3_jNS7_6detail15normal_iteratorINS7_10device_ptrIKSB_EEEENSF_INSG_ISA_EEEEPNS0_10empty_typeENS0_5tupleIJNSF_INSG_ISB_EEEESM_EEENSO_IJSL_SN_EEENS0_18inequality_wrapperINS9_12CompareFirstEEEPmJSM_EEE10hipError_tPvRmT3_T4_T5_T6_T7_T9_mT8_P12ihipStream_tbDpT10_ENKUlT_T0_E_clISt17integral_constantIbLb1EES1F_IbLb0EEEEDaS1B_S1C_EUlS1B_E_NS1_11comp_targetILNS1_3genE4ELNS1_11target_archE910ELNS1_3gpuE8ELNS1_3repE0EEENS1_30default_config_static_selectorELNS0_4arch9wavefront6targetE0EEEvT1_
		.amdhsa_group_segment_fixed_size 0
		.amdhsa_private_segment_fixed_size 0
		.amdhsa_kernarg_size 112
		.amdhsa_user_sgpr_count 15
		.amdhsa_user_sgpr_dispatch_ptr 0
		.amdhsa_user_sgpr_queue_ptr 0
		.amdhsa_user_sgpr_kernarg_segment_ptr 1
		.amdhsa_user_sgpr_dispatch_id 0
		.amdhsa_user_sgpr_private_segment_size 0
		.amdhsa_wavefront_size32 1
		.amdhsa_uses_dynamic_stack 0
		.amdhsa_enable_private_segment 0
		.amdhsa_system_sgpr_workgroup_id_x 1
		.amdhsa_system_sgpr_workgroup_id_y 0
		.amdhsa_system_sgpr_workgroup_id_z 0
		.amdhsa_system_sgpr_workgroup_info 0
		.amdhsa_system_vgpr_workitem_id 0
		.amdhsa_next_free_vgpr 1
		.amdhsa_next_free_sgpr 1
		.amdhsa_reserve_vcc 0
		.amdhsa_float_round_mode_32 0
		.amdhsa_float_round_mode_16_64 0
		.amdhsa_float_denorm_mode_32 3
		.amdhsa_float_denorm_mode_16_64 3
		.amdhsa_dx10_clamp 1
		.amdhsa_ieee_mode 1
		.amdhsa_fp16_overflow 0
		.amdhsa_workgroup_processor_mode 1
		.amdhsa_memory_ordered 1
		.amdhsa_forward_progress 0
		.amdhsa_shared_vgpr_count 0
		.amdhsa_exception_fp_ieee_invalid_op 0
		.amdhsa_exception_fp_denorm_src 0
		.amdhsa_exception_fp_ieee_div_zero 0
		.amdhsa_exception_fp_ieee_overflow 0
		.amdhsa_exception_fp_ieee_underflow 0
		.amdhsa_exception_fp_ieee_inexact 0
		.amdhsa_exception_int_div_zero 0
	.end_amdhsa_kernel
	.section	.text._ZN7rocprim17ROCPRIM_400000_NS6detail17trampoline_kernelINS0_14default_configENS1_25partition_config_selectorILNS1_17partition_subalgoE9EN6thrust23THRUST_200600_302600_NS4pairIiN12_GLOBAL__N_15EntryEEESA_bEEZZNS1_14partition_implILS5_9ELb0ES3_jNS7_6detail15normal_iteratorINS7_10device_ptrIKSB_EEEENSF_INSG_ISA_EEEEPNS0_10empty_typeENS0_5tupleIJNSF_INSG_ISB_EEEESM_EEENSO_IJSL_SN_EEENS0_18inequality_wrapperINS9_12CompareFirstEEEPmJSM_EEE10hipError_tPvRmT3_T4_T5_T6_T7_T9_mT8_P12ihipStream_tbDpT10_ENKUlT_T0_E_clISt17integral_constantIbLb1EES1F_IbLb0EEEEDaS1B_S1C_EUlS1B_E_NS1_11comp_targetILNS1_3genE4ELNS1_11target_archE910ELNS1_3gpuE8ELNS1_3repE0EEENS1_30default_config_static_selectorELNS0_4arch9wavefront6targetE0EEEvT1_,"axG",@progbits,_ZN7rocprim17ROCPRIM_400000_NS6detail17trampoline_kernelINS0_14default_configENS1_25partition_config_selectorILNS1_17partition_subalgoE9EN6thrust23THRUST_200600_302600_NS4pairIiN12_GLOBAL__N_15EntryEEESA_bEEZZNS1_14partition_implILS5_9ELb0ES3_jNS7_6detail15normal_iteratorINS7_10device_ptrIKSB_EEEENSF_INSG_ISA_EEEEPNS0_10empty_typeENS0_5tupleIJNSF_INSG_ISB_EEEESM_EEENSO_IJSL_SN_EEENS0_18inequality_wrapperINS9_12CompareFirstEEEPmJSM_EEE10hipError_tPvRmT3_T4_T5_T6_T7_T9_mT8_P12ihipStream_tbDpT10_ENKUlT_T0_E_clISt17integral_constantIbLb1EES1F_IbLb0EEEEDaS1B_S1C_EUlS1B_E_NS1_11comp_targetILNS1_3genE4ELNS1_11target_archE910ELNS1_3gpuE8ELNS1_3repE0EEENS1_30default_config_static_selectorELNS0_4arch9wavefront6targetE0EEEvT1_,comdat
.Lfunc_end1322:
	.size	_ZN7rocprim17ROCPRIM_400000_NS6detail17trampoline_kernelINS0_14default_configENS1_25partition_config_selectorILNS1_17partition_subalgoE9EN6thrust23THRUST_200600_302600_NS4pairIiN12_GLOBAL__N_15EntryEEESA_bEEZZNS1_14partition_implILS5_9ELb0ES3_jNS7_6detail15normal_iteratorINS7_10device_ptrIKSB_EEEENSF_INSG_ISA_EEEEPNS0_10empty_typeENS0_5tupleIJNSF_INSG_ISB_EEEESM_EEENSO_IJSL_SN_EEENS0_18inequality_wrapperINS9_12CompareFirstEEEPmJSM_EEE10hipError_tPvRmT3_T4_T5_T6_T7_T9_mT8_P12ihipStream_tbDpT10_ENKUlT_T0_E_clISt17integral_constantIbLb1EES1F_IbLb0EEEEDaS1B_S1C_EUlS1B_E_NS1_11comp_targetILNS1_3genE4ELNS1_11target_archE910ELNS1_3gpuE8ELNS1_3repE0EEENS1_30default_config_static_selectorELNS0_4arch9wavefront6targetE0EEEvT1_, .Lfunc_end1322-_ZN7rocprim17ROCPRIM_400000_NS6detail17trampoline_kernelINS0_14default_configENS1_25partition_config_selectorILNS1_17partition_subalgoE9EN6thrust23THRUST_200600_302600_NS4pairIiN12_GLOBAL__N_15EntryEEESA_bEEZZNS1_14partition_implILS5_9ELb0ES3_jNS7_6detail15normal_iteratorINS7_10device_ptrIKSB_EEEENSF_INSG_ISA_EEEEPNS0_10empty_typeENS0_5tupleIJNSF_INSG_ISB_EEEESM_EEENSO_IJSL_SN_EEENS0_18inequality_wrapperINS9_12CompareFirstEEEPmJSM_EEE10hipError_tPvRmT3_T4_T5_T6_T7_T9_mT8_P12ihipStream_tbDpT10_ENKUlT_T0_E_clISt17integral_constantIbLb1EES1F_IbLb0EEEEDaS1B_S1C_EUlS1B_E_NS1_11comp_targetILNS1_3genE4ELNS1_11target_archE910ELNS1_3gpuE8ELNS1_3repE0EEENS1_30default_config_static_selectorELNS0_4arch9wavefront6targetE0EEEvT1_
                                        ; -- End function
	.section	.AMDGPU.csdata,"",@progbits
; Kernel info:
; codeLenInByte = 0
; NumSgprs: 0
; NumVgprs: 0
; ScratchSize: 0
; MemoryBound: 0
; FloatMode: 240
; IeeeMode: 1
; LDSByteSize: 0 bytes/workgroup (compile time only)
; SGPRBlocks: 0
; VGPRBlocks: 0
; NumSGPRsForWavesPerEU: 1
; NumVGPRsForWavesPerEU: 1
; Occupancy: 16
; WaveLimiterHint : 0
; COMPUTE_PGM_RSRC2:SCRATCH_EN: 0
; COMPUTE_PGM_RSRC2:USER_SGPR: 15
; COMPUTE_PGM_RSRC2:TRAP_HANDLER: 0
; COMPUTE_PGM_RSRC2:TGID_X_EN: 1
; COMPUTE_PGM_RSRC2:TGID_Y_EN: 0
; COMPUTE_PGM_RSRC2:TGID_Z_EN: 0
; COMPUTE_PGM_RSRC2:TIDIG_COMP_CNT: 0
	.section	.text._ZN7rocprim17ROCPRIM_400000_NS6detail17trampoline_kernelINS0_14default_configENS1_25partition_config_selectorILNS1_17partition_subalgoE9EN6thrust23THRUST_200600_302600_NS4pairIiN12_GLOBAL__N_15EntryEEESA_bEEZZNS1_14partition_implILS5_9ELb0ES3_jNS7_6detail15normal_iteratorINS7_10device_ptrIKSB_EEEENSF_INSG_ISA_EEEEPNS0_10empty_typeENS0_5tupleIJNSF_INSG_ISB_EEEESM_EEENSO_IJSL_SN_EEENS0_18inequality_wrapperINS9_12CompareFirstEEEPmJSM_EEE10hipError_tPvRmT3_T4_T5_T6_T7_T9_mT8_P12ihipStream_tbDpT10_ENKUlT_T0_E_clISt17integral_constantIbLb1EES1F_IbLb0EEEEDaS1B_S1C_EUlS1B_E_NS1_11comp_targetILNS1_3genE3ELNS1_11target_archE908ELNS1_3gpuE7ELNS1_3repE0EEENS1_30default_config_static_selectorELNS0_4arch9wavefront6targetE0EEEvT1_,"axG",@progbits,_ZN7rocprim17ROCPRIM_400000_NS6detail17trampoline_kernelINS0_14default_configENS1_25partition_config_selectorILNS1_17partition_subalgoE9EN6thrust23THRUST_200600_302600_NS4pairIiN12_GLOBAL__N_15EntryEEESA_bEEZZNS1_14partition_implILS5_9ELb0ES3_jNS7_6detail15normal_iteratorINS7_10device_ptrIKSB_EEEENSF_INSG_ISA_EEEEPNS0_10empty_typeENS0_5tupleIJNSF_INSG_ISB_EEEESM_EEENSO_IJSL_SN_EEENS0_18inequality_wrapperINS9_12CompareFirstEEEPmJSM_EEE10hipError_tPvRmT3_T4_T5_T6_T7_T9_mT8_P12ihipStream_tbDpT10_ENKUlT_T0_E_clISt17integral_constantIbLb1EES1F_IbLb0EEEEDaS1B_S1C_EUlS1B_E_NS1_11comp_targetILNS1_3genE3ELNS1_11target_archE908ELNS1_3gpuE7ELNS1_3repE0EEENS1_30default_config_static_selectorELNS0_4arch9wavefront6targetE0EEEvT1_,comdat
	.globl	_ZN7rocprim17ROCPRIM_400000_NS6detail17trampoline_kernelINS0_14default_configENS1_25partition_config_selectorILNS1_17partition_subalgoE9EN6thrust23THRUST_200600_302600_NS4pairIiN12_GLOBAL__N_15EntryEEESA_bEEZZNS1_14partition_implILS5_9ELb0ES3_jNS7_6detail15normal_iteratorINS7_10device_ptrIKSB_EEEENSF_INSG_ISA_EEEEPNS0_10empty_typeENS0_5tupleIJNSF_INSG_ISB_EEEESM_EEENSO_IJSL_SN_EEENS0_18inequality_wrapperINS9_12CompareFirstEEEPmJSM_EEE10hipError_tPvRmT3_T4_T5_T6_T7_T9_mT8_P12ihipStream_tbDpT10_ENKUlT_T0_E_clISt17integral_constantIbLb1EES1F_IbLb0EEEEDaS1B_S1C_EUlS1B_E_NS1_11comp_targetILNS1_3genE3ELNS1_11target_archE908ELNS1_3gpuE7ELNS1_3repE0EEENS1_30default_config_static_selectorELNS0_4arch9wavefront6targetE0EEEvT1_ ; -- Begin function _ZN7rocprim17ROCPRIM_400000_NS6detail17trampoline_kernelINS0_14default_configENS1_25partition_config_selectorILNS1_17partition_subalgoE9EN6thrust23THRUST_200600_302600_NS4pairIiN12_GLOBAL__N_15EntryEEESA_bEEZZNS1_14partition_implILS5_9ELb0ES3_jNS7_6detail15normal_iteratorINS7_10device_ptrIKSB_EEEENSF_INSG_ISA_EEEEPNS0_10empty_typeENS0_5tupleIJNSF_INSG_ISB_EEEESM_EEENSO_IJSL_SN_EEENS0_18inequality_wrapperINS9_12CompareFirstEEEPmJSM_EEE10hipError_tPvRmT3_T4_T5_T6_T7_T9_mT8_P12ihipStream_tbDpT10_ENKUlT_T0_E_clISt17integral_constantIbLb1EES1F_IbLb0EEEEDaS1B_S1C_EUlS1B_E_NS1_11comp_targetILNS1_3genE3ELNS1_11target_archE908ELNS1_3gpuE7ELNS1_3repE0EEENS1_30default_config_static_selectorELNS0_4arch9wavefront6targetE0EEEvT1_
	.p2align	8
	.type	_ZN7rocprim17ROCPRIM_400000_NS6detail17trampoline_kernelINS0_14default_configENS1_25partition_config_selectorILNS1_17partition_subalgoE9EN6thrust23THRUST_200600_302600_NS4pairIiN12_GLOBAL__N_15EntryEEESA_bEEZZNS1_14partition_implILS5_9ELb0ES3_jNS7_6detail15normal_iteratorINS7_10device_ptrIKSB_EEEENSF_INSG_ISA_EEEEPNS0_10empty_typeENS0_5tupleIJNSF_INSG_ISB_EEEESM_EEENSO_IJSL_SN_EEENS0_18inequality_wrapperINS9_12CompareFirstEEEPmJSM_EEE10hipError_tPvRmT3_T4_T5_T6_T7_T9_mT8_P12ihipStream_tbDpT10_ENKUlT_T0_E_clISt17integral_constantIbLb1EES1F_IbLb0EEEEDaS1B_S1C_EUlS1B_E_NS1_11comp_targetILNS1_3genE3ELNS1_11target_archE908ELNS1_3gpuE7ELNS1_3repE0EEENS1_30default_config_static_selectorELNS0_4arch9wavefront6targetE0EEEvT1_,@function
_ZN7rocprim17ROCPRIM_400000_NS6detail17trampoline_kernelINS0_14default_configENS1_25partition_config_selectorILNS1_17partition_subalgoE9EN6thrust23THRUST_200600_302600_NS4pairIiN12_GLOBAL__N_15EntryEEESA_bEEZZNS1_14partition_implILS5_9ELb0ES3_jNS7_6detail15normal_iteratorINS7_10device_ptrIKSB_EEEENSF_INSG_ISA_EEEEPNS0_10empty_typeENS0_5tupleIJNSF_INSG_ISB_EEEESM_EEENSO_IJSL_SN_EEENS0_18inequality_wrapperINS9_12CompareFirstEEEPmJSM_EEE10hipError_tPvRmT3_T4_T5_T6_T7_T9_mT8_P12ihipStream_tbDpT10_ENKUlT_T0_E_clISt17integral_constantIbLb1EES1F_IbLb0EEEEDaS1B_S1C_EUlS1B_E_NS1_11comp_targetILNS1_3genE3ELNS1_11target_archE908ELNS1_3gpuE7ELNS1_3repE0EEENS1_30default_config_static_selectorELNS0_4arch9wavefront6targetE0EEEvT1_: ; @_ZN7rocprim17ROCPRIM_400000_NS6detail17trampoline_kernelINS0_14default_configENS1_25partition_config_selectorILNS1_17partition_subalgoE9EN6thrust23THRUST_200600_302600_NS4pairIiN12_GLOBAL__N_15EntryEEESA_bEEZZNS1_14partition_implILS5_9ELb0ES3_jNS7_6detail15normal_iteratorINS7_10device_ptrIKSB_EEEENSF_INSG_ISA_EEEEPNS0_10empty_typeENS0_5tupleIJNSF_INSG_ISB_EEEESM_EEENSO_IJSL_SN_EEENS0_18inequality_wrapperINS9_12CompareFirstEEEPmJSM_EEE10hipError_tPvRmT3_T4_T5_T6_T7_T9_mT8_P12ihipStream_tbDpT10_ENKUlT_T0_E_clISt17integral_constantIbLb1EES1F_IbLb0EEEEDaS1B_S1C_EUlS1B_E_NS1_11comp_targetILNS1_3genE3ELNS1_11target_archE908ELNS1_3gpuE7ELNS1_3repE0EEENS1_30default_config_static_selectorELNS0_4arch9wavefront6targetE0EEEvT1_
; %bb.0:
	.section	.rodata,"a",@progbits
	.p2align	6, 0x0
	.amdhsa_kernel _ZN7rocprim17ROCPRIM_400000_NS6detail17trampoline_kernelINS0_14default_configENS1_25partition_config_selectorILNS1_17partition_subalgoE9EN6thrust23THRUST_200600_302600_NS4pairIiN12_GLOBAL__N_15EntryEEESA_bEEZZNS1_14partition_implILS5_9ELb0ES3_jNS7_6detail15normal_iteratorINS7_10device_ptrIKSB_EEEENSF_INSG_ISA_EEEEPNS0_10empty_typeENS0_5tupleIJNSF_INSG_ISB_EEEESM_EEENSO_IJSL_SN_EEENS0_18inequality_wrapperINS9_12CompareFirstEEEPmJSM_EEE10hipError_tPvRmT3_T4_T5_T6_T7_T9_mT8_P12ihipStream_tbDpT10_ENKUlT_T0_E_clISt17integral_constantIbLb1EES1F_IbLb0EEEEDaS1B_S1C_EUlS1B_E_NS1_11comp_targetILNS1_3genE3ELNS1_11target_archE908ELNS1_3gpuE7ELNS1_3repE0EEENS1_30default_config_static_selectorELNS0_4arch9wavefront6targetE0EEEvT1_
		.amdhsa_group_segment_fixed_size 0
		.amdhsa_private_segment_fixed_size 0
		.amdhsa_kernarg_size 112
		.amdhsa_user_sgpr_count 15
		.amdhsa_user_sgpr_dispatch_ptr 0
		.amdhsa_user_sgpr_queue_ptr 0
		.amdhsa_user_sgpr_kernarg_segment_ptr 1
		.amdhsa_user_sgpr_dispatch_id 0
		.amdhsa_user_sgpr_private_segment_size 0
		.amdhsa_wavefront_size32 1
		.amdhsa_uses_dynamic_stack 0
		.amdhsa_enable_private_segment 0
		.amdhsa_system_sgpr_workgroup_id_x 1
		.amdhsa_system_sgpr_workgroup_id_y 0
		.amdhsa_system_sgpr_workgroup_id_z 0
		.amdhsa_system_sgpr_workgroup_info 0
		.amdhsa_system_vgpr_workitem_id 0
		.amdhsa_next_free_vgpr 1
		.amdhsa_next_free_sgpr 1
		.amdhsa_reserve_vcc 0
		.amdhsa_float_round_mode_32 0
		.amdhsa_float_round_mode_16_64 0
		.amdhsa_float_denorm_mode_32 3
		.amdhsa_float_denorm_mode_16_64 3
		.amdhsa_dx10_clamp 1
		.amdhsa_ieee_mode 1
		.amdhsa_fp16_overflow 0
		.amdhsa_workgroup_processor_mode 1
		.amdhsa_memory_ordered 1
		.amdhsa_forward_progress 0
		.amdhsa_shared_vgpr_count 0
		.amdhsa_exception_fp_ieee_invalid_op 0
		.amdhsa_exception_fp_denorm_src 0
		.amdhsa_exception_fp_ieee_div_zero 0
		.amdhsa_exception_fp_ieee_overflow 0
		.amdhsa_exception_fp_ieee_underflow 0
		.amdhsa_exception_fp_ieee_inexact 0
		.amdhsa_exception_int_div_zero 0
	.end_amdhsa_kernel
	.section	.text._ZN7rocprim17ROCPRIM_400000_NS6detail17trampoline_kernelINS0_14default_configENS1_25partition_config_selectorILNS1_17partition_subalgoE9EN6thrust23THRUST_200600_302600_NS4pairIiN12_GLOBAL__N_15EntryEEESA_bEEZZNS1_14partition_implILS5_9ELb0ES3_jNS7_6detail15normal_iteratorINS7_10device_ptrIKSB_EEEENSF_INSG_ISA_EEEEPNS0_10empty_typeENS0_5tupleIJNSF_INSG_ISB_EEEESM_EEENSO_IJSL_SN_EEENS0_18inequality_wrapperINS9_12CompareFirstEEEPmJSM_EEE10hipError_tPvRmT3_T4_T5_T6_T7_T9_mT8_P12ihipStream_tbDpT10_ENKUlT_T0_E_clISt17integral_constantIbLb1EES1F_IbLb0EEEEDaS1B_S1C_EUlS1B_E_NS1_11comp_targetILNS1_3genE3ELNS1_11target_archE908ELNS1_3gpuE7ELNS1_3repE0EEENS1_30default_config_static_selectorELNS0_4arch9wavefront6targetE0EEEvT1_,"axG",@progbits,_ZN7rocprim17ROCPRIM_400000_NS6detail17trampoline_kernelINS0_14default_configENS1_25partition_config_selectorILNS1_17partition_subalgoE9EN6thrust23THRUST_200600_302600_NS4pairIiN12_GLOBAL__N_15EntryEEESA_bEEZZNS1_14partition_implILS5_9ELb0ES3_jNS7_6detail15normal_iteratorINS7_10device_ptrIKSB_EEEENSF_INSG_ISA_EEEEPNS0_10empty_typeENS0_5tupleIJNSF_INSG_ISB_EEEESM_EEENSO_IJSL_SN_EEENS0_18inequality_wrapperINS9_12CompareFirstEEEPmJSM_EEE10hipError_tPvRmT3_T4_T5_T6_T7_T9_mT8_P12ihipStream_tbDpT10_ENKUlT_T0_E_clISt17integral_constantIbLb1EES1F_IbLb0EEEEDaS1B_S1C_EUlS1B_E_NS1_11comp_targetILNS1_3genE3ELNS1_11target_archE908ELNS1_3gpuE7ELNS1_3repE0EEENS1_30default_config_static_selectorELNS0_4arch9wavefront6targetE0EEEvT1_,comdat
.Lfunc_end1323:
	.size	_ZN7rocprim17ROCPRIM_400000_NS6detail17trampoline_kernelINS0_14default_configENS1_25partition_config_selectorILNS1_17partition_subalgoE9EN6thrust23THRUST_200600_302600_NS4pairIiN12_GLOBAL__N_15EntryEEESA_bEEZZNS1_14partition_implILS5_9ELb0ES3_jNS7_6detail15normal_iteratorINS7_10device_ptrIKSB_EEEENSF_INSG_ISA_EEEEPNS0_10empty_typeENS0_5tupleIJNSF_INSG_ISB_EEEESM_EEENSO_IJSL_SN_EEENS0_18inequality_wrapperINS9_12CompareFirstEEEPmJSM_EEE10hipError_tPvRmT3_T4_T5_T6_T7_T9_mT8_P12ihipStream_tbDpT10_ENKUlT_T0_E_clISt17integral_constantIbLb1EES1F_IbLb0EEEEDaS1B_S1C_EUlS1B_E_NS1_11comp_targetILNS1_3genE3ELNS1_11target_archE908ELNS1_3gpuE7ELNS1_3repE0EEENS1_30default_config_static_selectorELNS0_4arch9wavefront6targetE0EEEvT1_, .Lfunc_end1323-_ZN7rocprim17ROCPRIM_400000_NS6detail17trampoline_kernelINS0_14default_configENS1_25partition_config_selectorILNS1_17partition_subalgoE9EN6thrust23THRUST_200600_302600_NS4pairIiN12_GLOBAL__N_15EntryEEESA_bEEZZNS1_14partition_implILS5_9ELb0ES3_jNS7_6detail15normal_iteratorINS7_10device_ptrIKSB_EEEENSF_INSG_ISA_EEEEPNS0_10empty_typeENS0_5tupleIJNSF_INSG_ISB_EEEESM_EEENSO_IJSL_SN_EEENS0_18inequality_wrapperINS9_12CompareFirstEEEPmJSM_EEE10hipError_tPvRmT3_T4_T5_T6_T7_T9_mT8_P12ihipStream_tbDpT10_ENKUlT_T0_E_clISt17integral_constantIbLb1EES1F_IbLb0EEEEDaS1B_S1C_EUlS1B_E_NS1_11comp_targetILNS1_3genE3ELNS1_11target_archE908ELNS1_3gpuE7ELNS1_3repE0EEENS1_30default_config_static_selectorELNS0_4arch9wavefront6targetE0EEEvT1_
                                        ; -- End function
	.section	.AMDGPU.csdata,"",@progbits
; Kernel info:
; codeLenInByte = 0
; NumSgprs: 0
; NumVgprs: 0
; ScratchSize: 0
; MemoryBound: 0
; FloatMode: 240
; IeeeMode: 1
; LDSByteSize: 0 bytes/workgroup (compile time only)
; SGPRBlocks: 0
; VGPRBlocks: 0
; NumSGPRsForWavesPerEU: 1
; NumVGPRsForWavesPerEU: 1
; Occupancy: 15
; WaveLimiterHint : 0
; COMPUTE_PGM_RSRC2:SCRATCH_EN: 0
; COMPUTE_PGM_RSRC2:USER_SGPR: 15
; COMPUTE_PGM_RSRC2:TRAP_HANDLER: 0
; COMPUTE_PGM_RSRC2:TGID_X_EN: 1
; COMPUTE_PGM_RSRC2:TGID_Y_EN: 0
; COMPUTE_PGM_RSRC2:TGID_Z_EN: 0
; COMPUTE_PGM_RSRC2:TIDIG_COMP_CNT: 0
	.section	.text._ZN7rocprim17ROCPRIM_400000_NS6detail17trampoline_kernelINS0_14default_configENS1_25partition_config_selectorILNS1_17partition_subalgoE9EN6thrust23THRUST_200600_302600_NS4pairIiN12_GLOBAL__N_15EntryEEESA_bEEZZNS1_14partition_implILS5_9ELb0ES3_jNS7_6detail15normal_iteratorINS7_10device_ptrIKSB_EEEENSF_INSG_ISA_EEEEPNS0_10empty_typeENS0_5tupleIJNSF_INSG_ISB_EEEESM_EEENSO_IJSL_SN_EEENS0_18inequality_wrapperINS9_12CompareFirstEEEPmJSM_EEE10hipError_tPvRmT3_T4_T5_T6_T7_T9_mT8_P12ihipStream_tbDpT10_ENKUlT_T0_E_clISt17integral_constantIbLb1EES1F_IbLb0EEEEDaS1B_S1C_EUlS1B_E_NS1_11comp_targetILNS1_3genE2ELNS1_11target_archE906ELNS1_3gpuE6ELNS1_3repE0EEENS1_30default_config_static_selectorELNS0_4arch9wavefront6targetE0EEEvT1_,"axG",@progbits,_ZN7rocprim17ROCPRIM_400000_NS6detail17trampoline_kernelINS0_14default_configENS1_25partition_config_selectorILNS1_17partition_subalgoE9EN6thrust23THRUST_200600_302600_NS4pairIiN12_GLOBAL__N_15EntryEEESA_bEEZZNS1_14partition_implILS5_9ELb0ES3_jNS7_6detail15normal_iteratorINS7_10device_ptrIKSB_EEEENSF_INSG_ISA_EEEEPNS0_10empty_typeENS0_5tupleIJNSF_INSG_ISB_EEEESM_EEENSO_IJSL_SN_EEENS0_18inequality_wrapperINS9_12CompareFirstEEEPmJSM_EEE10hipError_tPvRmT3_T4_T5_T6_T7_T9_mT8_P12ihipStream_tbDpT10_ENKUlT_T0_E_clISt17integral_constantIbLb1EES1F_IbLb0EEEEDaS1B_S1C_EUlS1B_E_NS1_11comp_targetILNS1_3genE2ELNS1_11target_archE906ELNS1_3gpuE6ELNS1_3repE0EEENS1_30default_config_static_selectorELNS0_4arch9wavefront6targetE0EEEvT1_,comdat
	.globl	_ZN7rocprim17ROCPRIM_400000_NS6detail17trampoline_kernelINS0_14default_configENS1_25partition_config_selectorILNS1_17partition_subalgoE9EN6thrust23THRUST_200600_302600_NS4pairIiN12_GLOBAL__N_15EntryEEESA_bEEZZNS1_14partition_implILS5_9ELb0ES3_jNS7_6detail15normal_iteratorINS7_10device_ptrIKSB_EEEENSF_INSG_ISA_EEEEPNS0_10empty_typeENS0_5tupleIJNSF_INSG_ISB_EEEESM_EEENSO_IJSL_SN_EEENS0_18inequality_wrapperINS9_12CompareFirstEEEPmJSM_EEE10hipError_tPvRmT3_T4_T5_T6_T7_T9_mT8_P12ihipStream_tbDpT10_ENKUlT_T0_E_clISt17integral_constantIbLb1EES1F_IbLb0EEEEDaS1B_S1C_EUlS1B_E_NS1_11comp_targetILNS1_3genE2ELNS1_11target_archE906ELNS1_3gpuE6ELNS1_3repE0EEENS1_30default_config_static_selectorELNS0_4arch9wavefront6targetE0EEEvT1_ ; -- Begin function _ZN7rocprim17ROCPRIM_400000_NS6detail17trampoline_kernelINS0_14default_configENS1_25partition_config_selectorILNS1_17partition_subalgoE9EN6thrust23THRUST_200600_302600_NS4pairIiN12_GLOBAL__N_15EntryEEESA_bEEZZNS1_14partition_implILS5_9ELb0ES3_jNS7_6detail15normal_iteratorINS7_10device_ptrIKSB_EEEENSF_INSG_ISA_EEEEPNS0_10empty_typeENS0_5tupleIJNSF_INSG_ISB_EEEESM_EEENSO_IJSL_SN_EEENS0_18inequality_wrapperINS9_12CompareFirstEEEPmJSM_EEE10hipError_tPvRmT3_T4_T5_T6_T7_T9_mT8_P12ihipStream_tbDpT10_ENKUlT_T0_E_clISt17integral_constantIbLb1EES1F_IbLb0EEEEDaS1B_S1C_EUlS1B_E_NS1_11comp_targetILNS1_3genE2ELNS1_11target_archE906ELNS1_3gpuE6ELNS1_3repE0EEENS1_30default_config_static_selectorELNS0_4arch9wavefront6targetE0EEEvT1_
	.p2align	8
	.type	_ZN7rocprim17ROCPRIM_400000_NS6detail17trampoline_kernelINS0_14default_configENS1_25partition_config_selectorILNS1_17partition_subalgoE9EN6thrust23THRUST_200600_302600_NS4pairIiN12_GLOBAL__N_15EntryEEESA_bEEZZNS1_14partition_implILS5_9ELb0ES3_jNS7_6detail15normal_iteratorINS7_10device_ptrIKSB_EEEENSF_INSG_ISA_EEEEPNS0_10empty_typeENS0_5tupleIJNSF_INSG_ISB_EEEESM_EEENSO_IJSL_SN_EEENS0_18inequality_wrapperINS9_12CompareFirstEEEPmJSM_EEE10hipError_tPvRmT3_T4_T5_T6_T7_T9_mT8_P12ihipStream_tbDpT10_ENKUlT_T0_E_clISt17integral_constantIbLb1EES1F_IbLb0EEEEDaS1B_S1C_EUlS1B_E_NS1_11comp_targetILNS1_3genE2ELNS1_11target_archE906ELNS1_3gpuE6ELNS1_3repE0EEENS1_30default_config_static_selectorELNS0_4arch9wavefront6targetE0EEEvT1_,@function
_ZN7rocprim17ROCPRIM_400000_NS6detail17trampoline_kernelINS0_14default_configENS1_25partition_config_selectorILNS1_17partition_subalgoE9EN6thrust23THRUST_200600_302600_NS4pairIiN12_GLOBAL__N_15EntryEEESA_bEEZZNS1_14partition_implILS5_9ELb0ES3_jNS7_6detail15normal_iteratorINS7_10device_ptrIKSB_EEEENSF_INSG_ISA_EEEEPNS0_10empty_typeENS0_5tupleIJNSF_INSG_ISB_EEEESM_EEENSO_IJSL_SN_EEENS0_18inequality_wrapperINS9_12CompareFirstEEEPmJSM_EEE10hipError_tPvRmT3_T4_T5_T6_T7_T9_mT8_P12ihipStream_tbDpT10_ENKUlT_T0_E_clISt17integral_constantIbLb1EES1F_IbLb0EEEEDaS1B_S1C_EUlS1B_E_NS1_11comp_targetILNS1_3genE2ELNS1_11target_archE906ELNS1_3gpuE6ELNS1_3repE0EEENS1_30default_config_static_selectorELNS0_4arch9wavefront6targetE0EEEvT1_: ; @_ZN7rocprim17ROCPRIM_400000_NS6detail17trampoline_kernelINS0_14default_configENS1_25partition_config_selectorILNS1_17partition_subalgoE9EN6thrust23THRUST_200600_302600_NS4pairIiN12_GLOBAL__N_15EntryEEESA_bEEZZNS1_14partition_implILS5_9ELb0ES3_jNS7_6detail15normal_iteratorINS7_10device_ptrIKSB_EEEENSF_INSG_ISA_EEEEPNS0_10empty_typeENS0_5tupleIJNSF_INSG_ISB_EEEESM_EEENSO_IJSL_SN_EEENS0_18inequality_wrapperINS9_12CompareFirstEEEPmJSM_EEE10hipError_tPvRmT3_T4_T5_T6_T7_T9_mT8_P12ihipStream_tbDpT10_ENKUlT_T0_E_clISt17integral_constantIbLb1EES1F_IbLb0EEEEDaS1B_S1C_EUlS1B_E_NS1_11comp_targetILNS1_3genE2ELNS1_11target_archE906ELNS1_3gpuE6ELNS1_3repE0EEENS1_30default_config_static_selectorELNS0_4arch9wavefront6targetE0EEEvT1_
; %bb.0:
	.section	.rodata,"a",@progbits
	.p2align	6, 0x0
	.amdhsa_kernel _ZN7rocprim17ROCPRIM_400000_NS6detail17trampoline_kernelINS0_14default_configENS1_25partition_config_selectorILNS1_17partition_subalgoE9EN6thrust23THRUST_200600_302600_NS4pairIiN12_GLOBAL__N_15EntryEEESA_bEEZZNS1_14partition_implILS5_9ELb0ES3_jNS7_6detail15normal_iteratorINS7_10device_ptrIKSB_EEEENSF_INSG_ISA_EEEEPNS0_10empty_typeENS0_5tupleIJNSF_INSG_ISB_EEEESM_EEENSO_IJSL_SN_EEENS0_18inequality_wrapperINS9_12CompareFirstEEEPmJSM_EEE10hipError_tPvRmT3_T4_T5_T6_T7_T9_mT8_P12ihipStream_tbDpT10_ENKUlT_T0_E_clISt17integral_constantIbLb1EES1F_IbLb0EEEEDaS1B_S1C_EUlS1B_E_NS1_11comp_targetILNS1_3genE2ELNS1_11target_archE906ELNS1_3gpuE6ELNS1_3repE0EEENS1_30default_config_static_selectorELNS0_4arch9wavefront6targetE0EEEvT1_
		.amdhsa_group_segment_fixed_size 0
		.amdhsa_private_segment_fixed_size 0
		.amdhsa_kernarg_size 112
		.amdhsa_user_sgpr_count 15
		.amdhsa_user_sgpr_dispatch_ptr 0
		.amdhsa_user_sgpr_queue_ptr 0
		.amdhsa_user_sgpr_kernarg_segment_ptr 1
		.amdhsa_user_sgpr_dispatch_id 0
		.amdhsa_user_sgpr_private_segment_size 0
		.amdhsa_wavefront_size32 1
		.amdhsa_uses_dynamic_stack 0
		.amdhsa_enable_private_segment 0
		.amdhsa_system_sgpr_workgroup_id_x 1
		.amdhsa_system_sgpr_workgroup_id_y 0
		.amdhsa_system_sgpr_workgroup_id_z 0
		.amdhsa_system_sgpr_workgroup_info 0
		.amdhsa_system_vgpr_workitem_id 0
		.amdhsa_next_free_vgpr 1
		.amdhsa_next_free_sgpr 1
		.amdhsa_reserve_vcc 0
		.amdhsa_float_round_mode_32 0
		.amdhsa_float_round_mode_16_64 0
		.amdhsa_float_denorm_mode_32 3
		.amdhsa_float_denorm_mode_16_64 3
		.amdhsa_dx10_clamp 1
		.amdhsa_ieee_mode 1
		.amdhsa_fp16_overflow 0
		.amdhsa_workgroup_processor_mode 1
		.amdhsa_memory_ordered 1
		.amdhsa_forward_progress 0
		.amdhsa_shared_vgpr_count 0
		.amdhsa_exception_fp_ieee_invalid_op 0
		.amdhsa_exception_fp_denorm_src 0
		.amdhsa_exception_fp_ieee_div_zero 0
		.amdhsa_exception_fp_ieee_overflow 0
		.amdhsa_exception_fp_ieee_underflow 0
		.amdhsa_exception_fp_ieee_inexact 0
		.amdhsa_exception_int_div_zero 0
	.end_amdhsa_kernel
	.section	.text._ZN7rocprim17ROCPRIM_400000_NS6detail17trampoline_kernelINS0_14default_configENS1_25partition_config_selectorILNS1_17partition_subalgoE9EN6thrust23THRUST_200600_302600_NS4pairIiN12_GLOBAL__N_15EntryEEESA_bEEZZNS1_14partition_implILS5_9ELb0ES3_jNS7_6detail15normal_iteratorINS7_10device_ptrIKSB_EEEENSF_INSG_ISA_EEEEPNS0_10empty_typeENS0_5tupleIJNSF_INSG_ISB_EEEESM_EEENSO_IJSL_SN_EEENS0_18inequality_wrapperINS9_12CompareFirstEEEPmJSM_EEE10hipError_tPvRmT3_T4_T5_T6_T7_T9_mT8_P12ihipStream_tbDpT10_ENKUlT_T0_E_clISt17integral_constantIbLb1EES1F_IbLb0EEEEDaS1B_S1C_EUlS1B_E_NS1_11comp_targetILNS1_3genE2ELNS1_11target_archE906ELNS1_3gpuE6ELNS1_3repE0EEENS1_30default_config_static_selectorELNS0_4arch9wavefront6targetE0EEEvT1_,"axG",@progbits,_ZN7rocprim17ROCPRIM_400000_NS6detail17trampoline_kernelINS0_14default_configENS1_25partition_config_selectorILNS1_17partition_subalgoE9EN6thrust23THRUST_200600_302600_NS4pairIiN12_GLOBAL__N_15EntryEEESA_bEEZZNS1_14partition_implILS5_9ELb0ES3_jNS7_6detail15normal_iteratorINS7_10device_ptrIKSB_EEEENSF_INSG_ISA_EEEEPNS0_10empty_typeENS0_5tupleIJNSF_INSG_ISB_EEEESM_EEENSO_IJSL_SN_EEENS0_18inequality_wrapperINS9_12CompareFirstEEEPmJSM_EEE10hipError_tPvRmT3_T4_T5_T6_T7_T9_mT8_P12ihipStream_tbDpT10_ENKUlT_T0_E_clISt17integral_constantIbLb1EES1F_IbLb0EEEEDaS1B_S1C_EUlS1B_E_NS1_11comp_targetILNS1_3genE2ELNS1_11target_archE906ELNS1_3gpuE6ELNS1_3repE0EEENS1_30default_config_static_selectorELNS0_4arch9wavefront6targetE0EEEvT1_,comdat
.Lfunc_end1324:
	.size	_ZN7rocprim17ROCPRIM_400000_NS6detail17trampoline_kernelINS0_14default_configENS1_25partition_config_selectorILNS1_17partition_subalgoE9EN6thrust23THRUST_200600_302600_NS4pairIiN12_GLOBAL__N_15EntryEEESA_bEEZZNS1_14partition_implILS5_9ELb0ES3_jNS7_6detail15normal_iteratorINS7_10device_ptrIKSB_EEEENSF_INSG_ISA_EEEEPNS0_10empty_typeENS0_5tupleIJNSF_INSG_ISB_EEEESM_EEENSO_IJSL_SN_EEENS0_18inequality_wrapperINS9_12CompareFirstEEEPmJSM_EEE10hipError_tPvRmT3_T4_T5_T6_T7_T9_mT8_P12ihipStream_tbDpT10_ENKUlT_T0_E_clISt17integral_constantIbLb1EES1F_IbLb0EEEEDaS1B_S1C_EUlS1B_E_NS1_11comp_targetILNS1_3genE2ELNS1_11target_archE906ELNS1_3gpuE6ELNS1_3repE0EEENS1_30default_config_static_selectorELNS0_4arch9wavefront6targetE0EEEvT1_, .Lfunc_end1324-_ZN7rocprim17ROCPRIM_400000_NS6detail17trampoline_kernelINS0_14default_configENS1_25partition_config_selectorILNS1_17partition_subalgoE9EN6thrust23THRUST_200600_302600_NS4pairIiN12_GLOBAL__N_15EntryEEESA_bEEZZNS1_14partition_implILS5_9ELb0ES3_jNS7_6detail15normal_iteratorINS7_10device_ptrIKSB_EEEENSF_INSG_ISA_EEEEPNS0_10empty_typeENS0_5tupleIJNSF_INSG_ISB_EEEESM_EEENSO_IJSL_SN_EEENS0_18inequality_wrapperINS9_12CompareFirstEEEPmJSM_EEE10hipError_tPvRmT3_T4_T5_T6_T7_T9_mT8_P12ihipStream_tbDpT10_ENKUlT_T0_E_clISt17integral_constantIbLb1EES1F_IbLb0EEEEDaS1B_S1C_EUlS1B_E_NS1_11comp_targetILNS1_3genE2ELNS1_11target_archE906ELNS1_3gpuE6ELNS1_3repE0EEENS1_30default_config_static_selectorELNS0_4arch9wavefront6targetE0EEEvT1_
                                        ; -- End function
	.section	.AMDGPU.csdata,"",@progbits
; Kernel info:
; codeLenInByte = 0
; NumSgprs: 0
; NumVgprs: 0
; ScratchSize: 0
; MemoryBound: 0
; FloatMode: 240
; IeeeMode: 1
; LDSByteSize: 0 bytes/workgroup (compile time only)
; SGPRBlocks: 0
; VGPRBlocks: 0
; NumSGPRsForWavesPerEU: 1
; NumVGPRsForWavesPerEU: 1
; Occupancy: 15
; WaveLimiterHint : 0
; COMPUTE_PGM_RSRC2:SCRATCH_EN: 0
; COMPUTE_PGM_RSRC2:USER_SGPR: 15
; COMPUTE_PGM_RSRC2:TRAP_HANDLER: 0
; COMPUTE_PGM_RSRC2:TGID_X_EN: 1
; COMPUTE_PGM_RSRC2:TGID_Y_EN: 0
; COMPUTE_PGM_RSRC2:TGID_Z_EN: 0
; COMPUTE_PGM_RSRC2:TIDIG_COMP_CNT: 0
	.section	.text._ZN7rocprim17ROCPRIM_400000_NS6detail17trampoline_kernelINS0_14default_configENS1_25partition_config_selectorILNS1_17partition_subalgoE9EN6thrust23THRUST_200600_302600_NS4pairIiN12_GLOBAL__N_15EntryEEESA_bEEZZNS1_14partition_implILS5_9ELb0ES3_jNS7_6detail15normal_iteratorINS7_10device_ptrIKSB_EEEENSF_INSG_ISA_EEEEPNS0_10empty_typeENS0_5tupleIJNSF_INSG_ISB_EEEESM_EEENSO_IJSL_SN_EEENS0_18inequality_wrapperINS9_12CompareFirstEEEPmJSM_EEE10hipError_tPvRmT3_T4_T5_T6_T7_T9_mT8_P12ihipStream_tbDpT10_ENKUlT_T0_E_clISt17integral_constantIbLb1EES1F_IbLb0EEEEDaS1B_S1C_EUlS1B_E_NS1_11comp_targetILNS1_3genE10ELNS1_11target_archE1200ELNS1_3gpuE4ELNS1_3repE0EEENS1_30default_config_static_selectorELNS0_4arch9wavefront6targetE0EEEvT1_,"axG",@progbits,_ZN7rocprim17ROCPRIM_400000_NS6detail17trampoline_kernelINS0_14default_configENS1_25partition_config_selectorILNS1_17partition_subalgoE9EN6thrust23THRUST_200600_302600_NS4pairIiN12_GLOBAL__N_15EntryEEESA_bEEZZNS1_14partition_implILS5_9ELb0ES3_jNS7_6detail15normal_iteratorINS7_10device_ptrIKSB_EEEENSF_INSG_ISA_EEEEPNS0_10empty_typeENS0_5tupleIJNSF_INSG_ISB_EEEESM_EEENSO_IJSL_SN_EEENS0_18inequality_wrapperINS9_12CompareFirstEEEPmJSM_EEE10hipError_tPvRmT3_T4_T5_T6_T7_T9_mT8_P12ihipStream_tbDpT10_ENKUlT_T0_E_clISt17integral_constantIbLb1EES1F_IbLb0EEEEDaS1B_S1C_EUlS1B_E_NS1_11comp_targetILNS1_3genE10ELNS1_11target_archE1200ELNS1_3gpuE4ELNS1_3repE0EEENS1_30default_config_static_selectorELNS0_4arch9wavefront6targetE0EEEvT1_,comdat
	.globl	_ZN7rocprim17ROCPRIM_400000_NS6detail17trampoline_kernelINS0_14default_configENS1_25partition_config_selectorILNS1_17partition_subalgoE9EN6thrust23THRUST_200600_302600_NS4pairIiN12_GLOBAL__N_15EntryEEESA_bEEZZNS1_14partition_implILS5_9ELb0ES3_jNS7_6detail15normal_iteratorINS7_10device_ptrIKSB_EEEENSF_INSG_ISA_EEEEPNS0_10empty_typeENS0_5tupleIJNSF_INSG_ISB_EEEESM_EEENSO_IJSL_SN_EEENS0_18inequality_wrapperINS9_12CompareFirstEEEPmJSM_EEE10hipError_tPvRmT3_T4_T5_T6_T7_T9_mT8_P12ihipStream_tbDpT10_ENKUlT_T0_E_clISt17integral_constantIbLb1EES1F_IbLb0EEEEDaS1B_S1C_EUlS1B_E_NS1_11comp_targetILNS1_3genE10ELNS1_11target_archE1200ELNS1_3gpuE4ELNS1_3repE0EEENS1_30default_config_static_selectorELNS0_4arch9wavefront6targetE0EEEvT1_ ; -- Begin function _ZN7rocprim17ROCPRIM_400000_NS6detail17trampoline_kernelINS0_14default_configENS1_25partition_config_selectorILNS1_17partition_subalgoE9EN6thrust23THRUST_200600_302600_NS4pairIiN12_GLOBAL__N_15EntryEEESA_bEEZZNS1_14partition_implILS5_9ELb0ES3_jNS7_6detail15normal_iteratorINS7_10device_ptrIKSB_EEEENSF_INSG_ISA_EEEEPNS0_10empty_typeENS0_5tupleIJNSF_INSG_ISB_EEEESM_EEENSO_IJSL_SN_EEENS0_18inequality_wrapperINS9_12CompareFirstEEEPmJSM_EEE10hipError_tPvRmT3_T4_T5_T6_T7_T9_mT8_P12ihipStream_tbDpT10_ENKUlT_T0_E_clISt17integral_constantIbLb1EES1F_IbLb0EEEEDaS1B_S1C_EUlS1B_E_NS1_11comp_targetILNS1_3genE10ELNS1_11target_archE1200ELNS1_3gpuE4ELNS1_3repE0EEENS1_30default_config_static_selectorELNS0_4arch9wavefront6targetE0EEEvT1_
	.p2align	8
	.type	_ZN7rocprim17ROCPRIM_400000_NS6detail17trampoline_kernelINS0_14default_configENS1_25partition_config_selectorILNS1_17partition_subalgoE9EN6thrust23THRUST_200600_302600_NS4pairIiN12_GLOBAL__N_15EntryEEESA_bEEZZNS1_14partition_implILS5_9ELb0ES3_jNS7_6detail15normal_iteratorINS7_10device_ptrIKSB_EEEENSF_INSG_ISA_EEEEPNS0_10empty_typeENS0_5tupleIJNSF_INSG_ISB_EEEESM_EEENSO_IJSL_SN_EEENS0_18inequality_wrapperINS9_12CompareFirstEEEPmJSM_EEE10hipError_tPvRmT3_T4_T5_T6_T7_T9_mT8_P12ihipStream_tbDpT10_ENKUlT_T0_E_clISt17integral_constantIbLb1EES1F_IbLb0EEEEDaS1B_S1C_EUlS1B_E_NS1_11comp_targetILNS1_3genE10ELNS1_11target_archE1200ELNS1_3gpuE4ELNS1_3repE0EEENS1_30default_config_static_selectorELNS0_4arch9wavefront6targetE0EEEvT1_,@function
_ZN7rocprim17ROCPRIM_400000_NS6detail17trampoline_kernelINS0_14default_configENS1_25partition_config_selectorILNS1_17partition_subalgoE9EN6thrust23THRUST_200600_302600_NS4pairIiN12_GLOBAL__N_15EntryEEESA_bEEZZNS1_14partition_implILS5_9ELb0ES3_jNS7_6detail15normal_iteratorINS7_10device_ptrIKSB_EEEENSF_INSG_ISA_EEEEPNS0_10empty_typeENS0_5tupleIJNSF_INSG_ISB_EEEESM_EEENSO_IJSL_SN_EEENS0_18inequality_wrapperINS9_12CompareFirstEEEPmJSM_EEE10hipError_tPvRmT3_T4_T5_T6_T7_T9_mT8_P12ihipStream_tbDpT10_ENKUlT_T0_E_clISt17integral_constantIbLb1EES1F_IbLb0EEEEDaS1B_S1C_EUlS1B_E_NS1_11comp_targetILNS1_3genE10ELNS1_11target_archE1200ELNS1_3gpuE4ELNS1_3repE0EEENS1_30default_config_static_selectorELNS0_4arch9wavefront6targetE0EEEvT1_: ; @_ZN7rocprim17ROCPRIM_400000_NS6detail17trampoline_kernelINS0_14default_configENS1_25partition_config_selectorILNS1_17partition_subalgoE9EN6thrust23THRUST_200600_302600_NS4pairIiN12_GLOBAL__N_15EntryEEESA_bEEZZNS1_14partition_implILS5_9ELb0ES3_jNS7_6detail15normal_iteratorINS7_10device_ptrIKSB_EEEENSF_INSG_ISA_EEEEPNS0_10empty_typeENS0_5tupleIJNSF_INSG_ISB_EEEESM_EEENSO_IJSL_SN_EEENS0_18inequality_wrapperINS9_12CompareFirstEEEPmJSM_EEE10hipError_tPvRmT3_T4_T5_T6_T7_T9_mT8_P12ihipStream_tbDpT10_ENKUlT_T0_E_clISt17integral_constantIbLb1EES1F_IbLb0EEEEDaS1B_S1C_EUlS1B_E_NS1_11comp_targetILNS1_3genE10ELNS1_11target_archE1200ELNS1_3gpuE4ELNS1_3repE0EEENS1_30default_config_static_selectorELNS0_4arch9wavefront6targetE0EEEvT1_
; %bb.0:
	.section	.rodata,"a",@progbits
	.p2align	6, 0x0
	.amdhsa_kernel _ZN7rocprim17ROCPRIM_400000_NS6detail17trampoline_kernelINS0_14default_configENS1_25partition_config_selectorILNS1_17partition_subalgoE9EN6thrust23THRUST_200600_302600_NS4pairIiN12_GLOBAL__N_15EntryEEESA_bEEZZNS1_14partition_implILS5_9ELb0ES3_jNS7_6detail15normal_iteratorINS7_10device_ptrIKSB_EEEENSF_INSG_ISA_EEEEPNS0_10empty_typeENS0_5tupleIJNSF_INSG_ISB_EEEESM_EEENSO_IJSL_SN_EEENS0_18inequality_wrapperINS9_12CompareFirstEEEPmJSM_EEE10hipError_tPvRmT3_T4_T5_T6_T7_T9_mT8_P12ihipStream_tbDpT10_ENKUlT_T0_E_clISt17integral_constantIbLb1EES1F_IbLb0EEEEDaS1B_S1C_EUlS1B_E_NS1_11comp_targetILNS1_3genE10ELNS1_11target_archE1200ELNS1_3gpuE4ELNS1_3repE0EEENS1_30default_config_static_selectorELNS0_4arch9wavefront6targetE0EEEvT1_
		.amdhsa_group_segment_fixed_size 0
		.amdhsa_private_segment_fixed_size 0
		.amdhsa_kernarg_size 112
		.amdhsa_user_sgpr_count 15
		.amdhsa_user_sgpr_dispatch_ptr 0
		.amdhsa_user_sgpr_queue_ptr 0
		.amdhsa_user_sgpr_kernarg_segment_ptr 1
		.amdhsa_user_sgpr_dispatch_id 0
		.amdhsa_user_sgpr_private_segment_size 0
		.amdhsa_wavefront_size32 1
		.amdhsa_uses_dynamic_stack 0
		.amdhsa_enable_private_segment 0
		.amdhsa_system_sgpr_workgroup_id_x 1
		.amdhsa_system_sgpr_workgroup_id_y 0
		.amdhsa_system_sgpr_workgroup_id_z 0
		.amdhsa_system_sgpr_workgroup_info 0
		.amdhsa_system_vgpr_workitem_id 0
		.amdhsa_next_free_vgpr 1
		.amdhsa_next_free_sgpr 1
		.amdhsa_reserve_vcc 0
		.amdhsa_float_round_mode_32 0
		.amdhsa_float_round_mode_16_64 0
		.amdhsa_float_denorm_mode_32 3
		.amdhsa_float_denorm_mode_16_64 3
		.amdhsa_dx10_clamp 1
		.amdhsa_ieee_mode 1
		.amdhsa_fp16_overflow 0
		.amdhsa_workgroup_processor_mode 1
		.amdhsa_memory_ordered 1
		.amdhsa_forward_progress 0
		.amdhsa_shared_vgpr_count 0
		.amdhsa_exception_fp_ieee_invalid_op 0
		.amdhsa_exception_fp_denorm_src 0
		.amdhsa_exception_fp_ieee_div_zero 0
		.amdhsa_exception_fp_ieee_overflow 0
		.amdhsa_exception_fp_ieee_underflow 0
		.amdhsa_exception_fp_ieee_inexact 0
		.amdhsa_exception_int_div_zero 0
	.end_amdhsa_kernel
	.section	.text._ZN7rocprim17ROCPRIM_400000_NS6detail17trampoline_kernelINS0_14default_configENS1_25partition_config_selectorILNS1_17partition_subalgoE9EN6thrust23THRUST_200600_302600_NS4pairIiN12_GLOBAL__N_15EntryEEESA_bEEZZNS1_14partition_implILS5_9ELb0ES3_jNS7_6detail15normal_iteratorINS7_10device_ptrIKSB_EEEENSF_INSG_ISA_EEEEPNS0_10empty_typeENS0_5tupleIJNSF_INSG_ISB_EEEESM_EEENSO_IJSL_SN_EEENS0_18inequality_wrapperINS9_12CompareFirstEEEPmJSM_EEE10hipError_tPvRmT3_T4_T5_T6_T7_T9_mT8_P12ihipStream_tbDpT10_ENKUlT_T0_E_clISt17integral_constantIbLb1EES1F_IbLb0EEEEDaS1B_S1C_EUlS1B_E_NS1_11comp_targetILNS1_3genE10ELNS1_11target_archE1200ELNS1_3gpuE4ELNS1_3repE0EEENS1_30default_config_static_selectorELNS0_4arch9wavefront6targetE0EEEvT1_,"axG",@progbits,_ZN7rocprim17ROCPRIM_400000_NS6detail17trampoline_kernelINS0_14default_configENS1_25partition_config_selectorILNS1_17partition_subalgoE9EN6thrust23THRUST_200600_302600_NS4pairIiN12_GLOBAL__N_15EntryEEESA_bEEZZNS1_14partition_implILS5_9ELb0ES3_jNS7_6detail15normal_iteratorINS7_10device_ptrIKSB_EEEENSF_INSG_ISA_EEEEPNS0_10empty_typeENS0_5tupleIJNSF_INSG_ISB_EEEESM_EEENSO_IJSL_SN_EEENS0_18inequality_wrapperINS9_12CompareFirstEEEPmJSM_EEE10hipError_tPvRmT3_T4_T5_T6_T7_T9_mT8_P12ihipStream_tbDpT10_ENKUlT_T0_E_clISt17integral_constantIbLb1EES1F_IbLb0EEEEDaS1B_S1C_EUlS1B_E_NS1_11comp_targetILNS1_3genE10ELNS1_11target_archE1200ELNS1_3gpuE4ELNS1_3repE0EEENS1_30default_config_static_selectorELNS0_4arch9wavefront6targetE0EEEvT1_,comdat
.Lfunc_end1325:
	.size	_ZN7rocprim17ROCPRIM_400000_NS6detail17trampoline_kernelINS0_14default_configENS1_25partition_config_selectorILNS1_17partition_subalgoE9EN6thrust23THRUST_200600_302600_NS4pairIiN12_GLOBAL__N_15EntryEEESA_bEEZZNS1_14partition_implILS5_9ELb0ES3_jNS7_6detail15normal_iteratorINS7_10device_ptrIKSB_EEEENSF_INSG_ISA_EEEEPNS0_10empty_typeENS0_5tupleIJNSF_INSG_ISB_EEEESM_EEENSO_IJSL_SN_EEENS0_18inequality_wrapperINS9_12CompareFirstEEEPmJSM_EEE10hipError_tPvRmT3_T4_T5_T6_T7_T9_mT8_P12ihipStream_tbDpT10_ENKUlT_T0_E_clISt17integral_constantIbLb1EES1F_IbLb0EEEEDaS1B_S1C_EUlS1B_E_NS1_11comp_targetILNS1_3genE10ELNS1_11target_archE1200ELNS1_3gpuE4ELNS1_3repE0EEENS1_30default_config_static_selectorELNS0_4arch9wavefront6targetE0EEEvT1_, .Lfunc_end1325-_ZN7rocprim17ROCPRIM_400000_NS6detail17trampoline_kernelINS0_14default_configENS1_25partition_config_selectorILNS1_17partition_subalgoE9EN6thrust23THRUST_200600_302600_NS4pairIiN12_GLOBAL__N_15EntryEEESA_bEEZZNS1_14partition_implILS5_9ELb0ES3_jNS7_6detail15normal_iteratorINS7_10device_ptrIKSB_EEEENSF_INSG_ISA_EEEEPNS0_10empty_typeENS0_5tupleIJNSF_INSG_ISB_EEEESM_EEENSO_IJSL_SN_EEENS0_18inequality_wrapperINS9_12CompareFirstEEEPmJSM_EEE10hipError_tPvRmT3_T4_T5_T6_T7_T9_mT8_P12ihipStream_tbDpT10_ENKUlT_T0_E_clISt17integral_constantIbLb1EES1F_IbLb0EEEEDaS1B_S1C_EUlS1B_E_NS1_11comp_targetILNS1_3genE10ELNS1_11target_archE1200ELNS1_3gpuE4ELNS1_3repE0EEENS1_30default_config_static_selectorELNS0_4arch9wavefront6targetE0EEEvT1_
                                        ; -- End function
	.section	.AMDGPU.csdata,"",@progbits
; Kernel info:
; codeLenInByte = 0
; NumSgprs: 0
; NumVgprs: 0
; ScratchSize: 0
; MemoryBound: 0
; FloatMode: 240
; IeeeMode: 1
; LDSByteSize: 0 bytes/workgroup (compile time only)
; SGPRBlocks: 0
; VGPRBlocks: 0
; NumSGPRsForWavesPerEU: 1
; NumVGPRsForWavesPerEU: 1
; Occupancy: 16
; WaveLimiterHint : 0
; COMPUTE_PGM_RSRC2:SCRATCH_EN: 0
; COMPUTE_PGM_RSRC2:USER_SGPR: 15
; COMPUTE_PGM_RSRC2:TRAP_HANDLER: 0
; COMPUTE_PGM_RSRC2:TGID_X_EN: 1
; COMPUTE_PGM_RSRC2:TGID_Y_EN: 0
; COMPUTE_PGM_RSRC2:TGID_Z_EN: 0
; COMPUTE_PGM_RSRC2:TIDIG_COMP_CNT: 0
	.section	.text._ZN7rocprim17ROCPRIM_400000_NS6detail17trampoline_kernelINS0_14default_configENS1_25partition_config_selectorILNS1_17partition_subalgoE9EN6thrust23THRUST_200600_302600_NS4pairIiN12_GLOBAL__N_15EntryEEESA_bEEZZNS1_14partition_implILS5_9ELb0ES3_jNS7_6detail15normal_iteratorINS7_10device_ptrIKSB_EEEENSF_INSG_ISA_EEEEPNS0_10empty_typeENS0_5tupleIJNSF_INSG_ISB_EEEESM_EEENSO_IJSL_SN_EEENS0_18inequality_wrapperINS9_12CompareFirstEEEPmJSM_EEE10hipError_tPvRmT3_T4_T5_T6_T7_T9_mT8_P12ihipStream_tbDpT10_ENKUlT_T0_E_clISt17integral_constantIbLb1EES1F_IbLb0EEEEDaS1B_S1C_EUlS1B_E_NS1_11comp_targetILNS1_3genE9ELNS1_11target_archE1100ELNS1_3gpuE3ELNS1_3repE0EEENS1_30default_config_static_selectorELNS0_4arch9wavefront6targetE0EEEvT1_,"axG",@progbits,_ZN7rocprim17ROCPRIM_400000_NS6detail17trampoline_kernelINS0_14default_configENS1_25partition_config_selectorILNS1_17partition_subalgoE9EN6thrust23THRUST_200600_302600_NS4pairIiN12_GLOBAL__N_15EntryEEESA_bEEZZNS1_14partition_implILS5_9ELb0ES3_jNS7_6detail15normal_iteratorINS7_10device_ptrIKSB_EEEENSF_INSG_ISA_EEEEPNS0_10empty_typeENS0_5tupleIJNSF_INSG_ISB_EEEESM_EEENSO_IJSL_SN_EEENS0_18inequality_wrapperINS9_12CompareFirstEEEPmJSM_EEE10hipError_tPvRmT3_T4_T5_T6_T7_T9_mT8_P12ihipStream_tbDpT10_ENKUlT_T0_E_clISt17integral_constantIbLb1EES1F_IbLb0EEEEDaS1B_S1C_EUlS1B_E_NS1_11comp_targetILNS1_3genE9ELNS1_11target_archE1100ELNS1_3gpuE3ELNS1_3repE0EEENS1_30default_config_static_selectorELNS0_4arch9wavefront6targetE0EEEvT1_,comdat
	.globl	_ZN7rocprim17ROCPRIM_400000_NS6detail17trampoline_kernelINS0_14default_configENS1_25partition_config_selectorILNS1_17partition_subalgoE9EN6thrust23THRUST_200600_302600_NS4pairIiN12_GLOBAL__N_15EntryEEESA_bEEZZNS1_14partition_implILS5_9ELb0ES3_jNS7_6detail15normal_iteratorINS7_10device_ptrIKSB_EEEENSF_INSG_ISA_EEEEPNS0_10empty_typeENS0_5tupleIJNSF_INSG_ISB_EEEESM_EEENSO_IJSL_SN_EEENS0_18inequality_wrapperINS9_12CompareFirstEEEPmJSM_EEE10hipError_tPvRmT3_T4_T5_T6_T7_T9_mT8_P12ihipStream_tbDpT10_ENKUlT_T0_E_clISt17integral_constantIbLb1EES1F_IbLb0EEEEDaS1B_S1C_EUlS1B_E_NS1_11comp_targetILNS1_3genE9ELNS1_11target_archE1100ELNS1_3gpuE3ELNS1_3repE0EEENS1_30default_config_static_selectorELNS0_4arch9wavefront6targetE0EEEvT1_ ; -- Begin function _ZN7rocprim17ROCPRIM_400000_NS6detail17trampoline_kernelINS0_14default_configENS1_25partition_config_selectorILNS1_17partition_subalgoE9EN6thrust23THRUST_200600_302600_NS4pairIiN12_GLOBAL__N_15EntryEEESA_bEEZZNS1_14partition_implILS5_9ELb0ES3_jNS7_6detail15normal_iteratorINS7_10device_ptrIKSB_EEEENSF_INSG_ISA_EEEEPNS0_10empty_typeENS0_5tupleIJNSF_INSG_ISB_EEEESM_EEENSO_IJSL_SN_EEENS0_18inequality_wrapperINS9_12CompareFirstEEEPmJSM_EEE10hipError_tPvRmT3_T4_T5_T6_T7_T9_mT8_P12ihipStream_tbDpT10_ENKUlT_T0_E_clISt17integral_constantIbLb1EES1F_IbLb0EEEEDaS1B_S1C_EUlS1B_E_NS1_11comp_targetILNS1_3genE9ELNS1_11target_archE1100ELNS1_3gpuE3ELNS1_3repE0EEENS1_30default_config_static_selectorELNS0_4arch9wavefront6targetE0EEEvT1_
	.p2align	8
	.type	_ZN7rocprim17ROCPRIM_400000_NS6detail17trampoline_kernelINS0_14default_configENS1_25partition_config_selectorILNS1_17partition_subalgoE9EN6thrust23THRUST_200600_302600_NS4pairIiN12_GLOBAL__N_15EntryEEESA_bEEZZNS1_14partition_implILS5_9ELb0ES3_jNS7_6detail15normal_iteratorINS7_10device_ptrIKSB_EEEENSF_INSG_ISA_EEEEPNS0_10empty_typeENS0_5tupleIJNSF_INSG_ISB_EEEESM_EEENSO_IJSL_SN_EEENS0_18inequality_wrapperINS9_12CompareFirstEEEPmJSM_EEE10hipError_tPvRmT3_T4_T5_T6_T7_T9_mT8_P12ihipStream_tbDpT10_ENKUlT_T0_E_clISt17integral_constantIbLb1EES1F_IbLb0EEEEDaS1B_S1C_EUlS1B_E_NS1_11comp_targetILNS1_3genE9ELNS1_11target_archE1100ELNS1_3gpuE3ELNS1_3repE0EEENS1_30default_config_static_selectorELNS0_4arch9wavefront6targetE0EEEvT1_,@function
_ZN7rocprim17ROCPRIM_400000_NS6detail17trampoline_kernelINS0_14default_configENS1_25partition_config_selectorILNS1_17partition_subalgoE9EN6thrust23THRUST_200600_302600_NS4pairIiN12_GLOBAL__N_15EntryEEESA_bEEZZNS1_14partition_implILS5_9ELb0ES3_jNS7_6detail15normal_iteratorINS7_10device_ptrIKSB_EEEENSF_INSG_ISA_EEEEPNS0_10empty_typeENS0_5tupleIJNSF_INSG_ISB_EEEESM_EEENSO_IJSL_SN_EEENS0_18inequality_wrapperINS9_12CompareFirstEEEPmJSM_EEE10hipError_tPvRmT3_T4_T5_T6_T7_T9_mT8_P12ihipStream_tbDpT10_ENKUlT_T0_E_clISt17integral_constantIbLb1EES1F_IbLb0EEEEDaS1B_S1C_EUlS1B_E_NS1_11comp_targetILNS1_3genE9ELNS1_11target_archE1100ELNS1_3gpuE3ELNS1_3repE0EEENS1_30default_config_static_selectorELNS0_4arch9wavefront6targetE0EEEvT1_: ; @_ZN7rocprim17ROCPRIM_400000_NS6detail17trampoline_kernelINS0_14default_configENS1_25partition_config_selectorILNS1_17partition_subalgoE9EN6thrust23THRUST_200600_302600_NS4pairIiN12_GLOBAL__N_15EntryEEESA_bEEZZNS1_14partition_implILS5_9ELb0ES3_jNS7_6detail15normal_iteratorINS7_10device_ptrIKSB_EEEENSF_INSG_ISA_EEEEPNS0_10empty_typeENS0_5tupleIJNSF_INSG_ISB_EEEESM_EEENSO_IJSL_SN_EEENS0_18inequality_wrapperINS9_12CompareFirstEEEPmJSM_EEE10hipError_tPvRmT3_T4_T5_T6_T7_T9_mT8_P12ihipStream_tbDpT10_ENKUlT_T0_E_clISt17integral_constantIbLb1EES1F_IbLb0EEEEDaS1B_S1C_EUlS1B_E_NS1_11comp_targetILNS1_3genE9ELNS1_11target_archE1100ELNS1_3gpuE3ELNS1_3repE0EEENS1_30default_config_static_selectorELNS0_4arch9wavefront6targetE0EEEvT1_
; %bb.0:
	s_clause 0x4
	s_load_b128 s[4:7], s[0:1], 0x8
	s_load_b32 s2, s[0:1], 0x68
	s_load_b128 s[16:19], s[0:1], 0x40
	s_load_b64 s[12:13], s[0:1], 0x50
	s_load_b64 s[8:9], s[0:1], 0x18
	s_mul_i32 s23, s15, 0x6000
	v_lshrrev_b32_e32 v14, 5, v0
	v_or_b32_e32 v25, 0x200, v0
	v_or_b32_e32 v19, 0x400, v0
	v_or_b32_e32 v24, 0x600, v0
	s_mov_b32 s3, -1
	s_waitcnt lgkmcnt(0)
	s_mul_i32 s10, s7, 12
	s_mul_hi_u32 s11, s6, 12
	s_mul_i32 s14, s6, 12
	s_add_i32 s11, s11, s10
	s_add_u32 s21, s4, s14
	s_addc_u32 s22, s5, s11
	s_add_i32 s14, s2, -1
	s_load_b64 s[10:11], s[18:19], 0x0
	s_lshl_b32 s4, s14, 11
	s_lshl_b32 s2, s2, 11
	s_add_i32 s4, s6, s4
	s_delay_alu instid0(SALU_CYCLE_1)
	s_sub_i32 s19, s12, s4
	s_add_u32 s4, s6, s2
	s_addc_u32 s5, s7, 0
	s_cmp_eq_u32 s15, s14
	v_cmp_ge_u64_e64 s2, s[4:5], s[12:13]
	s_cselect_b32 s14, -1, 0
	s_lshl_b32 s12, s15, 11
	s_mov_b32 s13, 0
	s_delay_alu instid0(VALU_DEP_1)
	s_and_b32 s20, s14, s2
	s_mul_hi_u32 s2, s12, 12
	s_xor_b32 s18, s20, -1
	s_add_u32 s4, s21, s23
	s_addc_u32 s5, s22, s2
	s_and_b32 vcc_lo, exec_lo, s18
	s_cbranch_vccz .LBB1326_2
; %bb.1:
	v_mad_u64_u32 v[4:5], null, v0, 12, s[4:5]
	v_mul_u32_u24_e32 v13, 12, v0
	v_lshrrev_b32_e32 v15, 5, v25
	v_lshrrev_b32_e32 v16, 5, v19
	;; [unrolled: 1-line block ×3, first 2 shown]
	s_mov_b32 s3, s13
	s_delay_alu instid0(VALU_DEP_3)
	v_mad_u32_u24 v15, v15, 12, v13
	v_add_co_u32 v6, vcc_lo, 0x1000, v4
	v_add_co_ci_u32_e32 v7, vcc_lo, 0, v5, vcc_lo
	v_add_co_u32 v8, vcc_lo, 0x3000, v4
	v_add_co_ci_u32_e32 v9, vcc_lo, 0, v5, vcc_lo
	v_add_co_u32 v10, vcc_lo, 0x4000, v4
	v_add_co_ci_u32_e32 v11, vcc_lo, 0, v5, vcc_lo
	s_clause 0x3
	flat_load_b96 v[1:3], v[4:5]
	flat_load_b96 v[4:6], v[6:7] offset:2048
	flat_load_b96 v[7:9], v[8:9]
	flat_load_b96 v[10:12], v[10:11] offset:2048
	v_mad_u32_u24 v16, v16, 12, v13
	v_mad_u32_u24 v17, v17, 12, v13
	;; [unrolled: 1-line block ×3, first 2 shown]
	v_add_nc_u32_e32 v18, 0x1800, v15
	s_delay_alu instid0(VALU_DEP_4) | instskip(NEXT) | instid1(VALU_DEP_4)
	v_add_nc_u32_e32 v20, 0x3000, v16
	v_add_nc_u32_e32 v21, 0x4800, v17
	s_waitcnt vmcnt(3) lgkmcnt(0)
	ds_store_2addr_b32 v13, v1, v2 offset1:1
	ds_store_b32 v13, v3 offset:8
	s_waitcnt vmcnt(2)
	ds_store_2addr_b32 v18, v4, v5 offset1:1
	ds_store_b32 v15, v6 offset:6152
	s_waitcnt vmcnt(1)
	ds_store_2addr_b32 v20, v7, v8 offset1:1
	ds_store_b32 v16, v9 offset:12296
	s_waitcnt vmcnt(0)
	ds_store_2addr_b32 v21, v10, v11 offset1:1
	ds_store_b32 v17, v12 offset:18440
	s_waitcnt lgkmcnt(0)
	s_barrier
.LBB1326_2:
	v_cmp_gt_u32_e64 s2, s19, v0
	s_and_not1_b32 vcc_lo, exec_lo, s3
	s_cbranch_vccnz .LBB1326_12
; %bb.3:
	v_dual_mov_b32 v3, 0 :: v_dual_mov_b32 v6, 0
	v_dual_mov_b32 v5, 0 :: v_dual_mov_b32 v4, 0
	s_and_saveexec_b32 s3, s2
	s_cbranch_execz .LBB1326_5
; %bb.4:
	v_mad_u64_u32 v[1:2], null, v0, 12, s[4:5]
	flat_load_b96 v[4:6], v[1:2]
.LBB1326_5:
	s_or_b32 exec_lo, exec_lo, s3
	v_dual_mov_b32 v2, 0 :: v_dual_mov_b32 v1, 0
	s_mov_b32 s2, exec_lo
	v_cmpx_gt_u32_e64 s19, v25
	s_cbranch_execz .LBB1326_7
; %bb.6:
	v_mad_u64_u32 v[1:2], null, v25, 12, s[4:5]
	flat_load_b96 v[1:3], v[1:2]
.LBB1326_7:
	s_or_b32 exec_lo, exec_lo, s2
	v_dual_mov_b32 v9, 0 :: v_dual_mov_b32 v12, 0
	v_dual_mov_b32 v11, 0 :: v_dual_mov_b32 v10, 0
	s_mov_b32 s2, exec_lo
	v_cmpx_gt_u32_e64 s19, v19
	s_cbranch_execz .LBB1326_9
; %bb.8:
	v_mad_u64_u32 v[7:8], null, v19, 12, s[4:5]
	flat_load_b96 v[10:12], v[7:8]
.LBB1326_9:
	s_or_b32 exec_lo, exec_lo, s2
	v_dual_mov_b32 v8, 0 :: v_dual_mov_b32 v7, 0
	s_mov_b32 s2, exec_lo
	v_cmpx_gt_u32_e64 s19, v24
	s_cbranch_execz .LBB1326_11
; %bb.10:
	v_mad_u64_u32 v[7:8], null, v24, 12, s[4:5]
	flat_load_b96 v[7:9], v[7:8]
.LBB1326_11:
	s_or_b32 exec_lo, exec_lo, s2
	v_mul_u32_u24_e32 v13, 12, v0
	v_lshrrev_b32_e32 v15, 5, v25
	v_lshrrev_b32_e32 v16, 5, v19
	;; [unrolled: 1-line block ×3, first 2 shown]
	s_delay_alu instid0(VALU_DEP_4) | instskip(NEXT) | instid1(VALU_DEP_4)
	v_mad_u32_u24 v18, v14, 12, v13
	v_mad_u32_u24 v15, v15, 12, v13
	s_delay_alu instid0(VALU_DEP_4) | instskip(NEXT) | instid1(VALU_DEP_4)
	v_mad_u32_u24 v16, v16, 12, v13
	v_mad_u32_u24 v13, v17, 12, v13
	s_waitcnt vmcnt(0) lgkmcnt(0)
	ds_store_2addr_b32 v18, v4, v5 offset1:1
	ds_store_b32 v18, v6 offset:8
	v_add_nc_u32_e32 v17, 0x1800, v15
	v_add_nc_u32_e32 v20, 0x3000, v16
	;; [unrolled: 1-line block ×3, first 2 shown]
	ds_store_2addr_b32 v17, v1, v2 offset1:1
	ds_store_b32 v15, v3 offset:6152
	ds_store_2addr_b32 v20, v10, v11 offset1:1
	ds_store_b32 v16, v12 offset:12296
	ds_store_2addr_b32 v4, v7, v8 offset1:1
	ds_store_b32 v13, v9 offset:18440
	s_waitcnt lgkmcnt(0)
	s_barrier
.LBB1326_12:
	v_lshlrev_b32_e32 v9, 2, v0
	v_lshrrev_b32_e32 v1, 3, v0
	s_waitcnt lgkmcnt(0)
	buffer_gl0_inv
	s_lshl_b64 s[2:3], s[6:7], 3
	v_lshrrev_b32_e32 v28, 2, v0
	s_add_u32 s8, s8, s2
	v_add_nc_u32_e32 v26, v1, v9
	s_addc_u32 s9, s9, s3
	s_lshl_b64 s[2:3], s[12:13], 3
	s_delay_alu instid0(SALU_CYCLE_1) | instskip(NEXT) | instid1(VALU_DEP_1)
	s_add_u32 s2, s8, s2
	v_mul_u32_u24_e32 v27, 12, v26
	s_addc_u32 s3, s9, s3
	s_and_b32 vcc_lo, exec_lo, s18
	s_mov_b32 s8, -1
	ds_load_2addr_b32 v[17:18], v27 offset1:1
	ds_load_2addr_b32 v[22:23], v27 offset0:2 offset1:3
	ds_load_2addr_b32 v[20:21], v27 offset0:8 offset1:9
	;; [unrolled: 1-line block ×5, first 2 shown]
	s_waitcnt lgkmcnt(0)
	s_barrier
	buffer_gl0_inv
	s_cbranch_vccz .LBB1326_14
; %bb.13:
	v_lshlrev_b32_e32 v29, 3, v0
	v_lshrrev_b32_e32 v30, 2, v25
	v_lshrrev_b32_e32 v31, 2, v19
	;; [unrolled: 1-line block ×3, first 2 shown]
	v_and_b32_e32 v33, 0x78, v28
	v_add_co_u32 v1, s8, s2, v29
	s_delay_alu instid0(VALU_DEP_1) | instskip(SKIP_1) | instid1(VALU_DEP_3)
	v_add_co_ci_u32_e64 v2, null, s3, 0, s8
	v_and_b32_e32 v30, 0xf8, v30
	v_add_co_u32 v3, vcc_lo, 0x1000, v1
	s_delay_alu instid0(VALU_DEP_3)
	v_add_co_ci_u32_e32 v4, vcc_lo, 0, v2, vcc_lo
	v_add_co_u32 v5, vcc_lo, 0x2000, v1
	v_add_co_ci_u32_e32 v6, vcc_lo, 0, v2, vcc_lo
	v_add_co_u32 v7, vcc_lo, 0x3000, v1
	v_add_co_ci_u32_e32 v8, vcc_lo, 0, v2, vcc_lo
	s_clause 0x3
	flat_load_b64 v[1:2], v[1:2]
	flat_load_b64 v[3:4], v[3:4]
	;; [unrolled: 1-line block ×4, first 2 shown]
	v_and_b32_e32 v31, 0x178, v31
	v_and_b32_e32 v32, 0x1f8, v32
	v_add_nc_u32_e32 v33, v33, v29
	v_add_nc_u32_e32 v30, v30, v29
	s_mov_b32 s8, 0
	v_add_nc_u32_e32 v31, v31, v29
	v_add_nc_u32_e32 v29, v32, v29
	s_waitcnt vmcnt(3) lgkmcnt(3)
	ds_store_b64 v33, v[1:2]
	s_waitcnt vmcnt(2) lgkmcnt(3)
	ds_store_b64 v30, v[3:4] offset:4096
	s_waitcnt vmcnt(1) lgkmcnt(3)
	ds_store_b64 v31, v[5:6] offset:8192
	;; [unrolled: 2-line block ×3, first 2 shown]
	s_waitcnt lgkmcnt(0)
	s_barrier
.LBB1326_14:
	s_and_not1_b32 vcc_lo, exec_lo, s8
	s_cbranch_vccnz .LBB1326_24
; %bb.15:
	s_mov_b32 s8, exec_lo
                                        ; implicit-def: $vgpr1_vgpr2
	v_cmpx_gt_u32_e64 s19, v0
                                        ; implicit-def: $vgpr4
	s_cbranch_execz .LBB1326_17
; %bb.16:
	v_lshlrev_b32_e32 v1, 3, v0
	s_delay_alu instid0(VALU_DEP_1) | instskip(NEXT) | instid1(VALU_DEP_1)
	v_add_co_u32 v1, s9, s2, v1
	v_add_co_ci_u32_e64 v2, null, s3, 0, s9
	flat_load_b64 v[1:2], v[1:2]
.LBB1326_17:
	s_or_b32 exec_lo, exec_lo, s8
	s_delay_alu instid0(SALU_CYCLE_1)
	s_mov_b32 s8, exec_lo
                                        ; implicit-def: $vgpr3
	v_cmpx_gt_u32_e64 s19, v25
                                        ; implicit-def: $vgpr6
	s_cbranch_execz .LBB1326_19
; %bb.18:
	v_lshlrev_b32_e32 v3, 3, v25
	s_delay_alu instid0(VALU_DEP_1) | instskip(NEXT) | instid1(VALU_DEP_1)
	v_add_co_u32 v3, s9, s2, v3
	v_add_co_ci_u32_e64 v4, null, s3, 0, s9
	flat_load_b64 v[3:4], v[3:4]
.LBB1326_19:
	s_or_b32 exec_lo, exec_lo, s8
	s_delay_alu instid0(SALU_CYCLE_1)
	s_mov_b32 s8, exec_lo
                                        ; implicit-def: $vgpr5
	v_cmpx_gt_u32_e64 s19, v19
                                        ; implicit-def: $vgpr8
	s_cbranch_execz .LBB1326_21
; %bb.20:
	v_lshlrev_b32_e32 v5, 3, v19
	s_delay_alu instid0(VALU_DEP_1) | instskip(NEXT) | instid1(VALU_DEP_1)
	v_add_co_u32 v5, s9, s2, v5
	v_add_co_ci_u32_e64 v6, null, s3, 0, s9
	flat_load_b64 v[5:6], v[5:6]
.LBB1326_21:
	s_or_b32 exec_lo, exec_lo, s8
	s_delay_alu instid0(SALU_CYCLE_1)
	s_mov_b32 s8, exec_lo
                                        ; implicit-def: $vgpr7
	v_cmpx_gt_u32_e64 s19, v24
	s_cbranch_execz .LBB1326_23
; %bb.22:
	v_lshlrev_b32_e32 v7, 3, v24
	s_delay_alu instid0(VALU_DEP_1) | instskip(NEXT) | instid1(VALU_DEP_1)
	v_add_co_u32 v7, s2, s2, v7
	v_add_co_ci_u32_e64 v8, null, s3, 0, s2
	flat_load_b64 v[7:8], v[7:8]
.LBB1326_23:
	s_or_b32 exec_lo, exec_lo, s8
	v_lshrrev_b32_e32 v25, 2, v25
	v_lshrrev_b32_e32 v19, 2, v19
	;; [unrolled: 1-line block ×3, first 2 shown]
	v_and_b32_e32 v28, 0x78, v28
	v_lshlrev_b32_e32 v29, 3, v0
	v_and_b32_e32 v25, 0xf8, v25
	v_and_b32_e32 v19, 0x1f8, v19
	;; [unrolled: 1-line block ×3, first 2 shown]
	s_delay_alu instid0(VALU_DEP_4) | instskip(NEXT) | instid1(VALU_DEP_4)
	v_add_nc_u32_e32 v28, v28, v29
	v_add_nc_u32_e32 v25, v25, v29
	s_delay_alu instid0(VALU_DEP_4) | instskip(NEXT) | instid1(VALU_DEP_4)
	v_add_nc_u32_e32 v19, v19, v29
	v_add_nc_u32_e32 v24, v24, v29
	s_waitcnt vmcnt(0) lgkmcnt(0)
	ds_store_b64 v28, v[1:2]
	ds_store_b64 v25, v[3:4] offset:4096
	ds_store_b64 v19, v[5:6] offset:8192
	;; [unrolled: 1-line block ×3, first 2 shown]
	s_waitcnt lgkmcnt(0)
	s_barrier
.LBB1326_24:
	v_lshlrev_b32_e32 v1, 2, v26
	buffer_gl0_inv
	s_cmp_lg_u32 s15, 0
	s_cselect_b32 s8, -1, 0
	v_sub_nc_u32_e32 v1, v27, v1
	s_cmp_lg_u64 s[6:7], 0
	s_mov_b32 s7, 0
	s_cselect_b32 s2, -1, 0
	ds_load_2addr_b64 v[5:8], v1 offset1:1
	ds_load_2addr_b64 v[1:4], v1 offset0:2 offset1:3
	s_or_b32 s2, s8, s2
	s_waitcnt lgkmcnt(0)
	s_and_b32 vcc_lo, exec_lo, s2
	s_barrier
	buffer_gl0_inv
	s_cbranch_vccz .LBB1326_29
; %bb.25:
	v_add_co_u32 v24, s2, -12, s4
	s_delay_alu instid0(VALU_DEP_1)
	v_add_co_ci_u32_e64 v25, null, -1, s5, s2
	s_mov_b32 s3, -1
	s_and_b32 vcc_lo, exec_lo, s18
	flat_load_b32 v19, v[24:25]
	v_mul_u32_u24_e32 v24, 12, v0
	ds_store_2addr_b32 v24, v21, v10 offset1:1
	ds_store_b32 v24, v11 offset:8
	s_cbranch_vccz .LBB1326_30
; %bb.26:
	s_waitcnt vmcnt(0) lgkmcnt(2)
	v_mov_b32_e32 v25, v19
	s_mov_b32 s3, 0
	s_mov_b32 s2, exec_lo
	s_waitcnt lgkmcnt(0)
	s_barrier
	buffer_gl0_inv
	v_cmpx_ne_u32_e32 0, v0
	s_cbranch_execz .LBB1326_28
; %bb.27:
	v_add_nc_u32_e32 v25, -12, v24
	ds_load_b32 v25, v25
.LBB1326_28:
	s_or_b32 exec_lo, exec_lo, s2
	v_cmp_ne_u32_e32 vcc_lo, v12, v21
	s_waitcnt lgkmcnt(0)
	v_cmp_ne_u32_e64 s2, v25, v17
	v_cndmask_b32_e64 v26, 0, 1, vcc_lo
	v_cmp_ne_u32_e32 vcc_lo, v23, v12
	s_delay_alu instid0(VALU_DEP_2) | instskip(SKIP_2) | instid1(VALU_DEP_2)
	v_lshlrev_b16 v26, 8, v26
	v_cndmask_b32_e64 v27, 0, 1, vcc_lo
	v_cmp_ne_u32_e32 vcc_lo, v17, v23
	v_or_b32_e32 v26, v27, v26
	v_cndmask_b32_e64 v28, 0, 1, vcc_lo
	s_delay_alu instid0(VALU_DEP_2) | instskip(NEXT) | instid1(VALU_DEP_2)
	v_lshlrev_b32_e32 v26, 16, v26
	v_lshlrev_b16 v28, 8, v28
	s_delay_alu instid0(VALU_DEP_1) | instskip(NEXT) | instid1(VALU_DEP_1)
	v_and_b32_e32 v27, 0xffff, v28
	v_or_b32_e32 v31, v27, v26
	s_and_b32 vcc_lo, exec_lo, s3
	s_cbranch_vccnz .LBB1326_31
	s_branch .LBB1326_34
.LBB1326_29:
                                        ; implicit-def: $sgpr2
                                        ; implicit-def: $vgpr31
	s_branch .LBB1326_35
.LBB1326_30:
                                        ; implicit-def: $sgpr2
                                        ; implicit-def: $vgpr31
	s_and_b32 vcc_lo, exec_lo, s3
	s_cbranch_vccz .LBB1326_34
.LBB1326_31:
	s_mov_b32 s2, exec_lo
	s_waitcnt vmcnt(0) lgkmcnt(0)
	s_barrier
	buffer_gl0_inv
	v_cmpx_ne_u32_e32 0, v0
	s_cbranch_execz .LBB1326_33
; %bb.32:
	v_add_nc_u32_e32 v19, -12, v24
	ds_load_b32 v19, v19
.LBB1326_33:
	s_or_b32 exec_lo, exec_lo, s2
	v_or_b32_e32 v24, 3, v9
	v_or_b32_e32 v25, 2, v9
	v_cmp_ne_u32_e32 vcc_lo, v12, v21
	v_cmp_ne_u32_e64 s3, v23, v12
	v_cmp_ne_u32_e64 s4, v17, v23
	v_cmp_gt_u32_e64 s2, s19, v24
	v_or_b32_e32 v24, 1, v9
	v_cmp_gt_u32_e64 s5, s19, v25
	s_delay_alu instid0(VALU_DEP_3) | instskip(NEXT) | instid1(VALU_DEP_2)
	s_and_b32 s2, s2, vcc_lo
	v_cmp_gt_u32_e32 vcc_lo, s19, v24
	v_cndmask_b32_e64 v25, 0, 1, s2
	s_delay_alu instid0(VALU_DEP_3) | instskip(NEXT) | instid1(SALU_CYCLE_1)
	s_and_b32 s2, s5, s3
	v_cndmask_b32_e64 v24, 0, 1, s2
	s_and_b32 s2, vcc_lo, s4
	s_delay_alu instid0(VALU_DEP_2)
	v_lshlrev_b16 v25, 8, v25
	v_cndmask_b32_e64 v26, 0, 1, s2
	v_cmp_gt_u32_e32 vcc_lo, s19, v9
	s_waitcnt lgkmcnt(0)
	v_cmp_ne_u32_e64 s2, v19, v17
	v_or_b32_e32 v24, v24, v25
	v_lshlrev_b16 v25, 8, v26
	s_delay_alu instid0(VALU_DEP_3) | instskip(NEXT) | instid1(VALU_DEP_2)
	s_and_b32 s2, vcc_lo, s2
	v_lshlrev_b32_e32 v24, 16, v24
	s_delay_alu instid0(VALU_DEP_2) | instskip(NEXT) | instid1(VALU_DEP_1)
	v_and_b32_e32 v25, 0xffff, v25
	v_or_b32_e32 v31, v25, v24
.LBB1326_34:
	s_mov_b32 s7, -1
	s_cbranch_execnz .LBB1326_43
.LBB1326_35:
	s_waitcnt vmcnt(0) lgkmcnt(2)
	v_mul_u32_u24_e32 v19, 12, v0
	v_cmp_ne_u32_e64 s3, v12, v21
	v_cmp_ne_u32_e64 s2, v23, v12
	;; [unrolled: 1-line block ×3, first 2 shown]
	s_and_b32 vcc_lo, exec_lo, s18
	ds_store_2addr_b32 v19, v21, v10 offset1:1
	ds_store_b32 v19, v11 offset:8
	s_cbranch_vccz .LBB1326_39
; %bb.36:
	v_cndmask_b32_e64 v24, 0, 1, s3
	v_cndmask_b32_e64 v25, 0, 1, s4
	v_cndmask_b32_e64 v26, 0, 1, s2
	s_mov_b32 s3, 0
	s_mov_b32 s4, exec_lo
	v_lshlrev_b16 v24, 8, v24
	v_lshlrev_b16 v25, 8, v25
	s_waitcnt lgkmcnt(0)
	s_barrier
	buffer_gl0_inv
	v_or_b32_e32 v24, v26, v24
	v_or_b32_e32 v25, 1, v25
                                        ; implicit-def: $sgpr2
	s_delay_alu instid0(VALU_DEP_2) | instskip(NEXT) | instid1(VALU_DEP_2)
	v_lshlrev_b32_e32 v24, 16, v24
	v_and_b32_e32 v25, 0xffff, v25
	s_delay_alu instid0(VALU_DEP_1)
	v_or_b32_e32 v31, v25, v24
	v_cmpx_ne_u32_e32 0, v0
	s_xor_b32 s4, exec_lo, s4
	s_cbranch_execz .LBB1326_38
; %bb.37:
	v_add_nc_u32_e32 v24, -12, v19
	s_or_b32 s7, s7, exec_lo
	ds_load_b32 v24, v24
	s_waitcnt lgkmcnt(0)
	v_cmp_ne_u32_e32 vcc_lo, v24, v17
	s_and_b32 s2, vcc_lo, exec_lo
.LBB1326_38:
	s_or_b32 exec_lo, exec_lo, s4
	s_delay_alu instid0(SALU_CYCLE_1)
	s_and_b32 vcc_lo, exec_lo, s3
	s_cbranch_vccnz .LBB1326_40
	s_branch .LBB1326_43
.LBB1326_39:
                                        ; implicit-def: $sgpr2
                                        ; implicit-def: $vgpr31
	s_cbranch_execz .LBB1326_43
.LBB1326_40:
	v_or_b32_e32 v24, 3, v9
	v_or_b32_e32 v25, 1, v9
	v_cmp_ne_u32_e32 vcc_lo, v12, v21
	v_or_b32_e32 v26, 2, v9
	v_cmp_ne_u32_e64 s3, v17, v23
	v_cmp_gt_u32_e64 s2, s19, v24
	v_cmp_gt_u32_e64 s4, s19, v25
	v_cmp_ne_u32_e64 s5, v23, v12
	v_cmp_gt_u32_e64 s6, s19, v26
	s_waitcnt lgkmcnt(0)
	s_and_b32 s2, s2, vcc_lo
	s_barrier
	v_cndmask_b32_e64 v24, 0, 1, s2
	s_and_b32 s2, s4, s3
	s_mov_b32 s3, exec_lo
	v_cndmask_b32_e64 v25, 0, 1, s2
	s_and_b32 s2, s6, s5
	v_lshlrev_b16 v24, 8, v24
	v_cndmask_b32_e64 v26, 0, 1, s2
	buffer_gl0_inv
	v_lshlrev_b16 v25, 8, v25
                                        ; implicit-def: $sgpr2
	v_or_b32_e32 v24, v26, v24
	s_delay_alu instid0(VALU_DEP_2) | instskip(NEXT) | instid1(VALU_DEP_2)
	v_or_b32_e32 v25, 1, v25
	v_lshlrev_b32_e32 v24, 16, v24
	s_delay_alu instid0(VALU_DEP_2) | instskip(NEXT) | instid1(VALU_DEP_1)
	v_and_b32_e32 v25, 0xffff, v25
	v_or_b32_e32 v31, v25, v24
	v_cmpx_ne_u32_e32 0, v0
	s_cbranch_execz .LBB1326_42
; %bb.41:
	v_add_nc_u32_e32 v19, -12, v19
	v_cmp_gt_u32_e32 vcc_lo, s19, v9
	s_or_b32 s7, s7, exec_lo
	ds_load_b32 v19, v19
	s_waitcnt lgkmcnt(0)
	v_cmp_ne_u32_e64 s2, v19, v17
	s_delay_alu instid0(VALU_DEP_1) | instskip(NEXT) | instid1(SALU_CYCLE_1)
	s_and_b32 s2, vcc_lo, s2
	s_and_b32 s2, s2, exec_lo
.LBB1326_42:
	s_or_b32 exec_lo, exec_lo, s3
.LBB1326_43:
	s_and_saveexec_b32 s3, s7
	s_cbranch_execz .LBB1326_45
; %bb.44:
	s_waitcnt vmcnt(0) lgkmcnt(2)
	v_and_b32_e32 v19, 0xffffff00, v31
	v_cndmask_b32_e64 v24, 0, 1, s2
	s_delay_alu instid0(VALU_DEP_1) | instskip(NEXT) | instid1(VALU_DEP_1)
	v_or_b32_e32 v19, v24, v19
	v_and_b32_e32 v19, 0xffff, v19
	s_delay_alu instid0(VALU_DEP_1)
	v_and_or_b32 v31, 0xffff0000, v31, v19
.LBB1326_45:
	s_or_b32 exec_lo, exec_lo, s3
	s_load_b64 s[12:13], s[0:1], 0x60
	s_and_not1_b32 vcc_lo, exec_lo, s20
	s_cbranch_vccnz .LBB1326_47
; %bb.46:
	v_cmp_gt_u32_e32 vcc_lo, s19, v9
	v_or_b32_e32 v24, 1, v9
	s_waitcnt vmcnt(0) lgkmcnt(0)
	v_cndmask_b32_e32 v19, 0, v31, vcc_lo
	s_delay_alu instid0(VALU_DEP_2) | instskip(SKIP_1) | instid1(VALU_DEP_3)
	v_cmp_gt_u32_e32 vcc_lo, s19, v24
	v_or_b32_e32 v24, 2, v9
	v_and_b32_e32 v19, 0xff, v19
	s_delay_alu instid0(VALU_DEP_1) | instskip(NEXT) | instid1(VALU_DEP_3)
	v_cndmask_b32_e32 v19, v19, v31, vcc_lo
	v_cmp_gt_u32_e32 vcc_lo, s19, v24
	v_or_b32_e32 v24, 3, v9
	s_delay_alu instid0(VALU_DEP_3) | instskip(NEXT) | instid1(VALU_DEP_1)
	v_and_b32_e32 v19, 0xffff, v19
	v_cndmask_b32_e32 v19, v19, v31, vcc_lo
	s_delay_alu instid0(VALU_DEP_3) | instskip(NEXT) | instid1(VALU_DEP_2)
	v_cmp_gt_u32_e32 vcc_lo, s19, v24
	v_and_b32_e32 v19, 0xffffff, v19
	s_delay_alu instid0(VALU_DEP_1)
	v_cndmask_b32_e32 v31, v19, v31, vcc_lo
.LBB1326_47:
	s_waitcnt vmcnt(0) lgkmcnt(0)
	s_delay_alu instid0(VALU_DEP_1)
	v_and_b32_e32 v19, 0xff, v31
	v_bfe_u32 v33, v31, 8, 8
	v_mbcnt_lo_u32_b32 v36, -1, 0
	v_bfe_u32 v35, v31, 16, 8
	v_lshrrev_b32_e32 v34, 24, v31
	v_or_b32_e32 v26, 31, v0
	v_add_nc_u32_e32 v24, v33, v19
	v_and_b32_e32 v25, 15, v36
	s_and_b32 vcc_lo, exec_lo, s8
	s_mov_b32 s9, -1
	v_cmp_eq_u32_e64 s6, v26, v0
	v_add3_u32 v37, v24, v35, v34
	v_and_b32_e32 v24, 16, v36
	v_cmp_eq_u32_e64 s2, 0, v25
	v_cmp_lt_u32_e64 s5, 1, v25
	v_cmp_lt_u32_e64 s4, 3, v25
	;; [unrolled: 1-line block ×3, first 2 shown]
	v_cmp_eq_u32_e64 s7, 0, v24
	s_barrier
	buffer_gl0_inv
	s_cbranch_vccz .LBB1326_78
; %bb.48:
	v_mov_b32_dpp v24, v37 row_shr:1 row_mask:0xf bank_mask:0xf
	s_delay_alu instid0(VALU_DEP_1) | instskip(NEXT) | instid1(VALU_DEP_1)
	v_cndmask_b32_e64 v24, v24, 0, s2
	v_add_nc_u32_e32 v24, v24, v37
	s_delay_alu instid0(VALU_DEP_1) | instskip(NEXT) | instid1(VALU_DEP_1)
	v_mov_b32_dpp v25, v24 row_shr:2 row_mask:0xf bank_mask:0xf
	v_cndmask_b32_e64 v25, 0, v25, s5
	s_delay_alu instid0(VALU_DEP_1) | instskip(NEXT) | instid1(VALU_DEP_1)
	v_add_nc_u32_e32 v24, v24, v25
	v_mov_b32_dpp v25, v24 row_shr:4 row_mask:0xf bank_mask:0xf
	s_delay_alu instid0(VALU_DEP_1) | instskip(NEXT) | instid1(VALU_DEP_1)
	v_cndmask_b32_e64 v25, 0, v25, s4
	v_add_nc_u32_e32 v24, v24, v25
	s_delay_alu instid0(VALU_DEP_1) | instskip(NEXT) | instid1(VALU_DEP_1)
	v_mov_b32_dpp v25, v24 row_shr:8 row_mask:0xf bank_mask:0xf
	v_cndmask_b32_e64 v25, 0, v25, s3
	s_delay_alu instid0(VALU_DEP_1) | instskip(SKIP_3) | instid1(VALU_DEP_1)
	v_add_nc_u32_e32 v24, v24, v25
	ds_swizzle_b32 v25, v24 offset:swizzle(BROADCAST,32,15)
	s_waitcnt lgkmcnt(0)
	v_cndmask_b32_e64 v25, v25, 0, s7
	v_add_nc_u32_e32 v24, v24, v25
	s_and_saveexec_b32 s8, s6
	s_cbranch_execz .LBB1326_50
; %bb.49:
	v_lshlrev_b32_e32 v25, 2, v14
	ds_store_b32 v25, v24
.LBB1326_50:
	s_or_b32 exec_lo, exec_lo, s8
	s_delay_alu instid0(SALU_CYCLE_1)
	s_mov_b32 s8, exec_lo
	s_waitcnt lgkmcnt(0)
	s_barrier
	buffer_gl0_inv
	v_cmpx_gt_u32_e32 16, v0
	s_cbranch_execz .LBB1326_52
; %bb.51:
	ds_load_b32 v25, v9
	s_waitcnt lgkmcnt(0)
	v_mov_b32_dpp v26, v25 row_shr:1 row_mask:0xf bank_mask:0xf
	s_delay_alu instid0(VALU_DEP_1) | instskip(NEXT) | instid1(VALU_DEP_1)
	v_cndmask_b32_e64 v26, v26, 0, s2
	v_add_nc_u32_e32 v25, v26, v25
	s_delay_alu instid0(VALU_DEP_1) | instskip(NEXT) | instid1(VALU_DEP_1)
	v_mov_b32_dpp v26, v25 row_shr:2 row_mask:0xf bank_mask:0xf
	v_cndmask_b32_e64 v26, 0, v26, s5
	s_delay_alu instid0(VALU_DEP_1) | instskip(NEXT) | instid1(VALU_DEP_1)
	v_add_nc_u32_e32 v25, v25, v26
	v_mov_b32_dpp v26, v25 row_shr:4 row_mask:0xf bank_mask:0xf
	s_delay_alu instid0(VALU_DEP_1) | instskip(NEXT) | instid1(VALU_DEP_1)
	v_cndmask_b32_e64 v26, 0, v26, s4
	v_add_nc_u32_e32 v25, v25, v26
	s_delay_alu instid0(VALU_DEP_1) | instskip(NEXT) | instid1(VALU_DEP_1)
	v_mov_b32_dpp v26, v25 row_shr:8 row_mask:0xf bank_mask:0xf
	v_cndmask_b32_e64 v26, 0, v26, s3
	s_delay_alu instid0(VALU_DEP_1)
	v_add_nc_u32_e32 v25, v25, v26
	ds_store_b32 v9, v25
.LBB1326_52:
	s_or_b32 exec_lo, exec_lo, s8
	v_cmp_gt_u32_e32 vcc_lo, 32, v0
	s_mov_b32 s9, exec_lo
	s_waitcnt lgkmcnt(0)
	s_barrier
	buffer_gl0_inv
                                        ; implicit-def: $vgpr32
	v_cmpx_lt_u32_e32 31, v0
	s_cbranch_execz .LBB1326_54
; %bb.53:
	v_lshl_add_u32 v25, v14, 2, -4
	ds_load_b32 v32, v25
	s_waitcnt lgkmcnt(0)
	v_add_nc_u32_e32 v24, v32, v24
.LBB1326_54:
	s_or_b32 exec_lo, exec_lo, s9
	v_add_nc_u32_e32 v25, -1, v36
	s_delay_alu instid0(VALU_DEP_1) | instskip(NEXT) | instid1(VALU_DEP_1)
	v_cmp_gt_i32_e64 s8, 0, v25
	v_cndmask_b32_e64 v25, v25, v36, s8
	v_cmp_eq_u32_e64 s8, 0, v36
	s_delay_alu instid0(VALU_DEP_2)
	v_lshlrev_b32_e32 v25, 2, v25
	ds_bpermute_b32 v38, v25, v24
	s_and_saveexec_b32 s9, vcc_lo
	s_cbranch_execz .LBB1326_77
; %bb.55:
	v_mov_b32_e32 v27, 0
	ds_load_b32 v24, v27 offset:60
	s_and_saveexec_b32 s19, s8
	s_cbranch_execz .LBB1326_57
; %bb.56:
	s_add_i32 s20, s15, 32
	s_mov_b32 s21, 0
	v_mov_b32_e32 v25, 1
	s_lshl_b64 s[20:21], s[20:21], 3
	s_delay_alu instid0(SALU_CYCLE_1)
	s_add_u32 s20, s12, s20
	s_addc_u32 s21, s13, s21
	s_waitcnt lgkmcnt(0)
	global_store_b64 v27, v[24:25], s[20:21]
.LBB1326_57:
	s_or_b32 exec_lo, exec_lo, s19
	v_xad_u32 v25, v36, -1, s15
	s_mov_b32 s20, 0
	s_mov_b32 s19, exec_lo
	s_delay_alu instid0(VALU_DEP_1) | instskip(NEXT) | instid1(VALU_DEP_1)
	v_add_nc_u32_e32 v26, 32, v25
	v_lshlrev_b64 v[26:27], 3, v[26:27]
	s_delay_alu instid0(VALU_DEP_1) | instskip(NEXT) | instid1(VALU_DEP_2)
	v_add_co_u32 v29, vcc_lo, s12, v26
	v_add_co_ci_u32_e32 v30, vcc_lo, s13, v27, vcc_lo
	global_load_b64 v[27:28], v[29:30], off glc
	s_waitcnt vmcnt(0)
	v_and_b32_e32 v26, 0xff, v28
	s_delay_alu instid0(VALU_DEP_1)
	v_cmpx_eq_u16_e32 0, v26
	s_cbranch_execz .LBB1326_63
; %bb.58:
	s_mov_b32 s21, 1
	.p2align	6
.LBB1326_59:                            ; =>This Loop Header: Depth=1
                                        ;     Child Loop BB1326_60 Depth 2
	s_delay_alu instid0(SALU_CYCLE_1)
	s_max_u32 s22, s21, 1
.LBB1326_60:                            ;   Parent Loop BB1326_59 Depth=1
                                        ; =>  This Inner Loop Header: Depth=2
	s_delay_alu instid0(SALU_CYCLE_1)
	s_add_i32 s22, s22, -1
	s_sleep 1
	s_cmp_eq_u32 s22, 0
	s_cbranch_scc0 .LBB1326_60
; %bb.61:                               ;   in Loop: Header=BB1326_59 Depth=1
	global_load_b64 v[27:28], v[29:30], off glc
	s_cmp_lt_u32 s21, 32
	s_cselect_b32 s22, -1, 0
	s_delay_alu instid0(SALU_CYCLE_1) | instskip(SKIP_3) | instid1(VALU_DEP_1)
	s_cmp_lg_u32 s22, 0
	s_addc_u32 s21, s21, 0
	s_waitcnt vmcnt(0)
	v_and_b32_e32 v26, 0xff, v28
	v_cmp_ne_u16_e32 vcc_lo, 0, v26
	s_or_b32 s20, vcc_lo, s20
	s_delay_alu instid0(SALU_CYCLE_1)
	s_and_not1_b32 exec_lo, exec_lo, s20
	s_cbranch_execnz .LBB1326_59
; %bb.62:
	s_or_b32 exec_lo, exec_lo, s20
.LBB1326_63:
	s_delay_alu instid0(SALU_CYCLE_1)
	s_or_b32 exec_lo, exec_lo, s19
	v_cmp_ne_u32_e32 vcc_lo, 31, v36
	v_lshlrev_b32_e64 v40, v36, -1
	v_add_nc_u32_e32 v42, 2, v36
	v_add_nc_u32_e32 v45, 4, v36
	;; [unrolled: 1-line block ×3, first 2 shown]
	v_add_co_ci_u32_e32 v26, vcc_lo, 0, v36, vcc_lo
	v_add_nc_u32_e32 v49, 16, v36
	s_delay_alu instid0(VALU_DEP_2) | instskip(SKIP_2) | instid1(VALU_DEP_1)
	v_lshlrev_b32_e32 v39, 2, v26
	ds_bpermute_b32 v29, v39, v27
	v_and_b32_e32 v26, 0xff, v28
	v_cmp_eq_u16_e32 vcc_lo, 2, v26
	v_and_or_b32 v26, vcc_lo, v40, 0x80000000
	v_cmp_gt_u32_e32 vcc_lo, 30, v36
	s_delay_alu instid0(VALU_DEP_2) | instskip(SKIP_1) | instid1(VALU_DEP_2)
	v_ctz_i32_b32_e32 v26, v26
	v_cndmask_b32_e64 v30, 0, 1, vcc_lo
	v_cmp_lt_u32_e32 vcc_lo, v36, v26
	s_waitcnt lgkmcnt(0)
	s_delay_alu instid0(VALU_DEP_2) | instskip(NEXT) | instid1(VALU_DEP_1)
	v_dual_cndmask_b32 v29, 0, v29 :: v_dual_lshlrev_b32 v30, 1, v30
	v_add_lshl_u32 v41, v30, v36, 2
	v_cmp_gt_u32_e32 vcc_lo, 28, v36
	s_delay_alu instid0(VALU_DEP_3) | instskip(SKIP_4) | instid1(VALU_DEP_1)
	v_add_nc_u32_e32 v27, v29, v27
	v_cndmask_b32_e64 v30, 0, 1, vcc_lo
	v_cmp_le_u32_e32 vcc_lo, v42, v26
	ds_bpermute_b32 v29, v41, v27
	v_lshlrev_b32_e32 v30, 2, v30
	v_add_lshl_u32 v43, v30, v36, 2
	s_waitcnt lgkmcnt(0)
	v_cndmask_b32_e32 v29, 0, v29, vcc_lo
	v_cmp_gt_u32_e32 vcc_lo, 24, v36
	s_delay_alu instid0(VALU_DEP_2) | instskip(SKIP_4) | instid1(VALU_DEP_1)
	v_add_nc_u32_e32 v27, v27, v29
	v_cndmask_b32_e64 v30, 0, 1, vcc_lo
	v_cmp_le_u32_e32 vcc_lo, v45, v26
	ds_bpermute_b32 v29, v43, v27
	v_lshlrev_b32_e32 v30, 3, v30
	v_add_lshl_u32 v46, v30, v36, 2
	s_waitcnt lgkmcnt(0)
	v_cndmask_b32_e32 v29, 0, v29, vcc_lo
	v_cmp_gt_u32_e32 vcc_lo, 16, v36
	s_delay_alu instid0(VALU_DEP_2) | instskip(SKIP_4) | instid1(VALU_DEP_1)
	v_add_nc_u32_e32 v27, v27, v29
	v_cndmask_b32_e64 v30, 0, 1, vcc_lo
	v_cmp_le_u32_e32 vcc_lo, v47, v26
	ds_bpermute_b32 v29, v46, v27
	v_lshlrev_b32_e32 v30, 4, v30
	v_add_lshl_u32 v48, v30, v36, 2
	s_waitcnt lgkmcnt(0)
	v_cndmask_b32_e32 v29, 0, v29, vcc_lo
	v_cmp_le_u32_e32 vcc_lo, v49, v26
	s_delay_alu instid0(VALU_DEP_2) | instskip(SKIP_3) | instid1(VALU_DEP_1)
	v_add_nc_u32_e32 v27, v27, v29
	ds_bpermute_b32 v29, v48, v27
	s_waitcnt lgkmcnt(0)
	v_cndmask_b32_e32 v26, 0, v29, vcc_lo
	v_dual_mov_b32 v26, 0 :: v_dual_add_nc_u32 v27, v27, v26
	s_branch .LBB1326_65
.LBB1326_64:                            ;   in Loop: Header=BB1326_65 Depth=1
	s_or_b32 exec_lo, exec_lo, s19
	ds_bpermute_b32 v30, v39, v27
	v_and_b32_e32 v29, 0xff, v28
	v_subrev_nc_u32_e32 v25, 32, v25
	s_delay_alu instid0(VALU_DEP_2) | instskip(SKIP_1) | instid1(VALU_DEP_1)
	v_cmp_eq_u16_e32 vcc_lo, 2, v29
	v_and_or_b32 v29, vcc_lo, v40, 0x80000000
	v_ctz_i32_b32_e32 v29, v29
	s_delay_alu instid0(VALU_DEP_1) | instskip(SKIP_3) | instid1(VALU_DEP_2)
	v_cmp_lt_u32_e32 vcc_lo, v36, v29
	s_waitcnt lgkmcnt(0)
	v_cndmask_b32_e32 v30, 0, v30, vcc_lo
	v_cmp_le_u32_e32 vcc_lo, v42, v29
	v_add_nc_u32_e32 v27, v30, v27
	ds_bpermute_b32 v30, v41, v27
	s_waitcnt lgkmcnt(0)
	v_cndmask_b32_e32 v30, 0, v30, vcc_lo
	v_cmp_le_u32_e32 vcc_lo, v45, v29
	s_delay_alu instid0(VALU_DEP_2) | instskip(SKIP_4) | instid1(VALU_DEP_2)
	v_add_nc_u32_e32 v27, v27, v30
	ds_bpermute_b32 v30, v43, v27
	s_waitcnt lgkmcnt(0)
	v_cndmask_b32_e32 v30, 0, v30, vcc_lo
	v_cmp_le_u32_e32 vcc_lo, v47, v29
	v_add_nc_u32_e32 v27, v27, v30
	ds_bpermute_b32 v30, v46, v27
	s_waitcnt lgkmcnt(0)
	v_cndmask_b32_e32 v30, 0, v30, vcc_lo
	v_cmp_le_u32_e32 vcc_lo, v49, v29
	s_delay_alu instid0(VALU_DEP_2) | instskip(SKIP_3) | instid1(VALU_DEP_1)
	v_add_nc_u32_e32 v27, v27, v30
	ds_bpermute_b32 v30, v48, v27
	s_waitcnt lgkmcnt(0)
	v_cndmask_b32_e32 v29, 0, v30, vcc_lo
	v_add3_u32 v27, v29, v44, v27
.LBB1326_65:                            ; =>This Loop Header: Depth=1
                                        ;     Child Loop BB1326_68 Depth 2
                                        ;       Child Loop BB1326_69 Depth 3
	v_and_b32_e32 v28, 0xff, v28
	s_delay_alu instid0(VALU_DEP_2) | instskip(NEXT) | instid1(VALU_DEP_2)
	v_mov_b32_e32 v44, v27
	v_cmp_ne_u16_e32 vcc_lo, 2, v28
	v_cndmask_b32_e64 v28, 0, 1, vcc_lo
	;;#ASMSTART
	;;#ASMEND
	s_delay_alu instid0(VALU_DEP_1)
	v_cmp_ne_u32_e32 vcc_lo, 0, v28
	s_cmp_lg_u32 vcc_lo, exec_lo
	s_cbranch_scc1 .LBB1326_72
; %bb.66:                               ;   in Loop: Header=BB1326_65 Depth=1
	v_lshlrev_b64 v[27:28], 3, v[25:26]
	s_mov_b32 s19, exec_lo
	s_delay_alu instid0(VALU_DEP_1) | instskip(NEXT) | instid1(VALU_DEP_2)
	v_add_co_u32 v29, vcc_lo, s12, v27
	v_add_co_ci_u32_e32 v30, vcc_lo, s13, v28, vcc_lo
	global_load_b64 v[27:28], v[29:30], off glc
	s_waitcnt vmcnt(0)
	v_and_b32_e32 v50, 0xff, v28
	s_delay_alu instid0(VALU_DEP_1)
	v_cmpx_eq_u16_e32 0, v50
	s_cbranch_execz .LBB1326_64
; %bb.67:                               ;   in Loop: Header=BB1326_65 Depth=1
	s_mov_b32 s21, 1
	s_mov_b32 s20, 0
	.p2align	6
.LBB1326_68:                            ;   Parent Loop BB1326_65 Depth=1
                                        ; =>  This Loop Header: Depth=2
                                        ;       Child Loop BB1326_69 Depth 3
	s_max_u32 s22, s21, 1
.LBB1326_69:                            ;   Parent Loop BB1326_65 Depth=1
                                        ;     Parent Loop BB1326_68 Depth=2
                                        ; =>    This Inner Loop Header: Depth=3
	s_delay_alu instid0(SALU_CYCLE_1)
	s_add_i32 s22, s22, -1
	s_sleep 1
	s_cmp_eq_u32 s22, 0
	s_cbranch_scc0 .LBB1326_69
; %bb.70:                               ;   in Loop: Header=BB1326_68 Depth=2
	global_load_b64 v[27:28], v[29:30], off glc
	s_cmp_lt_u32 s21, 32
	s_cselect_b32 s22, -1, 0
	s_delay_alu instid0(SALU_CYCLE_1) | instskip(SKIP_3) | instid1(VALU_DEP_1)
	s_cmp_lg_u32 s22, 0
	s_addc_u32 s21, s21, 0
	s_waitcnt vmcnt(0)
	v_and_b32_e32 v50, 0xff, v28
	v_cmp_ne_u16_e32 vcc_lo, 0, v50
	s_or_b32 s20, vcc_lo, s20
	s_delay_alu instid0(SALU_CYCLE_1)
	s_and_not1_b32 exec_lo, exec_lo, s20
	s_cbranch_execnz .LBB1326_68
; %bb.71:                               ;   in Loop: Header=BB1326_65 Depth=1
	s_or_b32 exec_lo, exec_lo, s20
	s_branch .LBB1326_64
.LBB1326_72:                            ;   in Loop: Header=BB1326_65 Depth=1
                                        ; implicit-def: $vgpr27
                                        ; implicit-def: $vgpr28
	s_cbranch_execz .LBB1326_65
; %bb.73:
	s_and_saveexec_b32 s19, s8
	s_cbranch_execz .LBB1326_75
; %bb.74:
	s_add_i32 s20, s15, 32
	s_mov_b32 s21, 0
	v_dual_mov_b32 v26, 2 :: v_dual_add_nc_u32 v25, v44, v24
	s_lshl_b64 s[20:21], s[20:21], 3
	v_mov_b32_e32 v27, 0
	v_add_nc_u32_e64 v28, 0x6000, 0
	s_add_u32 s20, s12, s20
	s_addc_u32 s21, s13, s21
	global_store_b64 v27, v[25:26], s[20:21]
	ds_store_2addr_b32 v28, v24, v44 offset0:192 offset1:194
.LBB1326_75:
	s_or_b32 exec_lo, exec_lo, s19
	v_cmp_eq_u32_e32 vcc_lo, 0, v0
	s_and_b32 exec_lo, exec_lo, vcc_lo
	s_cbranch_execz .LBB1326_77
; %bb.76:
	v_mov_b32_e32 v24, 0
	ds_store_b32 v24, v44 offset:60
.LBB1326_77:
	s_or_b32 exec_lo, exec_lo, s9
	v_mov_b32_e32 v24, 0
	s_waitcnt lgkmcnt(0)
	s_waitcnt_vscnt null, 0x0
	s_barrier
	buffer_gl0_inv
	v_add_nc_u32_e64 v25, 0x6000, 0
	ds_load_b32 v26, v24 offset:60
	v_cndmask_b32_e64 v24, v38, v32, s8
	v_cmp_ne_u32_e32 vcc_lo, 0, v0
	s_waitcnt lgkmcnt(0)
	s_barrier
	buffer_gl0_inv
	v_cndmask_b32_e32 v27, 0, v24, vcc_lo
	ds_load_2addr_b32 v[24:25], v25 offset0:192 offset1:194
	v_add_nc_u32_e32 v32, v26, v27
	s_delay_alu instid0(VALU_DEP_1) | instskip(SKIP_2) | instid1(VALU_DEP_2)
	v_add_nc_u32_e32 v30, v32, v19
	s_waitcnt lgkmcnt(0)
	v_readfirstlane_b32 s8, v25
	v_add_nc_u32_e32 v28, v30, v33
	s_delay_alu instid0(VALU_DEP_1)
	v_add_nc_u32_e32 v26, v28, v35
	s_branch .LBB1326_88
.LBB1326_78:
                                        ; implicit-def: $vgpr26
                                        ; implicit-def: $vgpr28
                                        ; implicit-def: $vgpr30
                                        ; implicit-def: $vgpr32
                                        ; implicit-def: $sgpr8
                                        ; implicit-def: $vgpr24
	s_and_b32 vcc_lo, exec_lo, s9
	s_cbranch_vccz .LBB1326_88
; %bb.79:
	v_mov_b32_dpp v24, v37 row_shr:1 row_mask:0xf bank_mask:0xf
	s_delay_alu instid0(VALU_DEP_1) | instskip(NEXT) | instid1(VALU_DEP_1)
	v_cndmask_b32_e64 v24, v24, 0, s2
	v_add_nc_u32_e32 v24, v24, v37
	s_delay_alu instid0(VALU_DEP_1) | instskip(NEXT) | instid1(VALU_DEP_1)
	v_mov_b32_dpp v25, v24 row_shr:2 row_mask:0xf bank_mask:0xf
	v_cndmask_b32_e64 v25, 0, v25, s5
	s_delay_alu instid0(VALU_DEP_1) | instskip(NEXT) | instid1(VALU_DEP_1)
	v_add_nc_u32_e32 v24, v24, v25
	v_mov_b32_dpp v25, v24 row_shr:4 row_mask:0xf bank_mask:0xf
	s_delay_alu instid0(VALU_DEP_1) | instskip(NEXT) | instid1(VALU_DEP_1)
	v_cndmask_b32_e64 v25, 0, v25, s4
	v_add_nc_u32_e32 v24, v24, v25
	s_delay_alu instid0(VALU_DEP_1) | instskip(NEXT) | instid1(VALU_DEP_1)
	v_mov_b32_dpp v25, v24 row_shr:8 row_mask:0xf bank_mask:0xf
	v_cndmask_b32_e64 v25, 0, v25, s3
	s_delay_alu instid0(VALU_DEP_1) | instskip(SKIP_3) | instid1(VALU_DEP_1)
	v_add_nc_u32_e32 v24, v24, v25
	ds_swizzle_b32 v25, v24 offset:swizzle(BROADCAST,32,15)
	s_waitcnt lgkmcnt(0)
	v_cndmask_b32_e64 v25, v25, 0, s7
	v_add_nc_u32_e32 v24, v24, v25
	s_and_saveexec_b32 s7, s6
	s_cbranch_execz .LBB1326_81
; %bb.80:
	v_lshlrev_b32_e32 v25, 2, v14
	ds_store_b32 v25, v24
.LBB1326_81:
	s_or_b32 exec_lo, exec_lo, s7
	s_delay_alu instid0(SALU_CYCLE_1)
	s_mov_b32 s6, exec_lo
	s_waitcnt lgkmcnt(0)
	s_barrier
	buffer_gl0_inv
	v_cmpx_gt_u32_e32 16, v0
	s_cbranch_execz .LBB1326_83
; %bb.82:
	ds_load_b32 v25, v9
	s_waitcnt lgkmcnt(0)
	v_mov_b32_dpp v26, v25 row_shr:1 row_mask:0xf bank_mask:0xf
	s_delay_alu instid0(VALU_DEP_1) | instskip(NEXT) | instid1(VALU_DEP_1)
	v_cndmask_b32_e64 v26, v26, 0, s2
	v_add_nc_u32_e32 v25, v26, v25
	s_delay_alu instid0(VALU_DEP_1) | instskip(NEXT) | instid1(VALU_DEP_1)
	v_mov_b32_dpp v26, v25 row_shr:2 row_mask:0xf bank_mask:0xf
	v_cndmask_b32_e64 v26, 0, v26, s5
	s_delay_alu instid0(VALU_DEP_1) | instskip(NEXT) | instid1(VALU_DEP_1)
	v_add_nc_u32_e32 v25, v25, v26
	v_mov_b32_dpp v26, v25 row_shr:4 row_mask:0xf bank_mask:0xf
	s_delay_alu instid0(VALU_DEP_1) | instskip(NEXT) | instid1(VALU_DEP_1)
	v_cndmask_b32_e64 v26, 0, v26, s4
	v_add_nc_u32_e32 v25, v25, v26
	s_delay_alu instid0(VALU_DEP_1) | instskip(NEXT) | instid1(VALU_DEP_1)
	v_mov_b32_dpp v26, v25 row_shr:8 row_mask:0xf bank_mask:0xf
	v_cndmask_b32_e64 v26, 0, v26, s3
	s_delay_alu instid0(VALU_DEP_1)
	v_add_nc_u32_e32 v25, v25, v26
	ds_store_b32 v9, v25
.LBB1326_83:
	s_or_b32 exec_lo, exec_lo, s6
	v_mov_b32_e32 v25, 0
	v_mov_b32_e32 v9, 0
	s_mov_b32 s2, exec_lo
	s_waitcnt lgkmcnt(0)
	s_barrier
	buffer_gl0_inv
	v_cmpx_lt_u32_e32 31, v0
	s_cbranch_execz .LBB1326_85
; %bb.84:
	v_lshl_add_u32 v9, v14, 2, -4
	ds_load_b32 v9, v9
.LBB1326_85:
	s_or_b32 exec_lo, exec_lo, s2
	v_add_nc_u32_e32 v14, -1, v36
	s_waitcnt lgkmcnt(0)
	v_add_nc_u32_e32 v24, v9, v24
	s_mov_b32 s8, 0
	s_delay_alu instid0(VALU_DEP_2) | instskip(SKIP_2) | instid1(VALU_DEP_2)
	v_cmp_gt_i32_e32 vcc_lo, 0, v14
	v_cndmask_b32_e32 v14, v14, v36, vcc_lo
	v_cmp_eq_u32_e32 vcc_lo, 0, v0
	v_lshlrev_b32_e32 v14, 2, v14
	ds_bpermute_b32 v14, v14, v24
	ds_load_b32 v24, v25 offset:60
	s_and_saveexec_b32 s2, vcc_lo
	s_cbranch_execz .LBB1326_87
; %bb.86:
	v_dual_mov_b32 v26, 0 :: v_dual_mov_b32 v25, 2
	s_waitcnt lgkmcnt(0)
	global_store_b64 v26, v[24:25], s[12:13] offset:256
.LBB1326_87:
	s_or_b32 exec_lo, exec_lo, s2
	v_cmp_eq_u32_e64 s2, 0, v36
	s_waitcnt lgkmcnt(0)
	s_waitcnt_vscnt null, 0x0
	s_barrier
	buffer_gl0_inv
	v_cndmask_b32_e64 v9, v14, v9, s2
	s_delay_alu instid0(VALU_DEP_1) | instskip(NEXT) | instid1(VALU_DEP_1)
	v_cndmask_b32_e64 v32, v9, 0, vcc_lo
	v_add_nc_u32_e32 v30, v32, v19
	s_delay_alu instid0(VALU_DEP_1) | instskip(NEXT) | instid1(VALU_DEP_1)
	v_add_nc_u32_e32 v28, v30, v33
	v_add_nc_u32_e32 v26, v28, v35
.LBB1326_88:
	s_load_b128 s[4:7], s[0:1], 0x28
	v_add_nc_u32_e32 v27, s8, v24
	v_cmp_gt_u32_e64 s0, 0x201, v24
	v_lshrrev_b32_e32 v25, 16, v31
	v_lshrrev_b32_e32 v35, 8, v31
	s_mov_b32 s2, -1
	v_cmp_lt_u32_e64 s1, v32, v27
	s_and_b32 vcc_lo, exec_lo, s0
	s_cbranch_vccz .LBB1326_102
; %bb.89:
	s_delay_alu instid0(VALU_DEP_1) | instskip(NEXT) | instid1(SALU_CYCLE_1)
	s_or_b32 s2, s18, s1
	s_and_saveexec_b32 s1, s2
	s_cbranch_execz .LBB1326_92
; %bb.90:
	v_and_b32_e32 v9, 1, v31
	s_delay_alu instid0(VALU_DEP_1)
	v_cmp_eq_u32_e32 vcc_lo, 1, v9
	s_and_b32 exec_lo, exec_lo, vcc_lo
	s_cbranch_execz .LBB1326_92
; %bb.91:
	s_mul_i32 s2, s11, 12
	s_mul_hi_u32 s3, s10, 12
	s_mul_i32 s9, s10, 12
	s_add_i32 s3, s3, s2
	s_waitcnt lgkmcnt(0)
	s_add_u32 s2, s4, s9
	s_addc_u32 s3, s5, s3
	v_mov_b32_e32 v19, v22
	v_mad_u64_u32 v[36:37], null, v32, 12, s[2:3]
	global_store_b96 v[36:37], v[17:19], off
.LBB1326_92:
	s_or_b32 exec_lo, exec_lo, s1
	v_cmp_lt_u32_e32 vcc_lo, v30, v27
	s_or_b32 s2, s18, vcc_lo
	s_delay_alu instid0(SALU_CYCLE_1)
	s_and_saveexec_b32 s1, s2
	s_cbranch_execz .LBB1326_95
; %bb.93:
	v_and_b32_e32 v9, 1, v35
	s_delay_alu instid0(VALU_DEP_1)
	v_cmp_eq_u32_e32 vcc_lo, 1, v9
	s_and_b32 exec_lo, exec_lo, vcc_lo
	s_cbranch_execz .LBB1326_95
; %bb.94:
	s_mul_i32 s2, s11, 12
	s_mul_hi_u32 s3, s10, 12
	s_mul_i32 s9, s10, 12
	s_add_i32 s3, s3, s2
	s_waitcnt lgkmcnt(0)
	s_add_u32 s2, s4, s9
	s_addc_u32 s3, s5, s3
	v_mov_b32_e32 v14, v23
	v_mad_u64_u32 v[36:37], null, v30, 12, s[2:3]
	global_store_b96 v[36:37], v[14:16], off
.LBB1326_95:
	s_or_b32 exec_lo, exec_lo, s1
	v_cmp_lt_u32_e32 vcc_lo, v28, v27
	s_or_b32 s2, s18, vcc_lo
	s_delay_alu instid0(SALU_CYCLE_1)
	;; [unrolled: 24-line block ×3, first 2 shown]
	s_and_saveexec_b32 s1, s2
	s_cbranch_execz .LBB1326_101
; %bb.99:
	v_and_b32_e32 v9, 1, v34
	s_delay_alu instid0(VALU_DEP_1)
	v_cmp_eq_u32_e32 vcc_lo, 1, v9
	s_and_b32 exec_lo, exec_lo, vcc_lo
	s_cbranch_execz .LBB1326_101
; %bb.100:
	s_mul_i32 s2, s11, 12
	s_mul_hi_u32 s3, s10, 12
	s_mul_i32 s9, s10, 12
	s_add_i32 s3, s3, s2
	s_waitcnt lgkmcnt(0)
	s_add_u32 s2, s4, s9
	s_addc_u32 s3, s5, s3
	v_mov_b32_e32 v9, v21
	v_mad_u64_u32 v[36:37], null, v26, 12, s[2:3]
	global_store_b96 v[36:37], v[9:11], off
.LBB1326_101:
	s_or_b32 exec_lo, exec_lo, s1
	s_mov_b32 s2, 0
.LBB1326_102:
	v_and_b32_e32 v9, 1, v31
	s_and_b32 vcc_lo, exec_lo, s2
	s_delay_alu instid0(VALU_DEP_1)
	v_cmp_eq_u32_e64 s1, 1, v9
	s_cbranch_vccz .LBB1326_115
; %bb.103:
	s_delay_alu instid0(VALU_DEP_1)
	s_and_saveexec_b32 s2, s1
	s_cbranch_execz .LBB1326_105
; %bb.104:
	v_subrev_nc_u32_e32 v14, s8, v32
	s_delay_alu instid0(VALU_DEP_1)
	v_mul_lo_u32 v14, v14, 12
	ds_store_2addr_b32 v14, v17, v18 offset1:1
	ds_store_b32 v14, v22 offset:8
.LBB1326_105:
	s_or_b32 exec_lo, exec_lo, s2
	v_and_b32_e32 v14, 1, v35
	s_mov_b32 s1, exec_lo
	s_delay_alu instid0(VALU_DEP_1)
	v_cmpx_eq_u32_e32 1, v14
	s_cbranch_execz .LBB1326_107
; %bb.106:
	v_subrev_nc_u32_e32 v14, s8, v30
	s_delay_alu instid0(VALU_DEP_1)
	v_mul_lo_u32 v14, v14, 12
	ds_store_2addr_b32 v14, v23, v15 offset1:1
	ds_store_b32 v14, v16 offset:8
.LBB1326_107:
	s_or_b32 exec_lo, exec_lo, s1
	v_and_b32_e32 v14, 1, v25
	s_mov_b32 s1, exec_lo
	s_delay_alu instid0(VALU_DEP_1)
	v_cmpx_eq_u32_e32 1, v14
	;; [unrolled: 13-line block ×3, first 2 shown]
	s_cbranch_execz .LBB1326_111
; %bb.110:
	v_subrev_nc_u32_e32 v12, s8, v26
	s_delay_alu instid0(VALU_DEP_1)
	v_mul_lo_u32 v12, v12, 12
	ds_store_2addr_b32 v12, v21, v10 offset1:1
	ds_store_b32 v12, v11 offset:8
.LBB1326_111:
	s_or_b32 exec_lo, exec_lo, s1
	s_delay_alu instid0(SALU_CYCLE_1)
	s_mov_b32 s1, exec_lo
	s_waitcnt lgkmcnt(0)
	s_waitcnt_vscnt null, 0x0
	s_barrier
	buffer_gl0_inv
	v_cmpx_lt_u32_e64 v0, v24
	s_cbranch_execz .LBB1326_114
; %bb.112:
	s_mul_i32 s2, s8, 12
	s_mul_hi_u32 s3, s8, 12
	s_add_u32 s2, s4, s2
	s_mul_i32 s4, s11, 12
	s_mul_hi_u32 s9, s10, 12
	s_addc_u32 s3, s5, s3
	s_add_i32 s9, s9, s4
	s_mul_i32 s4, s10, 12
	v_mul_u32_u24_e32 v10, 12, v0
	v_mov_b32_e32 v11, v0
	s_add_u32 s2, s2, s4
	s_addc_u32 s3, s3, s9
	s_mov_b32 s4, 0
.LBB1326_113:                           ; =>This Inner Loop Header: Depth=1
	ds_load_2addr_b32 v[12:13], v10 offset1:1
	ds_load_b32 v14, v10 offset:8
	v_mad_u64_u32 v[15:16], null, v11, 12, s[2:3]
	v_add_nc_u32_e32 v11, 0x200, v11
	v_add_nc_u32_e32 v10, 0x1800, v10
	s_delay_alu instid0(VALU_DEP_2)
	v_cmp_ge_u32_e32 vcc_lo, v11, v24
	s_or_b32 s4, vcc_lo, s4
	s_waitcnt lgkmcnt(0)
	global_store_b96 v[15:16], v[12:14], off
	s_and_not1_b32 exec_lo, exec_lo, s4
	s_cbranch_execnz .LBB1326_113
.LBB1326_114:
	s_or_b32 exec_lo, exec_lo, s1
.LBB1326_115:
	s_delay_alu instid0(SALU_CYCLE_1)
	s_and_b32 vcc_lo, exec_lo, s0
	s_mov_b32 s0, -1
	s_waitcnt lgkmcnt(0)
	s_waitcnt_vscnt null, 0x0
	s_barrier
	buffer_gl0_inv
	s_cbranch_vccz .LBB1326_131
; %bb.116:
	v_cmp_lt_u32_e32 vcc_lo, v32, v27
	s_or_b32 s1, s18, vcc_lo
	s_delay_alu instid0(SALU_CYCLE_1)
	s_and_saveexec_b32 s0, s1
	s_cbranch_execz .LBB1326_119
; %bb.117:
	v_cmp_eq_u32_e32 vcc_lo, 1, v9
	s_and_b32 exec_lo, exec_lo, vcc_lo
	s_cbranch_execz .LBB1326_119
; %bb.118:
	v_mov_b32_e32 v33, 0
	s_lshl_b64 s[2:3], s[10:11], 3
	s_delay_alu instid0(SALU_CYCLE_1) | instskip(SKIP_1) | instid1(VALU_DEP_1)
	s_add_u32 s1, s6, s2
	s_addc_u32 s2, s7, s3
	v_lshlrev_b64 v[10:11], 3, v[32:33]
	s_delay_alu instid0(VALU_DEP_1) | instskip(NEXT) | instid1(VALU_DEP_2)
	v_add_co_u32 v10, vcc_lo, s1, v10
	v_add_co_ci_u32_e32 v11, vcc_lo, s2, v11, vcc_lo
	global_store_b64 v[10:11], v[5:6], off
.LBB1326_119:
	s_or_b32 exec_lo, exec_lo, s0
	v_cmp_lt_u32_e32 vcc_lo, v30, v27
	s_or_b32 s1, s18, vcc_lo
	s_delay_alu instid0(SALU_CYCLE_1)
	s_and_saveexec_b32 s0, s1
	s_cbranch_execz .LBB1326_122
; %bb.120:
	v_and_b32_e32 v10, 1, v35
	s_delay_alu instid0(VALU_DEP_1)
	v_cmp_eq_u32_e32 vcc_lo, 1, v10
	s_and_b32 exec_lo, exec_lo, vcc_lo
	s_cbranch_execz .LBB1326_122
; %bb.121:
	v_mov_b32_e32 v31, 0
	s_lshl_b64 s[2:3], s[10:11], 3
	s_delay_alu instid0(SALU_CYCLE_1) | instskip(SKIP_1) | instid1(VALU_DEP_1)
	s_add_u32 s1, s6, s2
	s_addc_u32 s2, s7, s3
	v_lshlrev_b64 v[10:11], 3, v[30:31]
	s_delay_alu instid0(VALU_DEP_1) | instskip(NEXT) | instid1(VALU_DEP_2)
	v_add_co_u32 v10, vcc_lo, s1, v10
	v_add_co_ci_u32_e32 v11, vcc_lo, s2, v11, vcc_lo
	global_store_b64 v[10:11], v[7:8], off
.LBB1326_122:
	s_or_b32 exec_lo, exec_lo, s0
	v_cmp_lt_u32_e32 vcc_lo, v28, v27
	s_or_b32 s1, s18, vcc_lo
	s_delay_alu instid0(SALU_CYCLE_1)
	s_and_saveexec_b32 s0, s1
	s_cbranch_execz .LBB1326_125
; %bb.123:
	v_and_b32_e32 v10, 1, v25
	s_delay_alu instid0(VALU_DEP_1)
	v_cmp_eq_u32_e32 vcc_lo, 1, v10
	s_and_b32 exec_lo, exec_lo, vcc_lo
	s_cbranch_execz .LBB1326_125
; %bb.124:
	v_mov_b32_e32 v29, 0
	s_lshl_b64 s[2:3], s[10:11], 3
	s_delay_alu instid0(SALU_CYCLE_1) | instskip(SKIP_1) | instid1(VALU_DEP_1)
	s_add_u32 s1, s6, s2
	s_addc_u32 s2, s7, s3
	v_lshlrev_b64 v[10:11], 3, v[28:29]
	s_delay_alu instid0(VALU_DEP_1) | instskip(NEXT) | instid1(VALU_DEP_2)
	v_add_co_u32 v10, vcc_lo, s1, v10
	v_add_co_ci_u32_e32 v11, vcc_lo, s2, v11, vcc_lo
	global_store_b64 v[10:11], v[1:2], off
.LBB1326_125:
	;; [unrolled: 24-line block ×3, first 2 shown]
	s_or_b32 exec_lo, exec_lo, s0
.LBB1326_129:
	v_cmp_eq_u32_e32 vcc_lo, 0, v0
	s_and_b32 s0, vcc_lo, s14
	s_delay_alu instid0(SALU_CYCLE_1)
	s_and_saveexec_b32 s1, s0
	s_cbranch_execz .LBB1326_144
.LBB1326_130:
	v_add_co_u32 v0, s0, s10, v24
	s_delay_alu instid0(VALU_DEP_1) | instskip(SKIP_1) | instid1(VALU_DEP_3)
	v_add_co_ci_u32_e64 v1, null, s11, 0, s0
	v_mov_b32_e32 v2, 0
	v_add_co_u32 v0, vcc_lo, v0, s8
	s_delay_alu instid0(VALU_DEP_3)
	v_add_co_ci_u32_e32 v1, vcc_lo, 0, v1, vcc_lo
	global_store_b64 v2, v[0:1], s[16:17]
	s_nop 0
	s_sendmsg sendmsg(MSG_DEALLOC_VGPRS)
	s_endpgm
.LBB1326_131:
	s_and_b32 vcc_lo, exec_lo, s0
	s_cbranch_vccz .LBB1326_129
; %bb.132:
	s_mov_b32 s0, exec_lo
	v_cmpx_eq_u32_e32 1, v9
	s_cbranch_execz .LBB1326_134
; %bb.133:
	v_subrev_nc_u32_e32 v9, s8, v32
	s_delay_alu instid0(VALU_DEP_1)
	v_lshlrev_b32_e32 v9, 3, v9
	ds_store_b64 v9, v[5:6]
.LBB1326_134:
	s_or_b32 exec_lo, exec_lo, s0
	v_and_b32_e32 v5, 1, v35
	s_mov_b32 s0, exec_lo
	s_delay_alu instid0(VALU_DEP_1)
	v_cmpx_eq_u32_e32 1, v5
	s_cbranch_execz .LBB1326_136
; %bb.135:
	v_subrev_nc_u32_e32 v5, s8, v30
	s_delay_alu instid0(VALU_DEP_1)
	v_lshlrev_b32_e32 v5, 3, v5
	ds_store_b64 v5, v[7:8]
.LBB1326_136:
	s_or_b32 exec_lo, exec_lo, s0
	v_and_b32_e32 v5, 1, v25
	s_mov_b32 s0, exec_lo
	s_delay_alu instid0(VALU_DEP_1)
	;; [unrolled: 12-line block ×3, first 2 shown]
	v_cmpx_eq_u32_e32 1, v1
	s_cbranch_execz .LBB1326_140
; %bb.139:
	v_subrev_nc_u32_e32 v1, s8, v26
	s_delay_alu instid0(VALU_DEP_1)
	v_lshlrev_b32_e32 v1, 3, v1
	ds_store_b64 v1, v[3:4]
.LBB1326_140:
	s_or_b32 exec_lo, exec_lo, s0
	s_delay_alu instid0(SALU_CYCLE_1)
	s_mov_b32 s1, exec_lo
	s_waitcnt lgkmcnt(0)
	s_waitcnt_vscnt null, 0x0
	s_barrier
	buffer_gl0_inv
	v_cmpx_lt_u32_e64 v0, v24
	s_cbranch_execz .LBB1326_143
; %bb.141:
	s_mov_b32 s9, 0
	s_lshl_b64 s[2:3], s[10:11], 3
	s_lshl_b64 s[4:5], s[8:9], 3
	v_dual_mov_b32 v4, v0 :: v_dual_lshlrev_b32 v3, 3, v0
	s_add_u32 s0, s2, s4
	s_addc_u32 s2, s3, s5
	s_add_u32 s0, s6, s0
	s_addc_u32 s2, s7, s2
	v_add_co_u32 v1, s0, s0, v3
	s_delay_alu instid0(VALU_DEP_1)
	v_add_co_ci_u32_e64 v2, null, s2, 0, s0
	.p2align	6
.LBB1326_142:                           ; =>This Inner Loop Header: Depth=1
	ds_load_b64 v[5:6], v3
	v_add_nc_u32_e32 v4, 0x200, v4
	v_add_nc_u32_e32 v3, 0x1000, v3
	s_delay_alu instid0(VALU_DEP_2) | instskip(SKIP_4) | instid1(VALU_DEP_1)
	v_cmp_ge_u32_e32 vcc_lo, v4, v24
	s_or_b32 s9, vcc_lo, s9
	s_waitcnt lgkmcnt(0)
	global_store_b64 v[1:2], v[5:6], off
	v_add_co_u32 v1, s0, 0x1000, v1
	v_add_co_ci_u32_e64 v2, s0, 0, v2, s0
	s_and_not1_b32 exec_lo, exec_lo, s9
	s_cbranch_execnz .LBB1326_142
.LBB1326_143:
	s_or_b32 exec_lo, exec_lo, s1
	v_cmp_eq_u32_e32 vcc_lo, 0, v0
	s_and_b32 s0, vcc_lo, s14
	s_delay_alu instid0(SALU_CYCLE_1)
	s_and_saveexec_b32 s1, s0
	s_cbranch_execnz .LBB1326_130
.LBB1326_144:
	s_nop 0
	s_sendmsg sendmsg(MSG_DEALLOC_VGPRS)
	s_endpgm
	.section	.rodata,"a",@progbits
	.p2align	6, 0x0
	.amdhsa_kernel _ZN7rocprim17ROCPRIM_400000_NS6detail17trampoline_kernelINS0_14default_configENS1_25partition_config_selectorILNS1_17partition_subalgoE9EN6thrust23THRUST_200600_302600_NS4pairIiN12_GLOBAL__N_15EntryEEESA_bEEZZNS1_14partition_implILS5_9ELb0ES3_jNS7_6detail15normal_iteratorINS7_10device_ptrIKSB_EEEENSF_INSG_ISA_EEEEPNS0_10empty_typeENS0_5tupleIJNSF_INSG_ISB_EEEESM_EEENSO_IJSL_SN_EEENS0_18inequality_wrapperINS9_12CompareFirstEEEPmJSM_EEE10hipError_tPvRmT3_T4_T5_T6_T7_T9_mT8_P12ihipStream_tbDpT10_ENKUlT_T0_E_clISt17integral_constantIbLb1EES1F_IbLb0EEEEDaS1B_S1C_EUlS1B_E_NS1_11comp_targetILNS1_3genE9ELNS1_11target_archE1100ELNS1_3gpuE3ELNS1_3repE0EEENS1_30default_config_static_selectorELNS0_4arch9wavefront6targetE0EEEvT1_
		.amdhsa_group_segment_fixed_size 25356
		.amdhsa_private_segment_fixed_size 0
		.amdhsa_kernarg_size 112
		.amdhsa_user_sgpr_count 15
		.amdhsa_user_sgpr_dispatch_ptr 0
		.amdhsa_user_sgpr_queue_ptr 0
		.amdhsa_user_sgpr_kernarg_segment_ptr 1
		.amdhsa_user_sgpr_dispatch_id 0
		.amdhsa_user_sgpr_private_segment_size 0
		.amdhsa_wavefront_size32 1
		.amdhsa_uses_dynamic_stack 0
		.amdhsa_enable_private_segment 0
		.amdhsa_system_sgpr_workgroup_id_x 1
		.amdhsa_system_sgpr_workgroup_id_y 0
		.amdhsa_system_sgpr_workgroup_id_z 0
		.amdhsa_system_sgpr_workgroup_info 0
		.amdhsa_system_vgpr_workitem_id 0
		.amdhsa_next_free_vgpr 51
		.amdhsa_next_free_sgpr 24
		.amdhsa_reserve_vcc 1
		.amdhsa_float_round_mode_32 0
		.amdhsa_float_round_mode_16_64 0
		.amdhsa_float_denorm_mode_32 3
		.amdhsa_float_denorm_mode_16_64 3
		.amdhsa_dx10_clamp 1
		.amdhsa_ieee_mode 1
		.amdhsa_fp16_overflow 0
		.amdhsa_workgroup_processor_mode 1
		.amdhsa_memory_ordered 1
		.amdhsa_forward_progress 0
		.amdhsa_shared_vgpr_count 0
		.amdhsa_exception_fp_ieee_invalid_op 0
		.amdhsa_exception_fp_denorm_src 0
		.amdhsa_exception_fp_ieee_div_zero 0
		.amdhsa_exception_fp_ieee_overflow 0
		.amdhsa_exception_fp_ieee_underflow 0
		.amdhsa_exception_fp_ieee_inexact 0
		.amdhsa_exception_int_div_zero 0
	.end_amdhsa_kernel
	.section	.text._ZN7rocprim17ROCPRIM_400000_NS6detail17trampoline_kernelINS0_14default_configENS1_25partition_config_selectorILNS1_17partition_subalgoE9EN6thrust23THRUST_200600_302600_NS4pairIiN12_GLOBAL__N_15EntryEEESA_bEEZZNS1_14partition_implILS5_9ELb0ES3_jNS7_6detail15normal_iteratorINS7_10device_ptrIKSB_EEEENSF_INSG_ISA_EEEEPNS0_10empty_typeENS0_5tupleIJNSF_INSG_ISB_EEEESM_EEENSO_IJSL_SN_EEENS0_18inequality_wrapperINS9_12CompareFirstEEEPmJSM_EEE10hipError_tPvRmT3_T4_T5_T6_T7_T9_mT8_P12ihipStream_tbDpT10_ENKUlT_T0_E_clISt17integral_constantIbLb1EES1F_IbLb0EEEEDaS1B_S1C_EUlS1B_E_NS1_11comp_targetILNS1_3genE9ELNS1_11target_archE1100ELNS1_3gpuE3ELNS1_3repE0EEENS1_30default_config_static_selectorELNS0_4arch9wavefront6targetE0EEEvT1_,"axG",@progbits,_ZN7rocprim17ROCPRIM_400000_NS6detail17trampoline_kernelINS0_14default_configENS1_25partition_config_selectorILNS1_17partition_subalgoE9EN6thrust23THRUST_200600_302600_NS4pairIiN12_GLOBAL__N_15EntryEEESA_bEEZZNS1_14partition_implILS5_9ELb0ES3_jNS7_6detail15normal_iteratorINS7_10device_ptrIKSB_EEEENSF_INSG_ISA_EEEEPNS0_10empty_typeENS0_5tupleIJNSF_INSG_ISB_EEEESM_EEENSO_IJSL_SN_EEENS0_18inequality_wrapperINS9_12CompareFirstEEEPmJSM_EEE10hipError_tPvRmT3_T4_T5_T6_T7_T9_mT8_P12ihipStream_tbDpT10_ENKUlT_T0_E_clISt17integral_constantIbLb1EES1F_IbLb0EEEEDaS1B_S1C_EUlS1B_E_NS1_11comp_targetILNS1_3genE9ELNS1_11target_archE1100ELNS1_3gpuE3ELNS1_3repE0EEENS1_30default_config_static_selectorELNS0_4arch9wavefront6targetE0EEEvT1_,comdat
.Lfunc_end1326:
	.size	_ZN7rocprim17ROCPRIM_400000_NS6detail17trampoline_kernelINS0_14default_configENS1_25partition_config_selectorILNS1_17partition_subalgoE9EN6thrust23THRUST_200600_302600_NS4pairIiN12_GLOBAL__N_15EntryEEESA_bEEZZNS1_14partition_implILS5_9ELb0ES3_jNS7_6detail15normal_iteratorINS7_10device_ptrIKSB_EEEENSF_INSG_ISA_EEEEPNS0_10empty_typeENS0_5tupleIJNSF_INSG_ISB_EEEESM_EEENSO_IJSL_SN_EEENS0_18inequality_wrapperINS9_12CompareFirstEEEPmJSM_EEE10hipError_tPvRmT3_T4_T5_T6_T7_T9_mT8_P12ihipStream_tbDpT10_ENKUlT_T0_E_clISt17integral_constantIbLb1EES1F_IbLb0EEEEDaS1B_S1C_EUlS1B_E_NS1_11comp_targetILNS1_3genE9ELNS1_11target_archE1100ELNS1_3gpuE3ELNS1_3repE0EEENS1_30default_config_static_selectorELNS0_4arch9wavefront6targetE0EEEvT1_, .Lfunc_end1326-_ZN7rocprim17ROCPRIM_400000_NS6detail17trampoline_kernelINS0_14default_configENS1_25partition_config_selectorILNS1_17partition_subalgoE9EN6thrust23THRUST_200600_302600_NS4pairIiN12_GLOBAL__N_15EntryEEESA_bEEZZNS1_14partition_implILS5_9ELb0ES3_jNS7_6detail15normal_iteratorINS7_10device_ptrIKSB_EEEENSF_INSG_ISA_EEEEPNS0_10empty_typeENS0_5tupleIJNSF_INSG_ISB_EEEESM_EEENSO_IJSL_SN_EEENS0_18inequality_wrapperINS9_12CompareFirstEEEPmJSM_EEE10hipError_tPvRmT3_T4_T5_T6_T7_T9_mT8_P12ihipStream_tbDpT10_ENKUlT_T0_E_clISt17integral_constantIbLb1EES1F_IbLb0EEEEDaS1B_S1C_EUlS1B_E_NS1_11comp_targetILNS1_3genE9ELNS1_11target_archE1100ELNS1_3gpuE3ELNS1_3repE0EEENS1_30default_config_static_selectorELNS0_4arch9wavefront6targetE0EEEvT1_
                                        ; -- End function
	.section	.AMDGPU.csdata,"",@progbits
; Kernel info:
; codeLenInByte = 6640
; NumSgprs: 26
; NumVgprs: 51
; ScratchSize: 0
; MemoryBound: 0
; FloatMode: 240
; IeeeMode: 1
; LDSByteSize: 25356 bytes/workgroup (compile time only)
; SGPRBlocks: 3
; VGPRBlocks: 6
; NumSGPRsForWavesPerEU: 26
; NumVGPRsForWavesPerEU: 51
; Occupancy: 16
; WaveLimiterHint : 1
; COMPUTE_PGM_RSRC2:SCRATCH_EN: 0
; COMPUTE_PGM_RSRC2:USER_SGPR: 15
; COMPUTE_PGM_RSRC2:TRAP_HANDLER: 0
; COMPUTE_PGM_RSRC2:TGID_X_EN: 1
; COMPUTE_PGM_RSRC2:TGID_Y_EN: 0
; COMPUTE_PGM_RSRC2:TGID_Z_EN: 0
; COMPUTE_PGM_RSRC2:TIDIG_COMP_CNT: 0
	.section	.text._ZN7rocprim17ROCPRIM_400000_NS6detail17trampoline_kernelINS0_14default_configENS1_25partition_config_selectorILNS1_17partition_subalgoE9EN6thrust23THRUST_200600_302600_NS4pairIiN12_GLOBAL__N_15EntryEEESA_bEEZZNS1_14partition_implILS5_9ELb0ES3_jNS7_6detail15normal_iteratorINS7_10device_ptrIKSB_EEEENSF_INSG_ISA_EEEEPNS0_10empty_typeENS0_5tupleIJNSF_INSG_ISB_EEEESM_EEENSO_IJSL_SN_EEENS0_18inequality_wrapperINS9_12CompareFirstEEEPmJSM_EEE10hipError_tPvRmT3_T4_T5_T6_T7_T9_mT8_P12ihipStream_tbDpT10_ENKUlT_T0_E_clISt17integral_constantIbLb1EES1F_IbLb0EEEEDaS1B_S1C_EUlS1B_E_NS1_11comp_targetILNS1_3genE8ELNS1_11target_archE1030ELNS1_3gpuE2ELNS1_3repE0EEENS1_30default_config_static_selectorELNS0_4arch9wavefront6targetE0EEEvT1_,"axG",@progbits,_ZN7rocprim17ROCPRIM_400000_NS6detail17trampoline_kernelINS0_14default_configENS1_25partition_config_selectorILNS1_17partition_subalgoE9EN6thrust23THRUST_200600_302600_NS4pairIiN12_GLOBAL__N_15EntryEEESA_bEEZZNS1_14partition_implILS5_9ELb0ES3_jNS7_6detail15normal_iteratorINS7_10device_ptrIKSB_EEEENSF_INSG_ISA_EEEEPNS0_10empty_typeENS0_5tupleIJNSF_INSG_ISB_EEEESM_EEENSO_IJSL_SN_EEENS0_18inequality_wrapperINS9_12CompareFirstEEEPmJSM_EEE10hipError_tPvRmT3_T4_T5_T6_T7_T9_mT8_P12ihipStream_tbDpT10_ENKUlT_T0_E_clISt17integral_constantIbLb1EES1F_IbLb0EEEEDaS1B_S1C_EUlS1B_E_NS1_11comp_targetILNS1_3genE8ELNS1_11target_archE1030ELNS1_3gpuE2ELNS1_3repE0EEENS1_30default_config_static_selectorELNS0_4arch9wavefront6targetE0EEEvT1_,comdat
	.globl	_ZN7rocprim17ROCPRIM_400000_NS6detail17trampoline_kernelINS0_14default_configENS1_25partition_config_selectorILNS1_17partition_subalgoE9EN6thrust23THRUST_200600_302600_NS4pairIiN12_GLOBAL__N_15EntryEEESA_bEEZZNS1_14partition_implILS5_9ELb0ES3_jNS7_6detail15normal_iteratorINS7_10device_ptrIKSB_EEEENSF_INSG_ISA_EEEEPNS0_10empty_typeENS0_5tupleIJNSF_INSG_ISB_EEEESM_EEENSO_IJSL_SN_EEENS0_18inequality_wrapperINS9_12CompareFirstEEEPmJSM_EEE10hipError_tPvRmT3_T4_T5_T6_T7_T9_mT8_P12ihipStream_tbDpT10_ENKUlT_T0_E_clISt17integral_constantIbLb1EES1F_IbLb0EEEEDaS1B_S1C_EUlS1B_E_NS1_11comp_targetILNS1_3genE8ELNS1_11target_archE1030ELNS1_3gpuE2ELNS1_3repE0EEENS1_30default_config_static_selectorELNS0_4arch9wavefront6targetE0EEEvT1_ ; -- Begin function _ZN7rocprim17ROCPRIM_400000_NS6detail17trampoline_kernelINS0_14default_configENS1_25partition_config_selectorILNS1_17partition_subalgoE9EN6thrust23THRUST_200600_302600_NS4pairIiN12_GLOBAL__N_15EntryEEESA_bEEZZNS1_14partition_implILS5_9ELb0ES3_jNS7_6detail15normal_iteratorINS7_10device_ptrIKSB_EEEENSF_INSG_ISA_EEEEPNS0_10empty_typeENS0_5tupleIJNSF_INSG_ISB_EEEESM_EEENSO_IJSL_SN_EEENS0_18inequality_wrapperINS9_12CompareFirstEEEPmJSM_EEE10hipError_tPvRmT3_T4_T5_T6_T7_T9_mT8_P12ihipStream_tbDpT10_ENKUlT_T0_E_clISt17integral_constantIbLb1EES1F_IbLb0EEEEDaS1B_S1C_EUlS1B_E_NS1_11comp_targetILNS1_3genE8ELNS1_11target_archE1030ELNS1_3gpuE2ELNS1_3repE0EEENS1_30default_config_static_selectorELNS0_4arch9wavefront6targetE0EEEvT1_
	.p2align	8
	.type	_ZN7rocprim17ROCPRIM_400000_NS6detail17trampoline_kernelINS0_14default_configENS1_25partition_config_selectorILNS1_17partition_subalgoE9EN6thrust23THRUST_200600_302600_NS4pairIiN12_GLOBAL__N_15EntryEEESA_bEEZZNS1_14partition_implILS5_9ELb0ES3_jNS7_6detail15normal_iteratorINS7_10device_ptrIKSB_EEEENSF_INSG_ISA_EEEEPNS0_10empty_typeENS0_5tupleIJNSF_INSG_ISB_EEEESM_EEENSO_IJSL_SN_EEENS0_18inequality_wrapperINS9_12CompareFirstEEEPmJSM_EEE10hipError_tPvRmT3_T4_T5_T6_T7_T9_mT8_P12ihipStream_tbDpT10_ENKUlT_T0_E_clISt17integral_constantIbLb1EES1F_IbLb0EEEEDaS1B_S1C_EUlS1B_E_NS1_11comp_targetILNS1_3genE8ELNS1_11target_archE1030ELNS1_3gpuE2ELNS1_3repE0EEENS1_30default_config_static_selectorELNS0_4arch9wavefront6targetE0EEEvT1_,@function
_ZN7rocprim17ROCPRIM_400000_NS6detail17trampoline_kernelINS0_14default_configENS1_25partition_config_selectorILNS1_17partition_subalgoE9EN6thrust23THRUST_200600_302600_NS4pairIiN12_GLOBAL__N_15EntryEEESA_bEEZZNS1_14partition_implILS5_9ELb0ES3_jNS7_6detail15normal_iteratorINS7_10device_ptrIKSB_EEEENSF_INSG_ISA_EEEEPNS0_10empty_typeENS0_5tupleIJNSF_INSG_ISB_EEEESM_EEENSO_IJSL_SN_EEENS0_18inequality_wrapperINS9_12CompareFirstEEEPmJSM_EEE10hipError_tPvRmT3_T4_T5_T6_T7_T9_mT8_P12ihipStream_tbDpT10_ENKUlT_T0_E_clISt17integral_constantIbLb1EES1F_IbLb0EEEEDaS1B_S1C_EUlS1B_E_NS1_11comp_targetILNS1_3genE8ELNS1_11target_archE1030ELNS1_3gpuE2ELNS1_3repE0EEENS1_30default_config_static_selectorELNS0_4arch9wavefront6targetE0EEEvT1_: ; @_ZN7rocprim17ROCPRIM_400000_NS6detail17trampoline_kernelINS0_14default_configENS1_25partition_config_selectorILNS1_17partition_subalgoE9EN6thrust23THRUST_200600_302600_NS4pairIiN12_GLOBAL__N_15EntryEEESA_bEEZZNS1_14partition_implILS5_9ELb0ES3_jNS7_6detail15normal_iteratorINS7_10device_ptrIKSB_EEEENSF_INSG_ISA_EEEEPNS0_10empty_typeENS0_5tupleIJNSF_INSG_ISB_EEEESM_EEENSO_IJSL_SN_EEENS0_18inequality_wrapperINS9_12CompareFirstEEEPmJSM_EEE10hipError_tPvRmT3_T4_T5_T6_T7_T9_mT8_P12ihipStream_tbDpT10_ENKUlT_T0_E_clISt17integral_constantIbLb1EES1F_IbLb0EEEEDaS1B_S1C_EUlS1B_E_NS1_11comp_targetILNS1_3genE8ELNS1_11target_archE1030ELNS1_3gpuE2ELNS1_3repE0EEENS1_30default_config_static_selectorELNS0_4arch9wavefront6targetE0EEEvT1_
; %bb.0:
	.section	.rodata,"a",@progbits
	.p2align	6, 0x0
	.amdhsa_kernel _ZN7rocprim17ROCPRIM_400000_NS6detail17trampoline_kernelINS0_14default_configENS1_25partition_config_selectorILNS1_17partition_subalgoE9EN6thrust23THRUST_200600_302600_NS4pairIiN12_GLOBAL__N_15EntryEEESA_bEEZZNS1_14partition_implILS5_9ELb0ES3_jNS7_6detail15normal_iteratorINS7_10device_ptrIKSB_EEEENSF_INSG_ISA_EEEEPNS0_10empty_typeENS0_5tupleIJNSF_INSG_ISB_EEEESM_EEENSO_IJSL_SN_EEENS0_18inequality_wrapperINS9_12CompareFirstEEEPmJSM_EEE10hipError_tPvRmT3_T4_T5_T6_T7_T9_mT8_P12ihipStream_tbDpT10_ENKUlT_T0_E_clISt17integral_constantIbLb1EES1F_IbLb0EEEEDaS1B_S1C_EUlS1B_E_NS1_11comp_targetILNS1_3genE8ELNS1_11target_archE1030ELNS1_3gpuE2ELNS1_3repE0EEENS1_30default_config_static_selectorELNS0_4arch9wavefront6targetE0EEEvT1_
		.amdhsa_group_segment_fixed_size 0
		.amdhsa_private_segment_fixed_size 0
		.amdhsa_kernarg_size 112
		.amdhsa_user_sgpr_count 15
		.amdhsa_user_sgpr_dispatch_ptr 0
		.amdhsa_user_sgpr_queue_ptr 0
		.amdhsa_user_sgpr_kernarg_segment_ptr 1
		.amdhsa_user_sgpr_dispatch_id 0
		.amdhsa_user_sgpr_private_segment_size 0
		.amdhsa_wavefront_size32 1
		.amdhsa_uses_dynamic_stack 0
		.amdhsa_enable_private_segment 0
		.amdhsa_system_sgpr_workgroup_id_x 1
		.amdhsa_system_sgpr_workgroup_id_y 0
		.amdhsa_system_sgpr_workgroup_id_z 0
		.amdhsa_system_sgpr_workgroup_info 0
		.amdhsa_system_vgpr_workitem_id 0
		.amdhsa_next_free_vgpr 1
		.amdhsa_next_free_sgpr 1
		.amdhsa_reserve_vcc 0
		.amdhsa_float_round_mode_32 0
		.amdhsa_float_round_mode_16_64 0
		.amdhsa_float_denorm_mode_32 3
		.amdhsa_float_denorm_mode_16_64 3
		.amdhsa_dx10_clamp 1
		.amdhsa_ieee_mode 1
		.amdhsa_fp16_overflow 0
		.amdhsa_workgroup_processor_mode 1
		.amdhsa_memory_ordered 1
		.amdhsa_forward_progress 0
		.amdhsa_shared_vgpr_count 0
		.amdhsa_exception_fp_ieee_invalid_op 0
		.amdhsa_exception_fp_denorm_src 0
		.amdhsa_exception_fp_ieee_div_zero 0
		.amdhsa_exception_fp_ieee_overflow 0
		.amdhsa_exception_fp_ieee_underflow 0
		.amdhsa_exception_fp_ieee_inexact 0
		.amdhsa_exception_int_div_zero 0
	.end_amdhsa_kernel
	.section	.text._ZN7rocprim17ROCPRIM_400000_NS6detail17trampoline_kernelINS0_14default_configENS1_25partition_config_selectorILNS1_17partition_subalgoE9EN6thrust23THRUST_200600_302600_NS4pairIiN12_GLOBAL__N_15EntryEEESA_bEEZZNS1_14partition_implILS5_9ELb0ES3_jNS7_6detail15normal_iteratorINS7_10device_ptrIKSB_EEEENSF_INSG_ISA_EEEEPNS0_10empty_typeENS0_5tupleIJNSF_INSG_ISB_EEEESM_EEENSO_IJSL_SN_EEENS0_18inequality_wrapperINS9_12CompareFirstEEEPmJSM_EEE10hipError_tPvRmT3_T4_T5_T6_T7_T9_mT8_P12ihipStream_tbDpT10_ENKUlT_T0_E_clISt17integral_constantIbLb1EES1F_IbLb0EEEEDaS1B_S1C_EUlS1B_E_NS1_11comp_targetILNS1_3genE8ELNS1_11target_archE1030ELNS1_3gpuE2ELNS1_3repE0EEENS1_30default_config_static_selectorELNS0_4arch9wavefront6targetE0EEEvT1_,"axG",@progbits,_ZN7rocprim17ROCPRIM_400000_NS6detail17trampoline_kernelINS0_14default_configENS1_25partition_config_selectorILNS1_17partition_subalgoE9EN6thrust23THRUST_200600_302600_NS4pairIiN12_GLOBAL__N_15EntryEEESA_bEEZZNS1_14partition_implILS5_9ELb0ES3_jNS7_6detail15normal_iteratorINS7_10device_ptrIKSB_EEEENSF_INSG_ISA_EEEEPNS0_10empty_typeENS0_5tupleIJNSF_INSG_ISB_EEEESM_EEENSO_IJSL_SN_EEENS0_18inequality_wrapperINS9_12CompareFirstEEEPmJSM_EEE10hipError_tPvRmT3_T4_T5_T6_T7_T9_mT8_P12ihipStream_tbDpT10_ENKUlT_T0_E_clISt17integral_constantIbLb1EES1F_IbLb0EEEEDaS1B_S1C_EUlS1B_E_NS1_11comp_targetILNS1_3genE8ELNS1_11target_archE1030ELNS1_3gpuE2ELNS1_3repE0EEENS1_30default_config_static_selectorELNS0_4arch9wavefront6targetE0EEEvT1_,comdat
.Lfunc_end1327:
	.size	_ZN7rocprim17ROCPRIM_400000_NS6detail17trampoline_kernelINS0_14default_configENS1_25partition_config_selectorILNS1_17partition_subalgoE9EN6thrust23THRUST_200600_302600_NS4pairIiN12_GLOBAL__N_15EntryEEESA_bEEZZNS1_14partition_implILS5_9ELb0ES3_jNS7_6detail15normal_iteratorINS7_10device_ptrIKSB_EEEENSF_INSG_ISA_EEEEPNS0_10empty_typeENS0_5tupleIJNSF_INSG_ISB_EEEESM_EEENSO_IJSL_SN_EEENS0_18inequality_wrapperINS9_12CompareFirstEEEPmJSM_EEE10hipError_tPvRmT3_T4_T5_T6_T7_T9_mT8_P12ihipStream_tbDpT10_ENKUlT_T0_E_clISt17integral_constantIbLb1EES1F_IbLb0EEEEDaS1B_S1C_EUlS1B_E_NS1_11comp_targetILNS1_3genE8ELNS1_11target_archE1030ELNS1_3gpuE2ELNS1_3repE0EEENS1_30default_config_static_selectorELNS0_4arch9wavefront6targetE0EEEvT1_, .Lfunc_end1327-_ZN7rocprim17ROCPRIM_400000_NS6detail17trampoline_kernelINS0_14default_configENS1_25partition_config_selectorILNS1_17partition_subalgoE9EN6thrust23THRUST_200600_302600_NS4pairIiN12_GLOBAL__N_15EntryEEESA_bEEZZNS1_14partition_implILS5_9ELb0ES3_jNS7_6detail15normal_iteratorINS7_10device_ptrIKSB_EEEENSF_INSG_ISA_EEEEPNS0_10empty_typeENS0_5tupleIJNSF_INSG_ISB_EEEESM_EEENSO_IJSL_SN_EEENS0_18inequality_wrapperINS9_12CompareFirstEEEPmJSM_EEE10hipError_tPvRmT3_T4_T5_T6_T7_T9_mT8_P12ihipStream_tbDpT10_ENKUlT_T0_E_clISt17integral_constantIbLb1EES1F_IbLb0EEEEDaS1B_S1C_EUlS1B_E_NS1_11comp_targetILNS1_3genE8ELNS1_11target_archE1030ELNS1_3gpuE2ELNS1_3repE0EEENS1_30default_config_static_selectorELNS0_4arch9wavefront6targetE0EEEvT1_
                                        ; -- End function
	.section	.AMDGPU.csdata,"",@progbits
; Kernel info:
; codeLenInByte = 0
; NumSgprs: 0
; NumVgprs: 0
; ScratchSize: 0
; MemoryBound: 0
; FloatMode: 240
; IeeeMode: 1
; LDSByteSize: 0 bytes/workgroup (compile time only)
; SGPRBlocks: 0
; VGPRBlocks: 0
; NumSGPRsForWavesPerEU: 1
; NumVGPRsForWavesPerEU: 1
; Occupancy: 16
; WaveLimiterHint : 0
; COMPUTE_PGM_RSRC2:SCRATCH_EN: 0
; COMPUTE_PGM_RSRC2:USER_SGPR: 15
; COMPUTE_PGM_RSRC2:TRAP_HANDLER: 0
; COMPUTE_PGM_RSRC2:TGID_X_EN: 1
; COMPUTE_PGM_RSRC2:TGID_Y_EN: 0
; COMPUTE_PGM_RSRC2:TGID_Z_EN: 0
; COMPUTE_PGM_RSRC2:TIDIG_COMP_CNT: 0
	.section	.text._ZN7rocprim17ROCPRIM_400000_NS6detail17trampoline_kernelINS0_14default_configENS1_25partition_config_selectorILNS1_17partition_subalgoE9EN6thrust23THRUST_200600_302600_NS4pairIiN12_GLOBAL__N_15EntryEEESA_bEEZZNS1_14partition_implILS5_9ELb0ES3_jNS7_6detail15normal_iteratorINS7_10device_ptrIKSB_EEEENSF_INSG_ISA_EEEEPNS0_10empty_typeENS0_5tupleIJNSF_INSG_ISB_EEEESM_EEENSO_IJSL_SN_EEENS0_18inequality_wrapperINS9_12CompareFirstEEEPmJSM_EEE10hipError_tPvRmT3_T4_T5_T6_T7_T9_mT8_P12ihipStream_tbDpT10_ENKUlT_T0_E_clISt17integral_constantIbLb0EES1F_IbLb1EEEEDaS1B_S1C_EUlS1B_E_NS1_11comp_targetILNS1_3genE0ELNS1_11target_archE4294967295ELNS1_3gpuE0ELNS1_3repE0EEENS1_30default_config_static_selectorELNS0_4arch9wavefront6targetE0EEEvT1_,"axG",@progbits,_ZN7rocprim17ROCPRIM_400000_NS6detail17trampoline_kernelINS0_14default_configENS1_25partition_config_selectorILNS1_17partition_subalgoE9EN6thrust23THRUST_200600_302600_NS4pairIiN12_GLOBAL__N_15EntryEEESA_bEEZZNS1_14partition_implILS5_9ELb0ES3_jNS7_6detail15normal_iteratorINS7_10device_ptrIKSB_EEEENSF_INSG_ISA_EEEEPNS0_10empty_typeENS0_5tupleIJNSF_INSG_ISB_EEEESM_EEENSO_IJSL_SN_EEENS0_18inequality_wrapperINS9_12CompareFirstEEEPmJSM_EEE10hipError_tPvRmT3_T4_T5_T6_T7_T9_mT8_P12ihipStream_tbDpT10_ENKUlT_T0_E_clISt17integral_constantIbLb0EES1F_IbLb1EEEEDaS1B_S1C_EUlS1B_E_NS1_11comp_targetILNS1_3genE0ELNS1_11target_archE4294967295ELNS1_3gpuE0ELNS1_3repE0EEENS1_30default_config_static_selectorELNS0_4arch9wavefront6targetE0EEEvT1_,comdat
	.globl	_ZN7rocprim17ROCPRIM_400000_NS6detail17trampoline_kernelINS0_14default_configENS1_25partition_config_selectorILNS1_17partition_subalgoE9EN6thrust23THRUST_200600_302600_NS4pairIiN12_GLOBAL__N_15EntryEEESA_bEEZZNS1_14partition_implILS5_9ELb0ES3_jNS7_6detail15normal_iteratorINS7_10device_ptrIKSB_EEEENSF_INSG_ISA_EEEEPNS0_10empty_typeENS0_5tupleIJNSF_INSG_ISB_EEEESM_EEENSO_IJSL_SN_EEENS0_18inequality_wrapperINS9_12CompareFirstEEEPmJSM_EEE10hipError_tPvRmT3_T4_T5_T6_T7_T9_mT8_P12ihipStream_tbDpT10_ENKUlT_T0_E_clISt17integral_constantIbLb0EES1F_IbLb1EEEEDaS1B_S1C_EUlS1B_E_NS1_11comp_targetILNS1_3genE0ELNS1_11target_archE4294967295ELNS1_3gpuE0ELNS1_3repE0EEENS1_30default_config_static_selectorELNS0_4arch9wavefront6targetE0EEEvT1_ ; -- Begin function _ZN7rocprim17ROCPRIM_400000_NS6detail17trampoline_kernelINS0_14default_configENS1_25partition_config_selectorILNS1_17partition_subalgoE9EN6thrust23THRUST_200600_302600_NS4pairIiN12_GLOBAL__N_15EntryEEESA_bEEZZNS1_14partition_implILS5_9ELb0ES3_jNS7_6detail15normal_iteratorINS7_10device_ptrIKSB_EEEENSF_INSG_ISA_EEEEPNS0_10empty_typeENS0_5tupleIJNSF_INSG_ISB_EEEESM_EEENSO_IJSL_SN_EEENS0_18inequality_wrapperINS9_12CompareFirstEEEPmJSM_EEE10hipError_tPvRmT3_T4_T5_T6_T7_T9_mT8_P12ihipStream_tbDpT10_ENKUlT_T0_E_clISt17integral_constantIbLb0EES1F_IbLb1EEEEDaS1B_S1C_EUlS1B_E_NS1_11comp_targetILNS1_3genE0ELNS1_11target_archE4294967295ELNS1_3gpuE0ELNS1_3repE0EEENS1_30default_config_static_selectorELNS0_4arch9wavefront6targetE0EEEvT1_
	.p2align	8
	.type	_ZN7rocprim17ROCPRIM_400000_NS6detail17trampoline_kernelINS0_14default_configENS1_25partition_config_selectorILNS1_17partition_subalgoE9EN6thrust23THRUST_200600_302600_NS4pairIiN12_GLOBAL__N_15EntryEEESA_bEEZZNS1_14partition_implILS5_9ELb0ES3_jNS7_6detail15normal_iteratorINS7_10device_ptrIKSB_EEEENSF_INSG_ISA_EEEEPNS0_10empty_typeENS0_5tupleIJNSF_INSG_ISB_EEEESM_EEENSO_IJSL_SN_EEENS0_18inequality_wrapperINS9_12CompareFirstEEEPmJSM_EEE10hipError_tPvRmT3_T4_T5_T6_T7_T9_mT8_P12ihipStream_tbDpT10_ENKUlT_T0_E_clISt17integral_constantIbLb0EES1F_IbLb1EEEEDaS1B_S1C_EUlS1B_E_NS1_11comp_targetILNS1_3genE0ELNS1_11target_archE4294967295ELNS1_3gpuE0ELNS1_3repE0EEENS1_30default_config_static_selectorELNS0_4arch9wavefront6targetE0EEEvT1_,@function
_ZN7rocprim17ROCPRIM_400000_NS6detail17trampoline_kernelINS0_14default_configENS1_25partition_config_selectorILNS1_17partition_subalgoE9EN6thrust23THRUST_200600_302600_NS4pairIiN12_GLOBAL__N_15EntryEEESA_bEEZZNS1_14partition_implILS5_9ELb0ES3_jNS7_6detail15normal_iteratorINS7_10device_ptrIKSB_EEEENSF_INSG_ISA_EEEEPNS0_10empty_typeENS0_5tupleIJNSF_INSG_ISB_EEEESM_EEENSO_IJSL_SN_EEENS0_18inequality_wrapperINS9_12CompareFirstEEEPmJSM_EEE10hipError_tPvRmT3_T4_T5_T6_T7_T9_mT8_P12ihipStream_tbDpT10_ENKUlT_T0_E_clISt17integral_constantIbLb0EES1F_IbLb1EEEEDaS1B_S1C_EUlS1B_E_NS1_11comp_targetILNS1_3genE0ELNS1_11target_archE4294967295ELNS1_3gpuE0ELNS1_3repE0EEENS1_30default_config_static_selectorELNS0_4arch9wavefront6targetE0EEEvT1_: ; @_ZN7rocprim17ROCPRIM_400000_NS6detail17trampoline_kernelINS0_14default_configENS1_25partition_config_selectorILNS1_17partition_subalgoE9EN6thrust23THRUST_200600_302600_NS4pairIiN12_GLOBAL__N_15EntryEEESA_bEEZZNS1_14partition_implILS5_9ELb0ES3_jNS7_6detail15normal_iteratorINS7_10device_ptrIKSB_EEEENSF_INSG_ISA_EEEEPNS0_10empty_typeENS0_5tupleIJNSF_INSG_ISB_EEEESM_EEENSO_IJSL_SN_EEENS0_18inequality_wrapperINS9_12CompareFirstEEEPmJSM_EEE10hipError_tPvRmT3_T4_T5_T6_T7_T9_mT8_P12ihipStream_tbDpT10_ENKUlT_T0_E_clISt17integral_constantIbLb0EES1F_IbLb1EEEEDaS1B_S1C_EUlS1B_E_NS1_11comp_targetILNS1_3genE0ELNS1_11target_archE4294967295ELNS1_3gpuE0ELNS1_3repE0EEENS1_30default_config_static_selectorELNS0_4arch9wavefront6targetE0EEEvT1_
; %bb.0:
	.section	.rodata,"a",@progbits
	.p2align	6, 0x0
	.amdhsa_kernel _ZN7rocprim17ROCPRIM_400000_NS6detail17trampoline_kernelINS0_14default_configENS1_25partition_config_selectorILNS1_17partition_subalgoE9EN6thrust23THRUST_200600_302600_NS4pairIiN12_GLOBAL__N_15EntryEEESA_bEEZZNS1_14partition_implILS5_9ELb0ES3_jNS7_6detail15normal_iteratorINS7_10device_ptrIKSB_EEEENSF_INSG_ISA_EEEEPNS0_10empty_typeENS0_5tupleIJNSF_INSG_ISB_EEEESM_EEENSO_IJSL_SN_EEENS0_18inequality_wrapperINS9_12CompareFirstEEEPmJSM_EEE10hipError_tPvRmT3_T4_T5_T6_T7_T9_mT8_P12ihipStream_tbDpT10_ENKUlT_T0_E_clISt17integral_constantIbLb0EES1F_IbLb1EEEEDaS1B_S1C_EUlS1B_E_NS1_11comp_targetILNS1_3genE0ELNS1_11target_archE4294967295ELNS1_3gpuE0ELNS1_3repE0EEENS1_30default_config_static_selectorELNS0_4arch9wavefront6targetE0EEEvT1_
		.amdhsa_group_segment_fixed_size 0
		.amdhsa_private_segment_fixed_size 0
		.amdhsa_kernarg_size 128
		.amdhsa_user_sgpr_count 15
		.amdhsa_user_sgpr_dispatch_ptr 0
		.amdhsa_user_sgpr_queue_ptr 0
		.amdhsa_user_sgpr_kernarg_segment_ptr 1
		.amdhsa_user_sgpr_dispatch_id 0
		.amdhsa_user_sgpr_private_segment_size 0
		.amdhsa_wavefront_size32 1
		.amdhsa_uses_dynamic_stack 0
		.amdhsa_enable_private_segment 0
		.amdhsa_system_sgpr_workgroup_id_x 1
		.amdhsa_system_sgpr_workgroup_id_y 0
		.amdhsa_system_sgpr_workgroup_id_z 0
		.amdhsa_system_sgpr_workgroup_info 0
		.amdhsa_system_vgpr_workitem_id 0
		.amdhsa_next_free_vgpr 1
		.amdhsa_next_free_sgpr 1
		.amdhsa_reserve_vcc 0
		.amdhsa_float_round_mode_32 0
		.amdhsa_float_round_mode_16_64 0
		.amdhsa_float_denorm_mode_32 3
		.amdhsa_float_denorm_mode_16_64 3
		.amdhsa_dx10_clamp 1
		.amdhsa_ieee_mode 1
		.amdhsa_fp16_overflow 0
		.amdhsa_workgroup_processor_mode 1
		.amdhsa_memory_ordered 1
		.amdhsa_forward_progress 0
		.amdhsa_shared_vgpr_count 0
		.amdhsa_exception_fp_ieee_invalid_op 0
		.amdhsa_exception_fp_denorm_src 0
		.amdhsa_exception_fp_ieee_div_zero 0
		.amdhsa_exception_fp_ieee_overflow 0
		.amdhsa_exception_fp_ieee_underflow 0
		.amdhsa_exception_fp_ieee_inexact 0
		.amdhsa_exception_int_div_zero 0
	.end_amdhsa_kernel
	.section	.text._ZN7rocprim17ROCPRIM_400000_NS6detail17trampoline_kernelINS0_14default_configENS1_25partition_config_selectorILNS1_17partition_subalgoE9EN6thrust23THRUST_200600_302600_NS4pairIiN12_GLOBAL__N_15EntryEEESA_bEEZZNS1_14partition_implILS5_9ELb0ES3_jNS7_6detail15normal_iteratorINS7_10device_ptrIKSB_EEEENSF_INSG_ISA_EEEEPNS0_10empty_typeENS0_5tupleIJNSF_INSG_ISB_EEEESM_EEENSO_IJSL_SN_EEENS0_18inequality_wrapperINS9_12CompareFirstEEEPmJSM_EEE10hipError_tPvRmT3_T4_T5_T6_T7_T9_mT8_P12ihipStream_tbDpT10_ENKUlT_T0_E_clISt17integral_constantIbLb0EES1F_IbLb1EEEEDaS1B_S1C_EUlS1B_E_NS1_11comp_targetILNS1_3genE0ELNS1_11target_archE4294967295ELNS1_3gpuE0ELNS1_3repE0EEENS1_30default_config_static_selectorELNS0_4arch9wavefront6targetE0EEEvT1_,"axG",@progbits,_ZN7rocprim17ROCPRIM_400000_NS6detail17trampoline_kernelINS0_14default_configENS1_25partition_config_selectorILNS1_17partition_subalgoE9EN6thrust23THRUST_200600_302600_NS4pairIiN12_GLOBAL__N_15EntryEEESA_bEEZZNS1_14partition_implILS5_9ELb0ES3_jNS7_6detail15normal_iteratorINS7_10device_ptrIKSB_EEEENSF_INSG_ISA_EEEEPNS0_10empty_typeENS0_5tupleIJNSF_INSG_ISB_EEEESM_EEENSO_IJSL_SN_EEENS0_18inequality_wrapperINS9_12CompareFirstEEEPmJSM_EEE10hipError_tPvRmT3_T4_T5_T6_T7_T9_mT8_P12ihipStream_tbDpT10_ENKUlT_T0_E_clISt17integral_constantIbLb0EES1F_IbLb1EEEEDaS1B_S1C_EUlS1B_E_NS1_11comp_targetILNS1_3genE0ELNS1_11target_archE4294967295ELNS1_3gpuE0ELNS1_3repE0EEENS1_30default_config_static_selectorELNS0_4arch9wavefront6targetE0EEEvT1_,comdat
.Lfunc_end1328:
	.size	_ZN7rocprim17ROCPRIM_400000_NS6detail17trampoline_kernelINS0_14default_configENS1_25partition_config_selectorILNS1_17partition_subalgoE9EN6thrust23THRUST_200600_302600_NS4pairIiN12_GLOBAL__N_15EntryEEESA_bEEZZNS1_14partition_implILS5_9ELb0ES3_jNS7_6detail15normal_iteratorINS7_10device_ptrIKSB_EEEENSF_INSG_ISA_EEEEPNS0_10empty_typeENS0_5tupleIJNSF_INSG_ISB_EEEESM_EEENSO_IJSL_SN_EEENS0_18inequality_wrapperINS9_12CompareFirstEEEPmJSM_EEE10hipError_tPvRmT3_T4_T5_T6_T7_T9_mT8_P12ihipStream_tbDpT10_ENKUlT_T0_E_clISt17integral_constantIbLb0EES1F_IbLb1EEEEDaS1B_S1C_EUlS1B_E_NS1_11comp_targetILNS1_3genE0ELNS1_11target_archE4294967295ELNS1_3gpuE0ELNS1_3repE0EEENS1_30default_config_static_selectorELNS0_4arch9wavefront6targetE0EEEvT1_, .Lfunc_end1328-_ZN7rocprim17ROCPRIM_400000_NS6detail17trampoline_kernelINS0_14default_configENS1_25partition_config_selectorILNS1_17partition_subalgoE9EN6thrust23THRUST_200600_302600_NS4pairIiN12_GLOBAL__N_15EntryEEESA_bEEZZNS1_14partition_implILS5_9ELb0ES3_jNS7_6detail15normal_iteratorINS7_10device_ptrIKSB_EEEENSF_INSG_ISA_EEEEPNS0_10empty_typeENS0_5tupleIJNSF_INSG_ISB_EEEESM_EEENSO_IJSL_SN_EEENS0_18inequality_wrapperINS9_12CompareFirstEEEPmJSM_EEE10hipError_tPvRmT3_T4_T5_T6_T7_T9_mT8_P12ihipStream_tbDpT10_ENKUlT_T0_E_clISt17integral_constantIbLb0EES1F_IbLb1EEEEDaS1B_S1C_EUlS1B_E_NS1_11comp_targetILNS1_3genE0ELNS1_11target_archE4294967295ELNS1_3gpuE0ELNS1_3repE0EEENS1_30default_config_static_selectorELNS0_4arch9wavefront6targetE0EEEvT1_
                                        ; -- End function
	.section	.AMDGPU.csdata,"",@progbits
; Kernel info:
; codeLenInByte = 0
; NumSgprs: 0
; NumVgprs: 0
; ScratchSize: 0
; MemoryBound: 0
; FloatMode: 240
; IeeeMode: 1
; LDSByteSize: 0 bytes/workgroup (compile time only)
; SGPRBlocks: 0
; VGPRBlocks: 0
; NumSGPRsForWavesPerEU: 1
; NumVGPRsForWavesPerEU: 1
; Occupancy: 15
; WaveLimiterHint : 0
; COMPUTE_PGM_RSRC2:SCRATCH_EN: 0
; COMPUTE_PGM_RSRC2:USER_SGPR: 15
; COMPUTE_PGM_RSRC2:TRAP_HANDLER: 0
; COMPUTE_PGM_RSRC2:TGID_X_EN: 1
; COMPUTE_PGM_RSRC2:TGID_Y_EN: 0
; COMPUTE_PGM_RSRC2:TGID_Z_EN: 0
; COMPUTE_PGM_RSRC2:TIDIG_COMP_CNT: 0
	.section	.text._ZN7rocprim17ROCPRIM_400000_NS6detail17trampoline_kernelINS0_14default_configENS1_25partition_config_selectorILNS1_17partition_subalgoE9EN6thrust23THRUST_200600_302600_NS4pairIiN12_GLOBAL__N_15EntryEEESA_bEEZZNS1_14partition_implILS5_9ELb0ES3_jNS7_6detail15normal_iteratorINS7_10device_ptrIKSB_EEEENSF_INSG_ISA_EEEEPNS0_10empty_typeENS0_5tupleIJNSF_INSG_ISB_EEEESM_EEENSO_IJSL_SN_EEENS0_18inequality_wrapperINS9_12CompareFirstEEEPmJSM_EEE10hipError_tPvRmT3_T4_T5_T6_T7_T9_mT8_P12ihipStream_tbDpT10_ENKUlT_T0_E_clISt17integral_constantIbLb0EES1F_IbLb1EEEEDaS1B_S1C_EUlS1B_E_NS1_11comp_targetILNS1_3genE5ELNS1_11target_archE942ELNS1_3gpuE9ELNS1_3repE0EEENS1_30default_config_static_selectorELNS0_4arch9wavefront6targetE0EEEvT1_,"axG",@progbits,_ZN7rocprim17ROCPRIM_400000_NS6detail17trampoline_kernelINS0_14default_configENS1_25partition_config_selectorILNS1_17partition_subalgoE9EN6thrust23THRUST_200600_302600_NS4pairIiN12_GLOBAL__N_15EntryEEESA_bEEZZNS1_14partition_implILS5_9ELb0ES3_jNS7_6detail15normal_iteratorINS7_10device_ptrIKSB_EEEENSF_INSG_ISA_EEEEPNS0_10empty_typeENS0_5tupleIJNSF_INSG_ISB_EEEESM_EEENSO_IJSL_SN_EEENS0_18inequality_wrapperINS9_12CompareFirstEEEPmJSM_EEE10hipError_tPvRmT3_T4_T5_T6_T7_T9_mT8_P12ihipStream_tbDpT10_ENKUlT_T0_E_clISt17integral_constantIbLb0EES1F_IbLb1EEEEDaS1B_S1C_EUlS1B_E_NS1_11comp_targetILNS1_3genE5ELNS1_11target_archE942ELNS1_3gpuE9ELNS1_3repE0EEENS1_30default_config_static_selectorELNS0_4arch9wavefront6targetE0EEEvT1_,comdat
	.globl	_ZN7rocprim17ROCPRIM_400000_NS6detail17trampoline_kernelINS0_14default_configENS1_25partition_config_selectorILNS1_17partition_subalgoE9EN6thrust23THRUST_200600_302600_NS4pairIiN12_GLOBAL__N_15EntryEEESA_bEEZZNS1_14partition_implILS5_9ELb0ES3_jNS7_6detail15normal_iteratorINS7_10device_ptrIKSB_EEEENSF_INSG_ISA_EEEEPNS0_10empty_typeENS0_5tupleIJNSF_INSG_ISB_EEEESM_EEENSO_IJSL_SN_EEENS0_18inequality_wrapperINS9_12CompareFirstEEEPmJSM_EEE10hipError_tPvRmT3_T4_T5_T6_T7_T9_mT8_P12ihipStream_tbDpT10_ENKUlT_T0_E_clISt17integral_constantIbLb0EES1F_IbLb1EEEEDaS1B_S1C_EUlS1B_E_NS1_11comp_targetILNS1_3genE5ELNS1_11target_archE942ELNS1_3gpuE9ELNS1_3repE0EEENS1_30default_config_static_selectorELNS0_4arch9wavefront6targetE0EEEvT1_ ; -- Begin function _ZN7rocprim17ROCPRIM_400000_NS6detail17trampoline_kernelINS0_14default_configENS1_25partition_config_selectorILNS1_17partition_subalgoE9EN6thrust23THRUST_200600_302600_NS4pairIiN12_GLOBAL__N_15EntryEEESA_bEEZZNS1_14partition_implILS5_9ELb0ES3_jNS7_6detail15normal_iteratorINS7_10device_ptrIKSB_EEEENSF_INSG_ISA_EEEEPNS0_10empty_typeENS0_5tupleIJNSF_INSG_ISB_EEEESM_EEENSO_IJSL_SN_EEENS0_18inequality_wrapperINS9_12CompareFirstEEEPmJSM_EEE10hipError_tPvRmT3_T4_T5_T6_T7_T9_mT8_P12ihipStream_tbDpT10_ENKUlT_T0_E_clISt17integral_constantIbLb0EES1F_IbLb1EEEEDaS1B_S1C_EUlS1B_E_NS1_11comp_targetILNS1_3genE5ELNS1_11target_archE942ELNS1_3gpuE9ELNS1_3repE0EEENS1_30default_config_static_selectorELNS0_4arch9wavefront6targetE0EEEvT1_
	.p2align	8
	.type	_ZN7rocprim17ROCPRIM_400000_NS6detail17trampoline_kernelINS0_14default_configENS1_25partition_config_selectorILNS1_17partition_subalgoE9EN6thrust23THRUST_200600_302600_NS4pairIiN12_GLOBAL__N_15EntryEEESA_bEEZZNS1_14partition_implILS5_9ELb0ES3_jNS7_6detail15normal_iteratorINS7_10device_ptrIKSB_EEEENSF_INSG_ISA_EEEEPNS0_10empty_typeENS0_5tupleIJNSF_INSG_ISB_EEEESM_EEENSO_IJSL_SN_EEENS0_18inequality_wrapperINS9_12CompareFirstEEEPmJSM_EEE10hipError_tPvRmT3_T4_T5_T6_T7_T9_mT8_P12ihipStream_tbDpT10_ENKUlT_T0_E_clISt17integral_constantIbLb0EES1F_IbLb1EEEEDaS1B_S1C_EUlS1B_E_NS1_11comp_targetILNS1_3genE5ELNS1_11target_archE942ELNS1_3gpuE9ELNS1_3repE0EEENS1_30default_config_static_selectorELNS0_4arch9wavefront6targetE0EEEvT1_,@function
_ZN7rocprim17ROCPRIM_400000_NS6detail17trampoline_kernelINS0_14default_configENS1_25partition_config_selectorILNS1_17partition_subalgoE9EN6thrust23THRUST_200600_302600_NS4pairIiN12_GLOBAL__N_15EntryEEESA_bEEZZNS1_14partition_implILS5_9ELb0ES3_jNS7_6detail15normal_iteratorINS7_10device_ptrIKSB_EEEENSF_INSG_ISA_EEEEPNS0_10empty_typeENS0_5tupleIJNSF_INSG_ISB_EEEESM_EEENSO_IJSL_SN_EEENS0_18inequality_wrapperINS9_12CompareFirstEEEPmJSM_EEE10hipError_tPvRmT3_T4_T5_T6_T7_T9_mT8_P12ihipStream_tbDpT10_ENKUlT_T0_E_clISt17integral_constantIbLb0EES1F_IbLb1EEEEDaS1B_S1C_EUlS1B_E_NS1_11comp_targetILNS1_3genE5ELNS1_11target_archE942ELNS1_3gpuE9ELNS1_3repE0EEENS1_30default_config_static_selectorELNS0_4arch9wavefront6targetE0EEEvT1_: ; @_ZN7rocprim17ROCPRIM_400000_NS6detail17trampoline_kernelINS0_14default_configENS1_25partition_config_selectorILNS1_17partition_subalgoE9EN6thrust23THRUST_200600_302600_NS4pairIiN12_GLOBAL__N_15EntryEEESA_bEEZZNS1_14partition_implILS5_9ELb0ES3_jNS7_6detail15normal_iteratorINS7_10device_ptrIKSB_EEEENSF_INSG_ISA_EEEEPNS0_10empty_typeENS0_5tupleIJNSF_INSG_ISB_EEEESM_EEENSO_IJSL_SN_EEENS0_18inequality_wrapperINS9_12CompareFirstEEEPmJSM_EEE10hipError_tPvRmT3_T4_T5_T6_T7_T9_mT8_P12ihipStream_tbDpT10_ENKUlT_T0_E_clISt17integral_constantIbLb0EES1F_IbLb1EEEEDaS1B_S1C_EUlS1B_E_NS1_11comp_targetILNS1_3genE5ELNS1_11target_archE942ELNS1_3gpuE9ELNS1_3repE0EEENS1_30default_config_static_selectorELNS0_4arch9wavefront6targetE0EEEvT1_
; %bb.0:
	.section	.rodata,"a",@progbits
	.p2align	6, 0x0
	.amdhsa_kernel _ZN7rocprim17ROCPRIM_400000_NS6detail17trampoline_kernelINS0_14default_configENS1_25partition_config_selectorILNS1_17partition_subalgoE9EN6thrust23THRUST_200600_302600_NS4pairIiN12_GLOBAL__N_15EntryEEESA_bEEZZNS1_14partition_implILS5_9ELb0ES3_jNS7_6detail15normal_iteratorINS7_10device_ptrIKSB_EEEENSF_INSG_ISA_EEEEPNS0_10empty_typeENS0_5tupleIJNSF_INSG_ISB_EEEESM_EEENSO_IJSL_SN_EEENS0_18inequality_wrapperINS9_12CompareFirstEEEPmJSM_EEE10hipError_tPvRmT3_T4_T5_T6_T7_T9_mT8_P12ihipStream_tbDpT10_ENKUlT_T0_E_clISt17integral_constantIbLb0EES1F_IbLb1EEEEDaS1B_S1C_EUlS1B_E_NS1_11comp_targetILNS1_3genE5ELNS1_11target_archE942ELNS1_3gpuE9ELNS1_3repE0EEENS1_30default_config_static_selectorELNS0_4arch9wavefront6targetE0EEEvT1_
		.amdhsa_group_segment_fixed_size 0
		.amdhsa_private_segment_fixed_size 0
		.amdhsa_kernarg_size 128
		.amdhsa_user_sgpr_count 15
		.amdhsa_user_sgpr_dispatch_ptr 0
		.amdhsa_user_sgpr_queue_ptr 0
		.amdhsa_user_sgpr_kernarg_segment_ptr 1
		.amdhsa_user_sgpr_dispatch_id 0
		.amdhsa_user_sgpr_private_segment_size 0
		.amdhsa_wavefront_size32 1
		.amdhsa_uses_dynamic_stack 0
		.amdhsa_enable_private_segment 0
		.amdhsa_system_sgpr_workgroup_id_x 1
		.amdhsa_system_sgpr_workgroup_id_y 0
		.amdhsa_system_sgpr_workgroup_id_z 0
		.amdhsa_system_sgpr_workgroup_info 0
		.amdhsa_system_vgpr_workitem_id 0
		.amdhsa_next_free_vgpr 1
		.amdhsa_next_free_sgpr 1
		.amdhsa_reserve_vcc 0
		.amdhsa_float_round_mode_32 0
		.amdhsa_float_round_mode_16_64 0
		.amdhsa_float_denorm_mode_32 3
		.amdhsa_float_denorm_mode_16_64 3
		.amdhsa_dx10_clamp 1
		.amdhsa_ieee_mode 1
		.amdhsa_fp16_overflow 0
		.amdhsa_workgroup_processor_mode 1
		.amdhsa_memory_ordered 1
		.amdhsa_forward_progress 0
		.amdhsa_shared_vgpr_count 0
		.amdhsa_exception_fp_ieee_invalid_op 0
		.amdhsa_exception_fp_denorm_src 0
		.amdhsa_exception_fp_ieee_div_zero 0
		.amdhsa_exception_fp_ieee_overflow 0
		.amdhsa_exception_fp_ieee_underflow 0
		.amdhsa_exception_fp_ieee_inexact 0
		.amdhsa_exception_int_div_zero 0
	.end_amdhsa_kernel
	.section	.text._ZN7rocprim17ROCPRIM_400000_NS6detail17trampoline_kernelINS0_14default_configENS1_25partition_config_selectorILNS1_17partition_subalgoE9EN6thrust23THRUST_200600_302600_NS4pairIiN12_GLOBAL__N_15EntryEEESA_bEEZZNS1_14partition_implILS5_9ELb0ES3_jNS7_6detail15normal_iteratorINS7_10device_ptrIKSB_EEEENSF_INSG_ISA_EEEEPNS0_10empty_typeENS0_5tupleIJNSF_INSG_ISB_EEEESM_EEENSO_IJSL_SN_EEENS0_18inequality_wrapperINS9_12CompareFirstEEEPmJSM_EEE10hipError_tPvRmT3_T4_T5_T6_T7_T9_mT8_P12ihipStream_tbDpT10_ENKUlT_T0_E_clISt17integral_constantIbLb0EES1F_IbLb1EEEEDaS1B_S1C_EUlS1B_E_NS1_11comp_targetILNS1_3genE5ELNS1_11target_archE942ELNS1_3gpuE9ELNS1_3repE0EEENS1_30default_config_static_selectorELNS0_4arch9wavefront6targetE0EEEvT1_,"axG",@progbits,_ZN7rocprim17ROCPRIM_400000_NS6detail17trampoline_kernelINS0_14default_configENS1_25partition_config_selectorILNS1_17partition_subalgoE9EN6thrust23THRUST_200600_302600_NS4pairIiN12_GLOBAL__N_15EntryEEESA_bEEZZNS1_14partition_implILS5_9ELb0ES3_jNS7_6detail15normal_iteratorINS7_10device_ptrIKSB_EEEENSF_INSG_ISA_EEEEPNS0_10empty_typeENS0_5tupleIJNSF_INSG_ISB_EEEESM_EEENSO_IJSL_SN_EEENS0_18inequality_wrapperINS9_12CompareFirstEEEPmJSM_EEE10hipError_tPvRmT3_T4_T5_T6_T7_T9_mT8_P12ihipStream_tbDpT10_ENKUlT_T0_E_clISt17integral_constantIbLb0EES1F_IbLb1EEEEDaS1B_S1C_EUlS1B_E_NS1_11comp_targetILNS1_3genE5ELNS1_11target_archE942ELNS1_3gpuE9ELNS1_3repE0EEENS1_30default_config_static_selectorELNS0_4arch9wavefront6targetE0EEEvT1_,comdat
.Lfunc_end1329:
	.size	_ZN7rocprim17ROCPRIM_400000_NS6detail17trampoline_kernelINS0_14default_configENS1_25partition_config_selectorILNS1_17partition_subalgoE9EN6thrust23THRUST_200600_302600_NS4pairIiN12_GLOBAL__N_15EntryEEESA_bEEZZNS1_14partition_implILS5_9ELb0ES3_jNS7_6detail15normal_iteratorINS7_10device_ptrIKSB_EEEENSF_INSG_ISA_EEEEPNS0_10empty_typeENS0_5tupleIJNSF_INSG_ISB_EEEESM_EEENSO_IJSL_SN_EEENS0_18inequality_wrapperINS9_12CompareFirstEEEPmJSM_EEE10hipError_tPvRmT3_T4_T5_T6_T7_T9_mT8_P12ihipStream_tbDpT10_ENKUlT_T0_E_clISt17integral_constantIbLb0EES1F_IbLb1EEEEDaS1B_S1C_EUlS1B_E_NS1_11comp_targetILNS1_3genE5ELNS1_11target_archE942ELNS1_3gpuE9ELNS1_3repE0EEENS1_30default_config_static_selectorELNS0_4arch9wavefront6targetE0EEEvT1_, .Lfunc_end1329-_ZN7rocprim17ROCPRIM_400000_NS6detail17trampoline_kernelINS0_14default_configENS1_25partition_config_selectorILNS1_17partition_subalgoE9EN6thrust23THRUST_200600_302600_NS4pairIiN12_GLOBAL__N_15EntryEEESA_bEEZZNS1_14partition_implILS5_9ELb0ES3_jNS7_6detail15normal_iteratorINS7_10device_ptrIKSB_EEEENSF_INSG_ISA_EEEEPNS0_10empty_typeENS0_5tupleIJNSF_INSG_ISB_EEEESM_EEENSO_IJSL_SN_EEENS0_18inequality_wrapperINS9_12CompareFirstEEEPmJSM_EEE10hipError_tPvRmT3_T4_T5_T6_T7_T9_mT8_P12ihipStream_tbDpT10_ENKUlT_T0_E_clISt17integral_constantIbLb0EES1F_IbLb1EEEEDaS1B_S1C_EUlS1B_E_NS1_11comp_targetILNS1_3genE5ELNS1_11target_archE942ELNS1_3gpuE9ELNS1_3repE0EEENS1_30default_config_static_selectorELNS0_4arch9wavefront6targetE0EEEvT1_
                                        ; -- End function
	.section	.AMDGPU.csdata,"",@progbits
; Kernel info:
; codeLenInByte = 0
; NumSgprs: 0
; NumVgprs: 0
; ScratchSize: 0
; MemoryBound: 0
; FloatMode: 240
; IeeeMode: 1
; LDSByteSize: 0 bytes/workgroup (compile time only)
; SGPRBlocks: 0
; VGPRBlocks: 0
; NumSGPRsForWavesPerEU: 1
; NumVGPRsForWavesPerEU: 1
; Occupancy: 15
; WaveLimiterHint : 0
; COMPUTE_PGM_RSRC2:SCRATCH_EN: 0
; COMPUTE_PGM_RSRC2:USER_SGPR: 15
; COMPUTE_PGM_RSRC2:TRAP_HANDLER: 0
; COMPUTE_PGM_RSRC2:TGID_X_EN: 1
; COMPUTE_PGM_RSRC2:TGID_Y_EN: 0
; COMPUTE_PGM_RSRC2:TGID_Z_EN: 0
; COMPUTE_PGM_RSRC2:TIDIG_COMP_CNT: 0
	.section	.text._ZN7rocprim17ROCPRIM_400000_NS6detail17trampoline_kernelINS0_14default_configENS1_25partition_config_selectorILNS1_17partition_subalgoE9EN6thrust23THRUST_200600_302600_NS4pairIiN12_GLOBAL__N_15EntryEEESA_bEEZZNS1_14partition_implILS5_9ELb0ES3_jNS7_6detail15normal_iteratorINS7_10device_ptrIKSB_EEEENSF_INSG_ISA_EEEEPNS0_10empty_typeENS0_5tupleIJNSF_INSG_ISB_EEEESM_EEENSO_IJSL_SN_EEENS0_18inequality_wrapperINS9_12CompareFirstEEEPmJSM_EEE10hipError_tPvRmT3_T4_T5_T6_T7_T9_mT8_P12ihipStream_tbDpT10_ENKUlT_T0_E_clISt17integral_constantIbLb0EES1F_IbLb1EEEEDaS1B_S1C_EUlS1B_E_NS1_11comp_targetILNS1_3genE4ELNS1_11target_archE910ELNS1_3gpuE8ELNS1_3repE0EEENS1_30default_config_static_selectorELNS0_4arch9wavefront6targetE0EEEvT1_,"axG",@progbits,_ZN7rocprim17ROCPRIM_400000_NS6detail17trampoline_kernelINS0_14default_configENS1_25partition_config_selectorILNS1_17partition_subalgoE9EN6thrust23THRUST_200600_302600_NS4pairIiN12_GLOBAL__N_15EntryEEESA_bEEZZNS1_14partition_implILS5_9ELb0ES3_jNS7_6detail15normal_iteratorINS7_10device_ptrIKSB_EEEENSF_INSG_ISA_EEEEPNS0_10empty_typeENS0_5tupleIJNSF_INSG_ISB_EEEESM_EEENSO_IJSL_SN_EEENS0_18inequality_wrapperINS9_12CompareFirstEEEPmJSM_EEE10hipError_tPvRmT3_T4_T5_T6_T7_T9_mT8_P12ihipStream_tbDpT10_ENKUlT_T0_E_clISt17integral_constantIbLb0EES1F_IbLb1EEEEDaS1B_S1C_EUlS1B_E_NS1_11comp_targetILNS1_3genE4ELNS1_11target_archE910ELNS1_3gpuE8ELNS1_3repE0EEENS1_30default_config_static_selectorELNS0_4arch9wavefront6targetE0EEEvT1_,comdat
	.globl	_ZN7rocprim17ROCPRIM_400000_NS6detail17trampoline_kernelINS0_14default_configENS1_25partition_config_selectorILNS1_17partition_subalgoE9EN6thrust23THRUST_200600_302600_NS4pairIiN12_GLOBAL__N_15EntryEEESA_bEEZZNS1_14partition_implILS5_9ELb0ES3_jNS7_6detail15normal_iteratorINS7_10device_ptrIKSB_EEEENSF_INSG_ISA_EEEEPNS0_10empty_typeENS0_5tupleIJNSF_INSG_ISB_EEEESM_EEENSO_IJSL_SN_EEENS0_18inequality_wrapperINS9_12CompareFirstEEEPmJSM_EEE10hipError_tPvRmT3_T4_T5_T6_T7_T9_mT8_P12ihipStream_tbDpT10_ENKUlT_T0_E_clISt17integral_constantIbLb0EES1F_IbLb1EEEEDaS1B_S1C_EUlS1B_E_NS1_11comp_targetILNS1_3genE4ELNS1_11target_archE910ELNS1_3gpuE8ELNS1_3repE0EEENS1_30default_config_static_selectorELNS0_4arch9wavefront6targetE0EEEvT1_ ; -- Begin function _ZN7rocprim17ROCPRIM_400000_NS6detail17trampoline_kernelINS0_14default_configENS1_25partition_config_selectorILNS1_17partition_subalgoE9EN6thrust23THRUST_200600_302600_NS4pairIiN12_GLOBAL__N_15EntryEEESA_bEEZZNS1_14partition_implILS5_9ELb0ES3_jNS7_6detail15normal_iteratorINS7_10device_ptrIKSB_EEEENSF_INSG_ISA_EEEEPNS0_10empty_typeENS0_5tupleIJNSF_INSG_ISB_EEEESM_EEENSO_IJSL_SN_EEENS0_18inequality_wrapperINS9_12CompareFirstEEEPmJSM_EEE10hipError_tPvRmT3_T4_T5_T6_T7_T9_mT8_P12ihipStream_tbDpT10_ENKUlT_T0_E_clISt17integral_constantIbLb0EES1F_IbLb1EEEEDaS1B_S1C_EUlS1B_E_NS1_11comp_targetILNS1_3genE4ELNS1_11target_archE910ELNS1_3gpuE8ELNS1_3repE0EEENS1_30default_config_static_selectorELNS0_4arch9wavefront6targetE0EEEvT1_
	.p2align	8
	.type	_ZN7rocprim17ROCPRIM_400000_NS6detail17trampoline_kernelINS0_14default_configENS1_25partition_config_selectorILNS1_17partition_subalgoE9EN6thrust23THRUST_200600_302600_NS4pairIiN12_GLOBAL__N_15EntryEEESA_bEEZZNS1_14partition_implILS5_9ELb0ES3_jNS7_6detail15normal_iteratorINS7_10device_ptrIKSB_EEEENSF_INSG_ISA_EEEEPNS0_10empty_typeENS0_5tupleIJNSF_INSG_ISB_EEEESM_EEENSO_IJSL_SN_EEENS0_18inequality_wrapperINS9_12CompareFirstEEEPmJSM_EEE10hipError_tPvRmT3_T4_T5_T6_T7_T9_mT8_P12ihipStream_tbDpT10_ENKUlT_T0_E_clISt17integral_constantIbLb0EES1F_IbLb1EEEEDaS1B_S1C_EUlS1B_E_NS1_11comp_targetILNS1_3genE4ELNS1_11target_archE910ELNS1_3gpuE8ELNS1_3repE0EEENS1_30default_config_static_selectorELNS0_4arch9wavefront6targetE0EEEvT1_,@function
_ZN7rocprim17ROCPRIM_400000_NS6detail17trampoline_kernelINS0_14default_configENS1_25partition_config_selectorILNS1_17partition_subalgoE9EN6thrust23THRUST_200600_302600_NS4pairIiN12_GLOBAL__N_15EntryEEESA_bEEZZNS1_14partition_implILS5_9ELb0ES3_jNS7_6detail15normal_iteratorINS7_10device_ptrIKSB_EEEENSF_INSG_ISA_EEEEPNS0_10empty_typeENS0_5tupleIJNSF_INSG_ISB_EEEESM_EEENSO_IJSL_SN_EEENS0_18inequality_wrapperINS9_12CompareFirstEEEPmJSM_EEE10hipError_tPvRmT3_T4_T5_T6_T7_T9_mT8_P12ihipStream_tbDpT10_ENKUlT_T0_E_clISt17integral_constantIbLb0EES1F_IbLb1EEEEDaS1B_S1C_EUlS1B_E_NS1_11comp_targetILNS1_3genE4ELNS1_11target_archE910ELNS1_3gpuE8ELNS1_3repE0EEENS1_30default_config_static_selectorELNS0_4arch9wavefront6targetE0EEEvT1_: ; @_ZN7rocprim17ROCPRIM_400000_NS6detail17trampoline_kernelINS0_14default_configENS1_25partition_config_selectorILNS1_17partition_subalgoE9EN6thrust23THRUST_200600_302600_NS4pairIiN12_GLOBAL__N_15EntryEEESA_bEEZZNS1_14partition_implILS5_9ELb0ES3_jNS7_6detail15normal_iteratorINS7_10device_ptrIKSB_EEEENSF_INSG_ISA_EEEEPNS0_10empty_typeENS0_5tupleIJNSF_INSG_ISB_EEEESM_EEENSO_IJSL_SN_EEENS0_18inequality_wrapperINS9_12CompareFirstEEEPmJSM_EEE10hipError_tPvRmT3_T4_T5_T6_T7_T9_mT8_P12ihipStream_tbDpT10_ENKUlT_T0_E_clISt17integral_constantIbLb0EES1F_IbLb1EEEEDaS1B_S1C_EUlS1B_E_NS1_11comp_targetILNS1_3genE4ELNS1_11target_archE910ELNS1_3gpuE8ELNS1_3repE0EEENS1_30default_config_static_selectorELNS0_4arch9wavefront6targetE0EEEvT1_
; %bb.0:
	.section	.rodata,"a",@progbits
	.p2align	6, 0x0
	.amdhsa_kernel _ZN7rocprim17ROCPRIM_400000_NS6detail17trampoline_kernelINS0_14default_configENS1_25partition_config_selectorILNS1_17partition_subalgoE9EN6thrust23THRUST_200600_302600_NS4pairIiN12_GLOBAL__N_15EntryEEESA_bEEZZNS1_14partition_implILS5_9ELb0ES3_jNS7_6detail15normal_iteratorINS7_10device_ptrIKSB_EEEENSF_INSG_ISA_EEEEPNS0_10empty_typeENS0_5tupleIJNSF_INSG_ISB_EEEESM_EEENSO_IJSL_SN_EEENS0_18inequality_wrapperINS9_12CompareFirstEEEPmJSM_EEE10hipError_tPvRmT3_T4_T5_T6_T7_T9_mT8_P12ihipStream_tbDpT10_ENKUlT_T0_E_clISt17integral_constantIbLb0EES1F_IbLb1EEEEDaS1B_S1C_EUlS1B_E_NS1_11comp_targetILNS1_3genE4ELNS1_11target_archE910ELNS1_3gpuE8ELNS1_3repE0EEENS1_30default_config_static_selectorELNS0_4arch9wavefront6targetE0EEEvT1_
		.amdhsa_group_segment_fixed_size 0
		.amdhsa_private_segment_fixed_size 0
		.amdhsa_kernarg_size 128
		.amdhsa_user_sgpr_count 15
		.amdhsa_user_sgpr_dispatch_ptr 0
		.amdhsa_user_sgpr_queue_ptr 0
		.amdhsa_user_sgpr_kernarg_segment_ptr 1
		.amdhsa_user_sgpr_dispatch_id 0
		.amdhsa_user_sgpr_private_segment_size 0
		.amdhsa_wavefront_size32 1
		.amdhsa_uses_dynamic_stack 0
		.amdhsa_enable_private_segment 0
		.amdhsa_system_sgpr_workgroup_id_x 1
		.amdhsa_system_sgpr_workgroup_id_y 0
		.amdhsa_system_sgpr_workgroup_id_z 0
		.amdhsa_system_sgpr_workgroup_info 0
		.amdhsa_system_vgpr_workitem_id 0
		.amdhsa_next_free_vgpr 1
		.amdhsa_next_free_sgpr 1
		.amdhsa_reserve_vcc 0
		.amdhsa_float_round_mode_32 0
		.amdhsa_float_round_mode_16_64 0
		.amdhsa_float_denorm_mode_32 3
		.amdhsa_float_denorm_mode_16_64 3
		.amdhsa_dx10_clamp 1
		.amdhsa_ieee_mode 1
		.amdhsa_fp16_overflow 0
		.amdhsa_workgroup_processor_mode 1
		.amdhsa_memory_ordered 1
		.amdhsa_forward_progress 0
		.amdhsa_shared_vgpr_count 0
		.amdhsa_exception_fp_ieee_invalid_op 0
		.amdhsa_exception_fp_denorm_src 0
		.amdhsa_exception_fp_ieee_div_zero 0
		.amdhsa_exception_fp_ieee_overflow 0
		.amdhsa_exception_fp_ieee_underflow 0
		.amdhsa_exception_fp_ieee_inexact 0
		.amdhsa_exception_int_div_zero 0
	.end_amdhsa_kernel
	.section	.text._ZN7rocprim17ROCPRIM_400000_NS6detail17trampoline_kernelINS0_14default_configENS1_25partition_config_selectorILNS1_17partition_subalgoE9EN6thrust23THRUST_200600_302600_NS4pairIiN12_GLOBAL__N_15EntryEEESA_bEEZZNS1_14partition_implILS5_9ELb0ES3_jNS7_6detail15normal_iteratorINS7_10device_ptrIKSB_EEEENSF_INSG_ISA_EEEEPNS0_10empty_typeENS0_5tupleIJNSF_INSG_ISB_EEEESM_EEENSO_IJSL_SN_EEENS0_18inequality_wrapperINS9_12CompareFirstEEEPmJSM_EEE10hipError_tPvRmT3_T4_T5_T6_T7_T9_mT8_P12ihipStream_tbDpT10_ENKUlT_T0_E_clISt17integral_constantIbLb0EES1F_IbLb1EEEEDaS1B_S1C_EUlS1B_E_NS1_11comp_targetILNS1_3genE4ELNS1_11target_archE910ELNS1_3gpuE8ELNS1_3repE0EEENS1_30default_config_static_selectorELNS0_4arch9wavefront6targetE0EEEvT1_,"axG",@progbits,_ZN7rocprim17ROCPRIM_400000_NS6detail17trampoline_kernelINS0_14default_configENS1_25partition_config_selectorILNS1_17partition_subalgoE9EN6thrust23THRUST_200600_302600_NS4pairIiN12_GLOBAL__N_15EntryEEESA_bEEZZNS1_14partition_implILS5_9ELb0ES3_jNS7_6detail15normal_iteratorINS7_10device_ptrIKSB_EEEENSF_INSG_ISA_EEEEPNS0_10empty_typeENS0_5tupleIJNSF_INSG_ISB_EEEESM_EEENSO_IJSL_SN_EEENS0_18inequality_wrapperINS9_12CompareFirstEEEPmJSM_EEE10hipError_tPvRmT3_T4_T5_T6_T7_T9_mT8_P12ihipStream_tbDpT10_ENKUlT_T0_E_clISt17integral_constantIbLb0EES1F_IbLb1EEEEDaS1B_S1C_EUlS1B_E_NS1_11comp_targetILNS1_3genE4ELNS1_11target_archE910ELNS1_3gpuE8ELNS1_3repE0EEENS1_30default_config_static_selectorELNS0_4arch9wavefront6targetE0EEEvT1_,comdat
.Lfunc_end1330:
	.size	_ZN7rocprim17ROCPRIM_400000_NS6detail17trampoline_kernelINS0_14default_configENS1_25partition_config_selectorILNS1_17partition_subalgoE9EN6thrust23THRUST_200600_302600_NS4pairIiN12_GLOBAL__N_15EntryEEESA_bEEZZNS1_14partition_implILS5_9ELb0ES3_jNS7_6detail15normal_iteratorINS7_10device_ptrIKSB_EEEENSF_INSG_ISA_EEEEPNS0_10empty_typeENS0_5tupleIJNSF_INSG_ISB_EEEESM_EEENSO_IJSL_SN_EEENS0_18inequality_wrapperINS9_12CompareFirstEEEPmJSM_EEE10hipError_tPvRmT3_T4_T5_T6_T7_T9_mT8_P12ihipStream_tbDpT10_ENKUlT_T0_E_clISt17integral_constantIbLb0EES1F_IbLb1EEEEDaS1B_S1C_EUlS1B_E_NS1_11comp_targetILNS1_3genE4ELNS1_11target_archE910ELNS1_3gpuE8ELNS1_3repE0EEENS1_30default_config_static_selectorELNS0_4arch9wavefront6targetE0EEEvT1_, .Lfunc_end1330-_ZN7rocprim17ROCPRIM_400000_NS6detail17trampoline_kernelINS0_14default_configENS1_25partition_config_selectorILNS1_17partition_subalgoE9EN6thrust23THRUST_200600_302600_NS4pairIiN12_GLOBAL__N_15EntryEEESA_bEEZZNS1_14partition_implILS5_9ELb0ES3_jNS7_6detail15normal_iteratorINS7_10device_ptrIKSB_EEEENSF_INSG_ISA_EEEEPNS0_10empty_typeENS0_5tupleIJNSF_INSG_ISB_EEEESM_EEENSO_IJSL_SN_EEENS0_18inequality_wrapperINS9_12CompareFirstEEEPmJSM_EEE10hipError_tPvRmT3_T4_T5_T6_T7_T9_mT8_P12ihipStream_tbDpT10_ENKUlT_T0_E_clISt17integral_constantIbLb0EES1F_IbLb1EEEEDaS1B_S1C_EUlS1B_E_NS1_11comp_targetILNS1_3genE4ELNS1_11target_archE910ELNS1_3gpuE8ELNS1_3repE0EEENS1_30default_config_static_selectorELNS0_4arch9wavefront6targetE0EEEvT1_
                                        ; -- End function
	.section	.AMDGPU.csdata,"",@progbits
; Kernel info:
; codeLenInByte = 0
; NumSgprs: 0
; NumVgprs: 0
; ScratchSize: 0
; MemoryBound: 0
; FloatMode: 240
; IeeeMode: 1
; LDSByteSize: 0 bytes/workgroup (compile time only)
; SGPRBlocks: 0
; VGPRBlocks: 0
; NumSGPRsForWavesPerEU: 1
; NumVGPRsForWavesPerEU: 1
; Occupancy: 16
; WaveLimiterHint : 0
; COMPUTE_PGM_RSRC2:SCRATCH_EN: 0
; COMPUTE_PGM_RSRC2:USER_SGPR: 15
; COMPUTE_PGM_RSRC2:TRAP_HANDLER: 0
; COMPUTE_PGM_RSRC2:TGID_X_EN: 1
; COMPUTE_PGM_RSRC2:TGID_Y_EN: 0
; COMPUTE_PGM_RSRC2:TGID_Z_EN: 0
; COMPUTE_PGM_RSRC2:TIDIG_COMP_CNT: 0
	.section	.text._ZN7rocprim17ROCPRIM_400000_NS6detail17trampoline_kernelINS0_14default_configENS1_25partition_config_selectorILNS1_17partition_subalgoE9EN6thrust23THRUST_200600_302600_NS4pairIiN12_GLOBAL__N_15EntryEEESA_bEEZZNS1_14partition_implILS5_9ELb0ES3_jNS7_6detail15normal_iteratorINS7_10device_ptrIKSB_EEEENSF_INSG_ISA_EEEEPNS0_10empty_typeENS0_5tupleIJNSF_INSG_ISB_EEEESM_EEENSO_IJSL_SN_EEENS0_18inequality_wrapperINS9_12CompareFirstEEEPmJSM_EEE10hipError_tPvRmT3_T4_T5_T6_T7_T9_mT8_P12ihipStream_tbDpT10_ENKUlT_T0_E_clISt17integral_constantIbLb0EES1F_IbLb1EEEEDaS1B_S1C_EUlS1B_E_NS1_11comp_targetILNS1_3genE3ELNS1_11target_archE908ELNS1_3gpuE7ELNS1_3repE0EEENS1_30default_config_static_selectorELNS0_4arch9wavefront6targetE0EEEvT1_,"axG",@progbits,_ZN7rocprim17ROCPRIM_400000_NS6detail17trampoline_kernelINS0_14default_configENS1_25partition_config_selectorILNS1_17partition_subalgoE9EN6thrust23THRUST_200600_302600_NS4pairIiN12_GLOBAL__N_15EntryEEESA_bEEZZNS1_14partition_implILS5_9ELb0ES3_jNS7_6detail15normal_iteratorINS7_10device_ptrIKSB_EEEENSF_INSG_ISA_EEEEPNS0_10empty_typeENS0_5tupleIJNSF_INSG_ISB_EEEESM_EEENSO_IJSL_SN_EEENS0_18inequality_wrapperINS9_12CompareFirstEEEPmJSM_EEE10hipError_tPvRmT3_T4_T5_T6_T7_T9_mT8_P12ihipStream_tbDpT10_ENKUlT_T0_E_clISt17integral_constantIbLb0EES1F_IbLb1EEEEDaS1B_S1C_EUlS1B_E_NS1_11comp_targetILNS1_3genE3ELNS1_11target_archE908ELNS1_3gpuE7ELNS1_3repE0EEENS1_30default_config_static_selectorELNS0_4arch9wavefront6targetE0EEEvT1_,comdat
	.globl	_ZN7rocprim17ROCPRIM_400000_NS6detail17trampoline_kernelINS0_14default_configENS1_25partition_config_selectorILNS1_17partition_subalgoE9EN6thrust23THRUST_200600_302600_NS4pairIiN12_GLOBAL__N_15EntryEEESA_bEEZZNS1_14partition_implILS5_9ELb0ES3_jNS7_6detail15normal_iteratorINS7_10device_ptrIKSB_EEEENSF_INSG_ISA_EEEEPNS0_10empty_typeENS0_5tupleIJNSF_INSG_ISB_EEEESM_EEENSO_IJSL_SN_EEENS0_18inequality_wrapperINS9_12CompareFirstEEEPmJSM_EEE10hipError_tPvRmT3_T4_T5_T6_T7_T9_mT8_P12ihipStream_tbDpT10_ENKUlT_T0_E_clISt17integral_constantIbLb0EES1F_IbLb1EEEEDaS1B_S1C_EUlS1B_E_NS1_11comp_targetILNS1_3genE3ELNS1_11target_archE908ELNS1_3gpuE7ELNS1_3repE0EEENS1_30default_config_static_selectorELNS0_4arch9wavefront6targetE0EEEvT1_ ; -- Begin function _ZN7rocprim17ROCPRIM_400000_NS6detail17trampoline_kernelINS0_14default_configENS1_25partition_config_selectorILNS1_17partition_subalgoE9EN6thrust23THRUST_200600_302600_NS4pairIiN12_GLOBAL__N_15EntryEEESA_bEEZZNS1_14partition_implILS5_9ELb0ES3_jNS7_6detail15normal_iteratorINS7_10device_ptrIKSB_EEEENSF_INSG_ISA_EEEEPNS0_10empty_typeENS0_5tupleIJNSF_INSG_ISB_EEEESM_EEENSO_IJSL_SN_EEENS0_18inequality_wrapperINS9_12CompareFirstEEEPmJSM_EEE10hipError_tPvRmT3_T4_T5_T6_T7_T9_mT8_P12ihipStream_tbDpT10_ENKUlT_T0_E_clISt17integral_constantIbLb0EES1F_IbLb1EEEEDaS1B_S1C_EUlS1B_E_NS1_11comp_targetILNS1_3genE3ELNS1_11target_archE908ELNS1_3gpuE7ELNS1_3repE0EEENS1_30default_config_static_selectorELNS0_4arch9wavefront6targetE0EEEvT1_
	.p2align	8
	.type	_ZN7rocprim17ROCPRIM_400000_NS6detail17trampoline_kernelINS0_14default_configENS1_25partition_config_selectorILNS1_17partition_subalgoE9EN6thrust23THRUST_200600_302600_NS4pairIiN12_GLOBAL__N_15EntryEEESA_bEEZZNS1_14partition_implILS5_9ELb0ES3_jNS7_6detail15normal_iteratorINS7_10device_ptrIKSB_EEEENSF_INSG_ISA_EEEEPNS0_10empty_typeENS0_5tupleIJNSF_INSG_ISB_EEEESM_EEENSO_IJSL_SN_EEENS0_18inequality_wrapperINS9_12CompareFirstEEEPmJSM_EEE10hipError_tPvRmT3_T4_T5_T6_T7_T9_mT8_P12ihipStream_tbDpT10_ENKUlT_T0_E_clISt17integral_constantIbLb0EES1F_IbLb1EEEEDaS1B_S1C_EUlS1B_E_NS1_11comp_targetILNS1_3genE3ELNS1_11target_archE908ELNS1_3gpuE7ELNS1_3repE0EEENS1_30default_config_static_selectorELNS0_4arch9wavefront6targetE0EEEvT1_,@function
_ZN7rocprim17ROCPRIM_400000_NS6detail17trampoline_kernelINS0_14default_configENS1_25partition_config_selectorILNS1_17partition_subalgoE9EN6thrust23THRUST_200600_302600_NS4pairIiN12_GLOBAL__N_15EntryEEESA_bEEZZNS1_14partition_implILS5_9ELb0ES3_jNS7_6detail15normal_iteratorINS7_10device_ptrIKSB_EEEENSF_INSG_ISA_EEEEPNS0_10empty_typeENS0_5tupleIJNSF_INSG_ISB_EEEESM_EEENSO_IJSL_SN_EEENS0_18inequality_wrapperINS9_12CompareFirstEEEPmJSM_EEE10hipError_tPvRmT3_T4_T5_T6_T7_T9_mT8_P12ihipStream_tbDpT10_ENKUlT_T0_E_clISt17integral_constantIbLb0EES1F_IbLb1EEEEDaS1B_S1C_EUlS1B_E_NS1_11comp_targetILNS1_3genE3ELNS1_11target_archE908ELNS1_3gpuE7ELNS1_3repE0EEENS1_30default_config_static_selectorELNS0_4arch9wavefront6targetE0EEEvT1_: ; @_ZN7rocprim17ROCPRIM_400000_NS6detail17trampoline_kernelINS0_14default_configENS1_25partition_config_selectorILNS1_17partition_subalgoE9EN6thrust23THRUST_200600_302600_NS4pairIiN12_GLOBAL__N_15EntryEEESA_bEEZZNS1_14partition_implILS5_9ELb0ES3_jNS7_6detail15normal_iteratorINS7_10device_ptrIKSB_EEEENSF_INSG_ISA_EEEEPNS0_10empty_typeENS0_5tupleIJNSF_INSG_ISB_EEEESM_EEENSO_IJSL_SN_EEENS0_18inequality_wrapperINS9_12CompareFirstEEEPmJSM_EEE10hipError_tPvRmT3_T4_T5_T6_T7_T9_mT8_P12ihipStream_tbDpT10_ENKUlT_T0_E_clISt17integral_constantIbLb0EES1F_IbLb1EEEEDaS1B_S1C_EUlS1B_E_NS1_11comp_targetILNS1_3genE3ELNS1_11target_archE908ELNS1_3gpuE7ELNS1_3repE0EEENS1_30default_config_static_selectorELNS0_4arch9wavefront6targetE0EEEvT1_
; %bb.0:
	.section	.rodata,"a",@progbits
	.p2align	6, 0x0
	.amdhsa_kernel _ZN7rocprim17ROCPRIM_400000_NS6detail17trampoline_kernelINS0_14default_configENS1_25partition_config_selectorILNS1_17partition_subalgoE9EN6thrust23THRUST_200600_302600_NS4pairIiN12_GLOBAL__N_15EntryEEESA_bEEZZNS1_14partition_implILS5_9ELb0ES3_jNS7_6detail15normal_iteratorINS7_10device_ptrIKSB_EEEENSF_INSG_ISA_EEEEPNS0_10empty_typeENS0_5tupleIJNSF_INSG_ISB_EEEESM_EEENSO_IJSL_SN_EEENS0_18inequality_wrapperINS9_12CompareFirstEEEPmJSM_EEE10hipError_tPvRmT3_T4_T5_T6_T7_T9_mT8_P12ihipStream_tbDpT10_ENKUlT_T0_E_clISt17integral_constantIbLb0EES1F_IbLb1EEEEDaS1B_S1C_EUlS1B_E_NS1_11comp_targetILNS1_3genE3ELNS1_11target_archE908ELNS1_3gpuE7ELNS1_3repE0EEENS1_30default_config_static_selectorELNS0_4arch9wavefront6targetE0EEEvT1_
		.amdhsa_group_segment_fixed_size 0
		.amdhsa_private_segment_fixed_size 0
		.amdhsa_kernarg_size 128
		.amdhsa_user_sgpr_count 15
		.amdhsa_user_sgpr_dispatch_ptr 0
		.amdhsa_user_sgpr_queue_ptr 0
		.amdhsa_user_sgpr_kernarg_segment_ptr 1
		.amdhsa_user_sgpr_dispatch_id 0
		.amdhsa_user_sgpr_private_segment_size 0
		.amdhsa_wavefront_size32 1
		.amdhsa_uses_dynamic_stack 0
		.amdhsa_enable_private_segment 0
		.amdhsa_system_sgpr_workgroup_id_x 1
		.amdhsa_system_sgpr_workgroup_id_y 0
		.amdhsa_system_sgpr_workgroup_id_z 0
		.amdhsa_system_sgpr_workgroup_info 0
		.amdhsa_system_vgpr_workitem_id 0
		.amdhsa_next_free_vgpr 1
		.amdhsa_next_free_sgpr 1
		.amdhsa_reserve_vcc 0
		.amdhsa_float_round_mode_32 0
		.amdhsa_float_round_mode_16_64 0
		.amdhsa_float_denorm_mode_32 3
		.amdhsa_float_denorm_mode_16_64 3
		.amdhsa_dx10_clamp 1
		.amdhsa_ieee_mode 1
		.amdhsa_fp16_overflow 0
		.amdhsa_workgroup_processor_mode 1
		.amdhsa_memory_ordered 1
		.amdhsa_forward_progress 0
		.amdhsa_shared_vgpr_count 0
		.amdhsa_exception_fp_ieee_invalid_op 0
		.amdhsa_exception_fp_denorm_src 0
		.amdhsa_exception_fp_ieee_div_zero 0
		.amdhsa_exception_fp_ieee_overflow 0
		.amdhsa_exception_fp_ieee_underflow 0
		.amdhsa_exception_fp_ieee_inexact 0
		.amdhsa_exception_int_div_zero 0
	.end_amdhsa_kernel
	.section	.text._ZN7rocprim17ROCPRIM_400000_NS6detail17trampoline_kernelINS0_14default_configENS1_25partition_config_selectorILNS1_17partition_subalgoE9EN6thrust23THRUST_200600_302600_NS4pairIiN12_GLOBAL__N_15EntryEEESA_bEEZZNS1_14partition_implILS5_9ELb0ES3_jNS7_6detail15normal_iteratorINS7_10device_ptrIKSB_EEEENSF_INSG_ISA_EEEEPNS0_10empty_typeENS0_5tupleIJNSF_INSG_ISB_EEEESM_EEENSO_IJSL_SN_EEENS0_18inequality_wrapperINS9_12CompareFirstEEEPmJSM_EEE10hipError_tPvRmT3_T4_T5_T6_T7_T9_mT8_P12ihipStream_tbDpT10_ENKUlT_T0_E_clISt17integral_constantIbLb0EES1F_IbLb1EEEEDaS1B_S1C_EUlS1B_E_NS1_11comp_targetILNS1_3genE3ELNS1_11target_archE908ELNS1_3gpuE7ELNS1_3repE0EEENS1_30default_config_static_selectorELNS0_4arch9wavefront6targetE0EEEvT1_,"axG",@progbits,_ZN7rocprim17ROCPRIM_400000_NS6detail17trampoline_kernelINS0_14default_configENS1_25partition_config_selectorILNS1_17partition_subalgoE9EN6thrust23THRUST_200600_302600_NS4pairIiN12_GLOBAL__N_15EntryEEESA_bEEZZNS1_14partition_implILS5_9ELb0ES3_jNS7_6detail15normal_iteratorINS7_10device_ptrIKSB_EEEENSF_INSG_ISA_EEEEPNS0_10empty_typeENS0_5tupleIJNSF_INSG_ISB_EEEESM_EEENSO_IJSL_SN_EEENS0_18inequality_wrapperINS9_12CompareFirstEEEPmJSM_EEE10hipError_tPvRmT3_T4_T5_T6_T7_T9_mT8_P12ihipStream_tbDpT10_ENKUlT_T0_E_clISt17integral_constantIbLb0EES1F_IbLb1EEEEDaS1B_S1C_EUlS1B_E_NS1_11comp_targetILNS1_3genE3ELNS1_11target_archE908ELNS1_3gpuE7ELNS1_3repE0EEENS1_30default_config_static_selectorELNS0_4arch9wavefront6targetE0EEEvT1_,comdat
.Lfunc_end1331:
	.size	_ZN7rocprim17ROCPRIM_400000_NS6detail17trampoline_kernelINS0_14default_configENS1_25partition_config_selectorILNS1_17partition_subalgoE9EN6thrust23THRUST_200600_302600_NS4pairIiN12_GLOBAL__N_15EntryEEESA_bEEZZNS1_14partition_implILS5_9ELb0ES3_jNS7_6detail15normal_iteratorINS7_10device_ptrIKSB_EEEENSF_INSG_ISA_EEEEPNS0_10empty_typeENS0_5tupleIJNSF_INSG_ISB_EEEESM_EEENSO_IJSL_SN_EEENS0_18inequality_wrapperINS9_12CompareFirstEEEPmJSM_EEE10hipError_tPvRmT3_T4_T5_T6_T7_T9_mT8_P12ihipStream_tbDpT10_ENKUlT_T0_E_clISt17integral_constantIbLb0EES1F_IbLb1EEEEDaS1B_S1C_EUlS1B_E_NS1_11comp_targetILNS1_3genE3ELNS1_11target_archE908ELNS1_3gpuE7ELNS1_3repE0EEENS1_30default_config_static_selectorELNS0_4arch9wavefront6targetE0EEEvT1_, .Lfunc_end1331-_ZN7rocprim17ROCPRIM_400000_NS6detail17trampoline_kernelINS0_14default_configENS1_25partition_config_selectorILNS1_17partition_subalgoE9EN6thrust23THRUST_200600_302600_NS4pairIiN12_GLOBAL__N_15EntryEEESA_bEEZZNS1_14partition_implILS5_9ELb0ES3_jNS7_6detail15normal_iteratorINS7_10device_ptrIKSB_EEEENSF_INSG_ISA_EEEEPNS0_10empty_typeENS0_5tupleIJNSF_INSG_ISB_EEEESM_EEENSO_IJSL_SN_EEENS0_18inequality_wrapperINS9_12CompareFirstEEEPmJSM_EEE10hipError_tPvRmT3_T4_T5_T6_T7_T9_mT8_P12ihipStream_tbDpT10_ENKUlT_T0_E_clISt17integral_constantIbLb0EES1F_IbLb1EEEEDaS1B_S1C_EUlS1B_E_NS1_11comp_targetILNS1_3genE3ELNS1_11target_archE908ELNS1_3gpuE7ELNS1_3repE0EEENS1_30default_config_static_selectorELNS0_4arch9wavefront6targetE0EEEvT1_
                                        ; -- End function
	.section	.AMDGPU.csdata,"",@progbits
; Kernel info:
; codeLenInByte = 0
; NumSgprs: 0
; NumVgprs: 0
; ScratchSize: 0
; MemoryBound: 0
; FloatMode: 240
; IeeeMode: 1
; LDSByteSize: 0 bytes/workgroup (compile time only)
; SGPRBlocks: 0
; VGPRBlocks: 0
; NumSGPRsForWavesPerEU: 1
; NumVGPRsForWavesPerEU: 1
; Occupancy: 15
; WaveLimiterHint : 0
; COMPUTE_PGM_RSRC2:SCRATCH_EN: 0
; COMPUTE_PGM_RSRC2:USER_SGPR: 15
; COMPUTE_PGM_RSRC2:TRAP_HANDLER: 0
; COMPUTE_PGM_RSRC2:TGID_X_EN: 1
; COMPUTE_PGM_RSRC2:TGID_Y_EN: 0
; COMPUTE_PGM_RSRC2:TGID_Z_EN: 0
; COMPUTE_PGM_RSRC2:TIDIG_COMP_CNT: 0
	.section	.text._ZN7rocprim17ROCPRIM_400000_NS6detail17trampoline_kernelINS0_14default_configENS1_25partition_config_selectorILNS1_17partition_subalgoE9EN6thrust23THRUST_200600_302600_NS4pairIiN12_GLOBAL__N_15EntryEEESA_bEEZZNS1_14partition_implILS5_9ELb0ES3_jNS7_6detail15normal_iteratorINS7_10device_ptrIKSB_EEEENSF_INSG_ISA_EEEEPNS0_10empty_typeENS0_5tupleIJNSF_INSG_ISB_EEEESM_EEENSO_IJSL_SN_EEENS0_18inequality_wrapperINS9_12CompareFirstEEEPmJSM_EEE10hipError_tPvRmT3_T4_T5_T6_T7_T9_mT8_P12ihipStream_tbDpT10_ENKUlT_T0_E_clISt17integral_constantIbLb0EES1F_IbLb1EEEEDaS1B_S1C_EUlS1B_E_NS1_11comp_targetILNS1_3genE2ELNS1_11target_archE906ELNS1_3gpuE6ELNS1_3repE0EEENS1_30default_config_static_selectorELNS0_4arch9wavefront6targetE0EEEvT1_,"axG",@progbits,_ZN7rocprim17ROCPRIM_400000_NS6detail17trampoline_kernelINS0_14default_configENS1_25partition_config_selectorILNS1_17partition_subalgoE9EN6thrust23THRUST_200600_302600_NS4pairIiN12_GLOBAL__N_15EntryEEESA_bEEZZNS1_14partition_implILS5_9ELb0ES3_jNS7_6detail15normal_iteratorINS7_10device_ptrIKSB_EEEENSF_INSG_ISA_EEEEPNS0_10empty_typeENS0_5tupleIJNSF_INSG_ISB_EEEESM_EEENSO_IJSL_SN_EEENS0_18inequality_wrapperINS9_12CompareFirstEEEPmJSM_EEE10hipError_tPvRmT3_T4_T5_T6_T7_T9_mT8_P12ihipStream_tbDpT10_ENKUlT_T0_E_clISt17integral_constantIbLb0EES1F_IbLb1EEEEDaS1B_S1C_EUlS1B_E_NS1_11comp_targetILNS1_3genE2ELNS1_11target_archE906ELNS1_3gpuE6ELNS1_3repE0EEENS1_30default_config_static_selectorELNS0_4arch9wavefront6targetE0EEEvT1_,comdat
	.globl	_ZN7rocprim17ROCPRIM_400000_NS6detail17trampoline_kernelINS0_14default_configENS1_25partition_config_selectorILNS1_17partition_subalgoE9EN6thrust23THRUST_200600_302600_NS4pairIiN12_GLOBAL__N_15EntryEEESA_bEEZZNS1_14partition_implILS5_9ELb0ES3_jNS7_6detail15normal_iteratorINS7_10device_ptrIKSB_EEEENSF_INSG_ISA_EEEEPNS0_10empty_typeENS0_5tupleIJNSF_INSG_ISB_EEEESM_EEENSO_IJSL_SN_EEENS0_18inequality_wrapperINS9_12CompareFirstEEEPmJSM_EEE10hipError_tPvRmT3_T4_T5_T6_T7_T9_mT8_P12ihipStream_tbDpT10_ENKUlT_T0_E_clISt17integral_constantIbLb0EES1F_IbLb1EEEEDaS1B_S1C_EUlS1B_E_NS1_11comp_targetILNS1_3genE2ELNS1_11target_archE906ELNS1_3gpuE6ELNS1_3repE0EEENS1_30default_config_static_selectorELNS0_4arch9wavefront6targetE0EEEvT1_ ; -- Begin function _ZN7rocprim17ROCPRIM_400000_NS6detail17trampoline_kernelINS0_14default_configENS1_25partition_config_selectorILNS1_17partition_subalgoE9EN6thrust23THRUST_200600_302600_NS4pairIiN12_GLOBAL__N_15EntryEEESA_bEEZZNS1_14partition_implILS5_9ELb0ES3_jNS7_6detail15normal_iteratorINS7_10device_ptrIKSB_EEEENSF_INSG_ISA_EEEEPNS0_10empty_typeENS0_5tupleIJNSF_INSG_ISB_EEEESM_EEENSO_IJSL_SN_EEENS0_18inequality_wrapperINS9_12CompareFirstEEEPmJSM_EEE10hipError_tPvRmT3_T4_T5_T6_T7_T9_mT8_P12ihipStream_tbDpT10_ENKUlT_T0_E_clISt17integral_constantIbLb0EES1F_IbLb1EEEEDaS1B_S1C_EUlS1B_E_NS1_11comp_targetILNS1_3genE2ELNS1_11target_archE906ELNS1_3gpuE6ELNS1_3repE0EEENS1_30default_config_static_selectorELNS0_4arch9wavefront6targetE0EEEvT1_
	.p2align	8
	.type	_ZN7rocprim17ROCPRIM_400000_NS6detail17trampoline_kernelINS0_14default_configENS1_25partition_config_selectorILNS1_17partition_subalgoE9EN6thrust23THRUST_200600_302600_NS4pairIiN12_GLOBAL__N_15EntryEEESA_bEEZZNS1_14partition_implILS5_9ELb0ES3_jNS7_6detail15normal_iteratorINS7_10device_ptrIKSB_EEEENSF_INSG_ISA_EEEEPNS0_10empty_typeENS0_5tupleIJNSF_INSG_ISB_EEEESM_EEENSO_IJSL_SN_EEENS0_18inequality_wrapperINS9_12CompareFirstEEEPmJSM_EEE10hipError_tPvRmT3_T4_T5_T6_T7_T9_mT8_P12ihipStream_tbDpT10_ENKUlT_T0_E_clISt17integral_constantIbLb0EES1F_IbLb1EEEEDaS1B_S1C_EUlS1B_E_NS1_11comp_targetILNS1_3genE2ELNS1_11target_archE906ELNS1_3gpuE6ELNS1_3repE0EEENS1_30default_config_static_selectorELNS0_4arch9wavefront6targetE0EEEvT1_,@function
_ZN7rocprim17ROCPRIM_400000_NS6detail17trampoline_kernelINS0_14default_configENS1_25partition_config_selectorILNS1_17partition_subalgoE9EN6thrust23THRUST_200600_302600_NS4pairIiN12_GLOBAL__N_15EntryEEESA_bEEZZNS1_14partition_implILS5_9ELb0ES3_jNS7_6detail15normal_iteratorINS7_10device_ptrIKSB_EEEENSF_INSG_ISA_EEEEPNS0_10empty_typeENS0_5tupleIJNSF_INSG_ISB_EEEESM_EEENSO_IJSL_SN_EEENS0_18inequality_wrapperINS9_12CompareFirstEEEPmJSM_EEE10hipError_tPvRmT3_T4_T5_T6_T7_T9_mT8_P12ihipStream_tbDpT10_ENKUlT_T0_E_clISt17integral_constantIbLb0EES1F_IbLb1EEEEDaS1B_S1C_EUlS1B_E_NS1_11comp_targetILNS1_3genE2ELNS1_11target_archE906ELNS1_3gpuE6ELNS1_3repE0EEENS1_30default_config_static_selectorELNS0_4arch9wavefront6targetE0EEEvT1_: ; @_ZN7rocprim17ROCPRIM_400000_NS6detail17trampoline_kernelINS0_14default_configENS1_25partition_config_selectorILNS1_17partition_subalgoE9EN6thrust23THRUST_200600_302600_NS4pairIiN12_GLOBAL__N_15EntryEEESA_bEEZZNS1_14partition_implILS5_9ELb0ES3_jNS7_6detail15normal_iteratorINS7_10device_ptrIKSB_EEEENSF_INSG_ISA_EEEEPNS0_10empty_typeENS0_5tupleIJNSF_INSG_ISB_EEEESM_EEENSO_IJSL_SN_EEENS0_18inequality_wrapperINS9_12CompareFirstEEEPmJSM_EEE10hipError_tPvRmT3_T4_T5_T6_T7_T9_mT8_P12ihipStream_tbDpT10_ENKUlT_T0_E_clISt17integral_constantIbLb0EES1F_IbLb1EEEEDaS1B_S1C_EUlS1B_E_NS1_11comp_targetILNS1_3genE2ELNS1_11target_archE906ELNS1_3gpuE6ELNS1_3repE0EEENS1_30default_config_static_selectorELNS0_4arch9wavefront6targetE0EEEvT1_
; %bb.0:
	.section	.rodata,"a",@progbits
	.p2align	6, 0x0
	.amdhsa_kernel _ZN7rocprim17ROCPRIM_400000_NS6detail17trampoline_kernelINS0_14default_configENS1_25partition_config_selectorILNS1_17partition_subalgoE9EN6thrust23THRUST_200600_302600_NS4pairIiN12_GLOBAL__N_15EntryEEESA_bEEZZNS1_14partition_implILS5_9ELb0ES3_jNS7_6detail15normal_iteratorINS7_10device_ptrIKSB_EEEENSF_INSG_ISA_EEEEPNS0_10empty_typeENS0_5tupleIJNSF_INSG_ISB_EEEESM_EEENSO_IJSL_SN_EEENS0_18inequality_wrapperINS9_12CompareFirstEEEPmJSM_EEE10hipError_tPvRmT3_T4_T5_T6_T7_T9_mT8_P12ihipStream_tbDpT10_ENKUlT_T0_E_clISt17integral_constantIbLb0EES1F_IbLb1EEEEDaS1B_S1C_EUlS1B_E_NS1_11comp_targetILNS1_3genE2ELNS1_11target_archE906ELNS1_3gpuE6ELNS1_3repE0EEENS1_30default_config_static_selectorELNS0_4arch9wavefront6targetE0EEEvT1_
		.amdhsa_group_segment_fixed_size 0
		.amdhsa_private_segment_fixed_size 0
		.amdhsa_kernarg_size 128
		.amdhsa_user_sgpr_count 15
		.amdhsa_user_sgpr_dispatch_ptr 0
		.amdhsa_user_sgpr_queue_ptr 0
		.amdhsa_user_sgpr_kernarg_segment_ptr 1
		.amdhsa_user_sgpr_dispatch_id 0
		.amdhsa_user_sgpr_private_segment_size 0
		.amdhsa_wavefront_size32 1
		.amdhsa_uses_dynamic_stack 0
		.amdhsa_enable_private_segment 0
		.amdhsa_system_sgpr_workgroup_id_x 1
		.amdhsa_system_sgpr_workgroup_id_y 0
		.amdhsa_system_sgpr_workgroup_id_z 0
		.amdhsa_system_sgpr_workgroup_info 0
		.amdhsa_system_vgpr_workitem_id 0
		.amdhsa_next_free_vgpr 1
		.amdhsa_next_free_sgpr 1
		.amdhsa_reserve_vcc 0
		.amdhsa_float_round_mode_32 0
		.amdhsa_float_round_mode_16_64 0
		.amdhsa_float_denorm_mode_32 3
		.amdhsa_float_denorm_mode_16_64 3
		.amdhsa_dx10_clamp 1
		.amdhsa_ieee_mode 1
		.amdhsa_fp16_overflow 0
		.amdhsa_workgroup_processor_mode 1
		.amdhsa_memory_ordered 1
		.amdhsa_forward_progress 0
		.amdhsa_shared_vgpr_count 0
		.amdhsa_exception_fp_ieee_invalid_op 0
		.amdhsa_exception_fp_denorm_src 0
		.amdhsa_exception_fp_ieee_div_zero 0
		.amdhsa_exception_fp_ieee_overflow 0
		.amdhsa_exception_fp_ieee_underflow 0
		.amdhsa_exception_fp_ieee_inexact 0
		.amdhsa_exception_int_div_zero 0
	.end_amdhsa_kernel
	.section	.text._ZN7rocprim17ROCPRIM_400000_NS6detail17trampoline_kernelINS0_14default_configENS1_25partition_config_selectorILNS1_17partition_subalgoE9EN6thrust23THRUST_200600_302600_NS4pairIiN12_GLOBAL__N_15EntryEEESA_bEEZZNS1_14partition_implILS5_9ELb0ES3_jNS7_6detail15normal_iteratorINS7_10device_ptrIKSB_EEEENSF_INSG_ISA_EEEEPNS0_10empty_typeENS0_5tupleIJNSF_INSG_ISB_EEEESM_EEENSO_IJSL_SN_EEENS0_18inequality_wrapperINS9_12CompareFirstEEEPmJSM_EEE10hipError_tPvRmT3_T4_T5_T6_T7_T9_mT8_P12ihipStream_tbDpT10_ENKUlT_T0_E_clISt17integral_constantIbLb0EES1F_IbLb1EEEEDaS1B_S1C_EUlS1B_E_NS1_11comp_targetILNS1_3genE2ELNS1_11target_archE906ELNS1_3gpuE6ELNS1_3repE0EEENS1_30default_config_static_selectorELNS0_4arch9wavefront6targetE0EEEvT1_,"axG",@progbits,_ZN7rocprim17ROCPRIM_400000_NS6detail17trampoline_kernelINS0_14default_configENS1_25partition_config_selectorILNS1_17partition_subalgoE9EN6thrust23THRUST_200600_302600_NS4pairIiN12_GLOBAL__N_15EntryEEESA_bEEZZNS1_14partition_implILS5_9ELb0ES3_jNS7_6detail15normal_iteratorINS7_10device_ptrIKSB_EEEENSF_INSG_ISA_EEEEPNS0_10empty_typeENS0_5tupleIJNSF_INSG_ISB_EEEESM_EEENSO_IJSL_SN_EEENS0_18inequality_wrapperINS9_12CompareFirstEEEPmJSM_EEE10hipError_tPvRmT3_T4_T5_T6_T7_T9_mT8_P12ihipStream_tbDpT10_ENKUlT_T0_E_clISt17integral_constantIbLb0EES1F_IbLb1EEEEDaS1B_S1C_EUlS1B_E_NS1_11comp_targetILNS1_3genE2ELNS1_11target_archE906ELNS1_3gpuE6ELNS1_3repE0EEENS1_30default_config_static_selectorELNS0_4arch9wavefront6targetE0EEEvT1_,comdat
.Lfunc_end1332:
	.size	_ZN7rocprim17ROCPRIM_400000_NS6detail17trampoline_kernelINS0_14default_configENS1_25partition_config_selectorILNS1_17partition_subalgoE9EN6thrust23THRUST_200600_302600_NS4pairIiN12_GLOBAL__N_15EntryEEESA_bEEZZNS1_14partition_implILS5_9ELb0ES3_jNS7_6detail15normal_iteratorINS7_10device_ptrIKSB_EEEENSF_INSG_ISA_EEEEPNS0_10empty_typeENS0_5tupleIJNSF_INSG_ISB_EEEESM_EEENSO_IJSL_SN_EEENS0_18inequality_wrapperINS9_12CompareFirstEEEPmJSM_EEE10hipError_tPvRmT3_T4_T5_T6_T7_T9_mT8_P12ihipStream_tbDpT10_ENKUlT_T0_E_clISt17integral_constantIbLb0EES1F_IbLb1EEEEDaS1B_S1C_EUlS1B_E_NS1_11comp_targetILNS1_3genE2ELNS1_11target_archE906ELNS1_3gpuE6ELNS1_3repE0EEENS1_30default_config_static_selectorELNS0_4arch9wavefront6targetE0EEEvT1_, .Lfunc_end1332-_ZN7rocprim17ROCPRIM_400000_NS6detail17trampoline_kernelINS0_14default_configENS1_25partition_config_selectorILNS1_17partition_subalgoE9EN6thrust23THRUST_200600_302600_NS4pairIiN12_GLOBAL__N_15EntryEEESA_bEEZZNS1_14partition_implILS5_9ELb0ES3_jNS7_6detail15normal_iteratorINS7_10device_ptrIKSB_EEEENSF_INSG_ISA_EEEEPNS0_10empty_typeENS0_5tupleIJNSF_INSG_ISB_EEEESM_EEENSO_IJSL_SN_EEENS0_18inequality_wrapperINS9_12CompareFirstEEEPmJSM_EEE10hipError_tPvRmT3_T4_T5_T6_T7_T9_mT8_P12ihipStream_tbDpT10_ENKUlT_T0_E_clISt17integral_constantIbLb0EES1F_IbLb1EEEEDaS1B_S1C_EUlS1B_E_NS1_11comp_targetILNS1_3genE2ELNS1_11target_archE906ELNS1_3gpuE6ELNS1_3repE0EEENS1_30default_config_static_selectorELNS0_4arch9wavefront6targetE0EEEvT1_
                                        ; -- End function
	.section	.AMDGPU.csdata,"",@progbits
; Kernel info:
; codeLenInByte = 0
; NumSgprs: 0
; NumVgprs: 0
; ScratchSize: 0
; MemoryBound: 0
; FloatMode: 240
; IeeeMode: 1
; LDSByteSize: 0 bytes/workgroup (compile time only)
; SGPRBlocks: 0
; VGPRBlocks: 0
; NumSGPRsForWavesPerEU: 1
; NumVGPRsForWavesPerEU: 1
; Occupancy: 15
; WaveLimiterHint : 0
; COMPUTE_PGM_RSRC2:SCRATCH_EN: 0
; COMPUTE_PGM_RSRC2:USER_SGPR: 15
; COMPUTE_PGM_RSRC2:TRAP_HANDLER: 0
; COMPUTE_PGM_RSRC2:TGID_X_EN: 1
; COMPUTE_PGM_RSRC2:TGID_Y_EN: 0
; COMPUTE_PGM_RSRC2:TGID_Z_EN: 0
; COMPUTE_PGM_RSRC2:TIDIG_COMP_CNT: 0
	.section	.text._ZN7rocprim17ROCPRIM_400000_NS6detail17trampoline_kernelINS0_14default_configENS1_25partition_config_selectorILNS1_17partition_subalgoE9EN6thrust23THRUST_200600_302600_NS4pairIiN12_GLOBAL__N_15EntryEEESA_bEEZZNS1_14partition_implILS5_9ELb0ES3_jNS7_6detail15normal_iteratorINS7_10device_ptrIKSB_EEEENSF_INSG_ISA_EEEEPNS0_10empty_typeENS0_5tupleIJNSF_INSG_ISB_EEEESM_EEENSO_IJSL_SN_EEENS0_18inequality_wrapperINS9_12CompareFirstEEEPmJSM_EEE10hipError_tPvRmT3_T4_T5_T6_T7_T9_mT8_P12ihipStream_tbDpT10_ENKUlT_T0_E_clISt17integral_constantIbLb0EES1F_IbLb1EEEEDaS1B_S1C_EUlS1B_E_NS1_11comp_targetILNS1_3genE10ELNS1_11target_archE1200ELNS1_3gpuE4ELNS1_3repE0EEENS1_30default_config_static_selectorELNS0_4arch9wavefront6targetE0EEEvT1_,"axG",@progbits,_ZN7rocprim17ROCPRIM_400000_NS6detail17trampoline_kernelINS0_14default_configENS1_25partition_config_selectorILNS1_17partition_subalgoE9EN6thrust23THRUST_200600_302600_NS4pairIiN12_GLOBAL__N_15EntryEEESA_bEEZZNS1_14partition_implILS5_9ELb0ES3_jNS7_6detail15normal_iteratorINS7_10device_ptrIKSB_EEEENSF_INSG_ISA_EEEEPNS0_10empty_typeENS0_5tupleIJNSF_INSG_ISB_EEEESM_EEENSO_IJSL_SN_EEENS0_18inequality_wrapperINS9_12CompareFirstEEEPmJSM_EEE10hipError_tPvRmT3_T4_T5_T6_T7_T9_mT8_P12ihipStream_tbDpT10_ENKUlT_T0_E_clISt17integral_constantIbLb0EES1F_IbLb1EEEEDaS1B_S1C_EUlS1B_E_NS1_11comp_targetILNS1_3genE10ELNS1_11target_archE1200ELNS1_3gpuE4ELNS1_3repE0EEENS1_30default_config_static_selectorELNS0_4arch9wavefront6targetE0EEEvT1_,comdat
	.globl	_ZN7rocprim17ROCPRIM_400000_NS6detail17trampoline_kernelINS0_14default_configENS1_25partition_config_selectorILNS1_17partition_subalgoE9EN6thrust23THRUST_200600_302600_NS4pairIiN12_GLOBAL__N_15EntryEEESA_bEEZZNS1_14partition_implILS5_9ELb0ES3_jNS7_6detail15normal_iteratorINS7_10device_ptrIKSB_EEEENSF_INSG_ISA_EEEEPNS0_10empty_typeENS0_5tupleIJNSF_INSG_ISB_EEEESM_EEENSO_IJSL_SN_EEENS0_18inequality_wrapperINS9_12CompareFirstEEEPmJSM_EEE10hipError_tPvRmT3_T4_T5_T6_T7_T9_mT8_P12ihipStream_tbDpT10_ENKUlT_T0_E_clISt17integral_constantIbLb0EES1F_IbLb1EEEEDaS1B_S1C_EUlS1B_E_NS1_11comp_targetILNS1_3genE10ELNS1_11target_archE1200ELNS1_3gpuE4ELNS1_3repE0EEENS1_30default_config_static_selectorELNS0_4arch9wavefront6targetE0EEEvT1_ ; -- Begin function _ZN7rocprim17ROCPRIM_400000_NS6detail17trampoline_kernelINS0_14default_configENS1_25partition_config_selectorILNS1_17partition_subalgoE9EN6thrust23THRUST_200600_302600_NS4pairIiN12_GLOBAL__N_15EntryEEESA_bEEZZNS1_14partition_implILS5_9ELb0ES3_jNS7_6detail15normal_iteratorINS7_10device_ptrIKSB_EEEENSF_INSG_ISA_EEEEPNS0_10empty_typeENS0_5tupleIJNSF_INSG_ISB_EEEESM_EEENSO_IJSL_SN_EEENS0_18inequality_wrapperINS9_12CompareFirstEEEPmJSM_EEE10hipError_tPvRmT3_T4_T5_T6_T7_T9_mT8_P12ihipStream_tbDpT10_ENKUlT_T0_E_clISt17integral_constantIbLb0EES1F_IbLb1EEEEDaS1B_S1C_EUlS1B_E_NS1_11comp_targetILNS1_3genE10ELNS1_11target_archE1200ELNS1_3gpuE4ELNS1_3repE0EEENS1_30default_config_static_selectorELNS0_4arch9wavefront6targetE0EEEvT1_
	.p2align	8
	.type	_ZN7rocprim17ROCPRIM_400000_NS6detail17trampoline_kernelINS0_14default_configENS1_25partition_config_selectorILNS1_17partition_subalgoE9EN6thrust23THRUST_200600_302600_NS4pairIiN12_GLOBAL__N_15EntryEEESA_bEEZZNS1_14partition_implILS5_9ELb0ES3_jNS7_6detail15normal_iteratorINS7_10device_ptrIKSB_EEEENSF_INSG_ISA_EEEEPNS0_10empty_typeENS0_5tupleIJNSF_INSG_ISB_EEEESM_EEENSO_IJSL_SN_EEENS0_18inequality_wrapperINS9_12CompareFirstEEEPmJSM_EEE10hipError_tPvRmT3_T4_T5_T6_T7_T9_mT8_P12ihipStream_tbDpT10_ENKUlT_T0_E_clISt17integral_constantIbLb0EES1F_IbLb1EEEEDaS1B_S1C_EUlS1B_E_NS1_11comp_targetILNS1_3genE10ELNS1_11target_archE1200ELNS1_3gpuE4ELNS1_3repE0EEENS1_30default_config_static_selectorELNS0_4arch9wavefront6targetE0EEEvT1_,@function
_ZN7rocprim17ROCPRIM_400000_NS6detail17trampoline_kernelINS0_14default_configENS1_25partition_config_selectorILNS1_17partition_subalgoE9EN6thrust23THRUST_200600_302600_NS4pairIiN12_GLOBAL__N_15EntryEEESA_bEEZZNS1_14partition_implILS5_9ELb0ES3_jNS7_6detail15normal_iteratorINS7_10device_ptrIKSB_EEEENSF_INSG_ISA_EEEEPNS0_10empty_typeENS0_5tupleIJNSF_INSG_ISB_EEEESM_EEENSO_IJSL_SN_EEENS0_18inequality_wrapperINS9_12CompareFirstEEEPmJSM_EEE10hipError_tPvRmT3_T4_T5_T6_T7_T9_mT8_P12ihipStream_tbDpT10_ENKUlT_T0_E_clISt17integral_constantIbLb0EES1F_IbLb1EEEEDaS1B_S1C_EUlS1B_E_NS1_11comp_targetILNS1_3genE10ELNS1_11target_archE1200ELNS1_3gpuE4ELNS1_3repE0EEENS1_30default_config_static_selectorELNS0_4arch9wavefront6targetE0EEEvT1_: ; @_ZN7rocprim17ROCPRIM_400000_NS6detail17trampoline_kernelINS0_14default_configENS1_25partition_config_selectorILNS1_17partition_subalgoE9EN6thrust23THRUST_200600_302600_NS4pairIiN12_GLOBAL__N_15EntryEEESA_bEEZZNS1_14partition_implILS5_9ELb0ES3_jNS7_6detail15normal_iteratorINS7_10device_ptrIKSB_EEEENSF_INSG_ISA_EEEEPNS0_10empty_typeENS0_5tupleIJNSF_INSG_ISB_EEEESM_EEENSO_IJSL_SN_EEENS0_18inequality_wrapperINS9_12CompareFirstEEEPmJSM_EEE10hipError_tPvRmT3_T4_T5_T6_T7_T9_mT8_P12ihipStream_tbDpT10_ENKUlT_T0_E_clISt17integral_constantIbLb0EES1F_IbLb1EEEEDaS1B_S1C_EUlS1B_E_NS1_11comp_targetILNS1_3genE10ELNS1_11target_archE1200ELNS1_3gpuE4ELNS1_3repE0EEENS1_30default_config_static_selectorELNS0_4arch9wavefront6targetE0EEEvT1_
; %bb.0:
	.section	.rodata,"a",@progbits
	.p2align	6, 0x0
	.amdhsa_kernel _ZN7rocprim17ROCPRIM_400000_NS6detail17trampoline_kernelINS0_14default_configENS1_25partition_config_selectorILNS1_17partition_subalgoE9EN6thrust23THRUST_200600_302600_NS4pairIiN12_GLOBAL__N_15EntryEEESA_bEEZZNS1_14partition_implILS5_9ELb0ES3_jNS7_6detail15normal_iteratorINS7_10device_ptrIKSB_EEEENSF_INSG_ISA_EEEEPNS0_10empty_typeENS0_5tupleIJNSF_INSG_ISB_EEEESM_EEENSO_IJSL_SN_EEENS0_18inequality_wrapperINS9_12CompareFirstEEEPmJSM_EEE10hipError_tPvRmT3_T4_T5_T6_T7_T9_mT8_P12ihipStream_tbDpT10_ENKUlT_T0_E_clISt17integral_constantIbLb0EES1F_IbLb1EEEEDaS1B_S1C_EUlS1B_E_NS1_11comp_targetILNS1_3genE10ELNS1_11target_archE1200ELNS1_3gpuE4ELNS1_3repE0EEENS1_30default_config_static_selectorELNS0_4arch9wavefront6targetE0EEEvT1_
		.amdhsa_group_segment_fixed_size 0
		.amdhsa_private_segment_fixed_size 0
		.amdhsa_kernarg_size 128
		.amdhsa_user_sgpr_count 15
		.amdhsa_user_sgpr_dispatch_ptr 0
		.amdhsa_user_sgpr_queue_ptr 0
		.amdhsa_user_sgpr_kernarg_segment_ptr 1
		.amdhsa_user_sgpr_dispatch_id 0
		.amdhsa_user_sgpr_private_segment_size 0
		.amdhsa_wavefront_size32 1
		.amdhsa_uses_dynamic_stack 0
		.amdhsa_enable_private_segment 0
		.amdhsa_system_sgpr_workgroup_id_x 1
		.amdhsa_system_sgpr_workgroup_id_y 0
		.amdhsa_system_sgpr_workgroup_id_z 0
		.amdhsa_system_sgpr_workgroup_info 0
		.amdhsa_system_vgpr_workitem_id 0
		.amdhsa_next_free_vgpr 1
		.amdhsa_next_free_sgpr 1
		.amdhsa_reserve_vcc 0
		.amdhsa_float_round_mode_32 0
		.amdhsa_float_round_mode_16_64 0
		.amdhsa_float_denorm_mode_32 3
		.amdhsa_float_denorm_mode_16_64 3
		.amdhsa_dx10_clamp 1
		.amdhsa_ieee_mode 1
		.amdhsa_fp16_overflow 0
		.amdhsa_workgroup_processor_mode 1
		.amdhsa_memory_ordered 1
		.amdhsa_forward_progress 0
		.amdhsa_shared_vgpr_count 0
		.amdhsa_exception_fp_ieee_invalid_op 0
		.amdhsa_exception_fp_denorm_src 0
		.amdhsa_exception_fp_ieee_div_zero 0
		.amdhsa_exception_fp_ieee_overflow 0
		.amdhsa_exception_fp_ieee_underflow 0
		.amdhsa_exception_fp_ieee_inexact 0
		.amdhsa_exception_int_div_zero 0
	.end_amdhsa_kernel
	.section	.text._ZN7rocprim17ROCPRIM_400000_NS6detail17trampoline_kernelINS0_14default_configENS1_25partition_config_selectorILNS1_17partition_subalgoE9EN6thrust23THRUST_200600_302600_NS4pairIiN12_GLOBAL__N_15EntryEEESA_bEEZZNS1_14partition_implILS5_9ELb0ES3_jNS7_6detail15normal_iteratorINS7_10device_ptrIKSB_EEEENSF_INSG_ISA_EEEEPNS0_10empty_typeENS0_5tupleIJNSF_INSG_ISB_EEEESM_EEENSO_IJSL_SN_EEENS0_18inequality_wrapperINS9_12CompareFirstEEEPmJSM_EEE10hipError_tPvRmT3_T4_T5_T6_T7_T9_mT8_P12ihipStream_tbDpT10_ENKUlT_T0_E_clISt17integral_constantIbLb0EES1F_IbLb1EEEEDaS1B_S1C_EUlS1B_E_NS1_11comp_targetILNS1_3genE10ELNS1_11target_archE1200ELNS1_3gpuE4ELNS1_3repE0EEENS1_30default_config_static_selectorELNS0_4arch9wavefront6targetE0EEEvT1_,"axG",@progbits,_ZN7rocprim17ROCPRIM_400000_NS6detail17trampoline_kernelINS0_14default_configENS1_25partition_config_selectorILNS1_17partition_subalgoE9EN6thrust23THRUST_200600_302600_NS4pairIiN12_GLOBAL__N_15EntryEEESA_bEEZZNS1_14partition_implILS5_9ELb0ES3_jNS7_6detail15normal_iteratorINS7_10device_ptrIKSB_EEEENSF_INSG_ISA_EEEEPNS0_10empty_typeENS0_5tupleIJNSF_INSG_ISB_EEEESM_EEENSO_IJSL_SN_EEENS0_18inequality_wrapperINS9_12CompareFirstEEEPmJSM_EEE10hipError_tPvRmT3_T4_T5_T6_T7_T9_mT8_P12ihipStream_tbDpT10_ENKUlT_T0_E_clISt17integral_constantIbLb0EES1F_IbLb1EEEEDaS1B_S1C_EUlS1B_E_NS1_11comp_targetILNS1_3genE10ELNS1_11target_archE1200ELNS1_3gpuE4ELNS1_3repE0EEENS1_30default_config_static_selectorELNS0_4arch9wavefront6targetE0EEEvT1_,comdat
.Lfunc_end1333:
	.size	_ZN7rocprim17ROCPRIM_400000_NS6detail17trampoline_kernelINS0_14default_configENS1_25partition_config_selectorILNS1_17partition_subalgoE9EN6thrust23THRUST_200600_302600_NS4pairIiN12_GLOBAL__N_15EntryEEESA_bEEZZNS1_14partition_implILS5_9ELb0ES3_jNS7_6detail15normal_iteratorINS7_10device_ptrIKSB_EEEENSF_INSG_ISA_EEEEPNS0_10empty_typeENS0_5tupleIJNSF_INSG_ISB_EEEESM_EEENSO_IJSL_SN_EEENS0_18inequality_wrapperINS9_12CompareFirstEEEPmJSM_EEE10hipError_tPvRmT3_T4_T5_T6_T7_T9_mT8_P12ihipStream_tbDpT10_ENKUlT_T0_E_clISt17integral_constantIbLb0EES1F_IbLb1EEEEDaS1B_S1C_EUlS1B_E_NS1_11comp_targetILNS1_3genE10ELNS1_11target_archE1200ELNS1_3gpuE4ELNS1_3repE0EEENS1_30default_config_static_selectorELNS0_4arch9wavefront6targetE0EEEvT1_, .Lfunc_end1333-_ZN7rocprim17ROCPRIM_400000_NS6detail17trampoline_kernelINS0_14default_configENS1_25partition_config_selectorILNS1_17partition_subalgoE9EN6thrust23THRUST_200600_302600_NS4pairIiN12_GLOBAL__N_15EntryEEESA_bEEZZNS1_14partition_implILS5_9ELb0ES3_jNS7_6detail15normal_iteratorINS7_10device_ptrIKSB_EEEENSF_INSG_ISA_EEEEPNS0_10empty_typeENS0_5tupleIJNSF_INSG_ISB_EEEESM_EEENSO_IJSL_SN_EEENS0_18inequality_wrapperINS9_12CompareFirstEEEPmJSM_EEE10hipError_tPvRmT3_T4_T5_T6_T7_T9_mT8_P12ihipStream_tbDpT10_ENKUlT_T0_E_clISt17integral_constantIbLb0EES1F_IbLb1EEEEDaS1B_S1C_EUlS1B_E_NS1_11comp_targetILNS1_3genE10ELNS1_11target_archE1200ELNS1_3gpuE4ELNS1_3repE0EEENS1_30default_config_static_selectorELNS0_4arch9wavefront6targetE0EEEvT1_
                                        ; -- End function
	.section	.AMDGPU.csdata,"",@progbits
; Kernel info:
; codeLenInByte = 0
; NumSgprs: 0
; NumVgprs: 0
; ScratchSize: 0
; MemoryBound: 0
; FloatMode: 240
; IeeeMode: 1
; LDSByteSize: 0 bytes/workgroup (compile time only)
; SGPRBlocks: 0
; VGPRBlocks: 0
; NumSGPRsForWavesPerEU: 1
; NumVGPRsForWavesPerEU: 1
; Occupancy: 16
; WaveLimiterHint : 0
; COMPUTE_PGM_RSRC2:SCRATCH_EN: 0
; COMPUTE_PGM_RSRC2:USER_SGPR: 15
; COMPUTE_PGM_RSRC2:TRAP_HANDLER: 0
; COMPUTE_PGM_RSRC2:TGID_X_EN: 1
; COMPUTE_PGM_RSRC2:TGID_Y_EN: 0
; COMPUTE_PGM_RSRC2:TGID_Z_EN: 0
; COMPUTE_PGM_RSRC2:TIDIG_COMP_CNT: 0
	.section	.text._ZN7rocprim17ROCPRIM_400000_NS6detail17trampoline_kernelINS0_14default_configENS1_25partition_config_selectorILNS1_17partition_subalgoE9EN6thrust23THRUST_200600_302600_NS4pairIiN12_GLOBAL__N_15EntryEEESA_bEEZZNS1_14partition_implILS5_9ELb0ES3_jNS7_6detail15normal_iteratorINS7_10device_ptrIKSB_EEEENSF_INSG_ISA_EEEEPNS0_10empty_typeENS0_5tupleIJNSF_INSG_ISB_EEEESM_EEENSO_IJSL_SN_EEENS0_18inequality_wrapperINS9_12CompareFirstEEEPmJSM_EEE10hipError_tPvRmT3_T4_T5_T6_T7_T9_mT8_P12ihipStream_tbDpT10_ENKUlT_T0_E_clISt17integral_constantIbLb0EES1F_IbLb1EEEEDaS1B_S1C_EUlS1B_E_NS1_11comp_targetILNS1_3genE9ELNS1_11target_archE1100ELNS1_3gpuE3ELNS1_3repE0EEENS1_30default_config_static_selectorELNS0_4arch9wavefront6targetE0EEEvT1_,"axG",@progbits,_ZN7rocprim17ROCPRIM_400000_NS6detail17trampoline_kernelINS0_14default_configENS1_25partition_config_selectorILNS1_17partition_subalgoE9EN6thrust23THRUST_200600_302600_NS4pairIiN12_GLOBAL__N_15EntryEEESA_bEEZZNS1_14partition_implILS5_9ELb0ES3_jNS7_6detail15normal_iteratorINS7_10device_ptrIKSB_EEEENSF_INSG_ISA_EEEEPNS0_10empty_typeENS0_5tupleIJNSF_INSG_ISB_EEEESM_EEENSO_IJSL_SN_EEENS0_18inequality_wrapperINS9_12CompareFirstEEEPmJSM_EEE10hipError_tPvRmT3_T4_T5_T6_T7_T9_mT8_P12ihipStream_tbDpT10_ENKUlT_T0_E_clISt17integral_constantIbLb0EES1F_IbLb1EEEEDaS1B_S1C_EUlS1B_E_NS1_11comp_targetILNS1_3genE9ELNS1_11target_archE1100ELNS1_3gpuE3ELNS1_3repE0EEENS1_30default_config_static_selectorELNS0_4arch9wavefront6targetE0EEEvT1_,comdat
	.globl	_ZN7rocprim17ROCPRIM_400000_NS6detail17trampoline_kernelINS0_14default_configENS1_25partition_config_selectorILNS1_17partition_subalgoE9EN6thrust23THRUST_200600_302600_NS4pairIiN12_GLOBAL__N_15EntryEEESA_bEEZZNS1_14partition_implILS5_9ELb0ES3_jNS7_6detail15normal_iteratorINS7_10device_ptrIKSB_EEEENSF_INSG_ISA_EEEEPNS0_10empty_typeENS0_5tupleIJNSF_INSG_ISB_EEEESM_EEENSO_IJSL_SN_EEENS0_18inequality_wrapperINS9_12CompareFirstEEEPmJSM_EEE10hipError_tPvRmT3_T4_T5_T6_T7_T9_mT8_P12ihipStream_tbDpT10_ENKUlT_T0_E_clISt17integral_constantIbLb0EES1F_IbLb1EEEEDaS1B_S1C_EUlS1B_E_NS1_11comp_targetILNS1_3genE9ELNS1_11target_archE1100ELNS1_3gpuE3ELNS1_3repE0EEENS1_30default_config_static_selectorELNS0_4arch9wavefront6targetE0EEEvT1_ ; -- Begin function _ZN7rocprim17ROCPRIM_400000_NS6detail17trampoline_kernelINS0_14default_configENS1_25partition_config_selectorILNS1_17partition_subalgoE9EN6thrust23THRUST_200600_302600_NS4pairIiN12_GLOBAL__N_15EntryEEESA_bEEZZNS1_14partition_implILS5_9ELb0ES3_jNS7_6detail15normal_iteratorINS7_10device_ptrIKSB_EEEENSF_INSG_ISA_EEEEPNS0_10empty_typeENS0_5tupleIJNSF_INSG_ISB_EEEESM_EEENSO_IJSL_SN_EEENS0_18inequality_wrapperINS9_12CompareFirstEEEPmJSM_EEE10hipError_tPvRmT3_T4_T5_T6_T7_T9_mT8_P12ihipStream_tbDpT10_ENKUlT_T0_E_clISt17integral_constantIbLb0EES1F_IbLb1EEEEDaS1B_S1C_EUlS1B_E_NS1_11comp_targetILNS1_3genE9ELNS1_11target_archE1100ELNS1_3gpuE3ELNS1_3repE0EEENS1_30default_config_static_selectorELNS0_4arch9wavefront6targetE0EEEvT1_
	.p2align	8
	.type	_ZN7rocprim17ROCPRIM_400000_NS6detail17trampoline_kernelINS0_14default_configENS1_25partition_config_selectorILNS1_17partition_subalgoE9EN6thrust23THRUST_200600_302600_NS4pairIiN12_GLOBAL__N_15EntryEEESA_bEEZZNS1_14partition_implILS5_9ELb0ES3_jNS7_6detail15normal_iteratorINS7_10device_ptrIKSB_EEEENSF_INSG_ISA_EEEEPNS0_10empty_typeENS0_5tupleIJNSF_INSG_ISB_EEEESM_EEENSO_IJSL_SN_EEENS0_18inequality_wrapperINS9_12CompareFirstEEEPmJSM_EEE10hipError_tPvRmT3_T4_T5_T6_T7_T9_mT8_P12ihipStream_tbDpT10_ENKUlT_T0_E_clISt17integral_constantIbLb0EES1F_IbLb1EEEEDaS1B_S1C_EUlS1B_E_NS1_11comp_targetILNS1_3genE9ELNS1_11target_archE1100ELNS1_3gpuE3ELNS1_3repE0EEENS1_30default_config_static_selectorELNS0_4arch9wavefront6targetE0EEEvT1_,@function
_ZN7rocprim17ROCPRIM_400000_NS6detail17trampoline_kernelINS0_14default_configENS1_25partition_config_selectorILNS1_17partition_subalgoE9EN6thrust23THRUST_200600_302600_NS4pairIiN12_GLOBAL__N_15EntryEEESA_bEEZZNS1_14partition_implILS5_9ELb0ES3_jNS7_6detail15normal_iteratorINS7_10device_ptrIKSB_EEEENSF_INSG_ISA_EEEEPNS0_10empty_typeENS0_5tupleIJNSF_INSG_ISB_EEEESM_EEENSO_IJSL_SN_EEENS0_18inequality_wrapperINS9_12CompareFirstEEEPmJSM_EEE10hipError_tPvRmT3_T4_T5_T6_T7_T9_mT8_P12ihipStream_tbDpT10_ENKUlT_T0_E_clISt17integral_constantIbLb0EES1F_IbLb1EEEEDaS1B_S1C_EUlS1B_E_NS1_11comp_targetILNS1_3genE9ELNS1_11target_archE1100ELNS1_3gpuE3ELNS1_3repE0EEENS1_30default_config_static_selectorELNS0_4arch9wavefront6targetE0EEEvT1_: ; @_ZN7rocprim17ROCPRIM_400000_NS6detail17trampoline_kernelINS0_14default_configENS1_25partition_config_selectorILNS1_17partition_subalgoE9EN6thrust23THRUST_200600_302600_NS4pairIiN12_GLOBAL__N_15EntryEEESA_bEEZZNS1_14partition_implILS5_9ELb0ES3_jNS7_6detail15normal_iteratorINS7_10device_ptrIKSB_EEEENSF_INSG_ISA_EEEEPNS0_10empty_typeENS0_5tupleIJNSF_INSG_ISB_EEEESM_EEENSO_IJSL_SN_EEENS0_18inequality_wrapperINS9_12CompareFirstEEEPmJSM_EEE10hipError_tPvRmT3_T4_T5_T6_T7_T9_mT8_P12ihipStream_tbDpT10_ENKUlT_T0_E_clISt17integral_constantIbLb0EES1F_IbLb1EEEEDaS1B_S1C_EUlS1B_E_NS1_11comp_targetILNS1_3genE9ELNS1_11target_archE1100ELNS1_3gpuE3ELNS1_3repE0EEENS1_30default_config_static_selectorELNS0_4arch9wavefront6targetE0EEEvT1_
; %bb.0:
	s_clause 0x4
	s_load_b128 s[4:7], s[0:1], 0x8
	s_load_b64 s[18:19], s[0:1], 0x18
	s_load_b128 s[8:11], s[0:1], 0x40
	s_load_b64 s[20:21], s[0:1], 0x50
	s_load_b64 s[16:17], s[0:1], 0x60
	v_cmp_ne_u32_e64 s3, 0, v0
	v_cmp_eq_u32_e64 s2, 0, v0
	s_delay_alu instid0(VALU_DEP_1)
	s_and_saveexec_b32 s12, s2
	s_cbranch_execz .LBB1334_4
; %bb.1:
	s_mov_b32 s14, exec_lo
	s_mov_b32 s13, exec_lo
	v_mbcnt_lo_u32_b32 v1, s14, 0
                                        ; implicit-def: $vgpr2
	s_delay_alu instid0(VALU_DEP_1)
	v_cmpx_eq_u32_e32 0, v1
	s_cbranch_execz .LBB1334_3
; %bb.2:
	s_load_b64 s[22:23], s[0:1], 0x70
	s_bcnt1_i32_b32 s14, s14
	s_delay_alu instid0(SALU_CYCLE_1)
	v_dual_mov_b32 v2, 0 :: v_dual_mov_b32 v3, s14
	s_waitcnt lgkmcnt(0)
	global_atomic_add_u32 v2, v2, v3, s[22:23] glc
.LBB1334_3:
	s_or_b32 exec_lo, exec_lo, s13
	s_waitcnt vmcnt(0)
	v_readfirstlane_b32 s13, v2
	s_delay_alu instid0(VALU_DEP_1)
	v_dual_mov_b32 v2, 0 :: v_dual_add_nc_u32 v1, s13, v1
	ds_store_b32 v2, v1
.LBB1334_4:
	s_or_b32 exec_lo, exec_lo, s12
	v_mov_b32_e32 v27, 0
	s_clause 0x1
	s_load_b128 s[12:15], s[0:1], 0x28
	s_load_b32 s0, s[0:1], 0x68
	s_waitcnt lgkmcnt(0)
	s_barrier
	buffer_gl0_inv
	ds_load_b32 v3, v27
	s_waitcnt lgkmcnt(0)
	s_barrier
	buffer_gl0_inv
	s_mul_i32 s1, s7, 12
	v_lshrrev_b32_e32 v14, 5, v0
	v_or_b32_e32 v29, 0x200, v0
	v_or_b32_e32 v19, 0x400, v0
	;; [unrolled: 1-line block ×3, first 2 shown]
	v_lshlrev_b32_e32 v26, 11, v3
	global_load_b64 v[1:2], v27, s[10:11]
	s_mul_hi_u32 s10, s6, 12
	s_mul_i32 s11, s6, 12
	s_add_i32 s10, s10, s1
	s_add_u32 s4, s4, s11
	s_addc_u32 s5, s5, s10
	s_add_i32 s10, s0, -1
	s_lshl_b32 s0, s0, 11
	s_lshl_b32 s1, s10, 11
	v_readfirstlane_b32 s22, v3
	s_add_i32 s1, s6, s1
	v_mul_lo_u32 v3, 0x6000, v3
	s_sub_i32 s23, s20, s1
	s_add_u32 s0, s6, s0
	s_addc_u32 s1, s7, 0
	v_mul_hi_u32 v4, v26, 12
	v_cmp_ge_u64_e64 s0, s[0:1], s[20:21]
	s_cmp_eq_u32 s22, s10
	s_mov_b32 s1, -1
	s_cselect_b32 s20, -1, 0
	v_add_co_u32 v24, vcc_lo, s4, v3
	s_delay_alu instid0(VALU_DEP_2) | instskip(NEXT) | instid1(VALU_DEP_3)
	s_and_b32 s24, s0, s20
	v_add_co_ci_u32_e32 v25, vcc_lo, s5, v4, vcc_lo
	s_xor_b32 s21, s24, -1
	s_delay_alu instid0(SALU_CYCLE_1)
	s_and_b32 vcc_lo, exec_lo, s21
	s_waitcnt vmcnt(0)
	v_readfirstlane_b32 s10, v1
	v_readfirstlane_b32 s11, v2
	s_cbranch_vccz .LBB1334_6
; %bb.5:
	v_mad_u64_u32 v[4:5], null, v0, 12, v[24:25]
	v_mul_u32_u24_e32 v13, 12, v0
	v_lshrrev_b32_e32 v15, 5, v29
	v_lshrrev_b32_e32 v16, 5, v19
	;; [unrolled: 1-line block ×3, first 2 shown]
	s_mov_b32 s1, 0
	s_delay_alu instid0(VALU_DEP_3)
	v_mad_u32_u24 v15, v15, 12, v13
	v_add_co_u32 v6, vcc_lo, 0x1000, v4
	v_add_co_ci_u32_e32 v7, vcc_lo, 0, v5, vcc_lo
	v_add_co_u32 v8, vcc_lo, 0x3000, v4
	v_add_co_ci_u32_e32 v9, vcc_lo, 0, v5, vcc_lo
	v_add_co_u32 v10, vcc_lo, 0x4000, v4
	v_add_co_ci_u32_e32 v11, vcc_lo, 0, v5, vcc_lo
	s_clause 0x3
	flat_load_b96 v[1:3], v[4:5]
	flat_load_b96 v[4:6], v[6:7] offset:2048
	flat_load_b96 v[7:9], v[8:9]
	flat_load_b96 v[10:12], v[10:11] offset:2048
	v_mad_u32_u24 v16, v16, 12, v13
	v_mad_u32_u24 v17, v17, 12, v13
	;; [unrolled: 1-line block ×3, first 2 shown]
	v_add_nc_u32_e32 v18, 0x1800, v15
	s_delay_alu instid0(VALU_DEP_4) | instskip(NEXT) | instid1(VALU_DEP_4)
	v_add_nc_u32_e32 v20, 0x3000, v16
	v_add_nc_u32_e32 v21, 0x4800, v17
	s_waitcnt vmcnt(3) lgkmcnt(3)
	ds_store_2addr_b32 v13, v1, v2 offset1:1
	ds_store_b32 v13, v3 offset:8
	s_waitcnt vmcnt(2) lgkmcnt(4)
	ds_store_2addr_b32 v18, v4, v5 offset1:1
	ds_store_b32 v15, v6 offset:6152
	;; [unrolled: 3-line block ×4, first 2 shown]
	s_waitcnt lgkmcnt(0)
	s_barrier
.LBB1334_6:
	v_cmp_gt_u32_e64 s0, s23, v0
	s_and_not1_b32 vcc_lo, exec_lo, s1
	s_cbranch_vccnz .LBB1334_16
; %bb.7:
	v_dual_mov_b32 v3, 0 :: v_dual_mov_b32 v6, 0
	v_dual_mov_b32 v5, 0 :: v_dual_mov_b32 v4, 0
	s_and_saveexec_b32 s1, s0
	s_cbranch_execz .LBB1334_9
; %bb.8:
	v_mad_u64_u32 v[1:2], null, v0, 12, v[24:25]
	flat_load_b96 v[4:6], v[1:2]
.LBB1334_9:
	s_or_b32 exec_lo, exec_lo, s1
	v_dual_mov_b32 v2, 0 :: v_dual_mov_b32 v1, 0
	s_mov_b32 s0, exec_lo
	v_cmpx_gt_u32_e64 s23, v29
	s_cbranch_execz .LBB1334_11
; %bb.10:
	v_mad_u64_u32 v[1:2], null, v29, 12, v[24:25]
	flat_load_b96 v[1:3], v[1:2]
.LBB1334_11:
	s_or_b32 exec_lo, exec_lo, s0
	v_dual_mov_b32 v9, 0 :: v_dual_mov_b32 v12, 0
	v_dual_mov_b32 v11, 0 :: v_dual_mov_b32 v10, 0
	s_mov_b32 s0, exec_lo
	v_cmpx_gt_u32_e64 s23, v19
	s_cbranch_execz .LBB1334_13
; %bb.12:
	v_mad_u64_u32 v[7:8], null, v19, 12, v[24:25]
	flat_load_b96 v[10:12], v[7:8]
.LBB1334_13:
	s_or_b32 exec_lo, exec_lo, s0
	v_dual_mov_b32 v8, 0 :: v_dual_mov_b32 v7, 0
	s_mov_b32 s0, exec_lo
	v_cmpx_gt_u32_e64 s23, v28
	s_cbranch_execz .LBB1334_15
; %bb.14:
	v_mad_u64_u32 v[7:8], null, v28, 12, v[24:25]
	flat_load_b96 v[7:9], v[7:8]
.LBB1334_15:
	s_or_b32 exec_lo, exec_lo, s0
	v_mul_u32_u24_e32 v13, 12, v0
	v_lshrrev_b32_e32 v15, 5, v29
	v_lshrrev_b32_e32 v16, 5, v19
	;; [unrolled: 1-line block ×3, first 2 shown]
	s_delay_alu instid0(VALU_DEP_4) | instskip(NEXT) | instid1(VALU_DEP_4)
	v_mad_u32_u24 v18, v14, 12, v13
	v_mad_u32_u24 v15, v15, 12, v13
	s_delay_alu instid0(VALU_DEP_4) | instskip(NEXT) | instid1(VALU_DEP_4)
	v_mad_u32_u24 v16, v16, 12, v13
	v_mad_u32_u24 v13, v17, 12, v13
	s_waitcnt vmcnt(0) lgkmcnt(0)
	ds_store_2addr_b32 v18, v4, v5 offset1:1
	ds_store_b32 v18, v6 offset:8
	v_add_nc_u32_e32 v17, 0x1800, v15
	v_add_nc_u32_e32 v20, 0x3000, v16
	;; [unrolled: 1-line block ×3, first 2 shown]
	ds_store_2addr_b32 v17, v1, v2 offset1:1
	ds_store_b32 v15, v3 offset:6152
	ds_store_2addr_b32 v20, v10, v11 offset1:1
	ds_store_b32 v16, v12 offset:12296
	;; [unrolled: 2-line block ×3, first 2 shown]
	s_waitcnt lgkmcnt(0)
	s_barrier
.LBB1334_16:
	v_lshlrev_b32_e32 v9, 2, v0
	v_lshrrev_b32_e32 v1, 3, v0
	buffer_gl0_inv
	s_lshl_b64 s[0:1], s[6:7], 3
	s_delay_alu instid0(SALU_CYCLE_1) | instskip(SKIP_4) | instid1(VALU_DEP_3)
	s_add_u32 s0, s18, s0
	v_add_nc_u32_e32 v30, v1, v9
	v_lshlrev_b64 v[1:2], 3, v[26:27]
	s_addc_u32 s1, s19, s1
	v_lshrrev_b32_e32 v26, 2, v0
	v_mul_u32_u24_e32 v31, 12, v30
	ds_load_2addr_b32 v[17:18], v31 offset1:1
	ds_load_2addr_b32 v[22:23], v31 offset0:2 offset1:3
	ds_load_2addr_b32 v[20:21], v31 offset0:8 offset1:9
	;; [unrolled: 1-line block ×5, first 2 shown]
	v_add_co_u32 v8, vcc_lo, s0, v1
	v_add_co_ci_u32_e32 v27, vcc_lo, s1, v2, vcc_lo
	s_and_b32 vcc_lo, exec_lo, s21
	s_mov_b32 s0, -1
	s_waitcnt lgkmcnt(0)
	s_barrier
	buffer_gl0_inv
	s_cbranch_vccz .LBB1334_18
; %bb.17:
	v_lshlrev_b32_e32 v7, 3, v0
	v_lshrrev_b32_e32 v34, 2, v29
	v_lshrrev_b32_e32 v35, 2, v19
	;; [unrolled: 1-line block ×3, first 2 shown]
	v_and_b32_e32 v37, 0x78, v26
	v_add_co_u32 v1, vcc_lo, v8, v7
	v_add_co_ci_u32_e32 v2, vcc_lo, 0, v27, vcc_lo
	v_and_b32_e32 v34, 0xf8, v34
	s_delay_alu instid0(VALU_DEP_3) | instskip(NEXT) | instid1(VALU_DEP_3)
	v_add_co_u32 v3, vcc_lo, 0x1000, v1
	v_add_co_ci_u32_e32 v4, vcc_lo, 0, v2, vcc_lo
	v_add_co_u32 v5, vcc_lo, 0x2000, v1
	v_add_co_ci_u32_e32 v6, vcc_lo, 0, v2, vcc_lo
	;; [unrolled: 2-line block ×3, first 2 shown]
	s_clause 0x3
	flat_load_b64 v[1:2], v[1:2]
	flat_load_b64 v[3:4], v[3:4]
	;; [unrolled: 1-line block ×4, first 2 shown]
	v_and_b32_e32 v35, 0x178, v35
	v_and_b32_e32 v36, 0x1f8, v36
	v_add_nc_u32_e32 v37, v37, v7
	v_add_nc_u32_e32 v34, v34, v7
	s_mov_b32 s0, 0
	v_add_nc_u32_e32 v35, v35, v7
	v_add_nc_u32_e32 v7, v36, v7
	s_waitcnt vmcnt(3) lgkmcnt(3)
	ds_store_b64 v37, v[1:2]
	s_waitcnt vmcnt(2) lgkmcnt(3)
	ds_store_b64 v34, v[3:4] offset:4096
	s_waitcnt vmcnt(1) lgkmcnt(3)
	ds_store_b64 v35, v[5:6] offset:8192
	;; [unrolled: 2-line block ×3, first 2 shown]
	s_waitcnt lgkmcnt(0)
	s_barrier
.LBB1334_18:
	s_and_not1_b32 vcc_lo, exec_lo, s0
	s_cbranch_vccnz .LBB1334_28
; %bb.19:
	s_mov_b32 s0, exec_lo
                                        ; implicit-def: $vgpr1_vgpr2
	v_cmpx_gt_u32_e64 s23, v0
                                        ; implicit-def: $vgpr4
	s_cbranch_execz .LBB1334_21
; %bb.20:
	v_lshlrev_b32_e32 v1, 3, v0
	s_delay_alu instid0(VALU_DEP_1)
	v_add_co_u32 v1, vcc_lo, v8, v1
	v_add_co_ci_u32_e32 v2, vcc_lo, 0, v27, vcc_lo
	flat_load_b64 v[1:2], v[1:2]
.LBB1334_21:
	s_or_b32 exec_lo, exec_lo, s0
	s_delay_alu instid0(SALU_CYCLE_1)
	s_mov_b32 s0, exec_lo
                                        ; implicit-def: $vgpr3
	v_cmpx_gt_u32_e64 s23, v29
                                        ; implicit-def: $vgpr6
	s_cbranch_execz .LBB1334_23
; %bb.22:
	v_lshlrev_b32_e32 v3, 3, v29
	s_delay_alu instid0(VALU_DEP_1)
	v_add_co_u32 v3, vcc_lo, v8, v3
	v_add_co_ci_u32_e32 v4, vcc_lo, 0, v27, vcc_lo
	flat_load_b64 v[3:4], v[3:4]
.LBB1334_23:
	s_or_b32 exec_lo, exec_lo, s0
	s_delay_alu instid0(SALU_CYCLE_1)
	s_mov_b32 s0, exec_lo
                                        ; implicit-def: $vgpr5
	v_cmpx_gt_u32_e64 s23, v19
	s_cbranch_execz .LBB1334_25
; %bb.24:
	v_lshlrev_b32_e32 v5, 3, v19
	s_delay_alu instid0(VALU_DEP_1)
	v_add_co_u32 v5, vcc_lo, v8, v5
	v_add_co_ci_u32_e32 v6, vcc_lo, 0, v27, vcc_lo
	flat_load_b64 v[5:6], v[5:6]
.LBB1334_25:
	s_or_b32 exec_lo, exec_lo, s0
	s_delay_alu instid0(SALU_CYCLE_1)
	s_mov_b32 s0, exec_lo
                                        ; implicit-def: $vgpr7
	v_cmpx_gt_u32_e64 s23, v28
	s_cbranch_execz .LBB1334_27
; %bb.26:
	v_lshlrev_b32_e32 v7, 3, v28
	s_delay_alu instid0(VALU_DEP_1)
	v_add_co_u32 v7, vcc_lo, v8, v7
	v_add_co_ci_u32_e32 v8, vcc_lo, 0, v27, vcc_lo
	flat_load_b64 v[7:8], v[7:8]
.LBB1334_27:
	s_or_b32 exec_lo, exec_lo, s0
	v_lshrrev_b32_e32 v27, 2, v29
	v_lshrrev_b32_e32 v19, 2, v19
	;; [unrolled: 1-line block ×3, first 2 shown]
	v_and_b32_e32 v26, 0x78, v26
	v_lshlrev_b32_e32 v29, 3, v0
	v_and_b32_e32 v27, 0xf8, v27
	v_and_b32_e32 v19, 0x1f8, v19
	;; [unrolled: 1-line block ×3, first 2 shown]
	s_delay_alu instid0(VALU_DEP_4) | instskip(NEXT) | instid1(VALU_DEP_4)
	v_add_nc_u32_e32 v26, v26, v29
	v_add_nc_u32_e32 v27, v27, v29
	s_delay_alu instid0(VALU_DEP_4) | instskip(NEXT) | instid1(VALU_DEP_4)
	v_add_nc_u32_e32 v19, v19, v29
	v_add_nc_u32_e32 v28, v28, v29
	s_waitcnt vmcnt(0) lgkmcnt(0)
	ds_store_b64 v26, v[1:2]
	ds_store_b64 v27, v[3:4] offset:4096
	ds_store_b64 v19, v[5:6] offset:8192
	;; [unrolled: 1-line block ×3, first 2 shown]
	s_waitcnt lgkmcnt(0)
	s_barrier
.LBB1334_28:
	v_lshlrev_b32_e32 v1, 2, v30
	buffer_gl0_inv
	s_cmp_lg_u32 s22, 0
	s_cselect_b32 s18, -1, 0
	v_sub_nc_u32_e32 v1, v31, v1
	s_cmp_lg_u64 s[6:7], 0
	s_mov_b32 s7, 0
	s_cselect_b32 s0, -1, 0
	ds_load_2addr_b64 v[5:8], v1 offset1:1
	ds_load_2addr_b64 v[1:4], v1 offset0:2 offset1:3
	s_or_b32 s0, s0, s18
	s_waitcnt lgkmcnt(0)
	s_and_b32 vcc_lo, exec_lo, s0
	s_barrier
	buffer_gl0_inv
	s_cbranch_vccz .LBB1334_33
; %bb.29:
	v_add_co_u32 v24, vcc_lo, -12, v24
	v_add_co_ci_u32_e32 v25, vcc_lo, -1, v25, vcc_lo
	s_mov_b32 s1, -1
	s_and_b32 vcc_lo, exec_lo, s21
	flat_load_b32 v19, v[24:25]
	v_mul_u32_u24_e32 v24, 12, v0
	ds_store_2addr_b32 v24, v21, v10 offset1:1
	ds_store_b32 v24, v11 offset:8
	s_cbranch_vccz .LBB1334_34
; %bb.30:
	s_waitcnt vmcnt(0) lgkmcnt(2)
	v_mov_b32_e32 v25, v19
	s_waitcnt lgkmcnt(0)
	s_barrier
	buffer_gl0_inv
	s_and_saveexec_b32 s0, s3
	s_cbranch_execz .LBB1334_32
; %bb.31:
	v_add_nc_u32_e32 v25, -12, v24
	ds_load_b32 v25, v25
.LBB1334_32:
	s_or_b32 exec_lo, exec_lo, s0
	v_cmp_ne_u32_e32 vcc_lo, v12, v21
	s_waitcnt lgkmcnt(0)
	v_cmp_ne_u32_e64 s0, v25, v17
	v_cndmask_b32_e64 v26, 0, 1, vcc_lo
	v_cmp_ne_u32_e32 vcc_lo, v23, v12
	s_delay_alu instid0(VALU_DEP_2) | instskip(SKIP_2) | instid1(VALU_DEP_2)
	v_lshlrev_b16 v26, 8, v26
	v_cndmask_b32_e64 v27, 0, 1, vcc_lo
	v_cmp_ne_u32_e32 vcc_lo, v17, v23
	v_or_b32_e32 v26, v27, v26
	v_cndmask_b32_e64 v28, 0, 1, vcc_lo
	s_delay_alu instid0(VALU_DEP_2) | instskip(NEXT) | instid1(VALU_DEP_2)
	v_lshlrev_b32_e32 v26, 16, v26
	v_lshlrev_b16 v28, 8, v28
	s_delay_alu instid0(VALU_DEP_1) | instskip(NEXT) | instid1(VALU_DEP_1)
	v_and_b32_e32 v27, 0xffff, v28
	v_or_b32_e32 v31, v27, v26
	s_branch .LBB1334_38
.LBB1334_33:
                                        ; implicit-def: $sgpr0
                                        ; implicit-def: $vgpr31
	s_branch .LBB1334_39
.LBB1334_34:
                                        ; implicit-def: $sgpr0
                                        ; implicit-def: $vgpr31
	s_and_b32 vcc_lo, exec_lo, s1
	s_cbranch_vccz .LBB1334_38
; %bb.35:
	s_waitcnt vmcnt(0) lgkmcnt(0)
	s_barrier
	buffer_gl0_inv
	s_and_saveexec_b32 s0, s3
	s_cbranch_execz .LBB1334_37
; %bb.36:
	v_add_nc_u32_e32 v19, -12, v24
	ds_load_b32 v19, v19
.LBB1334_37:
	s_or_b32 exec_lo, exec_lo, s0
	v_or_b32_e32 v24, 3, v9
	v_or_b32_e32 v25, 2, v9
	v_cmp_ne_u32_e32 vcc_lo, v12, v21
	v_cmp_ne_u32_e64 s1, v23, v12
	v_cmp_ne_u32_e64 s4, v17, v23
	v_cmp_gt_u32_e64 s0, s23, v24
	v_or_b32_e32 v24, 1, v9
	v_cmp_gt_u32_e64 s5, s23, v25
	s_delay_alu instid0(VALU_DEP_3) | instskip(NEXT) | instid1(VALU_DEP_2)
	s_and_b32 s0, s0, vcc_lo
	v_cmp_gt_u32_e32 vcc_lo, s23, v24
	v_cndmask_b32_e64 v25, 0, 1, s0
	s_delay_alu instid0(VALU_DEP_3) | instskip(NEXT) | instid1(SALU_CYCLE_1)
	s_and_b32 s0, s5, s1
	v_cndmask_b32_e64 v24, 0, 1, s0
	s_and_b32 s0, vcc_lo, s4
	s_delay_alu instid0(VALU_DEP_2)
	v_lshlrev_b16 v25, 8, v25
	v_cndmask_b32_e64 v26, 0, 1, s0
	v_cmp_gt_u32_e32 vcc_lo, s23, v9
	s_waitcnt lgkmcnt(0)
	v_cmp_ne_u32_e64 s0, v19, v17
	v_or_b32_e32 v24, v24, v25
	v_lshlrev_b16 v25, 8, v26
	s_delay_alu instid0(VALU_DEP_3) | instskip(NEXT) | instid1(VALU_DEP_2)
	s_and_b32 s0, vcc_lo, s0
	v_lshlrev_b32_e32 v24, 16, v24
	s_delay_alu instid0(VALU_DEP_2) | instskip(NEXT) | instid1(VALU_DEP_1)
	v_and_b32_e32 v25, 0xffff, v25
	v_or_b32_e32 v31, v25, v24
.LBB1334_38:
	s_mov_b32 s7, -1
	s_cbranch_execnz .LBB1334_47
.LBB1334_39:
	s_waitcnt vmcnt(0) lgkmcnt(2)
	v_mul_u32_u24_e32 v19, 12, v0
	v_cmp_ne_u32_e64 s1, v12, v21
	v_cmp_ne_u32_e64 s0, v23, v12
	;; [unrolled: 1-line block ×3, first 2 shown]
	s_and_b32 vcc_lo, exec_lo, s21
	ds_store_2addr_b32 v19, v21, v10 offset1:1
	ds_store_b32 v19, v11 offset:8
	s_cbranch_vccz .LBB1334_43
; %bb.40:
	v_cndmask_b32_e64 v24, 0, 1, s1
	v_cndmask_b32_e64 v25, 0, 1, s4
	;; [unrolled: 1-line block ×3, first 2 shown]
	s_waitcnt lgkmcnt(0)
	s_barrier
	v_lshlrev_b16 v24, 8, v24
	v_lshlrev_b16 v25, 8, v25
	buffer_gl0_inv
                                        ; implicit-def: $sgpr0
	v_or_b32_e32 v24, v26, v24
	v_or_b32_e32 v25, 1, v25
	s_delay_alu instid0(VALU_DEP_2) | instskip(NEXT) | instid1(VALU_DEP_2)
	v_lshlrev_b32_e32 v24, 16, v24
	v_and_b32_e32 v25, 0xffff, v25
	s_delay_alu instid0(VALU_DEP_1) | instskip(SKIP_1) | instid1(SALU_CYCLE_1)
	v_or_b32_e32 v31, v25, v24
	s_and_saveexec_b32 s1, s3
	s_xor_b32 s1, exec_lo, s1
	s_cbranch_execz .LBB1334_42
; %bb.41:
	v_add_nc_u32_e32 v24, -12, v19
	s_or_b32 s7, s7, exec_lo
	ds_load_b32 v24, v24
	s_waitcnt lgkmcnt(0)
	v_cmp_ne_u32_e32 vcc_lo, v24, v17
	s_and_b32 s0, vcc_lo, exec_lo
.LBB1334_42:
	s_or_b32 exec_lo, exec_lo, s1
	s_branch .LBB1334_47
.LBB1334_43:
                                        ; implicit-def: $sgpr0
                                        ; implicit-def: $vgpr31
	s_cbranch_execz .LBB1334_47
; %bb.44:
	v_or_b32_e32 v24, 3, v9
	v_or_b32_e32 v25, 1, v9
	v_cmp_ne_u32_e32 vcc_lo, v12, v21
	v_or_b32_e32 v26, 2, v9
	v_cmp_ne_u32_e64 s1, v17, v23
	v_cmp_gt_u32_e64 s0, s23, v24
	v_cmp_gt_u32_e64 s4, s23, v25
	v_cmp_ne_u32_e64 s5, v23, v12
	v_cmp_gt_u32_e64 s6, s23, v26
	s_waitcnt lgkmcnt(0)
	s_and_b32 s0, s0, vcc_lo
	s_barrier
	v_cndmask_b32_e64 v24, 0, 1, s0
	s_and_b32 s0, s4, s1
	buffer_gl0_inv
	v_cndmask_b32_e64 v25, 0, 1, s0
	s_and_b32 s0, s6, s5
	v_lshlrev_b16 v24, 8, v24
	v_cndmask_b32_e64 v26, 0, 1, s0
                                        ; implicit-def: $sgpr0
	s_delay_alu instid0(VALU_DEP_3) | instskip(NEXT) | instid1(VALU_DEP_2)
	v_lshlrev_b16 v25, 8, v25
	v_or_b32_e32 v24, v26, v24
	s_delay_alu instid0(VALU_DEP_2) | instskip(NEXT) | instid1(VALU_DEP_2)
	v_or_b32_e32 v25, 1, v25
	v_lshlrev_b32_e32 v24, 16, v24
	s_delay_alu instid0(VALU_DEP_2) | instskip(NEXT) | instid1(VALU_DEP_1)
	v_and_b32_e32 v25, 0xffff, v25
	v_or_b32_e32 v31, v25, v24
	s_and_saveexec_b32 s1, s3
	s_cbranch_execz .LBB1334_46
; %bb.45:
	v_add_nc_u32_e32 v19, -12, v19
	v_cmp_gt_u32_e32 vcc_lo, s23, v9
	s_or_b32 s7, s7, exec_lo
	ds_load_b32 v19, v19
	s_waitcnt lgkmcnt(0)
	v_cmp_ne_u32_e64 s0, v19, v17
	s_delay_alu instid0(VALU_DEP_1) | instskip(NEXT) | instid1(SALU_CYCLE_1)
	s_and_b32 s0, vcc_lo, s0
	s_and_b32 s0, s0, exec_lo
.LBB1334_46:
	s_or_b32 exec_lo, exec_lo, s1
.LBB1334_47:
	s_and_saveexec_b32 s1, s7
	s_cbranch_execz .LBB1334_49
; %bb.48:
	s_waitcnt vmcnt(0) lgkmcnt(2)
	v_and_b32_e32 v19, 0xffffff00, v31
	v_cndmask_b32_e64 v24, 0, 1, s0
	s_delay_alu instid0(VALU_DEP_1) | instskip(NEXT) | instid1(VALU_DEP_1)
	v_or_b32_e32 v19, v24, v19
	v_and_b32_e32 v19, 0xffff, v19
	s_delay_alu instid0(VALU_DEP_1)
	v_and_or_b32 v31, 0xffff0000, v31, v19
.LBB1334_49:
	s_or_b32 exec_lo, exec_lo, s1
	s_delay_alu instid0(SALU_CYCLE_1)
	s_and_not1_b32 vcc_lo, exec_lo, s24
	s_cbranch_vccnz .LBB1334_51
; %bb.50:
	v_cmp_gt_u32_e32 vcc_lo, s23, v9
	v_or_b32_e32 v24, 1, v9
	s_waitcnt vmcnt(0) lgkmcnt(2)
	v_cndmask_b32_e32 v19, 0, v31, vcc_lo
	s_delay_alu instid0(VALU_DEP_2) | instskip(SKIP_1) | instid1(VALU_DEP_3)
	v_cmp_gt_u32_e32 vcc_lo, s23, v24
	v_or_b32_e32 v24, 2, v9
	v_and_b32_e32 v19, 0xff, v19
	s_delay_alu instid0(VALU_DEP_1) | instskip(NEXT) | instid1(VALU_DEP_3)
	v_cndmask_b32_e32 v19, v19, v31, vcc_lo
	v_cmp_gt_u32_e32 vcc_lo, s23, v24
	v_or_b32_e32 v24, 3, v9
	s_delay_alu instid0(VALU_DEP_3) | instskip(NEXT) | instid1(VALU_DEP_1)
	v_and_b32_e32 v19, 0xffff, v19
	v_cndmask_b32_e32 v19, v19, v31, vcc_lo
	s_delay_alu instid0(VALU_DEP_3) | instskip(NEXT) | instid1(VALU_DEP_2)
	v_cmp_gt_u32_e32 vcc_lo, s23, v24
	v_and_b32_e32 v19, 0xffffff, v19
	s_delay_alu instid0(VALU_DEP_1)
	v_cndmask_b32_e32 v31, v19, v31, vcc_lo
.LBB1334_51:
	s_waitcnt vmcnt(0) lgkmcnt(2)
	s_delay_alu instid0(VALU_DEP_1)
	v_and_b32_e32 v19, 0xff, v31
	v_bfe_u32 v33, v31, 8, 8
	v_mbcnt_lo_u32_b32 v36, -1, 0
	v_bfe_u32 v35, v31, 16, 8
	v_lshrrev_b32_e32 v34, 24, v31
	v_or_b32_e32 v26, 31, v0
	v_add_nc_u32_e32 v24, v33, v19
	v_and_b32_e32 v25, 15, v36
	s_and_b32 vcc_lo, exec_lo, s18
	s_mov_b32 s7, -1
	v_cmp_eq_u32_e64 s5, v26, v0
	v_add3_u32 v37, v24, v35, v34
	v_and_b32_e32 v24, 16, v36
	v_cmp_eq_u32_e64 s0, 0, v25
	v_cmp_lt_u32_e64 s4, 1, v25
	v_cmp_lt_u32_e64 s3, 3, v25
	;; [unrolled: 1-line block ×3, first 2 shown]
	v_cmp_eq_u32_e64 s6, 0, v24
	s_waitcnt lgkmcnt(0)
	s_barrier
	buffer_gl0_inv
	s_cbranch_vccz .LBB1334_77
; %bb.52:
	v_mov_b32_dpp v24, v37 row_shr:1 row_mask:0xf bank_mask:0xf
	s_delay_alu instid0(VALU_DEP_1) | instskip(NEXT) | instid1(VALU_DEP_1)
	v_cndmask_b32_e64 v24, v24, 0, s0
	v_add_nc_u32_e32 v24, v24, v37
	s_delay_alu instid0(VALU_DEP_1) | instskip(NEXT) | instid1(VALU_DEP_1)
	v_mov_b32_dpp v25, v24 row_shr:2 row_mask:0xf bank_mask:0xf
	v_cndmask_b32_e64 v25, 0, v25, s4
	s_delay_alu instid0(VALU_DEP_1) | instskip(NEXT) | instid1(VALU_DEP_1)
	v_add_nc_u32_e32 v24, v24, v25
	v_mov_b32_dpp v25, v24 row_shr:4 row_mask:0xf bank_mask:0xf
	s_delay_alu instid0(VALU_DEP_1) | instskip(NEXT) | instid1(VALU_DEP_1)
	v_cndmask_b32_e64 v25, 0, v25, s3
	v_add_nc_u32_e32 v24, v24, v25
	s_delay_alu instid0(VALU_DEP_1) | instskip(NEXT) | instid1(VALU_DEP_1)
	v_mov_b32_dpp v25, v24 row_shr:8 row_mask:0xf bank_mask:0xf
	v_cndmask_b32_e64 v25, 0, v25, s1
	s_delay_alu instid0(VALU_DEP_1) | instskip(SKIP_3) | instid1(VALU_DEP_1)
	v_add_nc_u32_e32 v24, v24, v25
	ds_swizzle_b32 v25, v24 offset:swizzle(BROADCAST,32,15)
	s_waitcnt lgkmcnt(0)
	v_cndmask_b32_e64 v25, v25, 0, s6
	v_add_nc_u32_e32 v24, v24, v25
	s_and_saveexec_b32 s7, s5
	s_cbranch_execz .LBB1334_54
; %bb.53:
	v_lshlrev_b32_e32 v25, 2, v14
	ds_store_b32 v25, v24
.LBB1334_54:
	s_or_b32 exec_lo, exec_lo, s7
	s_delay_alu instid0(SALU_CYCLE_1)
	s_mov_b32 s7, exec_lo
	s_waitcnt lgkmcnt(0)
	s_barrier
	buffer_gl0_inv
	v_cmpx_gt_u32_e32 16, v0
	s_cbranch_execz .LBB1334_56
; %bb.55:
	ds_load_b32 v25, v9
	s_waitcnt lgkmcnt(0)
	v_mov_b32_dpp v26, v25 row_shr:1 row_mask:0xf bank_mask:0xf
	s_delay_alu instid0(VALU_DEP_1) | instskip(NEXT) | instid1(VALU_DEP_1)
	v_cndmask_b32_e64 v26, v26, 0, s0
	v_add_nc_u32_e32 v25, v26, v25
	s_delay_alu instid0(VALU_DEP_1) | instskip(NEXT) | instid1(VALU_DEP_1)
	v_mov_b32_dpp v26, v25 row_shr:2 row_mask:0xf bank_mask:0xf
	v_cndmask_b32_e64 v26, 0, v26, s4
	s_delay_alu instid0(VALU_DEP_1) | instskip(NEXT) | instid1(VALU_DEP_1)
	v_add_nc_u32_e32 v25, v25, v26
	v_mov_b32_dpp v26, v25 row_shr:4 row_mask:0xf bank_mask:0xf
	s_delay_alu instid0(VALU_DEP_1) | instskip(NEXT) | instid1(VALU_DEP_1)
	v_cndmask_b32_e64 v26, 0, v26, s3
	v_add_nc_u32_e32 v25, v25, v26
	s_delay_alu instid0(VALU_DEP_1) | instskip(NEXT) | instid1(VALU_DEP_1)
	v_mov_b32_dpp v26, v25 row_shr:8 row_mask:0xf bank_mask:0xf
	v_cndmask_b32_e64 v26, 0, v26, s1
	s_delay_alu instid0(VALU_DEP_1)
	v_add_nc_u32_e32 v25, v25, v26
	ds_store_b32 v9, v25
.LBB1334_56:
	s_or_b32 exec_lo, exec_lo, s7
	v_cmp_gt_u32_e32 vcc_lo, 32, v0
	s_mov_b32 s18, exec_lo
	s_waitcnt lgkmcnt(0)
	s_barrier
	buffer_gl0_inv
                                        ; implicit-def: $vgpr32
	v_cmpx_lt_u32_e32 31, v0
	s_cbranch_execz .LBB1334_58
; %bb.57:
	v_lshl_add_u32 v25, v14, 2, -4
	ds_load_b32 v32, v25
	s_waitcnt lgkmcnt(0)
	v_add_nc_u32_e32 v24, v32, v24
.LBB1334_58:
	s_or_b32 exec_lo, exec_lo, s18
	v_add_nc_u32_e32 v25, -1, v36
	s_delay_alu instid0(VALU_DEP_1) | instskip(NEXT) | instid1(VALU_DEP_1)
	v_cmp_gt_i32_e64 s7, 0, v25
	v_cndmask_b32_e64 v25, v25, v36, s7
	v_cmp_eq_u32_e64 s7, 0, v36
	s_delay_alu instid0(VALU_DEP_2)
	v_lshlrev_b32_e32 v25, 2, v25
	ds_bpermute_b32 v38, v25, v24
	s_and_saveexec_b32 s18, vcc_lo
	s_cbranch_execz .LBB1334_76
; %bb.59:
	v_mov_b32_e32 v27, 0
	ds_load_b32 v24, v27 offset:60
	s_and_saveexec_b32 s19, s7
	s_cbranch_execz .LBB1334_61
; %bb.60:
	s_add_i32 s24, s22, 32
	s_mov_b32 s25, 0
	v_mov_b32_e32 v25, 1
	s_lshl_b64 s[24:25], s[24:25], 3
	s_delay_alu instid0(SALU_CYCLE_1)
	s_add_u32 s24, s16, s24
	s_addc_u32 s25, s17, s25
	s_waitcnt lgkmcnt(0)
	global_store_b64 v27, v[24:25], s[24:25]
.LBB1334_61:
	s_or_b32 exec_lo, exec_lo, s19
	v_xad_u32 v25, v36, -1, s22
	s_mov_b32 s23, 0
	s_mov_b32 s19, exec_lo
	s_delay_alu instid0(VALU_DEP_1) | instskip(NEXT) | instid1(VALU_DEP_1)
	v_add_nc_u32_e32 v26, 32, v25
	v_lshlrev_b64 v[26:27], 3, v[26:27]
	s_delay_alu instid0(VALU_DEP_1) | instskip(NEXT) | instid1(VALU_DEP_2)
	v_add_co_u32 v29, vcc_lo, s16, v26
	v_add_co_ci_u32_e32 v30, vcc_lo, s17, v27, vcc_lo
	global_load_b64 v[27:28], v[29:30], off glc
	s_waitcnt vmcnt(0)
	v_and_b32_e32 v26, 0xff, v28
	s_delay_alu instid0(VALU_DEP_1)
	v_cmpx_eq_u16_e32 0, v26
	s_cbranch_execz .LBB1334_64
.LBB1334_62:                            ; =>This Inner Loop Header: Depth=1
	global_load_b64 v[27:28], v[29:30], off glc
	s_waitcnt vmcnt(0)
	v_and_b32_e32 v26, 0xff, v28
	s_delay_alu instid0(VALU_DEP_1) | instskip(SKIP_1) | instid1(SALU_CYCLE_1)
	v_cmp_ne_u16_e32 vcc_lo, 0, v26
	s_or_b32 s23, vcc_lo, s23
	s_and_not1_b32 exec_lo, exec_lo, s23
	s_cbranch_execnz .LBB1334_62
; %bb.63:
	s_or_b32 exec_lo, exec_lo, s23
.LBB1334_64:
	s_delay_alu instid0(SALU_CYCLE_1)
	s_or_b32 exec_lo, exec_lo, s19
	v_cmp_ne_u32_e32 vcc_lo, 31, v36
	v_lshlrev_b32_e64 v40, v36, -1
	v_add_nc_u32_e32 v42, 2, v36
	v_add_nc_u32_e32 v44, 4, v36
	;; [unrolled: 1-line block ×3, first 2 shown]
	v_add_co_ci_u32_e32 v26, vcc_lo, 0, v36, vcc_lo
	v_add_nc_u32_e32 v49, 16, v36
	s_delay_alu instid0(VALU_DEP_2) | instskip(SKIP_2) | instid1(VALU_DEP_1)
	v_lshlrev_b32_e32 v39, 2, v26
	ds_bpermute_b32 v29, v39, v27
	v_and_b32_e32 v26, 0xff, v28
	v_cmp_eq_u16_e32 vcc_lo, 2, v26
	v_and_or_b32 v26, vcc_lo, v40, 0x80000000
	v_cmp_gt_u32_e32 vcc_lo, 30, v36
	s_delay_alu instid0(VALU_DEP_2) | instskip(SKIP_1) | instid1(VALU_DEP_2)
	v_ctz_i32_b32_e32 v26, v26
	v_cndmask_b32_e64 v30, 0, 1, vcc_lo
	v_cmp_lt_u32_e32 vcc_lo, v36, v26
	s_waitcnt lgkmcnt(0)
	s_delay_alu instid0(VALU_DEP_2) | instskip(NEXT) | instid1(VALU_DEP_1)
	v_dual_cndmask_b32 v29, 0, v29 :: v_dual_lshlrev_b32 v30, 1, v30
	v_add_lshl_u32 v41, v30, v36, 2
	v_cmp_gt_u32_e32 vcc_lo, 28, v36
	s_delay_alu instid0(VALU_DEP_3) | instskip(SKIP_4) | instid1(VALU_DEP_1)
	v_add_nc_u32_e32 v27, v29, v27
	v_cndmask_b32_e64 v30, 0, 1, vcc_lo
	v_cmp_le_u32_e32 vcc_lo, v42, v26
	ds_bpermute_b32 v29, v41, v27
	v_lshlrev_b32_e32 v30, 2, v30
	v_add_lshl_u32 v43, v30, v36, 2
	s_waitcnt lgkmcnt(0)
	v_cndmask_b32_e32 v29, 0, v29, vcc_lo
	v_cmp_gt_u32_e32 vcc_lo, 24, v36
	s_delay_alu instid0(VALU_DEP_2) | instskip(SKIP_4) | instid1(VALU_DEP_1)
	v_add_nc_u32_e32 v27, v27, v29
	v_cndmask_b32_e64 v30, 0, 1, vcc_lo
	v_cmp_le_u32_e32 vcc_lo, v44, v26
	ds_bpermute_b32 v29, v43, v27
	v_lshlrev_b32_e32 v30, 3, v30
	v_add_lshl_u32 v46, v30, v36, 2
	s_waitcnt lgkmcnt(0)
	v_cndmask_b32_e32 v29, 0, v29, vcc_lo
	v_cmp_gt_u32_e32 vcc_lo, 16, v36
	s_delay_alu instid0(VALU_DEP_2) | instskip(SKIP_4) | instid1(VALU_DEP_1)
	v_add_nc_u32_e32 v27, v27, v29
	v_cndmask_b32_e64 v30, 0, 1, vcc_lo
	v_cmp_le_u32_e32 vcc_lo, v47, v26
	ds_bpermute_b32 v29, v46, v27
	v_lshlrev_b32_e32 v30, 4, v30
	v_add_lshl_u32 v48, v30, v36, 2
	s_waitcnt lgkmcnt(0)
	v_cndmask_b32_e32 v29, 0, v29, vcc_lo
	v_cmp_le_u32_e32 vcc_lo, v49, v26
	s_delay_alu instid0(VALU_DEP_2) | instskip(SKIP_3) | instid1(VALU_DEP_1)
	v_add_nc_u32_e32 v27, v27, v29
	ds_bpermute_b32 v29, v48, v27
	s_waitcnt lgkmcnt(0)
	v_cndmask_b32_e32 v26, 0, v29, vcc_lo
	v_dual_mov_b32 v26, 0 :: v_dual_add_nc_u32 v27, v27, v26
	s_branch .LBB1334_66
.LBB1334_65:                            ;   in Loop: Header=BB1334_66 Depth=1
	s_or_b32 exec_lo, exec_lo, s19
	ds_bpermute_b32 v30, v39, v27
	v_and_b32_e32 v29, 0xff, v28
	v_subrev_nc_u32_e32 v25, 32, v25
	s_delay_alu instid0(VALU_DEP_2) | instskip(SKIP_1) | instid1(VALU_DEP_1)
	v_cmp_eq_u16_e32 vcc_lo, 2, v29
	v_and_or_b32 v29, vcc_lo, v40, 0x80000000
	v_ctz_i32_b32_e32 v29, v29
	s_delay_alu instid0(VALU_DEP_1) | instskip(SKIP_3) | instid1(VALU_DEP_2)
	v_cmp_lt_u32_e32 vcc_lo, v36, v29
	s_waitcnt lgkmcnt(0)
	v_cndmask_b32_e32 v30, 0, v30, vcc_lo
	v_cmp_le_u32_e32 vcc_lo, v42, v29
	v_add_nc_u32_e32 v27, v30, v27
	ds_bpermute_b32 v30, v41, v27
	s_waitcnt lgkmcnt(0)
	v_cndmask_b32_e32 v30, 0, v30, vcc_lo
	v_cmp_le_u32_e32 vcc_lo, v44, v29
	s_delay_alu instid0(VALU_DEP_2) | instskip(SKIP_4) | instid1(VALU_DEP_2)
	v_add_nc_u32_e32 v27, v27, v30
	ds_bpermute_b32 v30, v43, v27
	s_waitcnt lgkmcnt(0)
	v_cndmask_b32_e32 v30, 0, v30, vcc_lo
	v_cmp_le_u32_e32 vcc_lo, v47, v29
	v_add_nc_u32_e32 v27, v27, v30
	ds_bpermute_b32 v30, v46, v27
	s_waitcnt lgkmcnt(0)
	v_cndmask_b32_e32 v30, 0, v30, vcc_lo
	v_cmp_le_u32_e32 vcc_lo, v49, v29
	s_delay_alu instid0(VALU_DEP_2) | instskip(SKIP_3) | instid1(VALU_DEP_1)
	v_add_nc_u32_e32 v27, v27, v30
	ds_bpermute_b32 v30, v48, v27
	s_waitcnt lgkmcnt(0)
	v_cndmask_b32_e32 v29, 0, v30, vcc_lo
	v_add3_u32 v27, v29, v45, v27
.LBB1334_66:                            ; =>This Loop Header: Depth=1
                                        ;     Child Loop BB1334_69 Depth 2
	s_delay_alu instid0(VALU_DEP_1) | instskip(NEXT) | instid1(VALU_DEP_1)
	v_dual_mov_b32 v45, v27 :: v_dual_and_b32 v28, 0xff, v28
	v_cmp_ne_u16_e32 vcc_lo, 2, v28
	v_cndmask_b32_e64 v28, 0, 1, vcc_lo
	;;#ASMSTART
	;;#ASMEND
	s_delay_alu instid0(VALU_DEP_1)
	v_cmp_ne_u32_e32 vcc_lo, 0, v28
	s_cmp_lg_u32 vcc_lo, exec_lo
	s_cbranch_scc1 .LBB1334_71
; %bb.67:                               ;   in Loop: Header=BB1334_66 Depth=1
	v_lshlrev_b64 v[27:28], 3, v[25:26]
	s_mov_b32 s19, exec_lo
	s_delay_alu instid0(VALU_DEP_1) | instskip(NEXT) | instid1(VALU_DEP_2)
	v_add_co_u32 v29, vcc_lo, s16, v27
	v_add_co_ci_u32_e32 v30, vcc_lo, s17, v28, vcc_lo
	global_load_b64 v[27:28], v[29:30], off glc
	s_waitcnt vmcnt(0)
	v_and_b32_e32 v50, 0xff, v28
	s_delay_alu instid0(VALU_DEP_1)
	v_cmpx_eq_u16_e32 0, v50
	s_cbranch_execz .LBB1334_65
; %bb.68:                               ;   in Loop: Header=BB1334_66 Depth=1
	s_mov_b32 s23, 0
.LBB1334_69:                            ;   Parent Loop BB1334_66 Depth=1
                                        ; =>  This Inner Loop Header: Depth=2
	global_load_b64 v[27:28], v[29:30], off glc
	s_waitcnt vmcnt(0)
	v_and_b32_e32 v50, 0xff, v28
	s_delay_alu instid0(VALU_DEP_1) | instskip(SKIP_1) | instid1(SALU_CYCLE_1)
	v_cmp_ne_u16_e32 vcc_lo, 0, v50
	s_or_b32 s23, vcc_lo, s23
	s_and_not1_b32 exec_lo, exec_lo, s23
	s_cbranch_execnz .LBB1334_69
; %bb.70:                               ;   in Loop: Header=BB1334_66 Depth=1
	s_or_b32 exec_lo, exec_lo, s23
	s_branch .LBB1334_65
.LBB1334_71:                            ;   in Loop: Header=BB1334_66 Depth=1
                                        ; implicit-def: $vgpr27
                                        ; implicit-def: $vgpr28
	s_cbranch_execz .LBB1334_66
; %bb.72:
	s_and_saveexec_b32 s19, s7
	s_cbranch_execz .LBB1334_74
; %bb.73:
	s_add_i32 s22, s22, 32
	s_mov_b32 s23, 0
	v_dual_mov_b32 v26, 2 :: v_dual_add_nc_u32 v25, v45, v24
	s_lshl_b64 s[22:23], s[22:23], 3
	v_mov_b32_e32 v27, 0
	v_add_nc_u32_e64 v28, 0x6000, 0
	s_add_u32 s22, s16, s22
	s_addc_u32 s23, s17, s23
	global_store_b64 v27, v[25:26], s[22:23]
	ds_store_2addr_b32 v28, v24, v45 offset0:192 offset1:194
.LBB1334_74:
	s_or_b32 exec_lo, exec_lo, s19
	s_delay_alu instid0(SALU_CYCLE_1)
	s_and_b32 exec_lo, exec_lo, s2
	s_cbranch_execz .LBB1334_76
; %bb.75:
	v_mov_b32_e32 v24, 0
	ds_store_b32 v24, v45 offset:60
.LBB1334_76:
	s_or_b32 exec_lo, exec_lo, s18
	v_mov_b32_e32 v24, 0
	s_waitcnt lgkmcnt(0)
	s_waitcnt_vscnt null, 0x0
	s_barrier
	buffer_gl0_inv
	v_add_nc_u32_e64 v25, 0x6000, 0
	ds_load_b32 v26, v24 offset:60
	v_cndmask_b32_e64 v24, v38, v32, s7
	s_waitcnt lgkmcnt(0)
	s_barrier
	buffer_gl0_inv
	v_cndmask_b32_e64 v27, v24, 0, s2
	ds_load_2addr_b32 v[24:25], v25 offset0:192 offset1:194
	v_add_nc_u32_e32 v32, v26, v27
	s_delay_alu instid0(VALU_DEP_1) | instskip(SKIP_2) | instid1(VALU_DEP_2)
	v_add_nc_u32_e32 v30, v32, v19
	s_waitcnt lgkmcnt(0)
	v_readfirstlane_b32 s18, v25
	v_add_nc_u32_e32 v28, v30, v33
	s_delay_alu instid0(VALU_DEP_1)
	v_add_nc_u32_e32 v26, v28, v35
	s_branch .LBB1334_87
.LBB1334_77:
                                        ; implicit-def: $vgpr26
                                        ; implicit-def: $vgpr28
                                        ; implicit-def: $vgpr30
                                        ; implicit-def: $vgpr32
                                        ; implicit-def: $sgpr18
                                        ; implicit-def: $vgpr24
	s_and_b32 vcc_lo, exec_lo, s7
	s_cbranch_vccz .LBB1334_87
; %bb.78:
	v_mov_b32_dpp v24, v37 row_shr:1 row_mask:0xf bank_mask:0xf
	s_delay_alu instid0(VALU_DEP_1) | instskip(NEXT) | instid1(VALU_DEP_1)
	v_cndmask_b32_e64 v24, v24, 0, s0
	v_add_nc_u32_e32 v24, v24, v37
	s_delay_alu instid0(VALU_DEP_1) | instskip(NEXT) | instid1(VALU_DEP_1)
	v_mov_b32_dpp v25, v24 row_shr:2 row_mask:0xf bank_mask:0xf
	v_cndmask_b32_e64 v25, 0, v25, s4
	s_delay_alu instid0(VALU_DEP_1) | instskip(NEXT) | instid1(VALU_DEP_1)
	v_add_nc_u32_e32 v24, v24, v25
	v_mov_b32_dpp v25, v24 row_shr:4 row_mask:0xf bank_mask:0xf
	s_delay_alu instid0(VALU_DEP_1) | instskip(NEXT) | instid1(VALU_DEP_1)
	v_cndmask_b32_e64 v25, 0, v25, s3
	v_add_nc_u32_e32 v24, v24, v25
	s_delay_alu instid0(VALU_DEP_1) | instskip(NEXT) | instid1(VALU_DEP_1)
	v_mov_b32_dpp v25, v24 row_shr:8 row_mask:0xf bank_mask:0xf
	v_cndmask_b32_e64 v25, 0, v25, s1
	s_delay_alu instid0(VALU_DEP_1) | instskip(SKIP_3) | instid1(VALU_DEP_1)
	v_add_nc_u32_e32 v24, v24, v25
	ds_swizzle_b32 v25, v24 offset:swizzle(BROADCAST,32,15)
	s_waitcnt lgkmcnt(0)
	v_cndmask_b32_e64 v25, v25, 0, s6
	v_add_nc_u32_e32 v24, v24, v25
	s_and_saveexec_b32 s6, s5
	s_cbranch_execz .LBB1334_80
; %bb.79:
	v_lshlrev_b32_e32 v25, 2, v14
	ds_store_b32 v25, v24
.LBB1334_80:
	s_or_b32 exec_lo, exec_lo, s6
	s_delay_alu instid0(SALU_CYCLE_1)
	s_mov_b32 s5, exec_lo
	s_waitcnt lgkmcnt(0)
	s_barrier
	buffer_gl0_inv
	v_cmpx_gt_u32_e32 16, v0
	s_cbranch_execz .LBB1334_82
; %bb.81:
	ds_load_b32 v25, v9
	s_waitcnt lgkmcnt(0)
	v_mov_b32_dpp v26, v25 row_shr:1 row_mask:0xf bank_mask:0xf
	s_delay_alu instid0(VALU_DEP_1) | instskip(NEXT) | instid1(VALU_DEP_1)
	v_cndmask_b32_e64 v26, v26, 0, s0
	v_add_nc_u32_e32 v25, v26, v25
	s_delay_alu instid0(VALU_DEP_1) | instskip(NEXT) | instid1(VALU_DEP_1)
	v_mov_b32_dpp v26, v25 row_shr:2 row_mask:0xf bank_mask:0xf
	v_cndmask_b32_e64 v26, 0, v26, s4
	s_delay_alu instid0(VALU_DEP_1) | instskip(NEXT) | instid1(VALU_DEP_1)
	v_add_nc_u32_e32 v25, v25, v26
	v_mov_b32_dpp v26, v25 row_shr:4 row_mask:0xf bank_mask:0xf
	s_delay_alu instid0(VALU_DEP_1) | instskip(NEXT) | instid1(VALU_DEP_1)
	v_cndmask_b32_e64 v26, 0, v26, s3
	v_add_nc_u32_e32 v25, v25, v26
	s_delay_alu instid0(VALU_DEP_1) | instskip(NEXT) | instid1(VALU_DEP_1)
	v_mov_b32_dpp v26, v25 row_shr:8 row_mask:0xf bank_mask:0xf
	v_cndmask_b32_e64 v26, 0, v26, s1
	s_delay_alu instid0(VALU_DEP_1)
	v_add_nc_u32_e32 v25, v25, v26
	ds_store_b32 v9, v25
.LBB1334_82:
	s_or_b32 exec_lo, exec_lo, s5
	v_mov_b32_e32 v25, 0
	v_mov_b32_e32 v9, 0
	s_mov_b32 s0, exec_lo
	s_waitcnt lgkmcnt(0)
	s_barrier
	buffer_gl0_inv
	v_cmpx_lt_u32_e32 31, v0
	s_cbranch_execz .LBB1334_84
; %bb.83:
	v_lshl_add_u32 v9, v14, 2, -4
	ds_load_b32 v9, v9
.LBB1334_84:
	s_or_b32 exec_lo, exec_lo, s0
	v_add_nc_u32_e32 v14, -1, v36
	s_waitcnt lgkmcnt(0)
	v_add_nc_u32_e32 v24, v9, v24
	s_mov_b32 s18, 0
	s_delay_alu instid0(VALU_DEP_2) | instskip(SKIP_1) | instid1(VALU_DEP_1)
	v_cmp_gt_i32_e32 vcc_lo, 0, v14
	v_cndmask_b32_e32 v14, v14, v36, vcc_lo
	v_lshlrev_b32_e32 v14, 2, v14
	ds_bpermute_b32 v14, v14, v24
	ds_load_b32 v24, v25 offset:60
	s_and_saveexec_b32 s0, s2
	s_cbranch_execz .LBB1334_86
; %bb.85:
	v_dual_mov_b32 v26, 0 :: v_dual_mov_b32 v25, 2
	s_waitcnt lgkmcnt(0)
	global_store_b64 v26, v[24:25], s[16:17] offset:256
.LBB1334_86:
	s_or_b32 exec_lo, exec_lo, s0
	v_cmp_eq_u32_e32 vcc_lo, 0, v36
	s_waitcnt lgkmcnt(0)
	s_waitcnt_vscnt null, 0x0
	s_barrier
	buffer_gl0_inv
	v_cndmask_b32_e32 v9, v14, v9, vcc_lo
	s_delay_alu instid0(VALU_DEP_1) | instskip(NEXT) | instid1(VALU_DEP_1)
	v_cndmask_b32_e64 v32, v9, 0, s2
	v_add_nc_u32_e32 v30, v32, v19
	s_delay_alu instid0(VALU_DEP_1) | instskip(NEXT) | instid1(VALU_DEP_1)
	v_add_nc_u32_e32 v28, v30, v33
	v_add_nc_u32_e32 v26, v28, v35
.LBB1334_87:
	s_delay_alu instid0(VALU_DEP_3)
	v_add_nc_u32_e32 v27, s18, v24
	v_cmp_gt_u32_e64 s0, 0x201, v24
	v_lshrrev_b32_e32 v25, 16, v31
	v_lshrrev_b32_e32 v35, 8, v31
	s_mov_b32 s3, -1
	v_cmp_lt_u32_e64 s1, v32, v27
	s_and_b32 vcc_lo, exec_lo, s0
	s_cbranch_vccz .LBB1334_101
; %bb.88:
	s_delay_alu instid0(VALU_DEP_1) | instskip(NEXT) | instid1(SALU_CYCLE_1)
	s_or_b32 s3, s21, s1
	s_and_saveexec_b32 s1, s3
	s_cbranch_execz .LBB1334_91
; %bb.89:
	v_and_b32_e32 v9, 1, v31
	s_delay_alu instid0(VALU_DEP_1)
	v_cmp_eq_u32_e32 vcc_lo, 1, v9
	s_and_b32 exec_lo, exec_lo, vcc_lo
	s_cbranch_execz .LBB1334_91
; %bb.90:
	s_mul_i32 s3, s11, 12
	s_mul_hi_u32 s4, s10, 12
	s_mul_i32 s5, s10, 12
	s_add_i32 s3, s4, s3
	s_add_u32 s4, s12, s5
	s_addc_u32 s5, s13, s3
	v_mov_b32_e32 v19, v22
	v_mad_u64_u32 v[36:37], null, v32, 12, s[4:5]
	global_store_b96 v[36:37], v[17:19], off
.LBB1334_91:
	s_or_b32 exec_lo, exec_lo, s1
	v_cmp_lt_u32_e32 vcc_lo, v30, v27
	s_or_b32 s3, s21, vcc_lo
	s_delay_alu instid0(SALU_CYCLE_1)
	s_and_saveexec_b32 s1, s3
	s_cbranch_execz .LBB1334_94
; %bb.92:
	v_and_b32_e32 v9, 1, v35
	s_delay_alu instid0(VALU_DEP_1)
	v_cmp_eq_u32_e32 vcc_lo, 1, v9
	s_and_b32 exec_lo, exec_lo, vcc_lo
	s_cbranch_execz .LBB1334_94
; %bb.93:
	s_mul_i32 s3, s11, 12
	s_mul_hi_u32 s4, s10, 12
	s_mul_i32 s5, s10, 12
	s_add_i32 s3, s4, s3
	s_add_u32 s4, s12, s5
	s_addc_u32 s5, s13, s3
	v_mov_b32_e32 v14, v23
	v_mad_u64_u32 v[36:37], null, v30, 12, s[4:5]
	global_store_b96 v[36:37], v[14:16], off
.LBB1334_94:
	s_or_b32 exec_lo, exec_lo, s1
	v_cmp_lt_u32_e32 vcc_lo, v28, v27
	s_or_b32 s3, s21, vcc_lo
	s_delay_alu instid0(SALU_CYCLE_1)
	s_and_saveexec_b32 s1, s3
	s_cbranch_execz .LBB1334_97
; %bb.95:
	v_and_b32_e32 v9, 1, v25
	s_delay_alu instid0(VALU_DEP_1)
	v_cmp_eq_u32_e32 vcc_lo, 1, v9
	s_and_b32 exec_lo, exec_lo, vcc_lo
	s_cbranch_execz .LBB1334_97
; %bb.96:
	s_mul_i32 s3, s11, 12
	s_mul_hi_u32 s4, s10, 12
	s_mul_i32 s5, s10, 12
	s_add_i32 s3, s4, s3
	s_add_u32 s4, s12, s5
	s_addc_u32 s5, s13, s3
	v_mov_b32_e32 v14, v20
	v_mad_u64_u32 v[36:37], null, v28, 12, s[4:5]
	global_store_b96 v[36:37], v[12:14], off
.LBB1334_97:
	s_or_b32 exec_lo, exec_lo, s1
	v_cmp_lt_u32_e32 vcc_lo, v26, v27
	s_or_b32 s3, s21, vcc_lo
	s_delay_alu instid0(SALU_CYCLE_1)
	s_and_saveexec_b32 s1, s3
	s_cbranch_execz .LBB1334_100
; %bb.98:
	v_and_b32_e32 v9, 1, v34
	s_delay_alu instid0(VALU_DEP_1)
	v_cmp_eq_u32_e32 vcc_lo, 1, v9
	s_and_b32 exec_lo, exec_lo, vcc_lo
	s_cbranch_execz .LBB1334_100
; %bb.99:
	s_mul_i32 s3, s11, 12
	s_mul_hi_u32 s4, s10, 12
	s_mul_i32 s5, s10, 12
	s_add_i32 s3, s4, s3
	s_add_u32 s4, s12, s5
	s_addc_u32 s5, s13, s3
	v_mov_b32_e32 v9, v21
	v_mad_u64_u32 v[36:37], null, v26, 12, s[4:5]
	global_store_b96 v[36:37], v[9:11], off
.LBB1334_100:
	s_or_b32 exec_lo, exec_lo, s1
	s_mov_b32 s3, 0
.LBB1334_101:
	v_and_b32_e32 v9, 1, v31
	s_and_b32 vcc_lo, exec_lo, s3
	s_delay_alu instid0(VALU_DEP_1)
	v_cmp_eq_u32_e64 s1, 1, v9
	s_cbranch_vccz .LBB1334_114
; %bb.102:
	s_delay_alu instid0(VALU_DEP_1)
	s_and_saveexec_b32 s3, s1
	s_cbranch_execz .LBB1334_104
; %bb.103:
	v_subrev_nc_u32_e32 v14, s18, v32
	s_delay_alu instid0(VALU_DEP_1)
	v_mul_lo_u32 v14, v14, 12
	ds_store_2addr_b32 v14, v17, v18 offset1:1
	ds_store_b32 v14, v22 offset:8
.LBB1334_104:
	s_or_b32 exec_lo, exec_lo, s3
	v_and_b32_e32 v14, 1, v35
	s_mov_b32 s1, exec_lo
	s_delay_alu instid0(VALU_DEP_1)
	v_cmpx_eq_u32_e32 1, v14
	s_cbranch_execz .LBB1334_106
; %bb.105:
	v_subrev_nc_u32_e32 v14, s18, v30
	s_delay_alu instid0(VALU_DEP_1)
	v_mul_lo_u32 v14, v14, 12
	ds_store_2addr_b32 v14, v23, v15 offset1:1
	ds_store_b32 v14, v16 offset:8
.LBB1334_106:
	s_or_b32 exec_lo, exec_lo, s1
	v_and_b32_e32 v14, 1, v25
	s_mov_b32 s1, exec_lo
	s_delay_alu instid0(VALU_DEP_1)
	v_cmpx_eq_u32_e32 1, v14
	s_cbranch_execz .LBB1334_108
; %bb.107:
	v_subrev_nc_u32_e32 v14, s18, v28
	s_delay_alu instid0(VALU_DEP_1)
	v_mul_lo_u32 v14, v14, 12
	ds_store_2addr_b32 v14, v12, v13 offset1:1
	ds_store_b32 v14, v20 offset:8
.LBB1334_108:
	s_or_b32 exec_lo, exec_lo, s1
	v_and_b32_e32 v12, 1, v34
	s_mov_b32 s1, exec_lo
	s_delay_alu instid0(VALU_DEP_1)
	v_cmpx_eq_u32_e32 1, v12
	s_cbranch_execz .LBB1334_110
; %bb.109:
	v_subrev_nc_u32_e32 v12, s18, v26
	s_delay_alu instid0(VALU_DEP_1)
	v_mul_lo_u32 v12, v12, 12
	ds_store_2addr_b32 v12, v21, v10 offset1:1
	ds_store_b32 v12, v11 offset:8
.LBB1334_110:
	s_or_b32 exec_lo, exec_lo, s1
	s_delay_alu instid0(SALU_CYCLE_1)
	s_mov_b32 s1, exec_lo
	s_waitcnt lgkmcnt(0)
	s_waitcnt_vscnt null, 0x0
	s_barrier
	buffer_gl0_inv
	v_cmpx_lt_u32_e64 v0, v24
	s_cbranch_execz .LBB1334_113
; %bb.111:
	s_mul_i32 s3, s18, 12
	s_mul_hi_u32 s4, s18, 12
	s_add_u32 s3, s12, s3
	s_mul_i32 s5, s11, 12
	s_mul_hi_u32 s6, s10, 12
	s_addc_u32 s7, s13, s4
	s_mul_i32 s4, s10, 12
	v_mul_u32_u24_e32 v10, 12, v0
	v_mov_b32_e32 v11, v0
	s_add_i32 s6, s6, s5
	s_add_u32 s4, s3, s4
	s_addc_u32 s5, s7, s6
	s_mov_b32 s3, 0
.LBB1334_112:                           ; =>This Inner Loop Header: Depth=1
	ds_load_2addr_b32 v[12:13], v10 offset1:1
	ds_load_b32 v14, v10 offset:8
	v_mad_u64_u32 v[15:16], null, v11, 12, s[4:5]
	v_add_nc_u32_e32 v11, 0x200, v11
	v_add_nc_u32_e32 v10, 0x1800, v10
	s_delay_alu instid0(VALU_DEP_2)
	v_cmp_ge_u32_e32 vcc_lo, v11, v24
	s_or_b32 s3, vcc_lo, s3
	s_waitcnt lgkmcnt(0)
	global_store_b96 v[15:16], v[12:14], off
	s_and_not1_b32 exec_lo, exec_lo, s3
	s_cbranch_execnz .LBB1334_112
.LBB1334_113:
	s_or_b32 exec_lo, exec_lo, s1
.LBB1334_114:
	s_delay_alu instid0(SALU_CYCLE_1)
	s_and_b32 vcc_lo, exec_lo, s0
	s_mov_b32 s0, -1
	s_waitcnt_vscnt null, 0x0
	s_barrier
	buffer_gl0_inv
	s_cbranch_vccz .LBB1334_130
; %bb.115:
	v_cmp_lt_u32_e32 vcc_lo, v32, v27
	s_or_b32 s1, s21, vcc_lo
	s_delay_alu instid0(SALU_CYCLE_1)
	s_and_saveexec_b32 s0, s1
	s_cbranch_execz .LBB1334_118
; %bb.116:
	v_cmp_eq_u32_e32 vcc_lo, 1, v9
	s_and_b32 exec_lo, exec_lo, vcc_lo
	s_cbranch_execz .LBB1334_118
; %bb.117:
	v_mov_b32_e32 v33, 0
	s_lshl_b64 s[4:5], s[10:11], 3
	s_delay_alu instid0(SALU_CYCLE_1) | instskip(SKIP_1) | instid1(VALU_DEP_1)
	s_add_u32 s1, s14, s4
	s_addc_u32 s3, s15, s5
	v_lshlrev_b64 v[10:11], 3, v[32:33]
	s_delay_alu instid0(VALU_DEP_1) | instskip(NEXT) | instid1(VALU_DEP_2)
	v_add_co_u32 v10, vcc_lo, s1, v10
	v_add_co_ci_u32_e32 v11, vcc_lo, s3, v11, vcc_lo
	global_store_b64 v[10:11], v[5:6], off
.LBB1334_118:
	s_or_b32 exec_lo, exec_lo, s0
	v_cmp_lt_u32_e32 vcc_lo, v30, v27
	s_or_b32 s1, s21, vcc_lo
	s_delay_alu instid0(SALU_CYCLE_1)
	s_and_saveexec_b32 s0, s1
	s_cbranch_execz .LBB1334_121
; %bb.119:
	v_and_b32_e32 v10, 1, v35
	s_delay_alu instid0(VALU_DEP_1)
	v_cmp_eq_u32_e32 vcc_lo, 1, v10
	s_and_b32 exec_lo, exec_lo, vcc_lo
	s_cbranch_execz .LBB1334_121
; %bb.120:
	v_mov_b32_e32 v31, 0
	s_lshl_b64 s[4:5], s[10:11], 3
	s_delay_alu instid0(SALU_CYCLE_1) | instskip(SKIP_1) | instid1(VALU_DEP_1)
	s_add_u32 s1, s14, s4
	s_addc_u32 s3, s15, s5
	v_lshlrev_b64 v[10:11], 3, v[30:31]
	s_delay_alu instid0(VALU_DEP_1) | instskip(NEXT) | instid1(VALU_DEP_2)
	v_add_co_u32 v10, vcc_lo, s1, v10
	v_add_co_ci_u32_e32 v11, vcc_lo, s3, v11, vcc_lo
	global_store_b64 v[10:11], v[7:8], off
.LBB1334_121:
	s_or_b32 exec_lo, exec_lo, s0
	v_cmp_lt_u32_e32 vcc_lo, v28, v27
	s_or_b32 s1, s21, vcc_lo
	s_delay_alu instid0(SALU_CYCLE_1)
	s_and_saveexec_b32 s0, s1
	s_cbranch_execz .LBB1334_124
; %bb.122:
	v_and_b32_e32 v10, 1, v25
	s_delay_alu instid0(VALU_DEP_1)
	v_cmp_eq_u32_e32 vcc_lo, 1, v10
	s_and_b32 exec_lo, exec_lo, vcc_lo
	s_cbranch_execz .LBB1334_124
; %bb.123:
	v_mov_b32_e32 v29, 0
	s_lshl_b64 s[4:5], s[10:11], 3
	s_delay_alu instid0(SALU_CYCLE_1) | instskip(SKIP_1) | instid1(VALU_DEP_1)
	s_add_u32 s1, s14, s4
	s_addc_u32 s3, s15, s5
	v_lshlrev_b64 v[10:11], 3, v[28:29]
	s_delay_alu instid0(VALU_DEP_1) | instskip(NEXT) | instid1(VALU_DEP_2)
	v_add_co_u32 v10, vcc_lo, s1, v10
	v_add_co_ci_u32_e32 v11, vcc_lo, s3, v11, vcc_lo
	global_store_b64 v[10:11], v[1:2], off
.LBB1334_124:
	;; [unrolled: 24-line block ×3, first 2 shown]
	s_or_b32 exec_lo, exec_lo, s0
.LBB1334_128:
	s_and_b32 s0, s2, s20
	s_delay_alu instid0(SALU_CYCLE_1)
	s_and_saveexec_b32 s1, s0
	s_cbranch_execz .LBB1334_143
.LBB1334_129:
	v_add_co_u32 v0, s0, s10, v24
	s_delay_alu instid0(VALU_DEP_1) | instskip(SKIP_1) | instid1(VALU_DEP_3)
	v_add_co_ci_u32_e64 v1, null, s11, 0, s0
	v_mov_b32_e32 v2, 0
	v_add_co_u32 v0, vcc_lo, v0, s18
	s_delay_alu instid0(VALU_DEP_3)
	v_add_co_ci_u32_e32 v1, vcc_lo, 0, v1, vcc_lo
	global_store_b64 v2, v[0:1], s[8:9]
	s_nop 0
	s_sendmsg sendmsg(MSG_DEALLOC_VGPRS)
	s_endpgm
.LBB1334_130:
	s_and_b32 vcc_lo, exec_lo, s0
	s_cbranch_vccz .LBB1334_128
; %bb.131:
	s_mov_b32 s0, exec_lo
	v_cmpx_eq_u32_e32 1, v9
	s_cbranch_execz .LBB1334_133
; %bb.132:
	v_subrev_nc_u32_e32 v9, s18, v32
	s_delay_alu instid0(VALU_DEP_1)
	v_lshlrev_b32_e32 v9, 3, v9
	ds_store_b64 v9, v[5:6]
.LBB1334_133:
	s_or_b32 exec_lo, exec_lo, s0
	v_and_b32_e32 v5, 1, v35
	s_mov_b32 s0, exec_lo
	s_delay_alu instid0(VALU_DEP_1)
	v_cmpx_eq_u32_e32 1, v5
	s_cbranch_execz .LBB1334_135
; %bb.134:
	v_subrev_nc_u32_e32 v5, s18, v30
	s_delay_alu instid0(VALU_DEP_1)
	v_lshlrev_b32_e32 v5, 3, v5
	ds_store_b64 v5, v[7:8]
.LBB1334_135:
	s_or_b32 exec_lo, exec_lo, s0
	v_and_b32_e32 v5, 1, v25
	s_mov_b32 s0, exec_lo
	s_delay_alu instid0(VALU_DEP_1)
	;; [unrolled: 12-line block ×3, first 2 shown]
	v_cmpx_eq_u32_e32 1, v1
	s_cbranch_execz .LBB1334_139
; %bb.138:
	v_subrev_nc_u32_e32 v1, s18, v26
	s_delay_alu instid0(VALU_DEP_1)
	v_lshlrev_b32_e32 v1, 3, v1
	ds_store_b64 v1, v[3:4]
.LBB1334_139:
	s_or_b32 exec_lo, exec_lo, s0
	s_delay_alu instid0(SALU_CYCLE_1)
	s_mov_b32 s1, exec_lo
	s_waitcnt lgkmcnt(0)
	s_waitcnt_vscnt null, 0x0
	s_barrier
	buffer_gl0_inv
	v_cmpx_lt_u32_e64 v0, v24
	s_cbranch_execz .LBB1334_142
; %bb.140:
	s_mov_b32 s19, 0
	s_lshl_b64 s[4:5], s[10:11], 3
	s_lshl_b64 s[6:7], s[18:19], 3
	v_lshlrev_b32_e32 v3, 3, v0
	s_add_u32 s0, s4, s6
	s_addc_u32 s3, s5, s7
	s_add_u32 s0, s14, s0
	s_addc_u32 s3, s15, s3
	v_add_co_u32 v1, s0, s0, v3
	s_delay_alu instid0(VALU_DEP_1)
	v_add_co_ci_u32_e64 v2, null, s3, 0, s0
	.p2align	6
.LBB1334_141:                           ; =>This Inner Loop Header: Depth=1
	ds_load_b64 v[4:5], v3
	v_add_nc_u32_e32 v0, 0x200, v0
	v_add_nc_u32_e32 v3, 0x1000, v3
	s_delay_alu instid0(VALU_DEP_2) | instskip(SKIP_4) | instid1(VALU_DEP_1)
	v_cmp_ge_u32_e32 vcc_lo, v0, v24
	s_or_b32 s19, vcc_lo, s19
	s_waitcnt lgkmcnt(0)
	global_store_b64 v[1:2], v[4:5], off
	v_add_co_u32 v1, s0, 0x1000, v1
	v_add_co_ci_u32_e64 v2, s0, 0, v2, s0
	s_and_not1_b32 exec_lo, exec_lo, s19
	s_cbranch_execnz .LBB1334_141
.LBB1334_142:
	s_or_b32 exec_lo, exec_lo, s1
	s_and_b32 s0, s2, s20
	s_delay_alu instid0(SALU_CYCLE_1)
	s_and_saveexec_b32 s1, s0
	s_cbranch_execnz .LBB1334_129
.LBB1334_143:
	s_nop 0
	s_sendmsg sendmsg(MSG_DEALLOC_VGPRS)
	s_endpgm
	.section	.rodata,"a",@progbits
	.p2align	6, 0x0
	.amdhsa_kernel _ZN7rocprim17ROCPRIM_400000_NS6detail17trampoline_kernelINS0_14default_configENS1_25partition_config_selectorILNS1_17partition_subalgoE9EN6thrust23THRUST_200600_302600_NS4pairIiN12_GLOBAL__N_15EntryEEESA_bEEZZNS1_14partition_implILS5_9ELb0ES3_jNS7_6detail15normal_iteratorINS7_10device_ptrIKSB_EEEENSF_INSG_ISA_EEEEPNS0_10empty_typeENS0_5tupleIJNSF_INSG_ISB_EEEESM_EEENSO_IJSL_SN_EEENS0_18inequality_wrapperINS9_12CompareFirstEEEPmJSM_EEE10hipError_tPvRmT3_T4_T5_T6_T7_T9_mT8_P12ihipStream_tbDpT10_ENKUlT_T0_E_clISt17integral_constantIbLb0EES1F_IbLb1EEEEDaS1B_S1C_EUlS1B_E_NS1_11comp_targetILNS1_3genE9ELNS1_11target_archE1100ELNS1_3gpuE3ELNS1_3repE0EEENS1_30default_config_static_selectorELNS0_4arch9wavefront6targetE0EEEvT1_
		.amdhsa_group_segment_fixed_size 25356
		.amdhsa_private_segment_fixed_size 0
		.amdhsa_kernarg_size 128
		.amdhsa_user_sgpr_count 15
		.amdhsa_user_sgpr_dispatch_ptr 0
		.amdhsa_user_sgpr_queue_ptr 0
		.amdhsa_user_sgpr_kernarg_segment_ptr 1
		.amdhsa_user_sgpr_dispatch_id 0
		.amdhsa_user_sgpr_private_segment_size 0
		.amdhsa_wavefront_size32 1
		.amdhsa_uses_dynamic_stack 0
		.amdhsa_enable_private_segment 0
		.amdhsa_system_sgpr_workgroup_id_x 1
		.amdhsa_system_sgpr_workgroup_id_y 0
		.amdhsa_system_sgpr_workgroup_id_z 0
		.amdhsa_system_sgpr_workgroup_info 0
		.amdhsa_system_vgpr_workitem_id 0
		.amdhsa_next_free_vgpr 51
		.amdhsa_next_free_sgpr 26
		.amdhsa_reserve_vcc 1
		.amdhsa_float_round_mode_32 0
		.amdhsa_float_round_mode_16_64 0
		.amdhsa_float_denorm_mode_32 3
		.amdhsa_float_denorm_mode_16_64 3
		.amdhsa_dx10_clamp 1
		.amdhsa_ieee_mode 1
		.amdhsa_fp16_overflow 0
		.amdhsa_workgroup_processor_mode 1
		.amdhsa_memory_ordered 1
		.amdhsa_forward_progress 0
		.amdhsa_shared_vgpr_count 0
		.amdhsa_exception_fp_ieee_invalid_op 0
		.amdhsa_exception_fp_denorm_src 0
		.amdhsa_exception_fp_ieee_div_zero 0
		.amdhsa_exception_fp_ieee_overflow 0
		.amdhsa_exception_fp_ieee_underflow 0
		.amdhsa_exception_fp_ieee_inexact 0
		.amdhsa_exception_int_div_zero 0
	.end_amdhsa_kernel
	.section	.text._ZN7rocprim17ROCPRIM_400000_NS6detail17trampoline_kernelINS0_14default_configENS1_25partition_config_selectorILNS1_17partition_subalgoE9EN6thrust23THRUST_200600_302600_NS4pairIiN12_GLOBAL__N_15EntryEEESA_bEEZZNS1_14partition_implILS5_9ELb0ES3_jNS7_6detail15normal_iteratorINS7_10device_ptrIKSB_EEEENSF_INSG_ISA_EEEEPNS0_10empty_typeENS0_5tupleIJNSF_INSG_ISB_EEEESM_EEENSO_IJSL_SN_EEENS0_18inequality_wrapperINS9_12CompareFirstEEEPmJSM_EEE10hipError_tPvRmT3_T4_T5_T6_T7_T9_mT8_P12ihipStream_tbDpT10_ENKUlT_T0_E_clISt17integral_constantIbLb0EES1F_IbLb1EEEEDaS1B_S1C_EUlS1B_E_NS1_11comp_targetILNS1_3genE9ELNS1_11target_archE1100ELNS1_3gpuE3ELNS1_3repE0EEENS1_30default_config_static_selectorELNS0_4arch9wavefront6targetE0EEEvT1_,"axG",@progbits,_ZN7rocprim17ROCPRIM_400000_NS6detail17trampoline_kernelINS0_14default_configENS1_25partition_config_selectorILNS1_17partition_subalgoE9EN6thrust23THRUST_200600_302600_NS4pairIiN12_GLOBAL__N_15EntryEEESA_bEEZZNS1_14partition_implILS5_9ELb0ES3_jNS7_6detail15normal_iteratorINS7_10device_ptrIKSB_EEEENSF_INSG_ISA_EEEEPNS0_10empty_typeENS0_5tupleIJNSF_INSG_ISB_EEEESM_EEENSO_IJSL_SN_EEENS0_18inequality_wrapperINS9_12CompareFirstEEEPmJSM_EEE10hipError_tPvRmT3_T4_T5_T6_T7_T9_mT8_P12ihipStream_tbDpT10_ENKUlT_T0_E_clISt17integral_constantIbLb0EES1F_IbLb1EEEEDaS1B_S1C_EUlS1B_E_NS1_11comp_targetILNS1_3genE9ELNS1_11target_archE1100ELNS1_3gpuE3ELNS1_3repE0EEENS1_30default_config_static_selectorELNS0_4arch9wavefront6targetE0EEEvT1_,comdat
.Lfunc_end1334:
	.size	_ZN7rocprim17ROCPRIM_400000_NS6detail17trampoline_kernelINS0_14default_configENS1_25partition_config_selectorILNS1_17partition_subalgoE9EN6thrust23THRUST_200600_302600_NS4pairIiN12_GLOBAL__N_15EntryEEESA_bEEZZNS1_14partition_implILS5_9ELb0ES3_jNS7_6detail15normal_iteratorINS7_10device_ptrIKSB_EEEENSF_INSG_ISA_EEEEPNS0_10empty_typeENS0_5tupleIJNSF_INSG_ISB_EEEESM_EEENSO_IJSL_SN_EEENS0_18inequality_wrapperINS9_12CompareFirstEEEPmJSM_EEE10hipError_tPvRmT3_T4_T5_T6_T7_T9_mT8_P12ihipStream_tbDpT10_ENKUlT_T0_E_clISt17integral_constantIbLb0EES1F_IbLb1EEEEDaS1B_S1C_EUlS1B_E_NS1_11comp_targetILNS1_3genE9ELNS1_11target_archE1100ELNS1_3gpuE3ELNS1_3repE0EEENS1_30default_config_static_selectorELNS0_4arch9wavefront6targetE0EEEvT1_, .Lfunc_end1334-_ZN7rocprim17ROCPRIM_400000_NS6detail17trampoline_kernelINS0_14default_configENS1_25partition_config_selectorILNS1_17partition_subalgoE9EN6thrust23THRUST_200600_302600_NS4pairIiN12_GLOBAL__N_15EntryEEESA_bEEZZNS1_14partition_implILS5_9ELb0ES3_jNS7_6detail15normal_iteratorINS7_10device_ptrIKSB_EEEENSF_INSG_ISA_EEEEPNS0_10empty_typeENS0_5tupleIJNSF_INSG_ISB_EEEESM_EEENSO_IJSL_SN_EEENS0_18inequality_wrapperINS9_12CompareFirstEEEPmJSM_EEE10hipError_tPvRmT3_T4_T5_T6_T7_T9_mT8_P12ihipStream_tbDpT10_ENKUlT_T0_E_clISt17integral_constantIbLb0EES1F_IbLb1EEEEDaS1B_S1C_EUlS1B_E_NS1_11comp_targetILNS1_3genE9ELNS1_11target_archE1100ELNS1_3gpuE3ELNS1_3repE0EEENS1_30default_config_static_selectorELNS0_4arch9wavefront6targetE0EEEvT1_
                                        ; -- End function
	.section	.AMDGPU.csdata,"",@progbits
; Kernel info:
; codeLenInByte = 6636
; NumSgprs: 28
; NumVgprs: 51
; ScratchSize: 0
; MemoryBound: 0
; FloatMode: 240
; IeeeMode: 1
; LDSByteSize: 25356 bytes/workgroup (compile time only)
; SGPRBlocks: 3
; VGPRBlocks: 6
; NumSGPRsForWavesPerEU: 28
; NumVGPRsForWavesPerEU: 51
; Occupancy: 16
; WaveLimiterHint : 1
; COMPUTE_PGM_RSRC2:SCRATCH_EN: 0
; COMPUTE_PGM_RSRC2:USER_SGPR: 15
; COMPUTE_PGM_RSRC2:TRAP_HANDLER: 0
; COMPUTE_PGM_RSRC2:TGID_X_EN: 1
; COMPUTE_PGM_RSRC2:TGID_Y_EN: 0
; COMPUTE_PGM_RSRC2:TGID_Z_EN: 0
; COMPUTE_PGM_RSRC2:TIDIG_COMP_CNT: 0
	.section	.text._ZN7rocprim17ROCPRIM_400000_NS6detail17trampoline_kernelINS0_14default_configENS1_25partition_config_selectorILNS1_17partition_subalgoE9EN6thrust23THRUST_200600_302600_NS4pairIiN12_GLOBAL__N_15EntryEEESA_bEEZZNS1_14partition_implILS5_9ELb0ES3_jNS7_6detail15normal_iteratorINS7_10device_ptrIKSB_EEEENSF_INSG_ISA_EEEEPNS0_10empty_typeENS0_5tupleIJNSF_INSG_ISB_EEEESM_EEENSO_IJSL_SN_EEENS0_18inequality_wrapperINS9_12CompareFirstEEEPmJSM_EEE10hipError_tPvRmT3_T4_T5_T6_T7_T9_mT8_P12ihipStream_tbDpT10_ENKUlT_T0_E_clISt17integral_constantIbLb0EES1F_IbLb1EEEEDaS1B_S1C_EUlS1B_E_NS1_11comp_targetILNS1_3genE8ELNS1_11target_archE1030ELNS1_3gpuE2ELNS1_3repE0EEENS1_30default_config_static_selectorELNS0_4arch9wavefront6targetE0EEEvT1_,"axG",@progbits,_ZN7rocprim17ROCPRIM_400000_NS6detail17trampoline_kernelINS0_14default_configENS1_25partition_config_selectorILNS1_17partition_subalgoE9EN6thrust23THRUST_200600_302600_NS4pairIiN12_GLOBAL__N_15EntryEEESA_bEEZZNS1_14partition_implILS5_9ELb0ES3_jNS7_6detail15normal_iteratorINS7_10device_ptrIKSB_EEEENSF_INSG_ISA_EEEEPNS0_10empty_typeENS0_5tupleIJNSF_INSG_ISB_EEEESM_EEENSO_IJSL_SN_EEENS0_18inequality_wrapperINS9_12CompareFirstEEEPmJSM_EEE10hipError_tPvRmT3_T4_T5_T6_T7_T9_mT8_P12ihipStream_tbDpT10_ENKUlT_T0_E_clISt17integral_constantIbLb0EES1F_IbLb1EEEEDaS1B_S1C_EUlS1B_E_NS1_11comp_targetILNS1_3genE8ELNS1_11target_archE1030ELNS1_3gpuE2ELNS1_3repE0EEENS1_30default_config_static_selectorELNS0_4arch9wavefront6targetE0EEEvT1_,comdat
	.globl	_ZN7rocprim17ROCPRIM_400000_NS6detail17trampoline_kernelINS0_14default_configENS1_25partition_config_selectorILNS1_17partition_subalgoE9EN6thrust23THRUST_200600_302600_NS4pairIiN12_GLOBAL__N_15EntryEEESA_bEEZZNS1_14partition_implILS5_9ELb0ES3_jNS7_6detail15normal_iteratorINS7_10device_ptrIKSB_EEEENSF_INSG_ISA_EEEEPNS0_10empty_typeENS0_5tupleIJNSF_INSG_ISB_EEEESM_EEENSO_IJSL_SN_EEENS0_18inequality_wrapperINS9_12CompareFirstEEEPmJSM_EEE10hipError_tPvRmT3_T4_T5_T6_T7_T9_mT8_P12ihipStream_tbDpT10_ENKUlT_T0_E_clISt17integral_constantIbLb0EES1F_IbLb1EEEEDaS1B_S1C_EUlS1B_E_NS1_11comp_targetILNS1_3genE8ELNS1_11target_archE1030ELNS1_3gpuE2ELNS1_3repE0EEENS1_30default_config_static_selectorELNS0_4arch9wavefront6targetE0EEEvT1_ ; -- Begin function _ZN7rocprim17ROCPRIM_400000_NS6detail17trampoline_kernelINS0_14default_configENS1_25partition_config_selectorILNS1_17partition_subalgoE9EN6thrust23THRUST_200600_302600_NS4pairIiN12_GLOBAL__N_15EntryEEESA_bEEZZNS1_14partition_implILS5_9ELb0ES3_jNS7_6detail15normal_iteratorINS7_10device_ptrIKSB_EEEENSF_INSG_ISA_EEEEPNS0_10empty_typeENS0_5tupleIJNSF_INSG_ISB_EEEESM_EEENSO_IJSL_SN_EEENS0_18inequality_wrapperINS9_12CompareFirstEEEPmJSM_EEE10hipError_tPvRmT3_T4_T5_T6_T7_T9_mT8_P12ihipStream_tbDpT10_ENKUlT_T0_E_clISt17integral_constantIbLb0EES1F_IbLb1EEEEDaS1B_S1C_EUlS1B_E_NS1_11comp_targetILNS1_3genE8ELNS1_11target_archE1030ELNS1_3gpuE2ELNS1_3repE0EEENS1_30default_config_static_selectorELNS0_4arch9wavefront6targetE0EEEvT1_
	.p2align	8
	.type	_ZN7rocprim17ROCPRIM_400000_NS6detail17trampoline_kernelINS0_14default_configENS1_25partition_config_selectorILNS1_17partition_subalgoE9EN6thrust23THRUST_200600_302600_NS4pairIiN12_GLOBAL__N_15EntryEEESA_bEEZZNS1_14partition_implILS5_9ELb0ES3_jNS7_6detail15normal_iteratorINS7_10device_ptrIKSB_EEEENSF_INSG_ISA_EEEEPNS0_10empty_typeENS0_5tupleIJNSF_INSG_ISB_EEEESM_EEENSO_IJSL_SN_EEENS0_18inequality_wrapperINS9_12CompareFirstEEEPmJSM_EEE10hipError_tPvRmT3_T4_T5_T6_T7_T9_mT8_P12ihipStream_tbDpT10_ENKUlT_T0_E_clISt17integral_constantIbLb0EES1F_IbLb1EEEEDaS1B_S1C_EUlS1B_E_NS1_11comp_targetILNS1_3genE8ELNS1_11target_archE1030ELNS1_3gpuE2ELNS1_3repE0EEENS1_30default_config_static_selectorELNS0_4arch9wavefront6targetE0EEEvT1_,@function
_ZN7rocprim17ROCPRIM_400000_NS6detail17trampoline_kernelINS0_14default_configENS1_25partition_config_selectorILNS1_17partition_subalgoE9EN6thrust23THRUST_200600_302600_NS4pairIiN12_GLOBAL__N_15EntryEEESA_bEEZZNS1_14partition_implILS5_9ELb0ES3_jNS7_6detail15normal_iteratorINS7_10device_ptrIKSB_EEEENSF_INSG_ISA_EEEEPNS0_10empty_typeENS0_5tupleIJNSF_INSG_ISB_EEEESM_EEENSO_IJSL_SN_EEENS0_18inequality_wrapperINS9_12CompareFirstEEEPmJSM_EEE10hipError_tPvRmT3_T4_T5_T6_T7_T9_mT8_P12ihipStream_tbDpT10_ENKUlT_T0_E_clISt17integral_constantIbLb0EES1F_IbLb1EEEEDaS1B_S1C_EUlS1B_E_NS1_11comp_targetILNS1_3genE8ELNS1_11target_archE1030ELNS1_3gpuE2ELNS1_3repE0EEENS1_30default_config_static_selectorELNS0_4arch9wavefront6targetE0EEEvT1_: ; @_ZN7rocprim17ROCPRIM_400000_NS6detail17trampoline_kernelINS0_14default_configENS1_25partition_config_selectorILNS1_17partition_subalgoE9EN6thrust23THRUST_200600_302600_NS4pairIiN12_GLOBAL__N_15EntryEEESA_bEEZZNS1_14partition_implILS5_9ELb0ES3_jNS7_6detail15normal_iteratorINS7_10device_ptrIKSB_EEEENSF_INSG_ISA_EEEEPNS0_10empty_typeENS0_5tupleIJNSF_INSG_ISB_EEEESM_EEENSO_IJSL_SN_EEENS0_18inequality_wrapperINS9_12CompareFirstEEEPmJSM_EEE10hipError_tPvRmT3_T4_T5_T6_T7_T9_mT8_P12ihipStream_tbDpT10_ENKUlT_T0_E_clISt17integral_constantIbLb0EES1F_IbLb1EEEEDaS1B_S1C_EUlS1B_E_NS1_11comp_targetILNS1_3genE8ELNS1_11target_archE1030ELNS1_3gpuE2ELNS1_3repE0EEENS1_30default_config_static_selectorELNS0_4arch9wavefront6targetE0EEEvT1_
; %bb.0:
	.section	.rodata,"a",@progbits
	.p2align	6, 0x0
	.amdhsa_kernel _ZN7rocprim17ROCPRIM_400000_NS6detail17trampoline_kernelINS0_14default_configENS1_25partition_config_selectorILNS1_17partition_subalgoE9EN6thrust23THRUST_200600_302600_NS4pairIiN12_GLOBAL__N_15EntryEEESA_bEEZZNS1_14partition_implILS5_9ELb0ES3_jNS7_6detail15normal_iteratorINS7_10device_ptrIKSB_EEEENSF_INSG_ISA_EEEEPNS0_10empty_typeENS0_5tupleIJNSF_INSG_ISB_EEEESM_EEENSO_IJSL_SN_EEENS0_18inequality_wrapperINS9_12CompareFirstEEEPmJSM_EEE10hipError_tPvRmT3_T4_T5_T6_T7_T9_mT8_P12ihipStream_tbDpT10_ENKUlT_T0_E_clISt17integral_constantIbLb0EES1F_IbLb1EEEEDaS1B_S1C_EUlS1B_E_NS1_11comp_targetILNS1_3genE8ELNS1_11target_archE1030ELNS1_3gpuE2ELNS1_3repE0EEENS1_30default_config_static_selectorELNS0_4arch9wavefront6targetE0EEEvT1_
		.amdhsa_group_segment_fixed_size 0
		.amdhsa_private_segment_fixed_size 0
		.amdhsa_kernarg_size 128
		.amdhsa_user_sgpr_count 15
		.amdhsa_user_sgpr_dispatch_ptr 0
		.amdhsa_user_sgpr_queue_ptr 0
		.amdhsa_user_sgpr_kernarg_segment_ptr 1
		.amdhsa_user_sgpr_dispatch_id 0
		.amdhsa_user_sgpr_private_segment_size 0
		.amdhsa_wavefront_size32 1
		.amdhsa_uses_dynamic_stack 0
		.amdhsa_enable_private_segment 0
		.amdhsa_system_sgpr_workgroup_id_x 1
		.amdhsa_system_sgpr_workgroup_id_y 0
		.amdhsa_system_sgpr_workgroup_id_z 0
		.amdhsa_system_sgpr_workgroup_info 0
		.amdhsa_system_vgpr_workitem_id 0
		.amdhsa_next_free_vgpr 1
		.amdhsa_next_free_sgpr 1
		.amdhsa_reserve_vcc 0
		.amdhsa_float_round_mode_32 0
		.amdhsa_float_round_mode_16_64 0
		.amdhsa_float_denorm_mode_32 3
		.amdhsa_float_denorm_mode_16_64 3
		.amdhsa_dx10_clamp 1
		.amdhsa_ieee_mode 1
		.amdhsa_fp16_overflow 0
		.amdhsa_workgroup_processor_mode 1
		.amdhsa_memory_ordered 1
		.amdhsa_forward_progress 0
		.amdhsa_shared_vgpr_count 0
		.amdhsa_exception_fp_ieee_invalid_op 0
		.amdhsa_exception_fp_denorm_src 0
		.amdhsa_exception_fp_ieee_div_zero 0
		.amdhsa_exception_fp_ieee_overflow 0
		.amdhsa_exception_fp_ieee_underflow 0
		.amdhsa_exception_fp_ieee_inexact 0
		.amdhsa_exception_int_div_zero 0
	.end_amdhsa_kernel
	.section	.text._ZN7rocprim17ROCPRIM_400000_NS6detail17trampoline_kernelINS0_14default_configENS1_25partition_config_selectorILNS1_17partition_subalgoE9EN6thrust23THRUST_200600_302600_NS4pairIiN12_GLOBAL__N_15EntryEEESA_bEEZZNS1_14partition_implILS5_9ELb0ES3_jNS7_6detail15normal_iteratorINS7_10device_ptrIKSB_EEEENSF_INSG_ISA_EEEEPNS0_10empty_typeENS0_5tupleIJNSF_INSG_ISB_EEEESM_EEENSO_IJSL_SN_EEENS0_18inequality_wrapperINS9_12CompareFirstEEEPmJSM_EEE10hipError_tPvRmT3_T4_T5_T6_T7_T9_mT8_P12ihipStream_tbDpT10_ENKUlT_T0_E_clISt17integral_constantIbLb0EES1F_IbLb1EEEEDaS1B_S1C_EUlS1B_E_NS1_11comp_targetILNS1_3genE8ELNS1_11target_archE1030ELNS1_3gpuE2ELNS1_3repE0EEENS1_30default_config_static_selectorELNS0_4arch9wavefront6targetE0EEEvT1_,"axG",@progbits,_ZN7rocprim17ROCPRIM_400000_NS6detail17trampoline_kernelINS0_14default_configENS1_25partition_config_selectorILNS1_17partition_subalgoE9EN6thrust23THRUST_200600_302600_NS4pairIiN12_GLOBAL__N_15EntryEEESA_bEEZZNS1_14partition_implILS5_9ELb0ES3_jNS7_6detail15normal_iteratorINS7_10device_ptrIKSB_EEEENSF_INSG_ISA_EEEEPNS0_10empty_typeENS0_5tupleIJNSF_INSG_ISB_EEEESM_EEENSO_IJSL_SN_EEENS0_18inequality_wrapperINS9_12CompareFirstEEEPmJSM_EEE10hipError_tPvRmT3_T4_T5_T6_T7_T9_mT8_P12ihipStream_tbDpT10_ENKUlT_T0_E_clISt17integral_constantIbLb0EES1F_IbLb1EEEEDaS1B_S1C_EUlS1B_E_NS1_11comp_targetILNS1_3genE8ELNS1_11target_archE1030ELNS1_3gpuE2ELNS1_3repE0EEENS1_30default_config_static_selectorELNS0_4arch9wavefront6targetE0EEEvT1_,comdat
.Lfunc_end1335:
	.size	_ZN7rocprim17ROCPRIM_400000_NS6detail17trampoline_kernelINS0_14default_configENS1_25partition_config_selectorILNS1_17partition_subalgoE9EN6thrust23THRUST_200600_302600_NS4pairIiN12_GLOBAL__N_15EntryEEESA_bEEZZNS1_14partition_implILS5_9ELb0ES3_jNS7_6detail15normal_iteratorINS7_10device_ptrIKSB_EEEENSF_INSG_ISA_EEEEPNS0_10empty_typeENS0_5tupleIJNSF_INSG_ISB_EEEESM_EEENSO_IJSL_SN_EEENS0_18inequality_wrapperINS9_12CompareFirstEEEPmJSM_EEE10hipError_tPvRmT3_T4_T5_T6_T7_T9_mT8_P12ihipStream_tbDpT10_ENKUlT_T0_E_clISt17integral_constantIbLb0EES1F_IbLb1EEEEDaS1B_S1C_EUlS1B_E_NS1_11comp_targetILNS1_3genE8ELNS1_11target_archE1030ELNS1_3gpuE2ELNS1_3repE0EEENS1_30default_config_static_selectorELNS0_4arch9wavefront6targetE0EEEvT1_, .Lfunc_end1335-_ZN7rocprim17ROCPRIM_400000_NS6detail17trampoline_kernelINS0_14default_configENS1_25partition_config_selectorILNS1_17partition_subalgoE9EN6thrust23THRUST_200600_302600_NS4pairIiN12_GLOBAL__N_15EntryEEESA_bEEZZNS1_14partition_implILS5_9ELb0ES3_jNS7_6detail15normal_iteratorINS7_10device_ptrIKSB_EEEENSF_INSG_ISA_EEEEPNS0_10empty_typeENS0_5tupleIJNSF_INSG_ISB_EEEESM_EEENSO_IJSL_SN_EEENS0_18inequality_wrapperINS9_12CompareFirstEEEPmJSM_EEE10hipError_tPvRmT3_T4_T5_T6_T7_T9_mT8_P12ihipStream_tbDpT10_ENKUlT_T0_E_clISt17integral_constantIbLb0EES1F_IbLb1EEEEDaS1B_S1C_EUlS1B_E_NS1_11comp_targetILNS1_3genE8ELNS1_11target_archE1030ELNS1_3gpuE2ELNS1_3repE0EEENS1_30default_config_static_selectorELNS0_4arch9wavefront6targetE0EEEvT1_
                                        ; -- End function
	.section	.AMDGPU.csdata,"",@progbits
; Kernel info:
; codeLenInByte = 0
; NumSgprs: 0
; NumVgprs: 0
; ScratchSize: 0
; MemoryBound: 0
; FloatMode: 240
; IeeeMode: 1
; LDSByteSize: 0 bytes/workgroup (compile time only)
; SGPRBlocks: 0
; VGPRBlocks: 0
; NumSGPRsForWavesPerEU: 1
; NumVGPRsForWavesPerEU: 1
; Occupancy: 16
; WaveLimiterHint : 0
; COMPUTE_PGM_RSRC2:SCRATCH_EN: 0
; COMPUTE_PGM_RSRC2:USER_SGPR: 15
; COMPUTE_PGM_RSRC2:TRAP_HANDLER: 0
; COMPUTE_PGM_RSRC2:TGID_X_EN: 1
; COMPUTE_PGM_RSRC2:TGID_Y_EN: 0
; COMPUTE_PGM_RSRC2:TGID_Z_EN: 0
; COMPUTE_PGM_RSRC2:TIDIG_COMP_CNT: 0
	.section	.text._ZN6thrust23THRUST_200600_302600_NS11hip_rocprim14__parallel_for6kernelILj256ENS1_10for_each_fINS0_7pointerINS0_4pairIiN12_GLOBAL__N_15EntryEEENS1_3tagENS0_11use_defaultESB_EENS0_6detail16wrapped_functionINSD_23allocator_traits_detail5gozerEvEEEElLj1EEEvT0_T1_SK_,"axG",@progbits,_ZN6thrust23THRUST_200600_302600_NS11hip_rocprim14__parallel_for6kernelILj256ENS1_10for_each_fINS0_7pointerINS0_4pairIiN12_GLOBAL__N_15EntryEEENS1_3tagENS0_11use_defaultESB_EENS0_6detail16wrapped_functionINSD_23allocator_traits_detail5gozerEvEEEElLj1EEEvT0_T1_SK_,comdat
	.globl	_ZN6thrust23THRUST_200600_302600_NS11hip_rocprim14__parallel_for6kernelILj256ENS1_10for_each_fINS0_7pointerINS0_4pairIiN12_GLOBAL__N_15EntryEEENS1_3tagENS0_11use_defaultESB_EENS0_6detail16wrapped_functionINSD_23allocator_traits_detail5gozerEvEEEElLj1EEEvT0_T1_SK_ ; -- Begin function _ZN6thrust23THRUST_200600_302600_NS11hip_rocprim14__parallel_for6kernelILj256ENS1_10for_each_fINS0_7pointerINS0_4pairIiN12_GLOBAL__N_15EntryEEENS1_3tagENS0_11use_defaultESB_EENS0_6detail16wrapped_functionINSD_23allocator_traits_detail5gozerEvEEEElLj1EEEvT0_T1_SK_
	.p2align	8
	.type	_ZN6thrust23THRUST_200600_302600_NS11hip_rocprim14__parallel_for6kernelILj256ENS1_10for_each_fINS0_7pointerINS0_4pairIiN12_GLOBAL__N_15EntryEEENS1_3tagENS0_11use_defaultESB_EENS0_6detail16wrapped_functionINSD_23allocator_traits_detail5gozerEvEEEElLj1EEEvT0_T1_SK_,@function
_ZN6thrust23THRUST_200600_302600_NS11hip_rocprim14__parallel_for6kernelILj256ENS1_10for_each_fINS0_7pointerINS0_4pairIiN12_GLOBAL__N_15EntryEEENS1_3tagENS0_11use_defaultESB_EENS0_6detail16wrapped_functionINSD_23allocator_traits_detail5gozerEvEEEElLj1EEEvT0_T1_SK_: ; @_ZN6thrust23THRUST_200600_302600_NS11hip_rocprim14__parallel_for6kernelILj256ENS1_10for_each_fINS0_7pointerINS0_4pairIiN12_GLOBAL__N_15EntryEEENS1_3tagENS0_11use_defaultESB_EENS0_6detail16wrapped_functionINSD_23allocator_traits_detail5gozerEvEEEElLj1EEEvT0_T1_SK_
; %bb.0:
	s_endpgm
	.section	.rodata,"a",@progbits
	.p2align	6, 0x0
	.amdhsa_kernel _ZN6thrust23THRUST_200600_302600_NS11hip_rocprim14__parallel_for6kernelILj256ENS1_10for_each_fINS0_7pointerINS0_4pairIiN12_GLOBAL__N_15EntryEEENS1_3tagENS0_11use_defaultESB_EENS0_6detail16wrapped_functionINSD_23allocator_traits_detail5gozerEvEEEElLj1EEEvT0_T1_SK_
		.amdhsa_group_segment_fixed_size 0
		.amdhsa_private_segment_fixed_size 0
		.amdhsa_kernarg_size 32
		.amdhsa_user_sgpr_count 15
		.amdhsa_user_sgpr_dispatch_ptr 0
		.amdhsa_user_sgpr_queue_ptr 0
		.amdhsa_user_sgpr_kernarg_segment_ptr 1
		.amdhsa_user_sgpr_dispatch_id 0
		.amdhsa_user_sgpr_private_segment_size 0
		.amdhsa_wavefront_size32 1
		.amdhsa_uses_dynamic_stack 0
		.amdhsa_enable_private_segment 0
		.amdhsa_system_sgpr_workgroup_id_x 1
		.amdhsa_system_sgpr_workgroup_id_y 0
		.amdhsa_system_sgpr_workgroup_id_z 0
		.amdhsa_system_sgpr_workgroup_info 0
		.amdhsa_system_vgpr_workitem_id 0
		.amdhsa_next_free_vgpr 1
		.amdhsa_next_free_sgpr 1
		.amdhsa_reserve_vcc 0
		.amdhsa_float_round_mode_32 0
		.amdhsa_float_round_mode_16_64 0
		.amdhsa_float_denorm_mode_32 3
		.amdhsa_float_denorm_mode_16_64 3
		.amdhsa_dx10_clamp 1
		.amdhsa_ieee_mode 1
		.amdhsa_fp16_overflow 0
		.amdhsa_workgroup_processor_mode 1
		.amdhsa_memory_ordered 1
		.amdhsa_forward_progress 0
		.amdhsa_shared_vgpr_count 0
		.amdhsa_exception_fp_ieee_invalid_op 0
		.amdhsa_exception_fp_denorm_src 0
		.amdhsa_exception_fp_ieee_div_zero 0
		.amdhsa_exception_fp_ieee_overflow 0
		.amdhsa_exception_fp_ieee_underflow 0
		.amdhsa_exception_fp_ieee_inexact 0
		.amdhsa_exception_int_div_zero 0
	.end_amdhsa_kernel
	.section	.text._ZN6thrust23THRUST_200600_302600_NS11hip_rocprim14__parallel_for6kernelILj256ENS1_10for_each_fINS0_7pointerINS0_4pairIiN12_GLOBAL__N_15EntryEEENS1_3tagENS0_11use_defaultESB_EENS0_6detail16wrapped_functionINSD_23allocator_traits_detail5gozerEvEEEElLj1EEEvT0_T1_SK_,"axG",@progbits,_ZN6thrust23THRUST_200600_302600_NS11hip_rocprim14__parallel_for6kernelILj256ENS1_10for_each_fINS0_7pointerINS0_4pairIiN12_GLOBAL__N_15EntryEEENS1_3tagENS0_11use_defaultESB_EENS0_6detail16wrapped_functionINSD_23allocator_traits_detail5gozerEvEEEElLj1EEEvT0_T1_SK_,comdat
.Lfunc_end1336:
	.size	_ZN6thrust23THRUST_200600_302600_NS11hip_rocprim14__parallel_for6kernelILj256ENS1_10for_each_fINS0_7pointerINS0_4pairIiN12_GLOBAL__N_15EntryEEENS1_3tagENS0_11use_defaultESB_EENS0_6detail16wrapped_functionINSD_23allocator_traits_detail5gozerEvEEEElLj1EEEvT0_T1_SK_, .Lfunc_end1336-_ZN6thrust23THRUST_200600_302600_NS11hip_rocprim14__parallel_for6kernelILj256ENS1_10for_each_fINS0_7pointerINS0_4pairIiN12_GLOBAL__N_15EntryEEENS1_3tagENS0_11use_defaultESB_EENS0_6detail16wrapped_functionINSD_23allocator_traits_detail5gozerEvEEEElLj1EEEvT0_T1_SK_
                                        ; -- End function
	.section	.AMDGPU.csdata,"",@progbits
; Kernel info:
; codeLenInByte = 4
; NumSgprs: 0
; NumVgprs: 0
; ScratchSize: 0
; MemoryBound: 0
; FloatMode: 240
; IeeeMode: 1
; LDSByteSize: 0 bytes/workgroup (compile time only)
; SGPRBlocks: 0
; VGPRBlocks: 0
; NumSGPRsForWavesPerEU: 1
; NumVGPRsForWavesPerEU: 1
; Occupancy: 16
; WaveLimiterHint : 0
; COMPUTE_PGM_RSRC2:SCRATCH_EN: 0
; COMPUTE_PGM_RSRC2:USER_SGPR: 15
; COMPUTE_PGM_RSRC2:TRAP_HANDLER: 0
; COMPUTE_PGM_RSRC2:TGID_X_EN: 1
; COMPUTE_PGM_RSRC2:TGID_Y_EN: 0
; COMPUTE_PGM_RSRC2:TGID_Z_EN: 0
; COMPUTE_PGM_RSRC2:TIDIG_COMP_CNT: 0
	.text
	.p2alignl 7, 3214868480
	.fill 96, 4, 3214868480
	.type	__hip_cuid_841b07468e9a749b,@object ; @__hip_cuid_841b07468e9a749b
	.section	.bss,"aw",@nobits
	.globl	__hip_cuid_841b07468e9a749b
__hip_cuid_841b07468e9a749b:
	.byte	0                               ; 0x0
	.size	__hip_cuid_841b07468e9a749b, 1

	.ident	"AMD clang version 19.0.0git (https://github.com/RadeonOpenCompute/llvm-project roc-6.4.0 25133 c7fe45cf4b819c5991fe208aaa96edf142730f1d)"
	.section	".note.GNU-stack","",@progbits
	.addrsig
	.addrsig_sym __hip_cuid_841b07468e9a749b
	.amdgpu_metadata
---
amdhsa.kernels:
  - .args:
      - .offset:         0
        .size:           4
        .value_kind:     by_value
      - .address_space:  global
        .offset:         8
        .size:           8
        .value_kind:     global_buffer
      - .address_space:  global
        .offset:         16
        .size:           8
        .value_kind:     global_buffer
      - .address_space:  global
        .offset:         24
        .size:           8
        .value_kind:     global_buffer
    .group_segment_fixed_size: 0
    .kernarg_segment_align: 8
    .kernarg_segment_size: 32
    .language:       OpenCL C
    .language_version:
      - 2
      - 0
    .max_flat_workgroup_size: 256
    .name:           _Z17UniqueByKeyKerneliPiS_S_
    .private_segment_fixed_size: 0
    .sgpr_count:     22
    .sgpr_spill_count: 0
    .symbol:         _Z17UniqueByKeyKerneliPiS_S_.kd
    .uniform_work_group_size: 1
    .uses_dynamic_stack: false
    .vgpr_count:     5
    .vgpr_spill_count: 0
    .wavefront_size: 32
    .workgroup_processor_mode: 1
  - .args:
      - .offset:         0
        .size:           16
        .value_kind:     by_value
      - .offset:         16
        .size:           8
        .value_kind:     by_value
      - .offset:         24
        .size:           8
        .value_kind:     by_value
    .group_segment_fixed_size: 0
    .kernarg_segment_align: 8
    .kernarg_segment_size: 32
    .language:       OpenCL C
    .language_version:
      - 2
      - 0
    .max_flat_workgroup_size: 256
    .name:           _ZN6thrust23THRUST_200600_302600_NS11hip_rocprim14__parallel_for6kernelILj256ENS1_20__uninitialized_fill7functorINS0_10device_ptrIiEEiEEmLj1EEEvT0_T1_SA_
    .private_segment_fixed_size: 0
    .sgpr_count:     18
    .sgpr_spill_count: 0
    .symbol:         _ZN6thrust23THRUST_200600_302600_NS11hip_rocprim14__parallel_for6kernelILj256ENS1_20__uninitialized_fill7functorINS0_10device_ptrIiEEiEEmLj1EEEvT0_T1_SA_.kd
    .uniform_work_group_size: 1
    .uses_dynamic_stack: false
    .vgpr_count:     3
    .vgpr_spill_count: 0
    .wavefront_size: 32
    .workgroup_processor_mode: 1
  - .args:
      - .offset:         0
        .size:           16
        .value_kind:     by_value
      - .offset:         16
        .size:           8
        .value_kind:     by_value
      - .offset:         24
        .size:           8
        .value_kind:     by_value
    .group_segment_fixed_size: 0
    .kernarg_segment_align: 8
    .kernarg_segment_size: 32
    .language:       OpenCL C
    .language_version:
      - 2
      - 0
    .max_flat_workgroup_size: 256
    .name:           _ZN6thrust23THRUST_200600_302600_NS11hip_rocprim14__parallel_for6kernelILj256ENS1_20__uninitialized_fill7functorINS0_10device_ptrIdEEdEEmLj1EEEvT0_T1_SA_
    .private_segment_fixed_size: 0
    .sgpr_count:     18
    .sgpr_spill_count: 0
    .symbol:         _ZN6thrust23THRUST_200600_302600_NS11hip_rocprim14__parallel_for6kernelILj256ENS1_20__uninitialized_fill7functorINS0_10device_ptrIdEEdEEmLj1EEEvT0_T1_SA_.kd
    .uniform_work_group_size: 1
    .uses_dynamic_stack: false
    .vgpr_count:     4
    .vgpr_spill_count: 0
    .wavefront_size: 32
    .workgroup_processor_mode: 1
  - .args:
      - .address_space:  global
        .offset:         0
        .size:           8
        .value_kind:     global_buffer
      - .offset:         8
        .size:           4
        .value_kind:     by_value
      - .offset:         12
        .size:           1
        .value_kind:     by_value
      - .offset:         16
        .size:           4
        .value_kind:     by_value
      - .address_space:  global
        .offset:         24
        .size:           8
        .value_kind:     global_buffer
      - .offset:         32
        .size:           4
        .value_kind:     hidden_block_count_x
      - .offset:         36
        .size:           4
        .value_kind:     hidden_block_count_y
      - .offset:         40
        .size:           4
        .value_kind:     hidden_block_count_z
      - .offset:         44
        .size:           2
        .value_kind:     hidden_group_size_x
      - .offset:         46
        .size:           2
        .value_kind:     hidden_group_size_y
      - .offset:         48
        .size:           2
        .value_kind:     hidden_group_size_z
      - .offset:         50
        .size:           2
        .value_kind:     hidden_remainder_x
      - .offset:         52
        .size:           2
        .value_kind:     hidden_remainder_y
      - .offset:         54
        .size:           2
        .value_kind:     hidden_remainder_z
      - .offset:         72
        .size:           8
        .value_kind:     hidden_global_offset_x
      - .offset:         80
        .size:           8
        .value_kind:     hidden_global_offset_y
      - .offset:         88
        .size:           8
        .value_kind:     hidden_global_offset_z
      - .offset:         96
        .size:           2
        .value_kind:     hidden_grid_dims
    .group_segment_fixed_size: 0
    .kernarg_segment_align: 8
    .kernarg_segment_size: 288
    .language:       OpenCL C
    .language_version:
      - 2
      - 0
    .max_flat_workgroup_size: 256
    .name:           _ZN7rocprim17ROCPRIM_400000_NS6detail31init_lookback_scan_state_kernelINS1_19lookback_scan_stateIjLb0ELb1EEENS1_16block_id_wrapperIjLb0EEEEEvT_jT0_jPNS7_10value_typeE
    .private_segment_fixed_size: 0
    .sgpr_count:     18
    .sgpr_spill_count: 0
    .symbol:         _ZN7rocprim17ROCPRIM_400000_NS6detail31init_lookback_scan_state_kernelINS1_19lookback_scan_stateIjLb0ELb1EEENS1_16block_id_wrapperIjLb0EEEEEvT_jT0_jPNS7_10value_typeE.kd
    .uniform_work_group_size: 1
    .uses_dynamic_stack: false
    .vgpr_count:     6
    .vgpr_spill_count: 0
    .wavefront_size: 32
    .workgroup_processor_mode: 1
  - .args:
      - .offset:         0
        .size:           112
        .value_kind:     by_value
    .group_segment_fixed_size: 0
    .kernarg_segment_align: 8
    .kernarg_segment_size: 112
    .language:       OpenCL C
    .language_version:
      - 2
      - 0
    .max_flat_workgroup_size: 128
    .name:           _ZN7rocprim17ROCPRIM_400000_NS6detail17trampoline_kernelINS0_14default_configENS1_25partition_config_selectorILNS1_17partition_subalgoE9EddbEEZZNS1_14partition_implILS5_9ELb0ES3_jN6thrust23THRUST_200600_302600_NS6detail15normal_iteratorINS9_10device_ptrIdEEEESE_PNS0_10empty_typeENS0_5tupleIJSE_SF_EEENSH_IJSE_SG_EEENS0_18inequality_wrapperINS9_8equal_toIdEEEEPmJSF_EEE10hipError_tPvRmT3_T4_T5_T6_T7_T9_mT8_P12ihipStream_tbDpT10_ENKUlT_T0_E_clISt17integral_constantIbLb0EES18_EEDaS13_S14_EUlS13_E_NS1_11comp_targetILNS1_3genE0ELNS1_11target_archE4294967295ELNS1_3gpuE0ELNS1_3repE0EEENS1_30default_config_static_selectorELNS0_4arch9wavefront6targetE0EEEvT1_
    .private_segment_fixed_size: 0
    .sgpr_count:     0
    .sgpr_spill_count: 0
    .symbol:         _ZN7rocprim17ROCPRIM_400000_NS6detail17trampoline_kernelINS0_14default_configENS1_25partition_config_selectorILNS1_17partition_subalgoE9EddbEEZZNS1_14partition_implILS5_9ELb0ES3_jN6thrust23THRUST_200600_302600_NS6detail15normal_iteratorINS9_10device_ptrIdEEEESE_PNS0_10empty_typeENS0_5tupleIJSE_SF_EEENSH_IJSE_SG_EEENS0_18inequality_wrapperINS9_8equal_toIdEEEEPmJSF_EEE10hipError_tPvRmT3_T4_T5_T6_T7_T9_mT8_P12ihipStream_tbDpT10_ENKUlT_T0_E_clISt17integral_constantIbLb0EES18_EEDaS13_S14_EUlS13_E_NS1_11comp_targetILNS1_3genE0ELNS1_11target_archE4294967295ELNS1_3gpuE0ELNS1_3repE0EEENS1_30default_config_static_selectorELNS0_4arch9wavefront6targetE0EEEvT1_.kd
    .uniform_work_group_size: 1
    .uses_dynamic_stack: false
    .vgpr_count:     0
    .vgpr_spill_count: 0
    .wavefront_size: 32
    .workgroup_processor_mode: 1
  - .args:
      - .offset:         0
        .size:           112
        .value_kind:     by_value
    .group_segment_fixed_size: 0
    .kernarg_segment_align: 8
    .kernarg_segment_size: 112
    .language:       OpenCL C
    .language_version:
      - 2
      - 0
    .max_flat_workgroup_size: 512
    .name:           _ZN7rocprim17ROCPRIM_400000_NS6detail17trampoline_kernelINS0_14default_configENS1_25partition_config_selectorILNS1_17partition_subalgoE9EddbEEZZNS1_14partition_implILS5_9ELb0ES3_jN6thrust23THRUST_200600_302600_NS6detail15normal_iteratorINS9_10device_ptrIdEEEESE_PNS0_10empty_typeENS0_5tupleIJSE_SF_EEENSH_IJSE_SG_EEENS0_18inequality_wrapperINS9_8equal_toIdEEEEPmJSF_EEE10hipError_tPvRmT3_T4_T5_T6_T7_T9_mT8_P12ihipStream_tbDpT10_ENKUlT_T0_E_clISt17integral_constantIbLb0EES18_EEDaS13_S14_EUlS13_E_NS1_11comp_targetILNS1_3genE5ELNS1_11target_archE942ELNS1_3gpuE9ELNS1_3repE0EEENS1_30default_config_static_selectorELNS0_4arch9wavefront6targetE0EEEvT1_
    .private_segment_fixed_size: 0
    .sgpr_count:     0
    .sgpr_spill_count: 0
    .symbol:         _ZN7rocprim17ROCPRIM_400000_NS6detail17trampoline_kernelINS0_14default_configENS1_25partition_config_selectorILNS1_17partition_subalgoE9EddbEEZZNS1_14partition_implILS5_9ELb0ES3_jN6thrust23THRUST_200600_302600_NS6detail15normal_iteratorINS9_10device_ptrIdEEEESE_PNS0_10empty_typeENS0_5tupleIJSE_SF_EEENSH_IJSE_SG_EEENS0_18inequality_wrapperINS9_8equal_toIdEEEEPmJSF_EEE10hipError_tPvRmT3_T4_T5_T6_T7_T9_mT8_P12ihipStream_tbDpT10_ENKUlT_T0_E_clISt17integral_constantIbLb0EES18_EEDaS13_S14_EUlS13_E_NS1_11comp_targetILNS1_3genE5ELNS1_11target_archE942ELNS1_3gpuE9ELNS1_3repE0EEENS1_30default_config_static_selectorELNS0_4arch9wavefront6targetE0EEEvT1_.kd
    .uniform_work_group_size: 1
    .uses_dynamic_stack: false
    .vgpr_count:     0
    .vgpr_spill_count: 0
    .wavefront_size: 32
    .workgroup_processor_mode: 1
  - .args:
      - .offset:         0
        .size:           112
        .value_kind:     by_value
    .group_segment_fixed_size: 0
    .kernarg_segment_align: 8
    .kernarg_segment_size: 112
    .language:       OpenCL C
    .language_version:
      - 2
      - 0
    .max_flat_workgroup_size: 128
    .name:           _ZN7rocprim17ROCPRIM_400000_NS6detail17trampoline_kernelINS0_14default_configENS1_25partition_config_selectorILNS1_17partition_subalgoE9EddbEEZZNS1_14partition_implILS5_9ELb0ES3_jN6thrust23THRUST_200600_302600_NS6detail15normal_iteratorINS9_10device_ptrIdEEEESE_PNS0_10empty_typeENS0_5tupleIJSE_SF_EEENSH_IJSE_SG_EEENS0_18inequality_wrapperINS9_8equal_toIdEEEEPmJSF_EEE10hipError_tPvRmT3_T4_T5_T6_T7_T9_mT8_P12ihipStream_tbDpT10_ENKUlT_T0_E_clISt17integral_constantIbLb0EES18_EEDaS13_S14_EUlS13_E_NS1_11comp_targetILNS1_3genE4ELNS1_11target_archE910ELNS1_3gpuE8ELNS1_3repE0EEENS1_30default_config_static_selectorELNS0_4arch9wavefront6targetE0EEEvT1_
    .private_segment_fixed_size: 0
    .sgpr_count:     0
    .sgpr_spill_count: 0
    .symbol:         _ZN7rocprim17ROCPRIM_400000_NS6detail17trampoline_kernelINS0_14default_configENS1_25partition_config_selectorILNS1_17partition_subalgoE9EddbEEZZNS1_14partition_implILS5_9ELb0ES3_jN6thrust23THRUST_200600_302600_NS6detail15normal_iteratorINS9_10device_ptrIdEEEESE_PNS0_10empty_typeENS0_5tupleIJSE_SF_EEENSH_IJSE_SG_EEENS0_18inequality_wrapperINS9_8equal_toIdEEEEPmJSF_EEE10hipError_tPvRmT3_T4_T5_T6_T7_T9_mT8_P12ihipStream_tbDpT10_ENKUlT_T0_E_clISt17integral_constantIbLb0EES18_EEDaS13_S14_EUlS13_E_NS1_11comp_targetILNS1_3genE4ELNS1_11target_archE910ELNS1_3gpuE8ELNS1_3repE0EEENS1_30default_config_static_selectorELNS0_4arch9wavefront6targetE0EEEvT1_.kd
    .uniform_work_group_size: 1
    .uses_dynamic_stack: false
    .vgpr_count:     0
    .vgpr_spill_count: 0
    .wavefront_size: 32
    .workgroup_processor_mode: 1
  - .args:
      - .offset:         0
        .size:           112
        .value_kind:     by_value
    .group_segment_fixed_size: 0
    .kernarg_segment_align: 8
    .kernarg_segment_size: 112
    .language:       OpenCL C
    .language_version:
      - 2
      - 0
    .max_flat_workgroup_size: 128
    .name:           _ZN7rocprim17ROCPRIM_400000_NS6detail17trampoline_kernelINS0_14default_configENS1_25partition_config_selectorILNS1_17partition_subalgoE9EddbEEZZNS1_14partition_implILS5_9ELb0ES3_jN6thrust23THRUST_200600_302600_NS6detail15normal_iteratorINS9_10device_ptrIdEEEESE_PNS0_10empty_typeENS0_5tupleIJSE_SF_EEENSH_IJSE_SG_EEENS0_18inequality_wrapperINS9_8equal_toIdEEEEPmJSF_EEE10hipError_tPvRmT3_T4_T5_T6_T7_T9_mT8_P12ihipStream_tbDpT10_ENKUlT_T0_E_clISt17integral_constantIbLb0EES18_EEDaS13_S14_EUlS13_E_NS1_11comp_targetILNS1_3genE3ELNS1_11target_archE908ELNS1_3gpuE7ELNS1_3repE0EEENS1_30default_config_static_selectorELNS0_4arch9wavefront6targetE0EEEvT1_
    .private_segment_fixed_size: 0
    .sgpr_count:     0
    .sgpr_spill_count: 0
    .symbol:         _ZN7rocprim17ROCPRIM_400000_NS6detail17trampoline_kernelINS0_14default_configENS1_25partition_config_selectorILNS1_17partition_subalgoE9EddbEEZZNS1_14partition_implILS5_9ELb0ES3_jN6thrust23THRUST_200600_302600_NS6detail15normal_iteratorINS9_10device_ptrIdEEEESE_PNS0_10empty_typeENS0_5tupleIJSE_SF_EEENSH_IJSE_SG_EEENS0_18inequality_wrapperINS9_8equal_toIdEEEEPmJSF_EEE10hipError_tPvRmT3_T4_T5_T6_T7_T9_mT8_P12ihipStream_tbDpT10_ENKUlT_T0_E_clISt17integral_constantIbLb0EES18_EEDaS13_S14_EUlS13_E_NS1_11comp_targetILNS1_3genE3ELNS1_11target_archE908ELNS1_3gpuE7ELNS1_3repE0EEENS1_30default_config_static_selectorELNS0_4arch9wavefront6targetE0EEEvT1_.kd
    .uniform_work_group_size: 1
    .uses_dynamic_stack: false
    .vgpr_count:     0
    .vgpr_spill_count: 0
    .wavefront_size: 32
    .workgroup_processor_mode: 1
  - .args:
      - .offset:         0
        .size:           112
        .value_kind:     by_value
    .group_segment_fixed_size: 0
    .kernarg_segment_align: 8
    .kernarg_segment_size: 112
    .language:       OpenCL C
    .language_version:
      - 2
      - 0
    .max_flat_workgroup_size: 256
    .name:           _ZN7rocprim17ROCPRIM_400000_NS6detail17trampoline_kernelINS0_14default_configENS1_25partition_config_selectorILNS1_17partition_subalgoE9EddbEEZZNS1_14partition_implILS5_9ELb0ES3_jN6thrust23THRUST_200600_302600_NS6detail15normal_iteratorINS9_10device_ptrIdEEEESE_PNS0_10empty_typeENS0_5tupleIJSE_SF_EEENSH_IJSE_SG_EEENS0_18inequality_wrapperINS9_8equal_toIdEEEEPmJSF_EEE10hipError_tPvRmT3_T4_T5_T6_T7_T9_mT8_P12ihipStream_tbDpT10_ENKUlT_T0_E_clISt17integral_constantIbLb0EES18_EEDaS13_S14_EUlS13_E_NS1_11comp_targetILNS1_3genE2ELNS1_11target_archE906ELNS1_3gpuE6ELNS1_3repE0EEENS1_30default_config_static_selectorELNS0_4arch9wavefront6targetE0EEEvT1_
    .private_segment_fixed_size: 0
    .sgpr_count:     0
    .sgpr_spill_count: 0
    .symbol:         _ZN7rocprim17ROCPRIM_400000_NS6detail17trampoline_kernelINS0_14default_configENS1_25partition_config_selectorILNS1_17partition_subalgoE9EddbEEZZNS1_14partition_implILS5_9ELb0ES3_jN6thrust23THRUST_200600_302600_NS6detail15normal_iteratorINS9_10device_ptrIdEEEESE_PNS0_10empty_typeENS0_5tupleIJSE_SF_EEENSH_IJSE_SG_EEENS0_18inequality_wrapperINS9_8equal_toIdEEEEPmJSF_EEE10hipError_tPvRmT3_T4_T5_T6_T7_T9_mT8_P12ihipStream_tbDpT10_ENKUlT_T0_E_clISt17integral_constantIbLb0EES18_EEDaS13_S14_EUlS13_E_NS1_11comp_targetILNS1_3genE2ELNS1_11target_archE906ELNS1_3gpuE6ELNS1_3repE0EEENS1_30default_config_static_selectorELNS0_4arch9wavefront6targetE0EEEvT1_.kd
    .uniform_work_group_size: 1
    .uses_dynamic_stack: false
    .vgpr_count:     0
    .vgpr_spill_count: 0
    .wavefront_size: 32
    .workgroup_processor_mode: 1
  - .args:
      - .offset:         0
        .size:           112
        .value_kind:     by_value
    .group_segment_fixed_size: 0
    .kernarg_segment_align: 8
    .kernarg_segment_size: 112
    .language:       OpenCL C
    .language_version:
      - 2
      - 0
    .max_flat_workgroup_size: 384
    .name:           _ZN7rocprim17ROCPRIM_400000_NS6detail17trampoline_kernelINS0_14default_configENS1_25partition_config_selectorILNS1_17partition_subalgoE9EddbEEZZNS1_14partition_implILS5_9ELb0ES3_jN6thrust23THRUST_200600_302600_NS6detail15normal_iteratorINS9_10device_ptrIdEEEESE_PNS0_10empty_typeENS0_5tupleIJSE_SF_EEENSH_IJSE_SG_EEENS0_18inequality_wrapperINS9_8equal_toIdEEEEPmJSF_EEE10hipError_tPvRmT3_T4_T5_T6_T7_T9_mT8_P12ihipStream_tbDpT10_ENKUlT_T0_E_clISt17integral_constantIbLb0EES18_EEDaS13_S14_EUlS13_E_NS1_11comp_targetILNS1_3genE10ELNS1_11target_archE1200ELNS1_3gpuE4ELNS1_3repE0EEENS1_30default_config_static_selectorELNS0_4arch9wavefront6targetE0EEEvT1_
    .private_segment_fixed_size: 0
    .sgpr_count:     0
    .sgpr_spill_count: 0
    .symbol:         _ZN7rocprim17ROCPRIM_400000_NS6detail17trampoline_kernelINS0_14default_configENS1_25partition_config_selectorILNS1_17partition_subalgoE9EddbEEZZNS1_14partition_implILS5_9ELb0ES3_jN6thrust23THRUST_200600_302600_NS6detail15normal_iteratorINS9_10device_ptrIdEEEESE_PNS0_10empty_typeENS0_5tupleIJSE_SF_EEENSH_IJSE_SG_EEENS0_18inequality_wrapperINS9_8equal_toIdEEEEPmJSF_EEE10hipError_tPvRmT3_T4_T5_T6_T7_T9_mT8_P12ihipStream_tbDpT10_ENKUlT_T0_E_clISt17integral_constantIbLb0EES18_EEDaS13_S14_EUlS13_E_NS1_11comp_targetILNS1_3genE10ELNS1_11target_archE1200ELNS1_3gpuE4ELNS1_3repE0EEENS1_30default_config_static_selectorELNS0_4arch9wavefront6targetE0EEEvT1_.kd
    .uniform_work_group_size: 1
    .uses_dynamic_stack: false
    .vgpr_count:     0
    .vgpr_spill_count: 0
    .wavefront_size: 32
    .workgroup_processor_mode: 1
  - .args:
      - .offset:         0
        .size:           112
        .value_kind:     by_value
    .group_segment_fixed_size: 33800
    .kernarg_segment_align: 8
    .kernarg_segment_size: 112
    .language:       OpenCL C
    .language_version:
      - 2
      - 0
    .max_flat_workgroup_size: 512
    .name:           _ZN7rocprim17ROCPRIM_400000_NS6detail17trampoline_kernelINS0_14default_configENS1_25partition_config_selectorILNS1_17partition_subalgoE9EddbEEZZNS1_14partition_implILS5_9ELb0ES3_jN6thrust23THRUST_200600_302600_NS6detail15normal_iteratorINS9_10device_ptrIdEEEESE_PNS0_10empty_typeENS0_5tupleIJSE_SF_EEENSH_IJSE_SG_EEENS0_18inequality_wrapperINS9_8equal_toIdEEEEPmJSF_EEE10hipError_tPvRmT3_T4_T5_T6_T7_T9_mT8_P12ihipStream_tbDpT10_ENKUlT_T0_E_clISt17integral_constantIbLb0EES18_EEDaS13_S14_EUlS13_E_NS1_11comp_targetILNS1_3genE9ELNS1_11target_archE1100ELNS1_3gpuE3ELNS1_3repE0EEENS1_30default_config_static_selectorELNS0_4arch9wavefront6targetE0EEEvT1_
    .private_segment_fixed_size: 0
    .sgpr_count:     28
    .sgpr_spill_count: 0
    .symbol:         _ZN7rocprim17ROCPRIM_400000_NS6detail17trampoline_kernelINS0_14default_configENS1_25partition_config_selectorILNS1_17partition_subalgoE9EddbEEZZNS1_14partition_implILS5_9ELb0ES3_jN6thrust23THRUST_200600_302600_NS6detail15normal_iteratorINS9_10device_ptrIdEEEESE_PNS0_10empty_typeENS0_5tupleIJSE_SF_EEENSH_IJSE_SG_EEENS0_18inequality_wrapperINS9_8equal_toIdEEEEPmJSF_EEE10hipError_tPvRmT3_T4_T5_T6_T7_T9_mT8_P12ihipStream_tbDpT10_ENKUlT_T0_E_clISt17integral_constantIbLb0EES18_EEDaS13_S14_EUlS13_E_NS1_11comp_targetILNS1_3genE9ELNS1_11target_archE1100ELNS1_3gpuE3ELNS1_3repE0EEENS1_30default_config_static_selectorELNS0_4arch9wavefront6targetE0EEEvT1_.kd
    .uniform_work_group_size: 1
    .uses_dynamic_stack: false
    .vgpr_count:     68
    .vgpr_spill_count: 0
    .wavefront_size: 32
    .workgroup_processor_mode: 1
  - .args:
      - .offset:         0
        .size:           112
        .value_kind:     by_value
    .group_segment_fixed_size: 0
    .kernarg_segment_align: 8
    .kernarg_segment_size: 112
    .language:       OpenCL C
    .language_version:
      - 2
      - 0
    .max_flat_workgroup_size: 512
    .name:           _ZN7rocprim17ROCPRIM_400000_NS6detail17trampoline_kernelINS0_14default_configENS1_25partition_config_selectorILNS1_17partition_subalgoE9EddbEEZZNS1_14partition_implILS5_9ELb0ES3_jN6thrust23THRUST_200600_302600_NS6detail15normal_iteratorINS9_10device_ptrIdEEEESE_PNS0_10empty_typeENS0_5tupleIJSE_SF_EEENSH_IJSE_SG_EEENS0_18inequality_wrapperINS9_8equal_toIdEEEEPmJSF_EEE10hipError_tPvRmT3_T4_T5_T6_T7_T9_mT8_P12ihipStream_tbDpT10_ENKUlT_T0_E_clISt17integral_constantIbLb0EES18_EEDaS13_S14_EUlS13_E_NS1_11comp_targetILNS1_3genE8ELNS1_11target_archE1030ELNS1_3gpuE2ELNS1_3repE0EEENS1_30default_config_static_selectorELNS0_4arch9wavefront6targetE0EEEvT1_
    .private_segment_fixed_size: 0
    .sgpr_count:     0
    .sgpr_spill_count: 0
    .symbol:         _ZN7rocprim17ROCPRIM_400000_NS6detail17trampoline_kernelINS0_14default_configENS1_25partition_config_selectorILNS1_17partition_subalgoE9EddbEEZZNS1_14partition_implILS5_9ELb0ES3_jN6thrust23THRUST_200600_302600_NS6detail15normal_iteratorINS9_10device_ptrIdEEEESE_PNS0_10empty_typeENS0_5tupleIJSE_SF_EEENSH_IJSE_SG_EEENS0_18inequality_wrapperINS9_8equal_toIdEEEEPmJSF_EEE10hipError_tPvRmT3_T4_T5_T6_T7_T9_mT8_P12ihipStream_tbDpT10_ENKUlT_T0_E_clISt17integral_constantIbLb0EES18_EEDaS13_S14_EUlS13_E_NS1_11comp_targetILNS1_3genE8ELNS1_11target_archE1030ELNS1_3gpuE2ELNS1_3repE0EEENS1_30default_config_static_selectorELNS0_4arch9wavefront6targetE0EEEvT1_.kd
    .uniform_work_group_size: 1
    .uses_dynamic_stack: false
    .vgpr_count:     0
    .vgpr_spill_count: 0
    .wavefront_size: 32
    .workgroup_processor_mode: 1
  - .args:
      - .offset:         0
        .size:           40
        .value_kind:     by_value
    .group_segment_fixed_size: 0
    .kernarg_segment_align: 8
    .kernarg_segment_size: 40
    .language:       OpenCL C
    .language_version:
      - 2
      - 0
    .max_flat_workgroup_size: 128
    .name:           _ZN7rocprim17ROCPRIM_400000_NS6detail17trampoline_kernelINS0_14default_configENS1_25transform_config_selectorImLb1EEEZNS1_14transform_implILb1ES3_S5_PmS7_NS0_8identityIvEEEE10hipError_tT2_T3_mT4_P12ihipStream_tbEUlT_E_NS1_11comp_targetILNS1_3genE0ELNS1_11target_archE4294967295ELNS1_3gpuE0ELNS1_3repE0EEENS1_30default_config_static_selectorELNS0_4arch9wavefront6targetE0EEEvT1_
    .private_segment_fixed_size: 0
    .sgpr_count:     0
    .sgpr_spill_count: 0
    .symbol:         _ZN7rocprim17ROCPRIM_400000_NS6detail17trampoline_kernelINS0_14default_configENS1_25transform_config_selectorImLb1EEEZNS1_14transform_implILb1ES3_S5_PmS7_NS0_8identityIvEEEE10hipError_tT2_T3_mT4_P12ihipStream_tbEUlT_E_NS1_11comp_targetILNS1_3genE0ELNS1_11target_archE4294967295ELNS1_3gpuE0ELNS1_3repE0EEENS1_30default_config_static_selectorELNS0_4arch9wavefront6targetE0EEEvT1_.kd
    .uniform_work_group_size: 1
    .uses_dynamic_stack: false
    .vgpr_count:     0
    .vgpr_spill_count: 0
    .wavefront_size: 32
    .workgroup_processor_mode: 1
  - .args:
      - .offset:         0
        .size:           40
        .value_kind:     by_value
    .group_segment_fixed_size: 0
    .kernarg_segment_align: 8
    .kernarg_segment_size: 40
    .language:       OpenCL C
    .language_version:
      - 2
      - 0
    .max_flat_workgroup_size: 1024
    .name:           _ZN7rocprim17ROCPRIM_400000_NS6detail17trampoline_kernelINS0_14default_configENS1_25transform_config_selectorImLb1EEEZNS1_14transform_implILb1ES3_S5_PmS7_NS0_8identityIvEEEE10hipError_tT2_T3_mT4_P12ihipStream_tbEUlT_E_NS1_11comp_targetILNS1_3genE10ELNS1_11target_archE1201ELNS1_3gpuE5ELNS1_3repE0EEENS1_30default_config_static_selectorELNS0_4arch9wavefront6targetE0EEEvT1_
    .private_segment_fixed_size: 0
    .sgpr_count:     0
    .sgpr_spill_count: 0
    .symbol:         _ZN7rocprim17ROCPRIM_400000_NS6detail17trampoline_kernelINS0_14default_configENS1_25transform_config_selectorImLb1EEEZNS1_14transform_implILb1ES3_S5_PmS7_NS0_8identityIvEEEE10hipError_tT2_T3_mT4_P12ihipStream_tbEUlT_E_NS1_11comp_targetILNS1_3genE10ELNS1_11target_archE1201ELNS1_3gpuE5ELNS1_3repE0EEENS1_30default_config_static_selectorELNS0_4arch9wavefront6targetE0EEEvT1_.kd
    .uniform_work_group_size: 1
    .uses_dynamic_stack: false
    .vgpr_count:     0
    .vgpr_spill_count: 0
    .wavefront_size: 32
    .workgroup_processor_mode: 1
  - .args:
      - .offset:         0
        .size:           40
        .value_kind:     by_value
    .group_segment_fixed_size: 0
    .kernarg_segment_align: 8
    .kernarg_segment_size: 40
    .language:       OpenCL C
    .language_version:
      - 2
      - 0
    .max_flat_workgroup_size: 512
    .name:           _ZN7rocprim17ROCPRIM_400000_NS6detail17trampoline_kernelINS0_14default_configENS1_25transform_config_selectorImLb1EEEZNS1_14transform_implILb1ES3_S5_PmS7_NS0_8identityIvEEEE10hipError_tT2_T3_mT4_P12ihipStream_tbEUlT_E_NS1_11comp_targetILNS1_3genE5ELNS1_11target_archE942ELNS1_3gpuE9ELNS1_3repE0EEENS1_30default_config_static_selectorELNS0_4arch9wavefront6targetE0EEEvT1_
    .private_segment_fixed_size: 0
    .sgpr_count:     0
    .sgpr_spill_count: 0
    .symbol:         _ZN7rocprim17ROCPRIM_400000_NS6detail17trampoline_kernelINS0_14default_configENS1_25transform_config_selectorImLb1EEEZNS1_14transform_implILb1ES3_S5_PmS7_NS0_8identityIvEEEE10hipError_tT2_T3_mT4_P12ihipStream_tbEUlT_E_NS1_11comp_targetILNS1_3genE5ELNS1_11target_archE942ELNS1_3gpuE9ELNS1_3repE0EEENS1_30default_config_static_selectorELNS0_4arch9wavefront6targetE0EEEvT1_.kd
    .uniform_work_group_size: 1
    .uses_dynamic_stack: false
    .vgpr_count:     0
    .vgpr_spill_count: 0
    .wavefront_size: 32
    .workgroup_processor_mode: 1
  - .args:
      - .offset:         0
        .size:           40
        .value_kind:     by_value
    .group_segment_fixed_size: 0
    .kernarg_segment_align: 8
    .kernarg_segment_size: 40
    .language:       OpenCL C
    .language_version:
      - 2
      - 0
    .max_flat_workgroup_size: 1024
    .name:           _ZN7rocprim17ROCPRIM_400000_NS6detail17trampoline_kernelINS0_14default_configENS1_25transform_config_selectorImLb1EEEZNS1_14transform_implILb1ES3_S5_PmS7_NS0_8identityIvEEEE10hipError_tT2_T3_mT4_P12ihipStream_tbEUlT_E_NS1_11comp_targetILNS1_3genE4ELNS1_11target_archE910ELNS1_3gpuE8ELNS1_3repE0EEENS1_30default_config_static_selectorELNS0_4arch9wavefront6targetE0EEEvT1_
    .private_segment_fixed_size: 0
    .sgpr_count:     0
    .sgpr_spill_count: 0
    .symbol:         _ZN7rocprim17ROCPRIM_400000_NS6detail17trampoline_kernelINS0_14default_configENS1_25transform_config_selectorImLb1EEEZNS1_14transform_implILb1ES3_S5_PmS7_NS0_8identityIvEEEE10hipError_tT2_T3_mT4_P12ihipStream_tbEUlT_E_NS1_11comp_targetILNS1_3genE4ELNS1_11target_archE910ELNS1_3gpuE8ELNS1_3repE0EEENS1_30default_config_static_selectorELNS0_4arch9wavefront6targetE0EEEvT1_.kd
    .uniform_work_group_size: 1
    .uses_dynamic_stack: false
    .vgpr_count:     0
    .vgpr_spill_count: 0
    .wavefront_size: 32
    .workgroup_processor_mode: 1
  - .args:
      - .offset:         0
        .size:           40
        .value_kind:     by_value
    .group_segment_fixed_size: 0
    .kernarg_segment_align: 8
    .kernarg_segment_size: 40
    .language:       OpenCL C
    .language_version:
      - 2
      - 0
    .max_flat_workgroup_size: 128
    .name:           _ZN7rocprim17ROCPRIM_400000_NS6detail17trampoline_kernelINS0_14default_configENS1_25transform_config_selectorImLb1EEEZNS1_14transform_implILb1ES3_S5_PmS7_NS0_8identityIvEEEE10hipError_tT2_T3_mT4_P12ihipStream_tbEUlT_E_NS1_11comp_targetILNS1_3genE3ELNS1_11target_archE908ELNS1_3gpuE7ELNS1_3repE0EEENS1_30default_config_static_selectorELNS0_4arch9wavefront6targetE0EEEvT1_
    .private_segment_fixed_size: 0
    .sgpr_count:     0
    .sgpr_spill_count: 0
    .symbol:         _ZN7rocprim17ROCPRIM_400000_NS6detail17trampoline_kernelINS0_14default_configENS1_25transform_config_selectorImLb1EEEZNS1_14transform_implILb1ES3_S5_PmS7_NS0_8identityIvEEEE10hipError_tT2_T3_mT4_P12ihipStream_tbEUlT_E_NS1_11comp_targetILNS1_3genE3ELNS1_11target_archE908ELNS1_3gpuE7ELNS1_3repE0EEENS1_30default_config_static_selectorELNS0_4arch9wavefront6targetE0EEEvT1_.kd
    .uniform_work_group_size: 1
    .uses_dynamic_stack: false
    .vgpr_count:     0
    .vgpr_spill_count: 0
    .wavefront_size: 32
    .workgroup_processor_mode: 1
  - .args:
      - .offset:         0
        .size:           40
        .value_kind:     by_value
    .group_segment_fixed_size: 0
    .kernarg_segment_align: 8
    .kernarg_segment_size: 40
    .language:       OpenCL C
    .language_version:
      - 2
      - 0
    .max_flat_workgroup_size: 512
    .name:           _ZN7rocprim17ROCPRIM_400000_NS6detail17trampoline_kernelINS0_14default_configENS1_25transform_config_selectorImLb1EEEZNS1_14transform_implILb1ES3_S5_PmS7_NS0_8identityIvEEEE10hipError_tT2_T3_mT4_P12ihipStream_tbEUlT_E_NS1_11comp_targetILNS1_3genE2ELNS1_11target_archE906ELNS1_3gpuE6ELNS1_3repE0EEENS1_30default_config_static_selectorELNS0_4arch9wavefront6targetE0EEEvT1_
    .private_segment_fixed_size: 0
    .sgpr_count:     0
    .sgpr_spill_count: 0
    .symbol:         _ZN7rocprim17ROCPRIM_400000_NS6detail17trampoline_kernelINS0_14default_configENS1_25transform_config_selectorImLb1EEEZNS1_14transform_implILb1ES3_S5_PmS7_NS0_8identityIvEEEE10hipError_tT2_T3_mT4_P12ihipStream_tbEUlT_E_NS1_11comp_targetILNS1_3genE2ELNS1_11target_archE906ELNS1_3gpuE6ELNS1_3repE0EEENS1_30default_config_static_selectorELNS0_4arch9wavefront6targetE0EEEvT1_.kd
    .uniform_work_group_size: 1
    .uses_dynamic_stack: false
    .vgpr_count:     0
    .vgpr_spill_count: 0
    .wavefront_size: 32
    .workgroup_processor_mode: 1
  - .args:
      - .offset:         0
        .size:           40
        .value_kind:     by_value
      - .offset:         40
        .size:           4
        .value_kind:     hidden_block_count_x
      - .offset:         44
        .size:           4
        .value_kind:     hidden_block_count_y
      - .offset:         48
        .size:           4
        .value_kind:     hidden_block_count_z
      - .offset:         52
        .size:           2
        .value_kind:     hidden_group_size_x
      - .offset:         54
        .size:           2
        .value_kind:     hidden_group_size_y
      - .offset:         56
        .size:           2
        .value_kind:     hidden_group_size_z
      - .offset:         58
        .size:           2
        .value_kind:     hidden_remainder_x
      - .offset:         60
        .size:           2
        .value_kind:     hidden_remainder_y
      - .offset:         62
        .size:           2
        .value_kind:     hidden_remainder_z
      - .offset:         80
        .size:           8
        .value_kind:     hidden_global_offset_x
      - .offset:         88
        .size:           8
        .value_kind:     hidden_global_offset_y
      - .offset:         96
        .size:           8
        .value_kind:     hidden_global_offset_z
      - .offset:         104
        .size:           2
        .value_kind:     hidden_grid_dims
    .group_segment_fixed_size: 0
    .kernarg_segment_align: 8
    .kernarg_segment_size: 296
    .language:       OpenCL C
    .language_version:
      - 2
      - 0
    .max_flat_workgroup_size: 1024
    .name:           _ZN7rocprim17ROCPRIM_400000_NS6detail17trampoline_kernelINS0_14default_configENS1_25transform_config_selectorImLb1EEEZNS1_14transform_implILb1ES3_S5_PmS7_NS0_8identityIvEEEE10hipError_tT2_T3_mT4_P12ihipStream_tbEUlT_E_NS1_11comp_targetILNS1_3genE9ELNS1_11target_archE1100ELNS1_3gpuE3ELNS1_3repE0EEENS1_30default_config_static_selectorELNS0_4arch9wavefront6targetE0EEEvT1_
    .private_segment_fixed_size: 0
    .sgpr_count:     18
    .sgpr_spill_count: 0
    .symbol:         _ZN7rocprim17ROCPRIM_400000_NS6detail17trampoline_kernelINS0_14default_configENS1_25transform_config_selectorImLb1EEEZNS1_14transform_implILb1ES3_S5_PmS7_NS0_8identityIvEEEE10hipError_tT2_T3_mT4_P12ihipStream_tbEUlT_E_NS1_11comp_targetILNS1_3genE9ELNS1_11target_archE1100ELNS1_3gpuE3ELNS1_3repE0EEENS1_30default_config_static_selectorELNS0_4arch9wavefront6targetE0EEEvT1_.kd
    .uniform_work_group_size: 1
    .uses_dynamic_stack: false
    .vgpr_count:     7
    .vgpr_spill_count: 0
    .wavefront_size: 32
    .workgroup_processor_mode: 1
  - .args:
      - .offset:         0
        .size:           40
        .value_kind:     by_value
    .group_segment_fixed_size: 0
    .kernarg_segment_align: 8
    .kernarg_segment_size: 40
    .language:       OpenCL C
    .language_version:
      - 2
      - 0
    .max_flat_workgroup_size: 1024
    .name:           _ZN7rocprim17ROCPRIM_400000_NS6detail17trampoline_kernelINS0_14default_configENS1_25transform_config_selectorImLb1EEEZNS1_14transform_implILb1ES3_S5_PmS7_NS0_8identityIvEEEE10hipError_tT2_T3_mT4_P12ihipStream_tbEUlT_E_NS1_11comp_targetILNS1_3genE8ELNS1_11target_archE1030ELNS1_3gpuE2ELNS1_3repE0EEENS1_30default_config_static_selectorELNS0_4arch9wavefront6targetE0EEEvT1_
    .private_segment_fixed_size: 0
    .sgpr_count:     0
    .sgpr_spill_count: 0
    .symbol:         _ZN7rocprim17ROCPRIM_400000_NS6detail17trampoline_kernelINS0_14default_configENS1_25transform_config_selectorImLb1EEEZNS1_14transform_implILb1ES3_S5_PmS7_NS0_8identityIvEEEE10hipError_tT2_T3_mT4_P12ihipStream_tbEUlT_E_NS1_11comp_targetILNS1_3genE8ELNS1_11target_archE1030ELNS1_3gpuE2ELNS1_3repE0EEENS1_30default_config_static_selectorELNS0_4arch9wavefront6targetE0EEEvT1_.kd
    .uniform_work_group_size: 1
    .uses_dynamic_stack: false
    .vgpr_count:     0
    .vgpr_spill_count: 0
    .wavefront_size: 32
    .workgroup_processor_mode: 1
  - .args:
      - .address_space:  global
        .offset:         0
        .size:           8
        .value_kind:     global_buffer
      - .offset:         8
        .size:           4
        .value_kind:     by_value
      - .address_space:  global
        .offset:         16
        .size:           8
        .value_kind:     global_buffer
      - .offset:         24
        .size:           4
        .value_kind:     by_value
      - .address_space:  global
        .offset:         32
        .size:           8
        .value_kind:     global_buffer
      - .offset:         40
        .size:           4
        .value_kind:     hidden_block_count_x
      - .offset:         44
        .size:           4
        .value_kind:     hidden_block_count_y
      - .offset:         48
        .size:           4
        .value_kind:     hidden_block_count_z
      - .offset:         52
        .size:           2
        .value_kind:     hidden_group_size_x
      - .offset:         54
        .size:           2
        .value_kind:     hidden_group_size_y
      - .offset:         56
        .size:           2
        .value_kind:     hidden_group_size_z
      - .offset:         58
        .size:           2
        .value_kind:     hidden_remainder_x
      - .offset:         60
        .size:           2
        .value_kind:     hidden_remainder_y
      - .offset:         62
        .size:           2
        .value_kind:     hidden_remainder_z
      - .offset:         80
        .size:           8
        .value_kind:     hidden_global_offset_x
      - .offset:         88
        .size:           8
        .value_kind:     hidden_global_offset_y
      - .offset:         96
        .size:           8
        .value_kind:     hidden_global_offset_z
      - .offset:         104
        .size:           2
        .value_kind:     hidden_grid_dims
    .group_segment_fixed_size: 0
    .kernarg_segment_align: 8
    .kernarg_segment_size: 296
    .language:       OpenCL C
    .language_version:
      - 2
      - 0
    .max_flat_workgroup_size: 256
    .name:           _ZN7rocprim17ROCPRIM_400000_NS6detail31init_lookback_scan_state_kernelINS1_19lookback_scan_stateIjLb1ELb1EEENS1_16block_id_wrapperIjLb1EEEEEvT_jT0_jPNS7_10value_typeE
    .private_segment_fixed_size: 0
    .sgpr_count:     18
    .sgpr_spill_count: 0
    .symbol:         _ZN7rocprim17ROCPRIM_400000_NS6detail31init_lookback_scan_state_kernelINS1_19lookback_scan_stateIjLb1ELb1EEENS1_16block_id_wrapperIjLb1EEEEEvT_jT0_jPNS7_10value_typeE.kd
    .uniform_work_group_size: 1
    .uses_dynamic_stack: false
    .vgpr_count:     6
    .vgpr_spill_count: 0
    .wavefront_size: 32
    .workgroup_processor_mode: 1
  - .args:
      - .offset:         0
        .size:           128
        .value_kind:     by_value
    .group_segment_fixed_size: 0
    .kernarg_segment_align: 8
    .kernarg_segment_size: 128
    .language:       OpenCL C
    .language_version:
      - 2
      - 0
    .max_flat_workgroup_size: 128
    .name:           _ZN7rocprim17ROCPRIM_400000_NS6detail17trampoline_kernelINS0_14default_configENS1_25partition_config_selectorILNS1_17partition_subalgoE9EddbEEZZNS1_14partition_implILS5_9ELb0ES3_jN6thrust23THRUST_200600_302600_NS6detail15normal_iteratorINS9_10device_ptrIdEEEESE_PNS0_10empty_typeENS0_5tupleIJSE_SF_EEENSH_IJSE_SG_EEENS0_18inequality_wrapperINS9_8equal_toIdEEEEPmJSF_EEE10hipError_tPvRmT3_T4_T5_T6_T7_T9_mT8_P12ihipStream_tbDpT10_ENKUlT_T0_E_clISt17integral_constantIbLb1EES18_EEDaS13_S14_EUlS13_E_NS1_11comp_targetILNS1_3genE0ELNS1_11target_archE4294967295ELNS1_3gpuE0ELNS1_3repE0EEENS1_30default_config_static_selectorELNS0_4arch9wavefront6targetE0EEEvT1_
    .private_segment_fixed_size: 0
    .sgpr_count:     0
    .sgpr_spill_count: 0
    .symbol:         _ZN7rocprim17ROCPRIM_400000_NS6detail17trampoline_kernelINS0_14default_configENS1_25partition_config_selectorILNS1_17partition_subalgoE9EddbEEZZNS1_14partition_implILS5_9ELb0ES3_jN6thrust23THRUST_200600_302600_NS6detail15normal_iteratorINS9_10device_ptrIdEEEESE_PNS0_10empty_typeENS0_5tupleIJSE_SF_EEENSH_IJSE_SG_EEENS0_18inequality_wrapperINS9_8equal_toIdEEEEPmJSF_EEE10hipError_tPvRmT3_T4_T5_T6_T7_T9_mT8_P12ihipStream_tbDpT10_ENKUlT_T0_E_clISt17integral_constantIbLb1EES18_EEDaS13_S14_EUlS13_E_NS1_11comp_targetILNS1_3genE0ELNS1_11target_archE4294967295ELNS1_3gpuE0ELNS1_3repE0EEENS1_30default_config_static_selectorELNS0_4arch9wavefront6targetE0EEEvT1_.kd
    .uniform_work_group_size: 1
    .uses_dynamic_stack: false
    .vgpr_count:     0
    .vgpr_spill_count: 0
    .wavefront_size: 32
    .workgroup_processor_mode: 1
  - .args:
      - .offset:         0
        .size:           128
        .value_kind:     by_value
    .group_segment_fixed_size: 0
    .kernarg_segment_align: 8
    .kernarg_segment_size: 128
    .language:       OpenCL C
    .language_version:
      - 2
      - 0
    .max_flat_workgroup_size: 512
    .name:           _ZN7rocprim17ROCPRIM_400000_NS6detail17trampoline_kernelINS0_14default_configENS1_25partition_config_selectorILNS1_17partition_subalgoE9EddbEEZZNS1_14partition_implILS5_9ELb0ES3_jN6thrust23THRUST_200600_302600_NS6detail15normal_iteratorINS9_10device_ptrIdEEEESE_PNS0_10empty_typeENS0_5tupleIJSE_SF_EEENSH_IJSE_SG_EEENS0_18inequality_wrapperINS9_8equal_toIdEEEEPmJSF_EEE10hipError_tPvRmT3_T4_T5_T6_T7_T9_mT8_P12ihipStream_tbDpT10_ENKUlT_T0_E_clISt17integral_constantIbLb1EES18_EEDaS13_S14_EUlS13_E_NS1_11comp_targetILNS1_3genE5ELNS1_11target_archE942ELNS1_3gpuE9ELNS1_3repE0EEENS1_30default_config_static_selectorELNS0_4arch9wavefront6targetE0EEEvT1_
    .private_segment_fixed_size: 0
    .sgpr_count:     0
    .sgpr_spill_count: 0
    .symbol:         _ZN7rocprim17ROCPRIM_400000_NS6detail17trampoline_kernelINS0_14default_configENS1_25partition_config_selectorILNS1_17partition_subalgoE9EddbEEZZNS1_14partition_implILS5_9ELb0ES3_jN6thrust23THRUST_200600_302600_NS6detail15normal_iteratorINS9_10device_ptrIdEEEESE_PNS0_10empty_typeENS0_5tupleIJSE_SF_EEENSH_IJSE_SG_EEENS0_18inequality_wrapperINS9_8equal_toIdEEEEPmJSF_EEE10hipError_tPvRmT3_T4_T5_T6_T7_T9_mT8_P12ihipStream_tbDpT10_ENKUlT_T0_E_clISt17integral_constantIbLb1EES18_EEDaS13_S14_EUlS13_E_NS1_11comp_targetILNS1_3genE5ELNS1_11target_archE942ELNS1_3gpuE9ELNS1_3repE0EEENS1_30default_config_static_selectorELNS0_4arch9wavefront6targetE0EEEvT1_.kd
    .uniform_work_group_size: 1
    .uses_dynamic_stack: false
    .vgpr_count:     0
    .vgpr_spill_count: 0
    .wavefront_size: 32
    .workgroup_processor_mode: 1
  - .args:
      - .offset:         0
        .size:           128
        .value_kind:     by_value
    .group_segment_fixed_size: 0
    .kernarg_segment_align: 8
    .kernarg_segment_size: 128
    .language:       OpenCL C
    .language_version:
      - 2
      - 0
    .max_flat_workgroup_size: 128
    .name:           _ZN7rocprim17ROCPRIM_400000_NS6detail17trampoline_kernelINS0_14default_configENS1_25partition_config_selectorILNS1_17partition_subalgoE9EddbEEZZNS1_14partition_implILS5_9ELb0ES3_jN6thrust23THRUST_200600_302600_NS6detail15normal_iteratorINS9_10device_ptrIdEEEESE_PNS0_10empty_typeENS0_5tupleIJSE_SF_EEENSH_IJSE_SG_EEENS0_18inequality_wrapperINS9_8equal_toIdEEEEPmJSF_EEE10hipError_tPvRmT3_T4_T5_T6_T7_T9_mT8_P12ihipStream_tbDpT10_ENKUlT_T0_E_clISt17integral_constantIbLb1EES18_EEDaS13_S14_EUlS13_E_NS1_11comp_targetILNS1_3genE4ELNS1_11target_archE910ELNS1_3gpuE8ELNS1_3repE0EEENS1_30default_config_static_selectorELNS0_4arch9wavefront6targetE0EEEvT1_
    .private_segment_fixed_size: 0
    .sgpr_count:     0
    .sgpr_spill_count: 0
    .symbol:         _ZN7rocprim17ROCPRIM_400000_NS6detail17trampoline_kernelINS0_14default_configENS1_25partition_config_selectorILNS1_17partition_subalgoE9EddbEEZZNS1_14partition_implILS5_9ELb0ES3_jN6thrust23THRUST_200600_302600_NS6detail15normal_iteratorINS9_10device_ptrIdEEEESE_PNS0_10empty_typeENS0_5tupleIJSE_SF_EEENSH_IJSE_SG_EEENS0_18inequality_wrapperINS9_8equal_toIdEEEEPmJSF_EEE10hipError_tPvRmT3_T4_T5_T6_T7_T9_mT8_P12ihipStream_tbDpT10_ENKUlT_T0_E_clISt17integral_constantIbLb1EES18_EEDaS13_S14_EUlS13_E_NS1_11comp_targetILNS1_3genE4ELNS1_11target_archE910ELNS1_3gpuE8ELNS1_3repE0EEENS1_30default_config_static_selectorELNS0_4arch9wavefront6targetE0EEEvT1_.kd
    .uniform_work_group_size: 1
    .uses_dynamic_stack: false
    .vgpr_count:     0
    .vgpr_spill_count: 0
    .wavefront_size: 32
    .workgroup_processor_mode: 1
  - .args:
      - .offset:         0
        .size:           128
        .value_kind:     by_value
    .group_segment_fixed_size: 0
    .kernarg_segment_align: 8
    .kernarg_segment_size: 128
    .language:       OpenCL C
    .language_version:
      - 2
      - 0
    .max_flat_workgroup_size: 128
    .name:           _ZN7rocprim17ROCPRIM_400000_NS6detail17trampoline_kernelINS0_14default_configENS1_25partition_config_selectorILNS1_17partition_subalgoE9EddbEEZZNS1_14partition_implILS5_9ELb0ES3_jN6thrust23THRUST_200600_302600_NS6detail15normal_iteratorINS9_10device_ptrIdEEEESE_PNS0_10empty_typeENS0_5tupleIJSE_SF_EEENSH_IJSE_SG_EEENS0_18inequality_wrapperINS9_8equal_toIdEEEEPmJSF_EEE10hipError_tPvRmT3_T4_T5_T6_T7_T9_mT8_P12ihipStream_tbDpT10_ENKUlT_T0_E_clISt17integral_constantIbLb1EES18_EEDaS13_S14_EUlS13_E_NS1_11comp_targetILNS1_3genE3ELNS1_11target_archE908ELNS1_3gpuE7ELNS1_3repE0EEENS1_30default_config_static_selectorELNS0_4arch9wavefront6targetE0EEEvT1_
    .private_segment_fixed_size: 0
    .sgpr_count:     0
    .sgpr_spill_count: 0
    .symbol:         _ZN7rocprim17ROCPRIM_400000_NS6detail17trampoline_kernelINS0_14default_configENS1_25partition_config_selectorILNS1_17partition_subalgoE9EddbEEZZNS1_14partition_implILS5_9ELb0ES3_jN6thrust23THRUST_200600_302600_NS6detail15normal_iteratorINS9_10device_ptrIdEEEESE_PNS0_10empty_typeENS0_5tupleIJSE_SF_EEENSH_IJSE_SG_EEENS0_18inequality_wrapperINS9_8equal_toIdEEEEPmJSF_EEE10hipError_tPvRmT3_T4_T5_T6_T7_T9_mT8_P12ihipStream_tbDpT10_ENKUlT_T0_E_clISt17integral_constantIbLb1EES18_EEDaS13_S14_EUlS13_E_NS1_11comp_targetILNS1_3genE3ELNS1_11target_archE908ELNS1_3gpuE7ELNS1_3repE0EEENS1_30default_config_static_selectorELNS0_4arch9wavefront6targetE0EEEvT1_.kd
    .uniform_work_group_size: 1
    .uses_dynamic_stack: false
    .vgpr_count:     0
    .vgpr_spill_count: 0
    .wavefront_size: 32
    .workgroup_processor_mode: 1
  - .args:
      - .offset:         0
        .size:           128
        .value_kind:     by_value
    .group_segment_fixed_size: 0
    .kernarg_segment_align: 8
    .kernarg_segment_size: 128
    .language:       OpenCL C
    .language_version:
      - 2
      - 0
    .max_flat_workgroup_size: 256
    .name:           _ZN7rocprim17ROCPRIM_400000_NS6detail17trampoline_kernelINS0_14default_configENS1_25partition_config_selectorILNS1_17partition_subalgoE9EddbEEZZNS1_14partition_implILS5_9ELb0ES3_jN6thrust23THRUST_200600_302600_NS6detail15normal_iteratorINS9_10device_ptrIdEEEESE_PNS0_10empty_typeENS0_5tupleIJSE_SF_EEENSH_IJSE_SG_EEENS0_18inequality_wrapperINS9_8equal_toIdEEEEPmJSF_EEE10hipError_tPvRmT3_T4_T5_T6_T7_T9_mT8_P12ihipStream_tbDpT10_ENKUlT_T0_E_clISt17integral_constantIbLb1EES18_EEDaS13_S14_EUlS13_E_NS1_11comp_targetILNS1_3genE2ELNS1_11target_archE906ELNS1_3gpuE6ELNS1_3repE0EEENS1_30default_config_static_selectorELNS0_4arch9wavefront6targetE0EEEvT1_
    .private_segment_fixed_size: 0
    .sgpr_count:     0
    .sgpr_spill_count: 0
    .symbol:         _ZN7rocprim17ROCPRIM_400000_NS6detail17trampoline_kernelINS0_14default_configENS1_25partition_config_selectorILNS1_17partition_subalgoE9EddbEEZZNS1_14partition_implILS5_9ELb0ES3_jN6thrust23THRUST_200600_302600_NS6detail15normal_iteratorINS9_10device_ptrIdEEEESE_PNS0_10empty_typeENS0_5tupleIJSE_SF_EEENSH_IJSE_SG_EEENS0_18inequality_wrapperINS9_8equal_toIdEEEEPmJSF_EEE10hipError_tPvRmT3_T4_T5_T6_T7_T9_mT8_P12ihipStream_tbDpT10_ENKUlT_T0_E_clISt17integral_constantIbLb1EES18_EEDaS13_S14_EUlS13_E_NS1_11comp_targetILNS1_3genE2ELNS1_11target_archE906ELNS1_3gpuE6ELNS1_3repE0EEENS1_30default_config_static_selectorELNS0_4arch9wavefront6targetE0EEEvT1_.kd
    .uniform_work_group_size: 1
    .uses_dynamic_stack: false
    .vgpr_count:     0
    .vgpr_spill_count: 0
    .wavefront_size: 32
    .workgroup_processor_mode: 1
  - .args:
      - .offset:         0
        .size:           128
        .value_kind:     by_value
    .group_segment_fixed_size: 0
    .kernarg_segment_align: 8
    .kernarg_segment_size: 128
    .language:       OpenCL C
    .language_version:
      - 2
      - 0
    .max_flat_workgroup_size: 384
    .name:           _ZN7rocprim17ROCPRIM_400000_NS6detail17trampoline_kernelINS0_14default_configENS1_25partition_config_selectorILNS1_17partition_subalgoE9EddbEEZZNS1_14partition_implILS5_9ELb0ES3_jN6thrust23THRUST_200600_302600_NS6detail15normal_iteratorINS9_10device_ptrIdEEEESE_PNS0_10empty_typeENS0_5tupleIJSE_SF_EEENSH_IJSE_SG_EEENS0_18inequality_wrapperINS9_8equal_toIdEEEEPmJSF_EEE10hipError_tPvRmT3_T4_T5_T6_T7_T9_mT8_P12ihipStream_tbDpT10_ENKUlT_T0_E_clISt17integral_constantIbLb1EES18_EEDaS13_S14_EUlS13_E_NS1_11comp_targetILNS1_3genE10ELNS1_11target_archE1200ELNS1_3gpuE4ELNS1_3repE0EEENS1_30default_config_static_selectorELNS0_4arch9wavefront6targetE0EEEvT1_
    .private_segment_fixed_size: 0
    .sgpr_count:     0
    .sgpr_spill_count: 0
    .symbol:         _ZN7rocprim17ROCPRIM_400000_NS6detail17trampoline_kernelINS0_14default_configENS1_25partition_config_selectorILNS1_17partition_subalgoE9EddbEEZZNS1_14partition_implILS5_9ELb0ES3_jN6thrust23THRUST_200600_302600_NS6detail15normal_iteratorINS9_10device_ptrIdEEEESE_PNS0_10empty_typeENS0_5tupleIJSE_SF_EEENSH_IJSE_SG_EEENS0_18inequality_wrapperINS9_8equal_toIdEEEEPmJSF_EEE10hipError_tPvRmT3_T4_T5_T6_T7_T9_mT8_P12ihipStream_tbDpT10_ENKUlT_T0_E_clISt17integral_constantIbLb1EES18_EEDaS13_S14_EUlS13_E_NS1_11comp_targetILNS1_3genE10ELNS1_11target_archE1200ELNS1_3gpuE4ELNS1_3repE0EEENS1_30default_config_static_selectorELNS0_4arch9wavefront6targetE0EEEvT1_.kd
    .uniform_work_group_size: 1
    .uses_dynamic_stack: false
    .vgpr_count:     0
    .vgpr_spill_count: 0
    .wavefront_size: 32
    .workgroup_processor_mode: 1
  - .args:
      - .offset:         0
        .size:           128
        .value_kind:     by_value
    .group_segment_fixed_size: 33800
    .kernarg_segment_align: 8
    .kernarg_segment_size: 128
    .language:       OpenCL C
    .language_version:
      - 2
      - 0
    .max_flat_workgroup_size: 512
    .name:           _ZN7rocprim17ROCPRIM_400000_NS6detail17trampoline_kernelINS0_14default_configENS1_25partition_config_selectorILNS1_17partition_subalgoE9EddbEEZZNS1_14partition_implILS5_9ELb0ES3_jN6thrust23THRUST_200600_302600_NS6detail15normal_iteratorINS9_10device_ptrIdEEEESE_PNS0_10empty_typeENS0_5tupleIJSE_SF_EEENSH_IJSE_SG_EEENS0_18inequality_wrapperINS9_8equal_toIdEEEEPmJSF_EEE10hipError_tPvRmT3_T4_T5_T6_T7_T9_mT8_P12ihipStream_tbDpT10_ENKUlT_T0_E_clISt17integral_constantIbLb1EES18_EEDaS13_S14_EUlS13_E_NS1_11comp_targetILNS1_3genE9ELNS1_11target_archE1100ELNS1_3gpuE3ELNS1_3repE0EEENS1_30default_config_static_selectorELNS0_4arch9wavefront6targetE0EEEvT1_
    .private_segment_fixed_size: 0
    .sgpr_count:     34
    .sgpr_spill_count: 0
    .symbol:         _ZN7rocprim17ROCPRIM_400000_NS6detail17trampoline_kernelINS0_14default_configENS1_25partition_config_selectorILNS1_17partition_subalgoE9EddbEEZZNS1_14partition_implILS5_9ELb0ES3_jN6thrust23THRUST_200600_302600_NS6detail15normal_iteratorINS9_10device_ptrIdEEEESE_PNS0_10empty_typeENS0_5tupleIJSE_SF_EEENSH_IJSE_SG_EEENS0_18inequality_wrapperINS9_8equal_toIdEEEEPmJSF_EEE10hipError_tPvRmT3_T4_T5_T6_T7_T9_mT8_P12ihipStream_tbDpT10_ENKUlT_T0_E_clISt17integral_constantIbLb1EES18_EEDaS13_S14_EUlS13_E_NS1_11comp_targetILNS1_3genE9ELNS1_11target_archE1100ELNS1_3gpuE3ELNS1_3repE0EEENS1_30default_config_static_selectorELNS0_4arch9wavefront6targetE0EEEvT1_.kd
    .uniform_work_group_size: 1
    .uses_dynamic_stack: false
    .vgpr_count:     68
    .vgpr_spill_count: 0
    .wavefront_size: 32
    .workgroup_processor_mode: 1
  - .args:
      - .offset:         0
        .size:           128
        .value_kind:     by_value
    .group_segment_fixed_size: 0
    .kernarg_segment_align: 8
    .kernarg_segment_size: 128
    .language:       OpenCL C
    .language_version:
      - 2
      - 0
    .max_flat_workgroup_size: 512
    .name:           _ZN7rocprim17ROCPRIM_400000_NS6detail17trampoline_kernelINS0_14default_configENS1_25partition_config_selectorILNS1_17partition_subalgoE9EddbEEZZNS1_14partition_implILS5_9ELb0ES3_jN6thrust23THRUST_200600_302600_NS6detail15normal_iteratorINS9_10device_ptrIdEEEESE_PNS0_10empty_typeENS0_5tupleIJSE_SF_EEENSH_IJSE_SG_EEENS0_18inequality_wrapperINS9_8equal_toIdEEEEPmJSF_EEE10hipError_tPvRmT3_T4_T5_T6_T7_T9_mT8_P12ihipStream_tbDpT10_ENKUlT_T0_E_clISt17integral_constantIbLb1EES18_EEDaS13_S14_EUlS13_E_NS1_11comp_targetILNS1_3genE8ELNS1_11target_archE1030ELNS1_3gpuE2ELNS1_3repE0EEENS1_30default_config_static_selectorELNS0_4arch9wavefront6targetE0EEEvT1_
    .private_segment_fixed_size: 0
    .sgpr_count:     0
    .sgpr_spill_count: 0
    .symbol:         _ZN7rocprim17ROCPRIM_400000_NS6detail17trampoline_kernelINS0_14default_configENS1_25partition_config_selectorILNS1_17partition_subalgoE9EddbEEZZNS1_14partition_implILS5_9ELb0ES3_jN6thrust23THRUST_200600_302600_NS6detail15normal_iteratorINS9_10device_ptrIdEEEESE_PNS0_10empty_typeENS0_5tupleIJSE_SF_EEENSH_IJSE_SG_EEENS0_18inequality_wrapperINS9_8equal_toIdEEEEPmJSF_EEE10hipError_tPvRmT3_T4_T5_T6_T7_T9_mT8_P12ihipStream_tbDpT10_ENKUlT_T0_E_clISt17integral_constantIbLb1EES18_EEDaS13_S14_EUlS13_E_NS1_11comp_targetILNS1_3genE8ELNS1_11target_archE1030ELNS1_3gpuE2ELNS1_3repE0EEENS1_30default_config_static_selectorELNS0_4arch9wavefront6targetE0EEEvT1_.kd
    .uniform_work_group_size: 1
    .uses_dynamic_stack: false
    .vgpr_count:     0
    .vgpr_spill_count: 0
    .wavefront_size: 32
    .workgroup_processor_mode: 1
  - .args:
      - .address_space:  global
        .offset:         0
        .size:           8
        .value_kind:     global_buffer
      - .offset:         8
        .size:           4
        .value_kind:     by_value
      - .offset:         12
        .size:           1
        .value_kind:     by_value
      - .offset:         16
        .size:           4
        .value_kind:     by_value
      - .address_space:  global
        .offset:         24
        .size:           8
        .value_kind:     global_buffer
      - .offset:         32
        .size:           4
        .value_kind:     hidden_block_count_x
      - .offset:         36
        .size:           4
        .value_kind:     hidden_block_count_y
      - .offset:         40
        .size:           4
        .value_kind:     hidden_block_count_z
      - .offset:         44
        .size:           2
        .value_kind:     hidden_group_size_x
      - .offset:         46
        .size:           2
        .value_kind:     hidden_group_size_y
      - .offset:         48
        .size:           2
        .value_kind:     hidden_group_size_z
      - .offset:         50
        .size:           2
        .value_kind:     hidden_remainder_x
      - .offset:         52
        .size:           2
        .value_kind:     hidden_remainder_y
      - .offset:         54
        .size:           2
        .value_kind:     hidden_remainder_z
      - .offset:         72
        .size:           8
        .value_kind:     hidden_global_offset_x
      - .offset:         80
        .size:           8
        .value_kind:     hidden_global_offset_y
      - .offset:         88
        .size:           8
        .value_kind:     hidden_global_offset_z
      - .offset:         96
        .size:           2
        .value_kind:     hidden_grid_dims
    .group_segment_fixed_size: 0
    .kernarg_segment_align: 8
    .kernarg_segment_size: 288
    .language:       OpenCL C
    .language_version:
      - 2
      - 0
    .max_flat_workgroup_size: 256
    .name:           _ZN7rocprim17ROCPRIM_400000_NS6detail31init_lookback_scan_state_kernelINS1_19lookback_scan_stateIjLb1ELb1EEENS1_16block_id_wrapperIjLb0EEEEEvT_jT0_jPNS7_10value_typeE
    .private_segment_fixed_size: 0
    .sgpr_count:     18
    .sgpr_spill_count: 0
    .symbol:         _ZN7rocprim17ROCPRIM_400000_NS6detail31init_lookback_scan_state_kernelINS1_19lookback_scan_stateIjLb1ELb1EEENS1_16block_id_wrapperIjLb0EEEEEvT_jT0_jPNS7_10value_typeE.kd
    .uniform_work_group_size: 1
    .uses_dynamic_stack: false
    .vgpr_count:     6
    .vgpr_spill_count: 0
    .wavefront_size: 32
    .workgroup_processor_mode: 1
  - .args:
      - .offset:         0
        .size:           112
        .value_kind:     by_value
    .group_segment_fixed_size: 0
    .kernarg_segment_align: 8
    .kernarg_segment_size: 112
    .language:       OpenCL C
    .language_version:
      - 2
      - 0
    .max_flat_workgroup_size: 128
    .name:           _ZN7rocprim17ROCPRIM_400000_NS6detail17trampoline_kernelINS0_14default_configENS1_25partition_config_selectorILNS1_17partition_subalgoE9EddbEEZZNS1_14partition_implILS5_9ELb0ES3_jN6thrust23THRUST_200600_302600_NS6detail15normal_iteratorINS9_10device_ptrIdEEEESE_PNS0_10empty_typeENS0_5tupleIJSE_SF_EEENSH_IJSE_SG_EEENS0_18inequality_wrapperINS9_8equal_toIdEEEEPmJSF_EEE10hipError_tPvRmT3_T4_T5_T6_T7_T9_mT8_P12ihipStream_tbDpT10_ENKUlT_T0_E_clISt17integral_constantIbLb1EES17_IbLb0EEEEDaS13_S14_EUlS13_E_NS1_11comp_targetILNS1_3genE0ELNS1_11target_archE4294967295ELNS1_3gpuE0ELNS1_3repE0EEENS1_30default_config_static_selectorELNS0_4arch9wavefront6targetE0EEEvT1_
    .private_segment_fixed_size: 0
    .sgpr_count:     0
    .sgpr_spill_count: 0
    .symbol:         _ZN7rocprim17ROCPRIM_400000_NS6detail17trampoline_kernelINS0_14default_configENS1_25partition_config_selectorILNS1_17partition_subalgoE9EddbEEZZNS1_14partition_implILS5_9ELb0ES3_jN6thrust23THRUST_200600_302600_NS6detail15normal_iteratorINS9_10device_ptrIdEEEESE_PNS0_10empty_typeENS0_5tupleIJSE_SF_EEENSH_IJSE_SG_EEENS0_18inequality_wrapperINS9_8equal_toIdEEEEPmJSF_EEE10hipError_tPvRmT3_T4_T5_T6_T7_T9_mT8_P12ihipStream_tbDpT10_ENKUlT_T0_E_clISt17integral_constantIbLb1EES17_IbLb0EEEEDaS13_S14_EUlS13_E_NS1_11comp_targetILNS1_3genE0ELNS1_11target_archE4294967295ELNS1_3gpuE0ELNS1_3repE0EEENS1_30default_config_static_selectorELNS0_4arch9wavefront6targetE0EEEvT1_.kd
    .uniform_work_group_size: 1
    .uses_dynamic_stack: false
    .vgpr_count:     0
    .vgpr_spill_count: 0
    .wavefront_size: 32
    .workgroup_processor_mode: 1
  - .args:
      - .offset:         0
        .size:           112
        .value_kind:     by_value
    .group_segment_fixed_size: 0
    .kernarg_segment_align: 8
    .kernarg_segment_size: 112
    .language:       OpenCL C
    .language_version:
      - 2
      - 0
    .max_flat_workgroup_size: 512
    .name:           _ZN7rocprim17ROCPRIM_400000_NS6detail17trampoline_kernelINS0_14default_configENS1_25partition_config_selectorILNS1_17partition_subalgoE9EddbEEZZNS1_14partition_implILS5_9ELb0ES3_jN6thrust23THRUST_200600_302600_NS6detail15normal_iteratorINS9_10device_ptrIdEEEESE_PNS0_10empty_typeENS0_5tupleIJSE_SF_EEENSH_IJSE_SG_EEENS0_18inequality_wrapperINS9_8equal_toIdEEEEPmJSF_EEE10hipError_tPvRmT3_T4_T5_T6_T7_T9_mT8_P12ihipStream_tbDpT10_ENKUlT_T0_E_clISt17integral_constantIbLb1EES17_IbLb0EEEEDaS13_S14_EUlS13_E_NS1_11comp_targetILNS1_3genE5ELNS1_11target_archE942ELNS1_3gpuE9ELNS1_3repE0EEENS1_30default_config_static_selectorELNS0_4arch9wavefront6targetE0EEEvT1_
    .private_segment_fixed_size: 0
    .sgpr_count:     0
    .sgpr_spill_count: 0
    .symbol:         _ZN7rocprim17ROCPRIM_400000_NS6detail17trampoline_kernelINS0_14default_configENS1_25partition_config_selectorILNS1_17partition_subalgoE9EddbEEZZNS1_14partition_implILS5_9ELb0ES3_jN6thrust23THRUST_200600_302600_NS6detail15normal_iteratorINS9_10device_ptrIdEEEESE_PNS0_10empty_typeENS0_5tupleIJSE_SF_EEENSH_IJSE_SG_EEENS0_18inequality_wrapperINS9_8equal_toIdEEEEPmJSF_EEE10hipError_tPvRmT3_T4_T5_T6_T7_T9_mT8_P12ihipStream_tbDpT10_ENKUlT_T0_E_clISt17integral_constantIbLb1EES17_IbLb0EEEEDaS13_S14_EUlS13_E_NS1_11comp_targetILNS1_3genE5ELNS1_11target_archE942ELNS1_3gpuE9ELNS1_3repE0EEENS1_30default_config_static_selectorELNS0_4arch9wavefront6targetE0EEEvT1_.kd
    .uniform_work_group_size: 1
    .uses_dynamic_stack: false
    .vgpr_count:     0
    .vgpr_spill_count: 0
    .wavefront_size: 32
    .workgroup_processor_mode: 1
  - .args:
      - .offset:         0
        .size:           112
        .value_kind:     by_value
    .group_segment_fixed_size: 0
    .kernarg_segment_align: 8
    .kernarg_segment_size: 112
    .language:       OpenCL C
    .language_version:
      - 2
      - 0
    .max_flat_workgroup_size: 128
    .name:           _ZN7rocprim17ROCPRIM_400000_NS6detail17trampoline_kernelINS0_14default_configENS1_25partition_config_selectorILNS1_17partition_subalgoE9EddbEEZZNS1_14partition_implILS5_9ELb0ES3_jN6thrust23THRUST_200600_302600_NS6detail15normal_iteratorINS9_10device_ptrIdEEEESE_PNS0_10empty_typeENS0_5tupleIJSE_SF_EEENSH_IJSE_SG_EEENS0_18inequality_wrapperINS9_8equal_toIdEEEEPmJSF_EEE10hipError_tPvRmT3_T4_T5_T6_T7_T9_mT8_P12ihipStream_tbDpT10_ENKUlT_T0_E_clISt17integral_constantIbLb1EES17_IbLb0EEEEDaS13_S14_EUlS13_E_NS1_11comp_targetILNS1_3genE4ELNS1_11target_archE910ELNS1_3gpuE8ELNS1_3repE0EEENS1_30default_config_static_selectorELNS0_4arch9wavefront6targetE0EEEvT1_
    .private_segment_fixed_size: 0
    .sgpr_count:     0
    .sgpr_spill_count: 0
    .symbol:         _ZN7rocprim17ROCPRIM_400000_NS6detail17trampoline_kernelINS0_14default_configENS1_25partition_config_selectorILNS1_17partition_subalgoE9EddbEEZZNS1_14partition_implILS5_9ELb0ES3_jN6thrust23THRUST_200600_302600_NS6detail15normal_iteratorINS9_10device_ptrIdEEEESE_PNS0_10empty_typeENS0_5tupleIJSE_SF_EEENSH_IJSE_SG_EEENS0_18inequality_wrapperINS9_8equal_toIdEEEEPmJSF_EEE10hipError_tPvRmT3_T4_T5_T6_T7_T9_mT8_P12ihipStream_tbDpT10_ENKUlT_T0_E_clISt17integral_constantIbLb1EES17_IbLb0EEEEDaS13_S14_EUlS13_E_NS1_11comp_targetILNS1_3genE4ELNS1_11target_archE910ELNS1_3gpuE8ELNS1_3repE0EEENS1_30default_config_static_selectorELNS0_4arch9wavefront6targetE0EEEvT1_.kd
    .uniform_work_group_size: 1
    .uses_dynamic_stack: false
    .vgpr_count:     0
    .vgpr_spill_count: 0
    .wavefront_size: 32
    .workgroup_processor_mode: 1
  - .args:
      - .offset:         0
        .size:           112
        .value_kind:     by_value
    .group_segment_fixed_size: 0
    .kernarg_segment_align: 8
    .kernarg_segment_size: 112
    .language:       OpenCL C
    .language_version:
      - 2
      - 0
    .max_flat_workgroup_size: 128
    .name:           _ZN7rocprim17ROCPRIM_400000_NS6detail17trampoline_kernelINS0_14default_configENS1_25partition_config_selectorILNS1_17partition_subalgoE9EddbEEZZNS1_14partition_implILS5_9ELb0ES3_jN6thrust23THRUST_200600_302600_NS6detail15normal_iteratorINS9_10device_ptrIdEEEESE_PNS0_10empty_typeENS0_5tupleIJSE_SF_EEENSH_IJSE_SG_EEENS0_18inequality_wrapperINS9_8equal_toIdEEEEPmJSF_EEE10hipError_tPvRmT3_T4_T5_T6_T7_T9_mT8_P12ihipStream_tbDpT10_ENKUlT_T0_E_clISt17integral_constantIbLb1EES17_IbLb0EEEEDaS13_S14_EUlS13_E_NS1_11comp_targetILNS1_3genE3ELNS1_11target_archE908ELNS1_3gpuE7ELNS1_3repE0EEENS1_30default_config_static_selectorELNS0_4arch9wavefront6targetE0EEEvT1_
    .private_segment_fixed_size: 0
    .sgpr_count:     0
    .sgpr_spill_count: 0
    .symbol:         _ZN7rocprim17ROCPRIM_400000_NS6detail17trampoline_kernelINS0_14default_configENS1_25partition_config_selectorILNS1_17partition_subalgoE9EddbEEZZNS1_14partition_implILS5_9ELb0ES3_jN6thrust23THRUST_200600_302600_NS6detail15normal_iteratorINS9_10device_ptrIdEEEESE_PNS0_10empty_typeENS0_5tupleIJSE_SF_EEENSH_IJSE_SG_EEENS0_18inequality_wrapperINS9_8equal_toIdEEEEPmJSF_EEE10hipError_tPvRmT3_T4_T5_T6_T7_T9_mT8_P12ihipStream_tbDpT10_ENKUlT_T0_E_clISt17integral_constantIbLb1EES17_IbLb0EEEEDaS13_S14_EUlS13_E_NS1_11comp_targetILNS1_3genE3ELNS1_11target_archE908ELNS1_3gpuE7ELNS1_3repE0EEENS1_30default_config_static_selectorELNS0_4arch9wavefront6targetE0EEEvT1_.kd
    .uniform_work_group_size: 1
    .uses_dynamic_stack: false
    .vgpr_count:     0
    .vgpr_spill_count: 0
    .wavefront_size: 32
    .workgroup_processor_mode: 1
  - .args:
      - .offset:         0
        .size:           112
        .value_kind:     by_value
    .group_segment_fixed_size: 0
    .kernarg_segment_align: 8
    .kernarg_segment_size: 112
    .language:       OpenCL C
    .language_version:
      - 2
      - 0
    .max_flat_workgroup_size: 256
    .name:           _ZN7rocprim17ROCPRIM_400000_NS6detail17trampoline_kernelINS0_14default_configENS1_25partition_config_selectorILNS1_17partition_subalgoE9EddbEEZZNS1_14partition_implILS5_9ELb0ES3_jN6thrust23THRUST_200600_302600_NS6detail15normal_iteratorINS9_10device_ptrIdEEEESE_PNS0_10empty_typeENS0_5tupleIJSE_SF_EEENSH_IJSE_SG_EEENS0_18inequality_wrapperINS9_8equal_toIdEEEEPmJSF_EEE10hipError_tPvRmT3_T4_T5_T6_T7_T9_mT8_P12ihipStream_tbDpT10_ENKUlT_T0_E_clISt17integral_constantIbLb1EES17_IbLb0EEEEDaS13_S14_EUlS13_E_NS1_11comp_targetILNS1_3genE2ELNS1_11target_archE906ELNS1_3gpuE6ELNS1_3repE0EEENS1_30default_config_static_selectorELNS0_4arch9wavefront6targetE0EEEvT1_
    .private_segment_fixed_size: 0
    .sgpr_count:     0
    .sgpr_spill_count: 0
    .symbol:         _ZN7rocprim17ROCPRIM_400000_NS6detail17trampoline_kernelINS0_14default_configENS1_25partition_config_selectorILNS1_17partition_subalgoE9EddbEEZZNS1_14partition_implILS5_9ELb0ES3_jN6thrust23THRUST_200600_302600_NS6detail15normal_iteratorINS9_10device_ptrIdEEEESE_PNS0_10empty_typeENS0_5tupleIJSE_SF_EEENSH_IJSE_SG_EEENS0_18inequality_wrapperINS9_8equal_toIdEEEEPmJSF_EEE10hipError_tPvRmT3_T4_T5_T6_T7_T9_mT8_P12ihipStream_tbDpT10_ENKUlT_T0_E_clISt17integral_constantIbLb1EES17_IbLb0EEEEDaS13_S14_EUlS13_E_NS1_11comp_targetILNS1_3genE2ELNS1_11target_archE906ELNS1_3gpuE6ELNS1_3repE0EEENS1_30default_config_static_selectorELNS0_4arch9wavefront6targetE0EEEvT1_.kd
    .uniform_work_group_size: 1
    .uses_dynamic_stack: false
    .vgpr_count:     0
    .vgpr_spill_count: 0
    .wavefront_size: 32
    .workgroup_processor_mode: 1
  - .args:
      - .offset:         0
        .size:           112
        .value_kind:     by_value
    .group_segment_fixed_size: 0
    .kernarg_segment_align: 8
    .kernarg_segment_size: 112
    .language:       OpenCL C
    .language_version:
      - 2
      - 0
    .max_flat_workgroup_size: 384
    .name:           _ZN7rocprim17ROCPRIM_400000_NS6detail17trampoline_kernelINS0_14default_configENS1_25partition_config_selectorILNS1_17partition_subalgoE9EddbEEZZNS1_14partition_implILS5_9ELb0ES3_jN6thrust23THRUST_200600_302600_NS6detail15normal_iteratorINS9_10device_ptrIdEEEESE_PNS0_10empty_typeENS0_5tupleIJSE_SF_EEENSH_IJSE_SG_EEENS0_18inequality_wrapperINS9_8equal_toIdEEEEPmJSF_EEE10hipError_tPvRmT3_T4_T5_T6_T7_T9_mT8_P12ihipStream_tbDpT10_ENKUlT_T0_E_clISt17integral_constantIbLb1EES17_IbLb0EEEEDaS13_S14_EUlS13_E_NS1_11comp_targetILNS1_3genE10ELNS1_11target_archE1200ELNS1_3gpuE4ELNS1_3repE0EEENS1_30default_config_static_selectorELNS0_4arch9wavefront6targetE0EEEvT1_
    .private_segment_fixed_size: 0
    .sgpr_count:     0
    .sgpr_spill_count: 0
    .symbol:         _ZN7rocprim17ROCPRIM_400000_NS6detail17trampoline_kernelINS0_14default_configENS1_25partition_config_selectorILNS1_17partition_subalgoE9EddbEEZZNS1_14partition_implILS5_9ELb0ES3_jN6thrust23THRUST_200600_302600_NS6detail15normal_iteratorINS9_10device_ptrIdEEEESE_PNS0_10empty_typeENS0_5tupleIJSE_SF_EEENSH_IJSE_SG_EEENS0_18inequality_wrapperINS9_8equal_toIdEEEEPmJSF_EEE10hipError_tPvRmT3_T4_T5_T6_T7_T9_mT8_P12ihipStream_tbDpT10_ENKUlT_T0_E_clISt17integral_constantIbLb1EES17_IbLb0EEEEDaS13_S14_EUlS13_E_NS1_11comp_targetILNS1_3genE10ELNS1_11target_archE1200ELNS1_3gpuE4ELNS1_3repE0EEENS1_30default_config_static_selectorELNS0_4arch9wavefront6targetE0EEEvT1_.kd
    .uniform_work_group_size: 1
    .uses_dynamic_stack: false
    .vgpr_count:     0
    .vgpr_spill_count: 0
    .wavefront_size: 32
    .workgroup_processor_mode: 1
  - .args:
      - .offset:         0
        .size:           112
        .value_kind:     by_value
    .group_segment_fixed_size: 33800
    .kernarg_segment_align: 8
    .kernarg_segment_size: 112
    .language:       OpenCL C
    .language_version:
      - 2
      - 0
    .max_flat_workgroup_size: 512
    .name:           _ZN7rocprim17ROCPRIM_400000_NS6detail17trampoline_kernelINS0_14default_configENS1_25partition_config_selectorILNS1_17partition_subalgoE9EddbEEZZNS1_14partition_implILS5_9ELb0ES3_jN6thrust23THRUST_200600_302600_NS6detail15normal_iteratorINS9_10device_ptrIdEEEESE_PNS0_10empty_typeENS0_5tupleIJSE_SF_EEENSH_IJSE_SG_EEENS0_18inequality_wrapperINS9_8equal_toIdEEEEPmJSF_EEE10hipError_tPvRmT3_T4_T5_T6_T7_T9_mT8_P12ihipStream_tbDpT10_ENKUlT_T0_E_clISt17integral_constantIbLb1EES17_IbLb0EEEEDaS13_S14_EUlS13_E_NS1_11comp_targetILNS1_3genE9ELNS1_11target_archE1100ELNS1_3gpuE3ELNS1_3repE0EEENS1_30default_config_static_selectorELNS0_4arch9wavefront6targetE0EEEvT1_
    .private_segment_fixed_size: 0
    .sgpr_count:     28
    .sgpr_spill_count: 0
    .symbol:         _ZN7rocprim17ROCPRIM_400000_NS6detail17trampoline_kernelINS0_14default_configENS1_25partition_config_selectorILNS1_17partition_subalgoE9EddbEEZZNS1_14partition_implILS5_9ELb0ES3_jN6thrust23THRUST_200600_302600_NS6detail15normal_iteratorINS9_10device_ptrIdEEEESE_PNS0_10empty_typeENS0_5tupleIJSE_SF_EEENSH_IJSE_SG_EEENS0_18inequality_wrapperINS9_8equal_toIdEEEEPmJSF_EEE10hipError_tPvRmT3_T4_T5_T6_T7_T9_mT8_P12ihipStream_tbDpT10_ENKUlT_T0_E_clISt17integral_constantIbLb1EES17_IbLb0EEEEDaS13_S14_EUlS13_E_NS1_11comp_targetILNS1_3genE9ELNS1_11target_archE1100ELNS1_3gpuE3ELNS1_3repE0EEENS1_30default_config_static_selectorELNS0_4arch9wavefront6targetE0EEEvT1_.kd
    .uniform_work_group_size: 1
    .uses_dynamic_stack: false
    .vgpr_count:     68
    .vgpr_spill_count: 0
    .wavefront_size: 32
    .workgroup_processor_mode: 1
  - .args:
      - .offset:         0
        .size:           112
        .value_kind:     by_value
    .group_segment_fixed_size: 0
    .kernarg_segment_align: 8
    .kernarg_segment_size: 112
    .language:       OpenCL C
    .language_version:
      - 2
      - 0
    .max_flat_workgroup_size: 512
    .name:           _ZN7rocprim17ROCPRIM_400000_NS6detail17trampoline_kernelINS0_14default_configENS1_25partition_config_selectorILNS1_17partition_subalgoE9EddbEEZZNS1_14partition_implILS5_9ELb0ES3_jN6thrust23THRUST_200600_302600_NS6detail15normal_iteratorINS9_10device_ptrIdEEEESE_PNS0_10empty_typeENS0_5tupleIJSE_SF_EEENSH_IJSE_SG_EEENS0_18inequality_wrapperINS9_8equal_toIdEEEEPmJSF_EEE10hipError_tPvRmT3_T4_T5_T6_T7_T9_mT8_P12ihipStream_tbDpT10_ENKUlT_T0_E_clISt17integral_constantIbLb1EES17_IbLb0EEEEDaS13_S14_EUlS13_E_NS1_11comp_targetILNS1_3genE8ELNS1_11target_archE1030ELNS1_3gpuE2ELNS1_3repE0EEENS1_30default_config_static_selectorELNS0_4arch9wavefront6targetE0EEEvT1_
    .private_segment_fixed_size: 0
    .sgpr_count:     0
    .sgpr_spill_count: 0
    .symbol:         _ZN7rocprim17ROCPRIM_400000_NS6detail17trampoline_kernelINS0_14default_configENS1_25partition_config_selectorILNS1_17partition_subalgoE9EddbEEZZNS1_14partition_implILS5_9ELb0ES3_jN6thrust23THRUST_200600_302600_NS6detail15normal_iteratorINS9_10device_ptrIdEEEESE_PNS0_10empty_typeENS0_5tupleIJSE_SF_EEENSH_IJSE_SG_EEENS0_18inequality_wrapperINS9_8equal_toIdEEEEPmJSF_EEE10hipError_tPvRmT3_T4_T5_T6_T7_T9_mT8_P12ihipStream_tbDpT10_ENKUlT_T0_E_clISt17integral_constantIbLb1EES17_IbLb0EEEEDaS13_S14_EUlS13_E_NS1_11comp_targetILNS1_3genE8ELNS1_11target_archE1030ELNS1_3gpuE2ELNS1_3repE0EEENS1_30default_config_static_selectorELNS0_4arch9wavefront6targetE0EEEvT1_.kd
    .uniform_work_group_size: 1
    .uses_dynamic_stack: false
    .vgpr_count:     0
    .vgpr_spill_count: 0
    .wavefront_size: 32
    .workgroup_processor_mode: 1
  - .args:
      - .address_space:  global
        .offset:         0
        .size:           8
        .value_kind:     global_buffer
      - .offset:         8
        .size:           4
        .value_kind:     by_value
      - .address_space:  global
        .offset:         16
        .size:           8
        .value_kind:     global_buffer
      - .offset:         24
        .size:           4
        .value_kind:     by_value
      - .address_space:  global
        .offset:         32
        .size:           8
        .value_kind:     global_buffer
      - .offset:         40
        .size:           4
        .value_kind:     hidden_block_count_x
      - .offset:         44
        .size:           4
        .value_kind:     hidden_block_count_y
      - .offset:         48
        .size:           4
        .value_kind:     hidden_block_count_z
      - .offset:         52
        .size:           2
        .value_kind:     hidden_group_size_x
      - .offset:         54
        .size:           2
        .value_kind:     hidden_group_size_y
      - .offset:         56
        .size:           2
        .value_kind:     hidden_group_size_z
      - .offset:         58
        .size:           2
        .value_kind:     hidden_remainder_x
      - .offset:         60
        .size:           2
        .value_kind:     hidden_remainder_y
      - .offset:         62
        .size:           2
        .value_kind:     hidden_remainder_z
      - .offset:         80
        .size:           8
        .value_kind:     hidden_global_offset_x
      - .offset:         88
        .size:           8
        .value_kind:     hidden_global_offset_y
      - .offset:         96
        .size:           8
        .value_kind:     hidden_global_offset_z
      - .offset:         104
        .size:           2
        .value_kind:     hidden_grid_dims
    .group_segment_fixed_size: 0
    .kernarg_segment_align: 8
    .kernarg_segment_size: 296
    .language:       OpenCL C
    .language_version:
      - 2
      - 0
    .max_flat_workgroup_size: 256
    .name:           _ZN7rocprim17ROCPRIM_400000_NS6detail31init_lookback_scan_state_kernelINS1_19lookback_scan_stateIjLb0ELb1EEENS1_16block_id_wrapperIjLb1EEEEEvT_jT0_jPNS7_10value_typeE
    .private_segment_fixed_size: 0
    .sgpr_count:     18
    .sgpr_spill_count: 0
    .symbol:         _ZN7rocprim17ROCPRIM_400000_NS6detail31init_lookback_scan_state_kernelINS1_19lookback_scan_stateIjLb0ELb1EEENS1_16block_id_wrapperIjLb1EEEEEvT_jT0_jPNS7_10value_typeE.kd
    .uniform_work_group_size: 1
    .uses_dynamic_stack: false
    .vgpr_count:     6
    .vgpr_spill_count: 0
    .wavefront_size: 32
    .workgroup_processor_mode: 1
  - .args:
      - .offset:         0
        .size:           128
        .value_kind:     by_value
    .group_segment_fixed_size: 0
    .kernarg_segment_align: 8
    .kernarg_segment_size: 128
    .language:       OpenCL C
    .language_version:
      - 2
      - 0
    .max_flat_workgroup_size: 128
    .name:           _ZN7rocprim17ROCPRIM_400000_NS6detail17trampoline_kernelINS0_14default_configENS1_25partition_config_selectorILNS1_17partition_subalgoE9EddbEEZZNS1_14partition_implILS5_9ELb0ES3_jN6thrust23THRUST_200600_302600_NS6detail15normal_iteratorINS9_10device_ptrIdEEEESE_PNS0_10empty_typeENS0_5tupleIJSE_SF_EEENSH_IJSE_SG_EEENS0_18inequality_wrapperINS9_8equal_toIdEEEEPmJSF_EEE10hipError_tPvRmT3_T4_T5_T6_T7_T9_mT8_P12ihipStream_tbDpT10_ENKUlT_T0_E_clISt17integral_constantIbLb0EES17_IbLb1EEEEDaS13_S14_EUlS13_E_NS1_11comp_targetILNS1_3genE0ELNS1_11target_archE4294967295ELNS1_3gpuE0ELNS1_3repE0EEENS1_30default_config_static_selectorELNS0_4arch9wavefront6targetE0EEEvT1_
    .private_segment_fixed_size: 0
    .sgpr_count:     0
    .sgpr_spill_count: 0
    .symbol:         _ZN7rocprim17ROCPRIM_400000_NS6detail17trampoline_kernelINS0_14default_configENS1_25partition_config_selectorILNS1_17partition_subalgoE9EddbEEZZNS1_14partition_implILS5_9ELb0ES3_jN6thrust23THRUST_200600_302600_NS6detail15normal_iteratorINS9_10device_ptrIdEEEESE_PNS0_10empty_typeENS0_5tupleIJSE_SF_EEENSH_IJSE_SG_EEENS0_18inequality_wrapperINS9_8equal_toIdEEEEPmJSF_EEE10hipError_tPvRmT3_T4_T5_T6_T7_T9_mT8_P12ihipStream_tbDpT10_ENKUlT_T0_E_clISt17integral_constantIbLb0EES17_IbLb1EEEEDaS13_S14_EUlS13_E_NS1_11comp_targetILNS1_3genE0ELNS1_11target_archE4294967295ELNS1_3gpuE0ELNS1_3repE0EEENS1_30default_config_static_selectorELNS0_4arch9wavefront6targetE0EEEvT1_.kd
    .uniform_work_group_size: 1
    .uses_dynamic_stack: false
    .vgpr_count:     0
    .vgpr_spill_count: 0
    .wavefront_size: 32
    .workgroup_processor_mode: 1
  - .args:
      - .offset:         0
        .size:           128
        .value_kind:     by_value
    .group_segment_fixed_size: 0
    .kernarg_segment_align: 8
    .kernarg_segment_size: 128
    .language:       OpenCL C
    .language_version:
      - 2
      - 0
    .max_flat_workgroup_size: 512
    .name:           _ZN7rocprim17ROCPRIM_400000_NS6detail17trampoline_kernelINS0_14default_configENS1_25partition_config_selectorILNS1_17partition_subalgoE9EddbEEZZNS1_14partition_implILS5_9ELb0ES3_jN6thrust23THRUST_200600_302600_NS6detail15normal_iteratorINS9_10device_ptrIdEEEESE_PNS0_10empty_typeENS0_5tupleIJSE_SF_EEENSH_IJSE_SG_EEENS0_18inequality_wrapperINS9_8equal_toIdEEEEPmJSF_EEE10hipError_tPvRmT3_T4_T5_T6_T7_T9_mT8_P12ihipStream_tbDpT10_ENKUlT_T0_E_clISt17integral_constantIbLb0EES17_IbLb1EEEEDaS13_S14_EUlS13_E_NS1_11comp_targetILNS1_3genE5ELNS1_11target_archE942ELNS1_3gpuE9ELNS1_3repE0EEENS1_30default_config_static_selectorELNS0_4arch9wavefront6targetE0EEEvT1_
    .private_segment_fixed_size: 0
    .sgpr_count:     0
    .sgpr_spill_count: 0
    .symbol:         _ZN7rocprim17ROCPRIM_400000_NS6detail17trampoline_kernelINS0_14default_configENS1_25partition_config_selectorILNS1_17partition_subalgoE9EddbEEZZNS1_14partition_implILS5_9ELb0ES3_jN6thrust23THRUST_200600_302600_NS6detail15normal_iteratorINS9_10device_ptrIdEEEESE_PNS0_10empty_typeENS0_5tupleIJSE_SF_EEENSH_IJSE_SG_EEENS0_18inequality_wrapperINS9_8equal_toIdEEEEPmJSF_EEE10hipError_tPvRmT3_T4_T5_T6_T7_T9_mT8_P12ihipStream_tbDpT10_ENKUlT_T0_E_clISt17integral_constantIbLb0EES17_IbLb1EEEEDaS13_S14_EUlS13_E_NS1_11comp_targetILNS1_3genE5ELNS1_11target_archE942ELNS1_3gpuE9ELNS1_3repE0EEENS1_30default_config_static_selectorELNS0_4arch9wavefront6targetE0EEEvT1_.kd
    .uniform_work_group_size: 1
    .uses_dynamic_stack: false
    .vgpr_count:     0
    .vgpr_spill_count: 0
    .wavefront_size: 32
    .workgroup_processor_mode: 1
  - .args:
      - .offset:         0
        .size:           128
        .value_kind:     by_value
    .group_segment_fixed_size: 0
    .kernarg_segment_align: 8
    .kernarg_segment_size: 128
    .language:       OpenCL C
    .language_version:
      - 2
      - 0
    .max_flat_workgroup_size: 128
    .name:           _ZN7rocprim17ROCPRIM_400000_NS6detail17trampoline_kernelINS0_14default_configENS1_25partition_config_selectorILNS1_17partition_subalgoE9EddbEEZZNS1_14partition_implILS5_9ELb0ES3_jN6thrust23THRUST_200600_302600_NS6detail15normal_iteratorINS9_10device_ptrIdEEEESE_PNS0_10empty_typeENS0_5tupleIJSE_SF_EEENSH_IJSE_SG_EEENS0_18inequality_wrapperINS9_8equal_toIdEEEEPmJSF_EEE10hipError_tPvRmT3_T4_T5_T6_T7_T9_mT8_P12ihipStream_tbDpT10_ENKUlT_T0_E_clISt17integral_constantIbLb0EES17_IbLb1EEEEDaS13_S14_EUlS13_E_NS1_11comp_targetILNS1_3genE4ELNS1_11target_archE910ELNS1_3gpuE8ELNS1_3repE0EEENS1_30default_config_static_selectorELNS0_4arch9wavefront6targetE0EEEvT1_
    .private_segment_fixed_size: 0
    .sgpr_count:     0
    .sgpr_spill_count: 0
    .symbol:         _ZN7rocprim17ROCPRIM_400000_NS6detail17trampoline_kernelINS0_14default_configENS1_25partition_config_selectorILNS1_17partition_subalgoE9EddbEEZZNS1_14partition_implILS5_9ELb0ES3_jN6thrust23THRUST_200600_302600_NS6detail15normal_iteratorINS9_10device_ptrIdEEEESE_PNS0_10empty_typeENS0_5tupleIJSE_SF_EEENSH_IJSE_SG_EEENS0_18inequality_wrapperINS9_8equal_toIdEEEEPmJSF_EEE10hipError_tPvRmT3_T4_T5_T6_T7_T9_mT8_P12ihipStream_tbDpT10_ENKUlT_T0_E_clISt17integral_constantIbLb0EES17_IbLb1EEEEDaS13_S14_EUlS13_E_NS1_11comp_targetILNS1_3genE4ELNS1_11target_archE910ELNS1_3gpuE8ELNS1_3repE0EEENS1_30default_config_static_selectorELNS0_4arch9wavefront6targetE0EEEvT1_.kd
    .uniform_work_group_size: 1
    .uses_dynamic_stack: false
    .vgpr_count:     0
    .vgpr_spill_count: 0
    .wavefront_size: 32
    .workgroup_processor_mode: 1
  - .args:
      - .offset:         0
        .size:           128
        .value_kind:     by_value
    .group_segment_fixed_size: 0
    .kernarg_segment_align: 8
    .kernarg_segment_size: 128
    .language:       OpenCL C
    .language_version:
      - 2
      - 0
    .max_flat_workgroup_size: 128
    .name:           _ZN7rocprim17ROCPRIM_400000_NS6detail17trampoline_kernelINS0_14default_configENS1_25partition_config_selectorILNS1_17partition_subalgoE9EddbEEZZNS1_14partition_implILS5_9ELb0ES3_jN6thrust23THRUST_200600_302600_NS6detail15normal_iteratorINS9_10device_ptrIdEEEESE_PNS0_10empty_typeENS0_5tupleIJSE_SF_EEENSH_IJSE_SG_EEENS0_18inequality_wrapperINS9_8equal_toIdEEEEPmJSF_EEE10hipError_tPvRmT3_T4_T5_T6_T7_T9_mT8_P12ihipStream_tbDpT10_ENKUlT_T0_E_clISt17integral_constantIbLb0EES17_IbLb1EEEEDaS13_S14_EUlS13_E_NS1_11comp_targetILNS1_3genE3ELNS1_11target_archE908ELNS1_3gpuE7ELNS1_3repE0EEENS1_30default_config_static_selectorELNS0_4arch9wavefront6targetE0EEEvT1_
    .private_segment_fixed_size: 0
    .sgpr_count:     0
    .sgpr_spill_count: 0
    .symbol:         _ZN7rocprim17ROCPRIM_400000_NS6detail17trampoline_kernelINS0_14default_configENS1_25partition_config_selectorILNS1_17partition_subalgoE9EddbEEZZNS1_14partition_implILS5_9ELb0ES3_jN6thrust23THRUST_200600_302600_NS6detail15normal_iteratorINS9_10device_ptrIdEEEESE_PNS0_10empty_typeENS0_5tupleIJSE_SF_EEENSH_IJSE_SG_EEENS0_18inequality_wrapperINS9_8equal_toIdEEEEPmJSF_EEE10hipError_tPvRmT3_T4_T5_T6_T7_T9_mT8_P12ihipStream_tbDpT10_ENKUlT_T0_E_clISt17integral_constantIbLb0EES17_IbLb1EEEEDaS13_S14_EUlS13_E_NS1_11comp_targetILNS1_3genE3ELNS1_11target_archE908ELNS1_3gpuE7ELNS1_3repE0EEENS1_30default_config_static_selectorELNS0_4arch9wavefront6targetE0EEEvT1_.kd
    .uniform_work_group_size: 1
    .uses_dynamic_stack: false
    .vgpr_count:     0
    .vgpr_spill_count: 0
    .wavefront_size: 32
    .workgroup_processor_mode: 1
  - .args:
      - .offset:         0
        .size:           128
        .value_kind:     by_value
    .group_segment_fixed_size: 0
    .kernarg_segment_align: 8
    .kernarg_segment_size: 128
    .language:       OpenCL C
    .language_version:
      - 2
      - 0
    .max_flat_workgroup_size: 256
    .name:           _ZN7rocprim17ROCPRIM_400000_NS6detail17trampoline_kernelINS0_14default_configENS1_25partition_config_selectorILNS1_17partition_subalgoE9EddbEEZZNS1_14partition_implILS5_9ELb0ES3_jN6thrust23THRUST_200600_302600_NS6detail15normal_iteratorINS9_10device_ptrIdEEEESE_PNS0_10empty_typeENS0_5tupleIJSE_SF_EEENSH_IJSE_SG_EEENS0_18inequality_wrapperINS9_8equal_toIdEEEEPmJSF_EEE10hipError_tPvRmT3_T4_T5_T6_T7_T9_mT8_P12ihipStream_tbDpT10_ENKUlT_T0_E_clISt17integral_constantIbLb0EES17_IbLb1EEEEDaS13_S14_EUlS13_E_NS1_11comp_targetILNS1_3genE2ELNS1_11target_archE906ELNS1_3gpuE6ELNS1_3repE0EEENS1_30default_config_static_selectorELNS0_4arch9wavefront6targetE0EEEvT1_
    .private_segment_fixed_size: 0
    .sgpr_count:     0
    .sgpr_spill_count: 0
    .symbol:         _ZN7rocprim17ROCPRIM_400000_NS6detail17trampoline_kernelINS0_14default_configENS1_25partition_config_selectorILNS1_17partition_subalgoE9EddbEEZZNS1_14partition_implILS5_9ELb0ES3_jN6thrust23THRUST_200600_302600_NS6detail15normal_iteratorINS9_10device_ptrIdEEEESE_PNS0_10empty_typeENS0_5tupleIJSE_SF_EEENSH_IJSE_SG_EEENS0_18inequality_wrapperINS9_8equal_toIdEEEEPmJSF_EEE10hipError_tPvRmT3_T4_T5_T6_T7_T9_mT8_P12ihipStream_tbDpT10_ENKUlT_T0_E_clISt17integral_constantIbLb0EES17_IbLb1EEEEDaS13_S14_EUlS13_E_NS1_11comp_targetILNS1_3genE2ELNS1_11target_archE906ELNS1_3gpuE6ELNS1_3repE0EEENS1_30default_config_static_selectorELNS0_4arch9wavefront6targetE0EEEvT1_.kd
    .uniform_work_group_size: 1
    .uses_dynamic_stack: false
    .vgpr_count:     0
    .vgpr_spill_count: 0
    .wavefront_size: 32
    .workgroup_processor_mode: 1
  - .args:
      - .offset:         0
        .size:           128
        .value_kind:     by_value
    .group_segment_fixed_size: 0
    .kernarg_segment_align: 8
    .kernarg_segment_size: 128
    .language:       OpenCL C
    .language_version:
      - 2
      - 0
    .max_flat_workgroup_size: 384
    .name:           _ZN7rocprim17ROCPRIM_400000_NS6detail17trampoline_kernelINS0_14default_configENS1_25partition_config_selectorILNS1_17partition_subalgoE9EddbEEZZNS1_14partition_implILS5_9ELb0ES3_jN6thrust23THRUST_200600_302600_NS6detail15normal_iteratorINS9_10device_ptrIdEEEESE_PNS0_10empty_typeENS0_5tupleIJSE_SF_EEENSH_IJSE_SG_EEENS0_18inequality_wrapperINS9_8equal_toIdEEEEPmJSF_EEE10hipError_tPvRmT3_T4_T5_T6_T7_T9_mT8_P12ihipStream_tbDpT10_ENKUlT_T0_E_clISt17integral_constantIbLb0EES17_IbLb1EEEEDaS13_S14_EUlS13_E_NS1_11comp_targetILNS1_3genE10ELNS1_11target_archE1200ELNS1_3gpuE4ELNS1_3repE0EEENS1_30default_config_static_selectorELNS0_4arch9wavefront6targetE0EEEvT1_
    .private_segment_fixed_size: 0
    .sgpr_count:     0
    .sgpr_spill_count: 0
    .symbol:         _ZN7rocprim17ROCPRIM_400000_NS6detail17trampoline_kernelINS0_14default_configENS1_25partition_config_selectorILNS1_17partition_subalgoE9EddbEEZZNS1_14partition_implILS5_9ELb0ES3_jN6thrust23THRUST_200600_302600_NS6detail15normal_iteratorINS9_10device_ptrIdEEEESE_PNS0_10empty_typeENS0_5tupleIJSE_SF_EEENSH_IJSE_SG_EEENS0_18inequality_wrapperINS9_8equal_toIdEEEEPmJSF_EEE10hipError_tPvRmT3_T4_T5_T6_T7_T9_mT8_P12ihipStream_tbDpT10_ENKUlT_T0_E_clISt17integral_constantIbLb0EES17_IbLb1EEEEDaS13_S14_EUlS13_E_NS1_11comp_targetILNS1_3genE10ELNS1_11target_archE1200ELNS1_3gpuE4ELNS1_3repE0EEENS1_30default_config_static_selectorELNS0_4arch9wavefront6targetE0EEEvT1_.kd
    .uniform_work_group_size: 1
    .uses_dynamic_stack: false
    .vgpr_count:     0
    .vgpr_spill_count: 0
    .wavefront_size: 32
    .workgroup_processor_mode: 1
  - .args:
      - .offset:         0
        .size:           128
        .value_kind:     by_value
    .group_segment_fixed_size: 33800
    .kernarg_segment_align: 8
    .kernarg_segment_size: 128
    .language:       OpenCL C
    .language_version:
      - 2
      - 0
    .max_flat_workgroup_size: 512
    .name:           _ZN7rocprim17ROCPRIM_400000_NS6detail17trampoline_kernelINS0_14default_configENS1_25partition_config_selectorILNS1_17partition_subalgoE9EddbEEZZNS1_14partition_implILS5_9ELb0ES3_jN6thrust23THRUST_200600_302600_NS6detail15normal_iteratorINS9_10device_ptrIdEEEESE_PNS0_10empty_typeENS0_5tupleIJSE_SF_EEENSH_IJSE_SG_EEENS0_18inequality_wrapperINS9_8equal_toIdEEEEPmJSF_EEE10hipError_tPvRmT3_T4_T5_T6_T7_T9_mT8_P12ihipStream_tbDpT10_ENKUlT_T0_E_clISt17integral_constantIbLb0EES17_IbLb1EEEEDaS13_S14_EUlS13_E_NS1_11comp_targetILNS1_3genE9ELNS1_11target_archE1100ELNS1_3gpuE3ELNS1_3repE0EEENS1_30default_config_static_selectorELNS0_4arch9wavefront6targetE0EEEvT1_
    .private_segment_fixed_size: 0
    .sgpr_count:     34
    .sgpr_spill_count: 0
    .symbol:         _ZN7rocprim17ROCPRIM_400000_NS6detail17trampoline_kernelINS0_14default_configENS1_25partition_config_selectorILNS1_17partition_subalgoE9EddbEEZZNS1_14partition_implILS5_9ELb0ES3_jN6thrust23THRUST_200600_302600_NS6detail15normal_iteratorINS9_10device_ptrIdEEEESE_PNS0_10empty_typeENS0_5tupleIJSE_SF_EEENSH_IJSE_SG_EEENS0_18inequality_wrapperINS9_8equal_toIdEEEEPmJSF_EEE10hipError_tPvRmT3_T4_T5_T6_T7_T9_mT8_P12ihipStream_tbDpT10_ENKUlT_T0_E_clISt17integral_constantIbLb0EES17_IbLb1EEEEDaS13_S14_EUlS13_E_NS1_11comp_targetILNS1_3genE9ELNS1_11target_archE1100ELNS1_3gpuE3ELNS1_3repE0EEENS1_30default_config_static_selectorELNS0_4arch9wavefront6targetE0EEEvT1_.kd
    .uniform_work_group_size: 1
    .uses_dynamic_stack: false
    .vgpr_count:     68
    .vgpr_spill_count: 0
    .wavefront_size: 32
    .workgroup_processor_mode: 1
  - .args:
      - .offset:         0
        .size:           128
        .value_kind:     by_value
    .group_segment_fixed_size: 0
    .kernarg_segment_align: 8
    .kernarg_segment_size: 128
    .language:       OpenCL C
    .language_version:
      - 2
      - 0
    .max_flat_workgroup_size: 512
    .name:           _ZN7rocprim17ROCPRIM_400000_NS6detail17trampoline_kernelINS0_14default_configENS1_25partition_config_selectorILNS1_17partition_subalgoE9EddbEEZZNS1_14partition_implILS5_9ELb0ES3_jN6thrust23THRUST_200600_302600_NS6detail15normal_iteratorINS9_10device_ptrIdEEEESE_PNS0_10empty_typeENS0_5tupleIJSE_SF_EEENSH_IJSE_SG_EEENS0_18inequality_wrapperINS9_8equal_toIdEEEEPmJSF_EEE10hipError_tPvRmT3_T4_T5_T6_T7_T9_mT8_P12ihipStream_tbDpT10_ENKUlT_T0_E_clISt17integral_constantIbLb0EES17_IbLb1EEEEDaS13_S14_EUlS13_E_NS1_11comp_targetILNS1_3genE8ELNS1_11target_archE1030ELNS1_3gpuE2ELNS1_3repE0EEENS1_30default_config_static_selectorELNS0_4arch9wavefront6targetE0EEEvT1_
    .private_segment_fixed_size: 0
    .sgpr_count:     0
    .sgpr_spill_count: 0
    .symbol:         _ZN7rocprim17ROCPRIM_400000_NS6detail17trampoline_kernelINS0_14default_configENS1_25partition_config_selectorILNS1_17partition_subalgoE9EddbEEZZNS1_14partition_implILS5_9ELb0ES3_jN6thrust23THRUST_200600_302600_NS6detail15normal_iteratorINS9_10device_ptrIdEEEESE_PNS0_10empty_typeENS0_5tupleIJSE_SF_EEENSH_IJSE_SG_EEENS0_18inequality_wrapperINS9_8equal_toIdEEEEPmJSF_EEE10hipError_tPvRmT3_T4_T5_T6_T7_T9_mT8_P12ihipStream_tbDpT10_ENKUlT_T0_E_clISt17integral_constantIbLb0EES17_IbLb1EEEEDaS13_S14_EUlS13_E_NS1_11comp_targetILNS1_3genE8ELNS1_11target_archE1030ELNS1_3gpuE2ELNS1_3repE0EEENS1_30default_config_static_selectorELNS0_4arch9wavefront6targetE0EEEvT1_.kd
    .uniform_work_group_size: 1
    .uses_dynamic_stack: false
    .vgpr_count:     0
    .vgpr_spill_count: 0
    .wavefront_size: 32
    .workgroup_processor_mode: 1
  - .args:
      - .offset:         0
        .size:           112
        .value_kind:     by_value
    .group_segment_fixed_size: 0
    .kernarg_segment_align: 8
    .kernarg_segment_size: 112
    .language:       OpenCL C
    .language_version:
      - 2
      - 0
    .max_flat_workgroup_size: 128
    .name:           _ZN7rocprim17ROCPRIM_400000_NS6detail17trampoline_kernelINS0_14default_configENS1_25partition_config_selectorILNS1_17partition_subalgoE9EddbEEZZNS1_14partition_implILS5_9ELb0ES3_jN6thrust23THRUST_200600_302600_NS6detail15normal_iteratorINS9_10device_ptrIdEEEESE_PNS0_10empty_typeENS0_5tupleIJSE_SF_EEENSH_IJSE_SG_EEENS0_18inequality_wrapperI22is_equal_div_10_uniqueIdEEEPmJSF_EEE10hipError_tPvRmT3_T4_T5_T6_T7_T9_mT8_P12ihipStream_tbDpT10_ENKUlT_T0_E_clISt17integral_constantIbLb0EES18_EEDaS13_S14_EUlS13_E_NS1_11comp_targetILNS1_3genE0ELNS1_11target_archE4294967295ELNS1_3gpuE0ELNS1_3repE0EEENS1_30default_config_static_selectorELNS0_4arch9wavefront6targetE0EEEvT1_
    .private_segment_fixed_size: 0
    .sgpr_count:     0
    .sgpr_spill_count: 0
    .symbol:         _ZN7rocprim17ROCPRIM_400000_NS6detail17trampoline_kernelINS0_14default_configENS1_25partition_config_selectorILNS1_17partition_subalgoE9EddbEEZZNS1_14partition_implILS5_9ELb0ES3_jN6thrust23THRUST_200600_302600_NS6detail15normal_iteratorINS9_10device_ptrIdEEEESE_PNS0_10empty_typeENS0_5tupleIJSE_SF_EEENSH_IJSE_SG_EEENS0_18inequality_wrapperI22is_equal_div_10_uniqueIdEEEPmJSF_EEE10hipError_tPvRmT3_T4_T5_T6_T7_T9_mT8_P12ihipStream_tbDpT10_ENKUlT_T0_E_clISt17integral_constantIbLb0EES18_EEDaS13_S14_EUlS13_E_NS1_11comp_targetILNS1_3genE0ELNS1_11target_archE4294967295ELNS1_3gpuE0ELNS1_3repE0EEENS1_30default_config_static_selectorELNS0_4arch9wavefront6targetE0EEEvT1_.kd
    .uniform_work_group_size: 1
    .uses_dynamic_stack: false
    .vgpr_count:     0
    .vgpr_spill_count: 0
    .wavefront_size: 32
    .workgroup_processor_mode: 1
  - .args:
      - .offset:         0
        .size:           112
        .value_kind:     by_value
    .group_segment_fixed_size: 0
    .kernarg_segment_align: 8
    .kernarg_segment_size: 112
    .language:       OpenCL C
    .language_version:
      - 2
      - 0
    .max_flat_workgroup_size: 512
    .name:           _ZN7rocprim17ROCPRIM_400000_NS6detail17trampoline_kernelINS0_14default_configENS1_25partition_config_selectorILNS1_17partition_subalgoE9EddbEEZZNS1_14partition_implILS5_9ELb0ES3_jN6thrust23THRUST_200600_302600_NS6detail15normal_iteratorINS9_10device_ptrIdEEEESE_PNS0_10empty_typeENS0_5tupleIJSE_SF_EEENSH_IJSE_SG_EEENS0_18inequality_wrapperI22is_equal_div_10_uniqueIdEEEPmJSF_EEE10hipError_tPvRmT3_T4_T5_T6_T7_T9_mT8_P12ihipStream_tbDpT10_ENKUlT_T0_E_clISt17integral_constantIbLb0EES18_EEDaS13_S14_EUlS13_E_NS1_11comp_targetILNS1_3genE5ELNS1_11target_archE942ELNS1_3gpuE9ELNS1_3repE0EEENS1_30default_config_static_selectorELNS0_4arch9wavefront6targetE0EEEvT1_
    .private_segment_fixed_size: 0
    .sgpr_count:     0
    .sgpr_spill_count: 0
    .symbol:         _ZN7rocprim17ROCPRIM_400000_NS6detail17trampoline_kernelINS0_14default_configENS1_25partition_config_selectorILNS1_17partition_subalgoE9EddbEEZZNS1_14partition_implILS5_9ELb0ES3_jN6thrust23THRUST_200600_302600_NS6detail15normal_iteratorINS9_10device_ptrIdEEEESE_PNS0_10empty_typeENS0_5tupleIJSE_SF_EEENSH_IJSE_SG_EEENS0_18inequality_wrapperI22is_equal_div_10_uniqueIdEEEPmJSF_EEE10hipError_tPvRmT3_T4_T5_T6_T7_T9_mT8_P12ihipStream_tbDpT10_ENKUlT_T0_E_clISt17integral_constantIbLb0EES18_EEDaS13_S14_EUlS13_E_NS1_11comp_targetILNS1_3genE5ELNS1_11target_archE942ELNS1_3gpuE9ELNS1_3repE0EEENS1_30default_config_static_selectorELNS0_4arch9wavefront6targetE0EEEvT1_.kd
    .uniform_work_group_size: 1
    .uses_dynamic_stack: false
    .vgpr_count:     0
    .vgpr_spill_count: 0
    .wavefront_size: 32
    .workgroup_processor_mode: 1
  - .args:
      - .offset:         0
        .size:           112
        .value_kind:     by_value
    .group_segment_fixed_size: 0
    .kernarg_segment_align: 8
    .kernarg_segment_size: 112
    .language:       OpenCL C
    .language_version:
      - 2
      - 0
    .max_flat_workgroup_size: 128
    .name:           _ZN7rocprim17ROCPRIM_400000_NS6detail17trampoline_kernelINS0_14default_configENS1_25partition_config_selectorILNS1_17partition_subalgoE9EddbEEZZNS1_14partition_implILS5_9ELb0ES3_jN6thrust23THRUST_200600_302600_NS6detail15normal_iteratorINS9_10device_ptrIdEEEESE_PNS0_10empty_typeENS0_5tupleIJSE_SF_EEENSH_IJSE_SG_EEENS0_18inequality_wrapperI22is_equal_div_10_uniqueIdEEEPmJSF_EEE10hipError_tPvRmT3_T4_T5_T6_T7_T9_mT8_P12ihipStream_tbDpT10_ENKUlT_T0_E_clISt17integral_constantIbLb0EES18_EEDaS13_S14_EUlS13_E_NS1_11comp_targetILNS1_3genE4ELNS1_11target_archE910ELNS1_3gpuE8ELNS1_3repE0EEENS1_30default_config_static_selectorELNS0_4arch9wavefront6targetE0EEEvT1_
    .private_segment_fixed_size: 0
    .sgpr_count:     0
    .sgpr_spill_count: 0
    .symbol:         _ZN7rocprim17ROCPRIM_400000_NS6detail17trampoline_kernelINS0_14default_configENS1_25partition_config_selectorILNS1_17partition_subalgoE9EddbEEZZNS1_14partition_implILS5_9ELb0ES3_jN6thrust23THRUST_200600_302600_NS6detail15normal_iteratorINS9_10device_ptrIdEEEESE_PNS0_10empty_typeENS0_5tupleIJSE_SF_EEENSH_IJSE_SG_EEENS0_18inequality_wrapperI22is_equal_div_10_uniqueIdEEEPmJSF_EEE10hipError_tPvRmT3_T4_T5_T6_T7_T9_mT8_P12ihipStream_tbDpT10_ENKUlT_T0_E_clISt17integral_constantIbLb0EES18_EEDaS13_S14_EUlS13_E_NS1_11comp_targetILNS1_3genE4ELNS1_11target_archE910ELNS1_3gpuE8ELNS1_3repE0EEENS1_30default_config_static_selectorELNS0_4arch9wavefront6targetE0EEEvT1_.kd
    .uniform_work_group_size: 1
    .uses_dynamic_stack: false
    .vgpr_count:     0
    .vgpr_spill_count: 0
    .wavefront_size: 32
    .workgroup_processor_mode: 1
  - .args:
      - .offset:         0
        .size:           112
        .value_kind:     by_value
    .group_segment_fixed_size: 0
    .kernarg_segment_align: 8
    .kernarg_segment_size: 112
    .language:       OpenCL C
    .language_version:
      - 2
      - 0
    .max_flat_workgroup_size: 128
    .name:           _ZN7rocprim17ROCPRIM_400000_NS6detail17trampoline_kernelINS0_14default_configENS1_25partition_config_selectorILNS1_17partition_subalgoE9EddbEEZZNS1_14partition_implILS5_9ELb0ES3_jN6thrust23THRUST_200600_302600_NS6detail15normal_iteratorINS9_10device_ptrIdEEEESE_PNS0_10empty_typeENS0_5tupleIJSE_SF_EEENSH_IJSE_SG_EEENS0_18inequality_wrapperI22is_equal_div_10_uniqueIdEEEPmJSF_EEE10hipError_tPvRmT3_T4_T5_T6_T7_T9_mT8_P12ihipStream_tbDpT10_ENKUlT_T0_E_clISt17integral_constantIbLb0EES18_EEDaS13_S14_EUlS13_E_NS1_11comp_targetILNS1_3genE3ELNS1_11target_archE908ELNS1_3gpuE7ELNS1_3repE0EEENS1_30default_config_static_selectorELNS0_4arch9wavefront6targetE0EEEvT1_
    .private_segment_fixed_size: 0
    .sgpr_count:     0
    .sgpr_spill_count: 0
    .symbol:         _ZN7rocprim17ROCPRIM_400000_NS6detail17trampoline_kernelINS0_14default_configENS1_25partition_config_selectorILNS1_17partition_subalgoE9EddbEEZZNS1_14partition_implILS5_9ELb0ES3_jN6thrust23THRUST_200600_302600_NS6detail15normal_iteratorINS9_10device_ptrIdEEEESE_PNS0_10empty_typeENS0_5tupleIJSE_SF_EEENSH_IJSE_SG_EEENS0_18inequality_wrapperI22is_equal_div_10_uniqueIdEEEPmJSF_EEE10hipError_tPvRmT3_T4_T5_T6_T7_T9_mT8_P12ihipStream_tbDpT10_ENKUlT_T0_E_clISt17integral_constantIbLb0EES18_EEDaS13_S14_EUlS13_E_NS1_11comp_targetILNS1_3genE3ELNS1_11target_archE908ELNS1_3gpuE7ELNS1_3repE0EEENS1_30default_config_static_selectorELNS0_4arch9wavefront6targetE0EEEvT1_.kd
    .uniform_work_group_size: 1
    .uses_dynamic_stack: false
    .vgpr_count:     0
    .vgpr_spill_count: 0
    .wavefront_size: 32
    .workgroup_processor_mode: 1
  - .args:
      - .offset:         0
        .size:           112
        .value_kind:     by_value
    .group_segment_fixed_size: 0
    .kernarg_segment_align: 8
    .kernarg_segment_size: 112
    .language:       OpenCL C
    .language_version:
      - 2
      - 0
    .max_flat_workgroup_size: 256
    .name:           _ZN7rocprim17ROCPRIM_400000_NS6detail17trampoline_kernelINS0_14default_configENS1_25partition_config_selectorILNS1_17partition_subalgoE9EddbEEZZNS1_14partition_implILS5_9ELb0ES3_jN6thrust23THRUST_200600_302600_NS6detail15normal_iteratorINS9_10device_ptrIdEEEESE_PNS0_10empty_typeENS0_5tupleIJSE_SF_EEENSH_IJSE_SG_EEENS0_18inequality_wrapperI22is_equal_div_10_uniqueIdEEEPmJSF_EEE10hipError_tPvRmT3_T4_T5_T6_T7_T9_mT8_P12ihipStream_tbDpT10_ENKUlT_T0_E_clISt17integral_constantIbLb0EES18_EEDaS13_S14_EUlS13_E_NS1_11comp_targetILNS1_3genE2ELNS1_11target_archE906ELNS1_3gpuE6ELNS1_3repE0EEENS1_30default_config_static_selectorELNS0_4arch9wavefront6targetE0EEEvT1_
    .private_segment_fixed_size: 0
    .sgpr_count:     0
    .sgpr_spill_count: 0
    .symbol:         _ZN7rocprim17ROCPRIM_400000_NS6detail17trampoline_kernelINS0_14default_configENS1_25partition_config_selectorILNS1_17partition_subalgoE9EddbEEZZNS1_14partition_implILS5_9ELb0ES3_jN6thrust23THRUST_200600_302600_NS6detail15normal_iteratorINS9_10device_ptrIdEEEESE_PNS0_10empty_typeENS0_5tupleIJSE_SF_EEENSH_IJSE_SG_EEENS0_18inequality_wrapperI22is_equal_div_10_uniqueIdEEEPmJSF_EEE10hipError_tPvRmT3_T4_T5_T6_T7_T9_mT8_P12ihipStream_tbDpT10_ENKUlT_T0_E_clISt17integral_constantIbLb0EES18_EEDaS13_S14_EUlS13_E_NS1_11comp_targetILNS1_3genE2ELNS1_11target_archE906ELNS1_3gpuE6ELNS1_3repE0EEENS1_30default_config_static_selectorELNS0_4arch9wavefront6targetE0EEEvT1_.kd
    .uniform_work_group_size: 1
    .uses_dynamic_stack: false
    .vgpr_count:     0
    .vgpr_spill_count: 0
    .wavefront_size: 32
    .workgroup_processor_mode: 1
  - .args:
      - .offset:         0
        .size:           112
        .value_kind:     by_value
    .group_segment_fixed_size: 0
    .kernarg_segment_align: 8
    .kernarg_segment_size: 112
    .language:       OpenCL C
    .language_version:
      - 2
      - 0
    .max_flat_workgroup_size: 384
    .name:           _ZN7rocprim17ROCPRIM_400000_NS6detail17trampoline_kernelINS0_14default_configENS1_25partition_config_selectorILNS1_17partition_subalgoE9EddbEEZZNS1_14partition_implILS5_9ELb0ES3_jN6thrust23THRUST_200600_302600_NS6detail15normal_iteratorINS9_10device_ptrIdEEEESE_PNS0_10empty_typeENS0_5tupleIJSE_SF_EEENSH_IJSE_SG_EEENS0_18inequality_wrapperI22is_equal_div_10_uniqueIdEEEPmJSF_EEE10hipError_tPvRmT3_T4_T5_T6_T7_T9_mT8_P12ihipStream_tbDpT10_ENKUlT_T0_E_clISt17integral_constantIbLb0EES18_EEDaS13_S14_EUlS13_E_NS1_11comp_targetILNS1_3genE10ELNS1_11target_archE1200ELNS1_3gpuE4ELNS1_3repE0EEENS1_30default_config_static_selectorELNS0_4arch9wavefront6targetE0EEEvT1_
    .private_segment_fixed_size: 0
    .sgpr_count:     0
    .sgpr_spill_count: 0
    .symbol:         _ZN7rocprim17ROCPRIM_400000_NS6detail17trampoline_kernelINS0_14default_configENS1_25partition_config_selectorILNS1_17partition_subalgoE9EddbEEZZNS1_14partition_implILS5_9ELb0ES3_jN6thrust23THRUST_200600_302600_NS6detail15normal_iteratorINS9_10device_ptrIdEEEESE_PNS0_10empty_typeENS0_5tupleIJSE_SF_EEENSH_IJSE_SG_EEENS0_18inequality_wrapperI22is_equal_div_10_uniqueIdEEEPmJSF_EEE10hipError_tPvRmT3_T4_T5_T6_T7_T9_mT8_P12ihipStream_tbDpT10_ENKUlT_T0_E_clISt17integral_constantIbLb0EES18_EEDaS13_S14_EUlS13_E_NS1_11comp_targetILNS1_3genE10ELNS1_11target_archE1200ELNS1_3gpuE4ELNS1_3repE0EEENS1_30default_config_static_selectorELNS0_4arch9wavefront6targetE0EEEvT1_.kd
    .uniform_work_group_size: 1
    .uses_dynamic_stack: false
    .vgpr_count:     0
    .vgpr_spill_count: 0
    .wavefront_size: 32
    .workgroup_processor_mode: 1
  - .args:
      - .offset:         0
        .size:           112
        .value_kind:     by_value
    .group_segment_fixed_size: 33800
    .kernarg_segment_align: 8
    .kernarg_segment_size: 112
    .language:       OpenCL C
    .language_version:
      - 2
      - 0
    .max_flat_workgroup_size: 512
    .name:           _ZN7rocprim17ROCPRIM_400000_NS6detail17trampoline_kernelINS0_14default_configENS1_25partition_config_selectorILNS1_17partition_subalgoE9EddbEEZZNS1_14partition_implILS5_9ELb0ES3_jN6thrust23THRUST_200600_302600_NS6detail15normal_iteratorINS9_10device_ptrIdEEEESE_PNS0_10empty_typeENS0_5tupleIJSE_SF_EEENSH_IJSE_SG_EEENS0_18inequality_wrapperI22is_equal_div_10_uniqueIdEEEPmJSF_EEE10hipError_tPvRmT3_T4_T5_T6_T7_T9_mT8_P12ihipStream_tbDpT10_ENKUlT_T0_E_clISt17integral_constantIbLb0EES18_EEDaS13_S14_EUlS13_E_NS1_11comp_targetILNS1_3genE9ELNS1_11target_archE1100ELNS1_3gpuE3ELNS1_3repE0EEENS1_30default_config_static_selectorELNS0_4arch9wavefront6targetE0EEEvT1_
    .private_segment_fixed_size: 0
    .sgpr_count:     27
    .sgpr_spill_count: 0
    .symbol:         _ZN7rocprim17ROCPRIM_400000_NS6detail17trampoline_kernelINS0_14default_configENS1_25partition_config_selectorILNS1_17partition_subalgoE9EddbEEZZNS1_14partition_implILS5_9ELb0ES3_jN6thrust23THRUST_200600_302600_NS6detail15normal_iteratorINS9_10device_ptrIdEEEESE_PNS0_10empty_typeENS0_5tupleIJSE_SF_EEENSH_IJSE_SG_EEENS0_18inequality_wrapperI22is_equal_div_10_uniqueIdEEEPmJSF_EEE10hipError_tPvRmT3_T4_T5_T6_T7_T9_mT8_P12ihipStream_tbDpT10_ENKUlT_T0_E_clISt17integral_constantIbLb0EES18_EEDaS13_S14_EUlS13_E_NS1_11comp_targetILNS1_3genE9ELNS1_11target_archE1100ELNS1_3gpuE3ELNS1_3repE0EEENS1_30default_config_static_selectorELNS0_4arch9wavefront6targetE0EEEvT1_.kd
    .uniform_work_group_size: 1
    .uses_dynamic_stack: false
    .vgpr_count:     68
    .vgpr_spill_count: 0
    .wavefront_size: 32
    .workgroup_processor_mode: 1
  - .args:
      - .offset:         0
        .size:           112
        .value_kind:     by_value
    .group_segment_fixed_size: 0
    .kernarg_segment_align: 8
    .kernarg_segment_size: 112
    .language:       OpenCL C
    .language_version:
      - 2
      - 0
    .max_flat_workgroup_size: 512
    .name:           _ZN7rocprim17ROCPRIM_400000_NS6detail17trampoline_kernelINS0_14default_configENS1_25partition_config_selectorILNS1_17partition_subalgoE9EddbEEZZNS1_14partition_implILS5_9ELb0ES3_jN6thrust23THRUST_200600_302600_NS6detail15normal_iteratorINS9_10device_ptrIdEEEESE_PNS0_10empty_typeENS0_5tupleIJSE_SF_EEENSH_IJSE_SG_EEENS0_18inequality_wrapperI22is_equal_div_10_uniqueIdEEEPmJSF_EEE10hipError_tPvRmT3_T4_T5_T6_T7_T9_mT8_P12ihipStream_tbDpT10_ENKUlT_T0_E_clISt17integral_constantIbLb0EES18_EEDaS13_S14_EUlS13_E_NS1_11comp_targetILNS1_3genE8ELNS1_11target_archE1030ELNS1_3gpuE2ELNS1_3repE0EEENS1_30default_config_static_selectorELNS0_4arch9wavefront6targetE0EEEvT1_
    .private_segment_fixed_size: 0
    .sgpr_count:     0
    .sgpr_spill_count: 0
    .symbol:         _ZN7rocprim17ROCPRIM_400000_NS6detail17trampoline_kernelINS0_14default_configENS1_25partition_config_selectorILNS1_17partition_subalgoE9EddbEEZZNS1_14partition_implILS5_9ELb0ES3_jN6thrust23THRUST_200600_302600_NS6detail15normal_iteratorINS9_10device_ptrIdEEEESE_PNS0_10empty_typeENS0_5tupleIJSE_SF_EEENSH_IJSE_SG_EEENS0_18inequality_wrapperI22is_equal_div_10_uniqueIdEEEPmJSF_EEE10hipError_tPvRmT3_T4_T5_T6_T7_T9_mT8_P12ihipStream_tbDpT10_ENKUlT_T0_E_clISt17integral_constantIbLb0EES18_EEDaS13_S14_EUlS13_E_NS1_11comp_targetILNS1_3genE8ELNS1_11target_archE1030ELNS1_3gpuE2ELNS1_3repE0EEENS1_30default_config_static_selectorELNS0_4arch9wavefront6targetE0EEEvT1_.kd
    .uniform_work_group_size: 1
    .uses_dynamic_stack: false
    .vgpr_count:     0
    .vgpr_spill_count: 0
    .wavefront_size: 32
    .workgroup_processor_mode: 1
  - .args:
      - .offset:         0
        .size:           128
        .value_kind:     by_value
    .group_segment_fixed_size: 0
    .kernarg_segment_align: 8
    .kernarg_segment_size: 128
    .language:       OpenCL C
    .language_version:
      - 2
      - 0
    .max_flat_workgroup_size: 128
    .name:           _ZN7rocprim17ROCPRIM_400000_NS6detail17trampoline_kernelINS0_14default_configENS1_25partition_config_selectorILNS1_17partition_subalgoE9EddbEEZZNS1_14partition_implILS5_9ELb0ES3_jN6thrust23THRUST_200600_302600_NS6detail15normal_iteratorINS9_10device_ptrIdEEEESE_PNS0_10empty_typeENS0_5tupleIJSE_SF_EEENSH_IJSE_SG_EEENS0_18inequality_wrapperI22is_equal_div_10_uniqueIdEEEPmJSF_EEE10hipError_tPvRmT3_T4_T5_T6_T7_T9_mT8_P12ihipStream_tbDpT10_ENKUlT_T0_E_clISt17integral_constantIbLb1EES18_EEDaS13_S14_EUlS13_E_NS1_11comp_targetILNS1_3genE0ELNS1_11target_archE4294967295ELNS1_3gpuE0ELNS1_3repE0EEENS1_30default_config_static_selectorELNS0_4arch9wavefront6targetE0EEEvT1_
    .private_segment_fixed_size: 0
    .sgpr_count:     0
    .sgpr_spill_count: 0
    .symbol:         _ZN7rocprim17ROCPRIM_400000_NS6detail17trampoline_kernelINS0_14default_configENS1_25partition_config_selectorILNS1_17partition_subalgoE9EddbEEZZNS1_14partition_implILS5_9ELb0ES3_jN6thrust23THRUST_200600_302600_NS6detail15normal_iteratorINS9_10device_ptrIdEEEESE_PNS0_10empty_typeENS0_5tupleIJSE_SF_EEENSH_IJSE_SG_EEENS0_18inequality_wrapperI22is_equal_div_10_uniqueIdEEEPmJSF_EEE10hipError_tPvRmT3_T4_T5_T6_T7_T9_mT8_P12ihipStream_tbDpT10_ENKUlT_T0_E_clISt17integral_constantIbLb1EES18_EEDaS13_S14_EUlS13_E_NS1_11comp_targetILNS1_3genE0ELNS1_11target_archE4294967295ELNS1_3gpuE0ELNS1_3repE0EEENS1_30default_config_static_selectorELNS0_4arch9wavefront6targetE0EEEvT1_.kd
    .uniform_work_group_size: 1
    .uses_dynamic_stack: false
    .vgpr_count:     0
    .vgpr_spill_count: 0
    .wavefront_size: 32
    .workgroup_processor_mode: 1
  - .args:
      - .offset:         0
        .size:           128
        .value_kind:     by_value
    .group_segment_fixed_size: 0
    .kernarg_segment_align: 8
    .kernarg_segment_size: 128
    .language:       OpenCL C
    .language_version:
      - 2
      - 0
    .max_flat_workgroup_size: 512
    .name:           _ZN7rocprim17ROCPRIM_400000_NS6detail17trampoline_kernelINS0_14default_configENS1_25partition_config_selectorILNS1_17partition_subalgoE9EddbEEZZNS1_14partition_implILS5_9ELb0ES3_jN6thrust23THRUST_200600_302600_NS6detail15normal_iteratorINS9_10device_ptrIdEEEESE_PNS0_10empty_typeENS0_5tupleIJSE_SF_EEENSH_IJSE_SG_EEENS0_18inequality_wrapperI22is_equal_div_10_uniqueIdEEEPmJSF_EEE10hipError_tPvRmT3_T4_T5_T6_T7_T9_mT8_P12ihipStream_tbDpT10_ENKUlT_T0_E_clISt17integral_constantIbLb1EES18_EEDaS13_S14_EUlS13_E_NS1_11comp_targetILNS1_3genE5ELNS1_11target_archE942ELNS1_3gpuE9ELNS1_3repE0EEENS1_30default_config_static_selectorELNS0_4arch9wavefront6targetE0EEEvT1_
    .private_segment_fixed_size: 0
    .sgpr_count:     0
    .sgpr_spill_count: 0
    .symbol:         _ZN7rocprim17ROCPRIM_400000_NS6detail17trampoline_kernelINS0_14default_configENS1_25partition_config_selectorILNS1_17partition_subalgoE9EddbEEZZNS1_14partition_implILS5_9ELb0ES3_jN6thrust23THRUST_200600_302600_NS6detail15normal_iteratorINS9_10device_ptrIdEEEESE_PNS0_10empty_typeENS0_5tupleIJSE_SF_EEENSH_IJSE_SG_EEENS0_18inequality_wrapperI22is_equal_div_10_uniqueIdEEEPmJSF_EEE10hipError_tPvRmT3_T4_T5_T6_T7_T9_mT8_P12ihipStream_tbDpT10_ENKUlT_T0_E_clISt17integral_constantIbLb1EES18_EEDaS13_S14_EUlS13_E_NS1_11comp_targetILNS1_3genE5ELNS1_11target_archE942ELNS1_3gpuE9ELNS1_3repE0EEENS1_30default_config_static_selectorELNS0_4arch9wavefront6targetE0EEEvT1_.kd
    .uniform_work_group_size: 1
    .uses_dynamic_stack: false
    .vgpr_count:     0
    .vgpr_spill_count: 0
    .wavefront_size: 32
    .workgroup_processor_mode: 1
  - .args:
      - .offset:         0
        .size:           128
        .value_kind:     by_value
    .group_segment_fixed_size: 0
    .kernarg_segment_align: 8
    .kernarg_segment_size: 128
    .language:       OpenCL C
    .language_version:
      - 2
      - 0
    .max_flat_workgroup_size: 128
    .name:           _ZN7rocprim17ROCPRIM_400000_NS6detail17trampoline_kernelINS0_14default_configENS1_25partition_config_selectorILNS1_17partition_subalgoE9EddbEEZZNS1_14partition_implILS5_9ELb0ES3_jN6thrust23THRUST_200600_302600_NS6detail15normal_iteratorINS9_10device_ptrIdEEEESE_PNS0_10empty_typeENS0_5tupleIJSE_SF_EEENSH_IJSE_SG_EEENS0_18inequality_wrapperI22is_equal_div_10_uniqueIdEEEPmJSF_EEE10hipError_tPvRmT3_T4_T5_T6_T7_T9_mT8_P12ihipStream_tbDpT10_ENKUlT_T0_E_clISt17integral_constantIbLb1EES18_EEDaS13_S14_EUlS13_E_NS1_11comp_targetILNS1_3genE4ELNS1_11target_archE910ELNS1_3gpuE8ELNS1_3repE0EEENS1_30default_config_static_selectorELNS0_4arch9wavefront6targetE0EEEvT1_
    .private_segment_fixed_size: 0
    .sgpr_count:     0
    .sgpr_spill_count: 0
    .symbol:         _ZN7rocprim17ROCPRIM_400000_NS6detail17trampoline_kernelINS0_14default_configENS1_25partition_config_selectorILNS1_17partition_subalgoE9EddbEEZZNS1_14partition_implILS5_9ELb0ES3_jN6thrust23THRUST_200600_302600_NS6detail15normal_iteratorINS9_10device_ptrIdEEEESE_PNS0_10empty_typeENS0_5tupleIJSE_SF_EEENSH_IJSE_SG_EEENS0_18inequality_wrapperI22is_equal_div_10_uniqueIdEEEPmJSF_EEE10hipError_tPvRmT3_T4_T5_T6_T7_T9_mT8_P12ihipStream_tbDpT10_ENKUlT_T0_E_clISt17integral_constantIbLb1EES18_EEDaS13_S14_EUlS13_E_NS1_11comp_targetILNS1_3genE4ELNS1_11target_archE910ELNS1_3gpuE8ELNS1_3repE0EEENS1_30default_config_static_selectorELNS0_4arch9wavefront6targetE0EEEvT1_.kd
    .uniform_work_group_size: 1
    .uses_dynamic_stack: false
    .vgpr_count:     0
    .vgpr_spill_count: 0
    .wavefront_size: 32
    .workgroup_processor_mode: 1
  - .args:
      - .offset:         0
        .size:           128
        .value_kind:     by_value
    .group_segment_fixed_size: 0
    .kernarg_segment_align: 8
    .kernarg_segment_size: 128
    .language:       OpenCL C
    .language_version:
      - 2
      - 0
    .max_flat_workgroup_size: 128
    .name:           _ZN7rocprim17ROCPRIM_400000_NS6detail17trampoline_kernelINS0_14default_configENS1_25partition_config_selectorILNS1_17partition_subalgoE9EddbEEZZNS1_14partition_implILS5_9ELb0ES3_jN6thrust23THRUST_200600_302600_NS6detail15normal_iteratorINS9_10device_ptrIdEEEESE_PNS0_10empty_typeENS0_5tupleIJSE_SF_EEENSH_IJSE_SG_EEENS0_18inequality_wrapperI22is_equal_div_10_uniqueIdEEEPmJSF_EEE10hipError_tPvRmT3_T4_T5_T6_T7_T9_mT8_P12ihipStream_tbDpT10_ENKUlT_T0_E_clISt17integral_constantIbLb1EES18_EEDaS13_S14_EUlS13_E_NS1_11comp_targetILNS1_3genE3ELNS1_11target_archE908ELNS1_3gpuE7ELNS1_3repE0EEENS1_30default_config_static_selectorELNS0_4arch9wavefront6targetE0EEEvT1_
    .private_segment_fixed_size: 0
    .sgpr_count:     0
    .sgpr_spill_count: 0
    .symbol:         _ZN7rocprim17ROCPRIM_400000_NS6detail17trampoline_kernelINS0_14default_configENS1_25partition_config_selectorILNS1_17partition_subalgoE9EddbEEZZNS1_14partition_implILS5_9ELb0ES3_jN6thrust23THRUST_200600_302600_NS6detail15normal_iteratorINS9_10device_ptrIdEEEESE_PNS0_10empty_typeENS0_5tupleIJSE_SF_EEENSH_IJSE_SG_EEENS0_18inequality_wrapperI22is_equal_div_10_uniqueIdEEEPmJSF_EEE10hipError_tPvRmT3_T4_T5_T6_T7_T9_mT8_P12ihipStream_tbDpT10_ENKUlT_T0_E_clISt17integral_constantIbLb1EES18_EEDaS13_S14_EUlS13_E_NS1_11comp_targetILNS1_3genE3ELNS1_11target_archE908ELNS1_3gpuE7ELNS1_3repE0EEENS1_30default_config_static_selectorELNS0_4arch9wavefront6targetE0EEEvT1_.kd
    .uniform_work_group_size: 1
    .uses_dynamic_stack: false
    .vgpr_count:     0
    .vgpr_spill_count: 0
    .wavefront_size: 32
    .workgroup_processor_mode: 1
  - .args:
      - .offset:         0
        .size:           128
        .value_kind:     by_value
    .group_segment_fixed_size: 0
    .kernarg_segment_align: 8
    .kernarg_segment_size: 128
    .language:       OpenCL C
    .language_version:
      - 2
      - 0
    .max_flat_workgroup_size: 256
    .name:           _ZN7rocprim17ROCPRIM_400000_NS6detail17trampoline_kernelINS0_14default_configENS1_25partition_config_selectorILNS1_17partition_subalgoE9EddbEEZZNS1_14partition_implILS5_9ELb0ES3_jN6thrust23THRUST_200600_302600_NS6detail15normal_iteratorINS9_10device_ptrIdEEEESE_PNS0_10empty_typeENS0_5tupleIJSE_SF_EEENSH_IJSE_SG_EEENS0_18inequality_wrapperI22is_equal_div_10_uniqueIdEEEPmJSF_EEE10hipError_tPvRmT3_T4_T5_T6_T7_T9_mT8_P12ihipStream_tbDpT10_ENKUlT_T0_E_clISt17integral_constantIbLb1EES18_EEDaS13_S14_EUlS13_E_NS1_11comp_targetILNS1_3genE2ELNS1_11target_archE906ELNS1_3gpuE6ELNS1_3repE0EEENS1_30default_config_static_selectorELNS0_4arch9wavefront6targetE0EEEvT1_
    .private_segment_fixed_size: 0
    .sgpr_count:     0
    .sgpr_spill_count: 0
    .symbol:         _ZN7rocprim17ROCPRIM_400000_NS6detail17trampoline_kernelINS0_14default_configENS1_25partition_config_selectorILNS1_17partition_subalgoE9EddbEEZZNS1_14partition_implILS5_9ELb0ES3_jN6thrust23THRUST_200600_302600_NS6detail15normal_iteratorINS9_10device_ptrIdEEEESE_PNS0_10empty_typeENS0_5tupleIJSE_SF_EEENSH_IJSE_SG_EEENS0_18inequality_wrapperI22is_equal_div_10_uniqueIdEEEPmJSF_EEE10hipError_tPvRmT3_T4_T5_T6_T7_T9_mT8_P12ihipStream_tbDpT10_ENKUlT_T0_E_clISt17integral_constantIbLb1EES18_EEDaS13_S14_EUlS13_E_NS1_11comp_targetILNS1_3genE2ELNS1_11target_archE906ELNS1_3gpuE6ELNS1_3repE0EEENS1_30default_config_static_selectorELNS0_4arch9wavefront6targetE0EEEvT1_.kd
    .uniform_work_group_size: 1
    .uses_dynamic_stack: false
    .vgpr_count:     0
    .vgpr_spill_count: 0
    .wavefront_size: 32
    .workgroup_processor_mode: 1
  - .args:
      - .offset:         0
        .size:           128
        .value_kind:     by_value
    .group_segment_fixed_size: 0
    .kernarg_segment_align: 8
    .kernarg_segment_size: 128
    .language:       OpenCL C
    .language_version:
      - 2
      - 0
    .max_flat_workgroup_size: 384
    .name:           _ZN7rocprim17ROCPRIM_400000_NS6detail17trampoline_kernelINS0_14default_configENS1_25partition_config_selectorILNS1_17partition_subalgoE9EddbEEZZNS1_14partition_implILS5_9ELb0ES3_jN6thrust23THRUST_200600_302600_NS6detail15normal_iteratorINS9_10device_ptrIdEEEESE_PNS0_10empty_typeENS0_5tupleIJSE_SF_EEENSH_IJSE_SG_EEENS0_18inequality_wrapperI22is_equal_div_10_uniqueIdEEEPmJSF_EEE10hipError_tPvRmT3_T4_T5_T6_T7_T9_mT8_P12ihipStream_tbDpT10_ENKUlT_T0_E_clISt17integral_constantIbLb1EES18_EEDaS13_S14_EUlS13_E_NS1_11comp_targetILNS1_3genE10ELNS1_11target_archE1200ELNS1_3gpuE4ELNS1_3repE0EEENS1_30default_config_static_selectorELNS0_4arch9wavefront6targetE0EEEvT1_
    .private_segment_fixed_size: 0
    .sgpr_count:     0
    .sgpr_spill_count: 0
    .symbol:         _ZN7rocprim17ROCPRIM_400000_NS6detail17trampoline_kernelINS0_14default_configENS1_25partition_config_selectorILNS1_17partition_subalgoE9EddbEEZZNS1_14partition_implILS5_9ELb0ES3_jN6thrust23THRUST_200600_302600_NS6detail15normal_iteratorINS9_10device_ptrIdEEEESE_PNS0_10empty_typeENS0_5tupleIJSE_SF_EEENSH_IJSE_SG_EEENS0_18inequality_wrapperI22is_equal_div_10_uniqueIdEEEPmJSF_EEE10hipError_tPvRmT3_T4_T5_T6_T7_T9_mT8_P12ihipStream_tbDpT10_ENKUlT_T0_E_clISt17integral_constantIbLb1EES18_EEDaS13_S14_EUlS13_E_NS1_11comp_targetILNS1_3genE10ELNS1_11target_archE1200ELNS1_3gpuE4ELNS1_3repE0EEENS1_30default_config_static_selectorELNS0_4arch9wavefront6targetE0EEEvT1_.kd
    .uniform_work_group_size: 1
    .uses_dynamic_stack: false
    .vgpr_count:     0
    .vgpr_spill_count: 0
    .wavefront_size: 32
    .workgroup_processor_mode: 1
  - .args:
      - .offset:         0
        .size:           128
        .value_kind:     by_value
    .group_segment_fixed_size: 33800
    .kernarg_segment_align: 8
    .kernarg_segment_size: 128
    .language:       OpenCL C
    .language_version:
      - 2
      - 0
    .max_flat_workgroup_size: 512
    .name:           _ZN7rocprim17ROCPRIM_400000_NS6detail17trampoline_kernelINS0_14default_configENS1_25partition_config_selectorILNS1_17partition_subalgoE9EddbEEZZNS1_14partition_implILS5_9ELb0ES3_jN6thrust23THRUST_200600_302600_NS6detail15normal_iteratorINS9_10device_ptrIdEEEESE_PNS0_10empty_typeENS0_5tupleIJSE_SF_EEENSH_IJSE_SG_EEENS0_18inequality_wrapperI22is_equal_div_10_uniqueIdEEEPmJSF_EEE10hipError_tPvRmT3_T4_T5_T6_T7_T9_mT8_P12ihipStream_tbDpT10_ENKUlT_T0_E_clISt17integral_constantIbLb1EES18_EEDaS13_S14_EUlS13_E_NS1_11comp_targetILNS1_3genE9ELNS1_11target_archE1100ELNS1_3gpuE3ELNS1_3repE0EEENS1_30default_config_static_selectorELNS0_4arch9wavefront6targetE0EEEvT1_
    .private_segment_fixed_size: 0
    .sgpr_count:     31
    .sgpr_spill_count: 0
    .symbol:         _ZN7rocprim17ROCPRIM_400000_NS6detail17trampoline_kernelINS0_14default_configENS1_25partition_config_selectorILNS1_17partition_subalgoE9EddbEEZZNS1_14partition_implILS5_9ELb0ES3_jN6thrust23THRUST_200600_302600_NS6detail15normal_iteratorINS9_10device_ptrIdEEEESE_PNS0_10empty_typeENS0_5tupleIJSE_SF_EEENSH_IJSE_SG_EEENS0_18inequality_wrapperI22is_equal_div_10_uniqueIdEEEPmJSF_EEE10hipError_tPvRmT3_T4_T5_T6_T7_T9_mT8_P12ihipStream_tbDpT10_ENKUlT_T0_E_clISt17integral_constantIbLb1EES18_EEDaS13_S14_EUlS13_E_NS1_11comp_targetILNS1_3genE9ELNS1_11target_archE1100ELNS1_3gpuE3ELNS1_3repE0EEENS1_30default_config_static_selectorELNS0_4arch9wavefront6targetE0EEEvT1_.kd
    .uniform_work_group_size: 1
    .uses_dynamic_stack: false
    .vgpr_count:     68
    .vgpr_spill_count: 0
    .wavefront_size: 32
    .workgroup_processor_mode: 1
  - .args:
      - .offset:         0
        .size:           128
        .value_kind:     by_value
    .group_segment_fixed_size: 0
    .kernarg_segment_align: 8
    .kernarg_segment_size: 128
    .language:       OpenCL C
    .language_version:
      - 2
      - 0
    .max_flat_workgroup_size: 512
    .name:           _ZN7rocprim17ROCPRIM_400000_NS6detail17trampoline_kernelINS0_14default_configENS1_25partition_config_selectorILNS1_17partition_subalgoE9EddbEEZZNS1_14partition_implILS5_9ELb0ES3_jN6thrust23THRUST_200600_302600_NS6detail15normal_iteratorINS9_10device_ptrIdEEEESE_PNS0_10empty_typeENS0_5tupleIJSE_SF_EEENSH_IJSE_SG_EEENS0_18inequality_wrapperI22is_equal_div_10_uniqueIdEEEPmJSF_EEE10hipError_tPvRmT3_T4_T5_T6_T7_T9_mT8_P12ihipStream_tbDpT10_ENKUlT_T0_E_clISt17integral_constantIbLb1EES18_EEDaS13_S14_EUlS13_E_NS1_11comp_targetILNS1_3genE8ELNS1_11target_archE1030ELNS1_3gpuE2ELNS1_3repE0EEENS1_30default_config_static_selectorELNS0_4arch9wavefront6targetE0EEEvT1_
    .private_segment_fixed_size: 0
    .sgpr_count:     0
    .sgpr_spill_count: 0
    .symbol:         _ZN7rocprim17ROCPRIM_400000_NS6detail17trampoline_kernelINS0_14default_configENS1_25partition_config_selectorILNS1_17partition_subalgoE9EddbEEZZNS1_14partition_implILS5_9ELb0ES3_jN6thrust23THRUST_200600_302600_NS6detail15normal_iteratorINS9_10device_ptrIdEEEESE_PNS0_10empty_typeENS0_5tupleIJSE_SF_EEENSH_IJSE_SG_EEENS0_18inequality_wrapperI22is_equal_div_10_uniqueIdEEEPmJSF_EEE10hipError_tPvRmT3_T4_T5_T6_T7_T9_mT8_P12ihipStream_tbDpT10_ENKUlT_T0_E_clISt17integral_constantIbLb1EES18_EEDaS13_S14_EUlS13_E_NS1_11comp_targetILNS1_3genE8ELNS1_11target_archE1030ELNS1_3gpuE2ELNS1_3repE0EEENS1_30default_config_static_selectorELNS0_4arch9wavefront6targetE0EEEvT1_.kd
    .uniform_work_group_size: 1
    .uses_dynamic_stack: false
    .vgpr_count:     0
    .vgpr_spill_count: 0
    .wavefront_size: 32
    .workgroup_processor_mode: 1
  - .args:
      - .offset:         0
        .size:           112
        .value_kind:     by_value
    .group_segment_fixed_size: 0
    .kernarg_segment_align: 8
    .kernarg_segment_size: 112
    .language:       OpenCL C
    .language_version:
      - 2
      - 0
    .max_flat_workgroup_size: 128
    .name:           _ZN7rocprim17ROCPRIM_400000_NS6detail17trampoline_kernelINS0_14default_configENS1_25partition_config_selectorILNS1_17partition_subalgoE9EddbEEZZNS1_14partition_implILS5_9ELb0ES3_jN6thrust23THRUST_200600_302600_NS6detail15normal_iteratorINS9_10device_ptrIdEEEESE_PNS0_10empty_typeENS0_5tupleIJSE_SF_EEENSH_IJSE_SG_EEENS0_18inequality_wrapperI22is_equal_div_10_uniqueIdEEEPmJSF_EEE10hipError_tPvRmT3_T4_T5_T6_T7_T9_mT8_P12ihipStream_tbDpT10_ENKUlT_T0_E_clISt17integral_constantIbLb1EES17_IbLb0EEEEDaS13_S14_EUlS13_E_NS1_11comp_targetILNS1_3genE0ELNS1_11target_archE4294967295ELNS1_3gpuE0ELNS1_3repE0EEENS1_30default_config_static_selectorELNS0_4arch9wavefront6targetE0EEEvT1_
    .private_segment_fixed_size: 0
    .sgpr_count:     0
    .sgpr_spill_count: 0
    .symbol:         _ZN7rocprim17ROCPRIM_400000_NS6detail17trampoline_kernelINS0_14default_configENS1_25partition_config_selectorILNS1_17partition_subalgoE9EddbEEZZNS1_14partition_implILS5_9ELb0ES3_jN6thrust23THRUST_200600_302600_NS6detail15normal_iteratorINS9_10device_ptrIdEEEESE_PNS0_10empty_typeENS0_5tupleIJSE_SF_EEENSH_IJSE_SG_EEENS0_18inequality_wrapperI22is_equal_div_10_uniqueIdEEEPmJSF_EEE10hipError_tPvRmT3_T4_T5_T6_T7_T9_mT8_P12ihipStream_tbDpT10_ENKUlT_T0_E_clISt17integral_constantIbLb1EES17_IbLb0EEEEDaS13_S14_EUlS13_E_NS1_11comp_targetILNS1_3genE0ELNS1_11target_archE4294967295ELNS1_3gpuE0ELNS1_3repE0EEENS1_30default_config_static_selectorELNS0_4arch9wavefront6targetE0EEEvT1_.kd
    .uniform_work_group_size: 1
    .uses_dynamic_stack: false
    .vgpr_count:     0
    .vgpr_spill_count: 0
    .wavefront_size: 32
    .workgroup_processor_mode: 1
  - .args:
      - .offset:         0
        .size:           112
        .value_kind:     by_value
    .group_segment_fixed_size: 0
    .kernarg_segment_align: 8
    .kernarg_segment_size: 112
    .language:       OpenCL C
    .language_version:
      - 2
      - 0
    .max_flat_workgroup_size: 512
    .name:           _ZN7rocprim17ROCPRIM_400000_NS6detail17trampoline_kernelINS0_14default_configENS1_25partition_config_selectorILNS1_17partition_subalgoE9EddbEEZZNS1_14partition_implILS5_9ELb0ES3_jN6thrust23THRUST_200600_302600_NS6detail15normal_iteratorINS9_10device_ptrIdEEEESE_PNS0_10empty_typeENS0_5tupleIJSE_SF_EEENSH_IJSE_SG_EEENS0_18inequality_wrapperI22is_equal_div_10_uniqueIdEEEPmJSF_EEE10hipError_tPvRmT3_T4_T5_T6_T7_T9_mT8_P12ihipStream_tbDpT10_ENKUlT_T0_E_clISt17integral_constantIbLb1EES17_IbLb0EEEEDaS13_S14_EUlS13_E_NS1_11comp_targetILNS1_3genE5ELNS1_11target_archE942ELNS1_3gpuE9ELNS1_3repE0EEENS1_30default_config_static_selectorELNS0_4arch9wavefront6targetE0EEEvT1_
    .private_segment_fixed_size: 0
    .sgpr_count:     0
    .sgpr_spill_count: 0
    .symbol:         _ZN7rocprim17ROCPRIM_400000_NS6detail17trampoline_kernelINS0_14default_configENS1_25partition_config_selectorILNS1_17partition_subalgoE9EddbEEZZNS1_14partition_implILS5_9ELb0ES3_jN6thrust23THRUST_200600_302600_NS6detail15normal_iteratorINS9_10device_ptrIdEEEESE_PNS0_10empty_typeENS0_5tupleIJSE_SF_EEENSH_IJSE_SG_EEENS0_18inequality_wrapperI22is_equal_div_10_uniqueIdEEEPmJSF_EEE10hipError_tPvRmT3_T4_T5_T6_T7_T9_mT8_P12ihipStream_tbDpT10_ENKUlT_T0_E_clISt17integral_constantIbLb1EES17_IbLb0EEEEDaS13_S14_EUlS13_E_NS1_11comp_targetILNS1_3genE5ELNS1_11target_archE942ELNS1_3gpuE9ELNS1_3repE0EEENS1_30default_config_static_selectorELNS0_4arch9wavefront6targetE0EEEvT1_.kd
    .uniform_work_group_size: 1
    .uses_dynamic_stack: false
    .vgpr_count:     0
    .vgpr_spill_count: 0
    .wavefront_size: 32
    .workgroup_processor_mode: 1
  - .args:
      - .offset:         0
        .size:           112
        .value_kind:     by_value
    .group_segment_fixed_size: 0
    .kernarg_segment_align: 8
    .kernarg_segment_size: 112
    .language:       OpenCL C
    .language_version:
      - 2
      - 0
    .max_flat_workgroup_size: 128
    .name:           _ZN7rocprim17ROCPRIM_400000_NS6detail17trampoline_kernelINS0_14default_configENS1_25partition_config_selectorILNS1_17partition_subalgoE9EddbEEZZNS1_14partition_implILS5_9ELb0ES3_jN6thrust23THRUST_200600_302600_NS6detail15normal_iteratorINS9_10device_ptrIdEEEESE_PNS0_10empty_typeENS0_5tupleIJSE_SF_EEENSH_IJSE_SG_EEENS0_18inequality_wrapperI22is_equal_div_10_uniqueIdEEEPmJSF_EEE10hipError_tPvRmT3_T4_T5_T6_T7_T9_mT8_P12ihipStream_tbDpT10_ENKUlT_T0_E_clISt17integral_constantIbLb1EES17_IbLb0EEEEDaS13_S14_EUlS13_E_NS1_11comp_targetILNS1_3genE4ELNS1_11target_archE910ELNS1_3gpuE8ELNS1_3repE0EEENS1_30default_config_static_selectorELNS0_4arch9wavefront6targetE0EEEvT1_
    .private_segment_fixed_size: 0
    .sgpr_count:     0
    .sgpr_spill_count: 0
    .symbol:         _ZN7rocprim17ROCPRIM_400000_NS6detail17trampoline_kernelINS0_14default_configENS1_25partition_config_selectorILNS1_17partition_subalgoE9EddbEEZZNS1_14partition_implILS5_9ELb0ES3_jN6thrust23THRUST_200600_302600_NS6detail15normal_iteratorINS9_10device_ptrIdEEEESE_PNS0_10empty_typeENS0_5tupleIJSE_SF_EEENSH_IJSE_SG_EEENS0_18inequality_wrapperI22is_equal_div_10_uniqueIdEEEPmJSF_EEE10hipError_tPvRmT3_T4_T5_T6_T7_T9_mT8_P12ihipStream_tbDpT10_ENKUlT_T0_E_clISt17integral_constantIbLb1EES17_IbLb0EEEEDaS13_S14_EUlS13_E_NS1_11comp_targetILNS1_3genE4ELNS1_11target_archE910ELNS1_3gpuE8ELNS1_3repE0EEENS1_30default_config_static_selectorELNS0_4arch9wavefront6targetE0EEEvT1_.kd
    .uniform_work_group_size: 1
    .uses_dynamic_stack: false
    .vgpr_count:     0
    .vgpr_spill_count: 0
    .wavefront_size: 32
    .workgroup_processor_mode: 1
  - .args:
      - .offset:         0
        .size:           112
        .value_kind:     by_value
    .group_segment_fixed_size: 0
    .kernarg_segment_align: 8
    .kernarg_segment_size: 112
    .language:       OpenCL C
    .language_version:
      - 2
      - 0
    .max_flat_workgroup_size: 128
    .name:           _ZN7rocprim17ROCPRIM_400000_NS6detail17trampoline_kernelINS0_14default_configENS1_25partition_config_selectorILNS1_17partition_subalgoE9EddbEEZZNS1_14partition_implILS5_9ELb0ES3_jN6thrust23THRUST_200600_302600_NS6detail15normal_iteratorINS9_10device_ptrIdEEEESE_PNS0_10empty_typeENS0_5tupleIJSE_SF_EEENSH_IJSE_SG_EEENS0_18inequality_wrapperI22is_equal_div_10_uniqueIdEEEPmJSF_EEE10hipError_tPvRmT3_T4_T5_T6_T7_T9_mT8_P12ihipStream_tbDpT10_ENKUlT_T0_E_clISt17integral_constantIbLb1EES17_IbLb0EEEEDaS13_S14_EUlS13_E_NS1_11comp_targetILNS1_3genE3ELNS1_11target_archE908ELNS1_3gpuE7ELNS1_3repE0EEENS1_30default_config_static_selectorELNS0_4arch9wavefront6targetE0EEEvT1_
    .private_segment_fixed_size: 0
    .sgpr_count:     0
    .sgpr_spill_count: 0
    .symbol:         _ZN7rocprim17ROCPRIM_400000_NS6detail17trampoline_kernelINS0_14default_configENS1_25partition_config_selectorILNS1_17partition_subalgoE9EddbEEZZNS1_14partition_implILS5_9ELb0ES3_jN6thrust23THRUST_200600_302600_NS6detail15normal_iteratorINS9_10device_ptrIdEEEESE_PNS0_10empty_typeENS0_5tupleIJSE_SF_EEENSH_IJSE_SG_EEENS0_18inequality_wrapperI22is_equal_div_10_uniqueIdEEEPmJSF_EEE10hipError_tPvRmT3_T4_T5_T6_T7_T9_mT8_P12ihipStream_tbDpT10_ENKUlT_T0_E_clISt17integral_constantIbLb1EES17_IbLb0EEEEDaS13_S14_EUlS13_E_NS1_11comp_targetILNS1_3genE3ELNS1_11target_archE908ELNS1_3gpuE7ELNS1_3repE0EEENS1_30default_config_static_selectorELNS0_4arch9wavefront6targetE0EEEvT1_.kd
    .uniform_work_group_size: 1
    .uses_dynamic_stack: false
    .vgpr_count:     0
    .vgpr_spill_count: 0
    .wavefront_size: 32
    .workgroup_processor_mode: 1
  - .args:
      - .offset:         0
        .size:           112
        .value_kind:     by_value
    .group_segment_fixed_size: 0
    .kernarg_segment_align: 8
    .kernarg_segment_size: 112
    .language:       OpenCL C
    .language_version:
      - 2
      - 0
    .max_flat_workgroup_size: 256
    .name:           _ZN7rocprim17ROCPRIM_400000_NS6detail17trampoline_kernelINS0_14default_configENS1_25partition_config_selectorILNS1_17partition_subalgoE9EddbEEZZNS1_14partition_implILS5_9ELb0ES3_jN6thrust23THRUST_200600_302600_NS6detail15normal_iteratorINS9_10device_ptrIdEEEESE_PNS0_10empty_typeENS0_5tupleIJSE_SF_EEENSH_IJSE_SG_EEENS0_18inequality_wrapperI22is_equal_div_10_uniqueIdEEEPmJSF_EEE10hipError_tPvRmT3_T4_T5_T6_T7_T9_mT8_P12ihipStream_tbDpT10_ENKUlT_T0_E_clISt17integral_constantIbLb1EES17_IbLb0EEEEDaS13_S14_EUlS13_E_NS1_11comp_targetILNS1_3genE2ELNS1_11target_archE906ELNS1_3gpuE6ELNS1_3repE0EEENS1_30default_config_static_selectorELNS0_4arch9wavefront6targetE0EEEvT1_
    .private_segment_fixed_size: 0
    .sgpr_count:     0
    .sgpr_spill_count: 0
    .symbol:         _ZN7rocprim17ROCPRIM_400000_NS6detail17trampoline_kernelINS0_14default_configENS1_25partition_config_selectorILNS1_17partition_subalgoE9EddbEEZZNS1_14partition_implILS5_9ELb0ES3_jN6thrust23THRUST_200600_302600_NS6detail15normal_iteratorINS9_10device_ptrIdEEEESE_PNS0_10empty_typeENS0_5tupleIJSE_SF_EEENSH_IJSE_SG_EEENS0_18inequality_wrapperI22is_equal_div_10_uniqueIdEEEPmJSF_EEE10hipError_tPvRmT3_T4_T5_T6_T7_T9_mT8_P12ihipStream_tbDpT10_ENKUlT_T0_E_clISt17integral_constantIbLb1EES17_IbLb0EEEEDaS13_S14_EUlS13_E_NS1_11comp_targetILNS1_3genE2ELNS1_11target_archE906ELNS1_3gpuE6ELNS1_3repE0EEENS1_30default_config_static_selectorELNS0_4arch9wavefront6targetE0EEEvT1_.kd
    .uniform_work_group_size: 1
    .uses_dynamic_stack: false
    .vgpr_count:     0
    .vgpr_spill_count: 0
    .wavefront_size: 32
    .workgroup_processor_mode: 1
  - .args:
      - .offset:         0
        .size:           112
        .value_kind:     by_value
    .group_segment_fixed_size: 0
    .kernarg_segment_align: 8
    .kernarg_segment_size: 112
    .language:       OpenCL C
    .language_version:
      - 2
      - 0
    .max_flat_workgroup_size: 384
    .name:           _ZN7rocprim17ROCPRIM_400000_NS6detail17trampoline_kernelINS0_14default_configENS1_25partition_config_selectorILNS1_17partition_subalgoE9EddbEEZZNS1_14partition_implILS5_9ELb0ES3_jN6thrust23THRUST_200600_302600_NS6detail15normal_iteratorINS9_10device_ptrIdEEEESE_PNS0_10empty_typeENS0_5tupleIJSE_SF_EEENSH_IJSE_SG_EEENS0_18inequality_wrapperI22is_equal_div_10_uniqueIdEEEPmJSF_EEE10hipError_tPvRmT3_T4_T5_T6_T7_T9_mT8_P12ihipStream_tbDpT10_ENKUlT_T0_E_clISt17integral_constantIbLb1EES17_IbLb0EEEEDaS13_S14_EUlS13_E_NS1_11comp_targetILNS1_3genE10ELNS1_11target_archE1200ELNS1_3gpuE4ELNS1_3repE0EEENS1_30default_config_static_selectorELNS0_4arch9wavefront6targetE0EEEvT1_
    .private_segment_fixed_size: 0
    .sgpr_count:     0
    .sgpr_spill_count: 0
    .symbol:         _ZN7rocprim17ROCPRIM_400000_NS6detail17trampoline_kernelINS0_14default_configENS1_25partition_config_selectorILNS1_17partition_subalgoE9EddbEEZZNS1_14partition_implILS5_9ELb0ES3_jN6thrust23THRUST_200600_302600_NS6detail15normal_iteratorINS9_10device_ptrIdEEEESE_PNS0_10empty_typeENS0_5tupleIJSE_SF_EEENSH_IJSE_SG_EEENS0_18inequality_wrapperI22is_equal_div_10_uniqueIdEEEPmJSF_EEE10hipError_tPvRmT3_T4_T5_T6_T7_T9_mT8_P12ihipStream_tbDpT10_ENKUlT_T0_E_clISt17integral_constantIbLb1EES17_IbLb0EEEEDaS13_S14_EUlS13_E_NS1_11comp_targetILNS1_3genE10ELNS1_11target_archE1200ELNS1_3gpuE4ELNS1_3repE0EEENS1_30default_config_static_selectorELNS0_4arch9wavefront6targetE0EEEvT1_.kd
    .uniform_work_group_size: 1
    .uses_dynamic_stack: false
    .vgpr_count:     0
    .vgpr_spill_count: 0
    .wavefront_size: 32
    .workgroup_processor_mode: 1
  - .args:
      - .offset:         0
        .size:           112
        .value_kind:     by_value
    .group_segment_fixed_size: 33800
    .kernarg_segment_align: 8
    .kernarg_segment_size: 112
    .language:       OpenCL C
    .language_version:
      - 2
      - 0
    .max_flat_workgroup_size: 512
    .name:           _ZN7rocprim17ROCPRIM_400000_NS6detail17trampoline_kernelINS0_14default_configENS1_25partition_config_selectorILNS1_17partition_subalgoE9EddbEEZZNS1_14partition_implILS5_9ELb0ES3_jN6thrust23THRUST_200600_302600_NS6detail15normal_iteratorINS9_10device_ptrIdEEEESE_PNS0_10empty_typeENS0_5tupleIJSE_SF_EEENSH_IJSE_SG_EEENS0_18inequality_wrapperI22is_equal_div_10_uniqueIdEEEPmJSF_EEE10hipError_tPvRmT3_T4_T5_T6_T7_T9_mT8_P12ihipStream_tbDpT10_ENKUlT_T0_E_clISt17integral_constantIbLb1EES17_IbLb0EEEEDaS13_S14_EUlS13_E_NS1_11comp_targetILNS1_3genE9ELNS1_11target_archE1100ELNS1_3gpuE3ELNS1_3repE0EEENS1_30default_config_static_selectorELNS0_4arch9wavefront6targetE0EEEvT1_
    .private_segment_fixed_size: 0
    .sgpr_count:     27
    .sgpr_spill_count: 0
    .symbol:         _ZN7rocprim17ROCPRIM_400000_NS6detail17trampoline_kernelINS0_14default_configENS1_25partition_config_selectorILNS1_17partition_subalgoE9EddbEEZZNS1_14partition_implILS5_9ELb0ES3_jN6thrust23THRUST_200600_302600_NS6detail15normal_iteratorINS9_10device_ptrIdEEEESE_PNS0_10empty_typeENS0_5tupleIJSE_SF_EEENSH_IJSE_SG_EEENS0_18inequality_wrapperI22is_equal_div_10_uniqueIdEEEPmJSF_EEE10hipError_tPvRmT3_T4_T5_T6_T7_T9_mT8_P12ihipStream_tbDpT10_ENKUlT_T0_E_clISt17integral_constantIbLb1EES17_IbLb0EEEEDaS13_S14_EUlS13_E_NS1_11comp_targetILNS1_3genE9ELNS1_11target_archE1100ELNS1_3gpuE3ELNS1_3repE0EEENS1_30default_config_static_selectorELNS0_4arch9wavefront6targetE0EEEvT1_.kd
    .uniform_work_group_size: 1
    .uses_dynamic_stack: false
    .vgpr_count:     68
    .vgpr_spill_count: 0
    .wavefront_size: 32
    .workgroup_processor_mode: 1
  - .args:
      - .offset:         0
        .size:           112
        .value_kind:     by_value
    .group_segment_fixed_size: 0
    .kernarg_segment_align: 8
    .kernarg_segment_size: 112
    .language:       OpenCL C
    .language_version:
      - 2
      - 0
    .max_flat_workgroup_size: 512
    .name:           _ZN7rocprim17ROCPRIM_400000_NS6detail17trampoline_kernelINS0_14default_configENS1_25partition_config_selectorILNS1_17partition_subalgoE9EddbEEZZNS1_14partition_implILS5_9ELb0ES3_jN6thrust23THRUST_200600_302600_NS6detail15normal_iteratorINS9_10device_ptrIdEEEESE_PNS0_10empty_typeENS0_5tupleIJSE_SF_EEENSH_IJSE_SG_EEENS0_18inequality_wrapperI22is_equal_div_10_uniqueIdEEEPmJSF_EEE10hipError_tPvRmT3_T4_T5_T6_T7_T9_mT8_P12ihipStream_tbDpT10_ENKUlT_T0_E_clISt17integral_constantIbLb1EES17_IbLb0EEEEDaS13_S14_EUlS13_E_NS1_11comp_targetILNS1_3genE8ELNS1_11target_archE1030ELNS1_3gpuE2ELNS1_3repE0EEENS1_30default_config_static_selectorELNS0_4arch9wavefront6targetE0EEEvT1_
    .private_segment_fixed_size: 0
    .sgpr_count:     0
    .sgpr_spill_count: 0
    .symbol:         _ZN7rocprim17ROCPRIM_400000_NS6detail17trampoline_kernelINS0_14default_configENS1_25partition_config_selectorILNS1_17partition_subalgoE9EddbEEZZNS1_14partition_implILS5_9ELb0ES3_jN6thrust23THRUST_200600_302600_NS6detail15normal_iteratorINS9_10device_ptrIdEEEESE_PNS0_10empty_typeENS0_5tupleIJSE_SF_EEENSH_IJSE_SG_EEENS0_18inequality_wrapperI22is_equal_div_10_uniqueIdEEEPmJSF_EEE10hipError_tPvRmT3_T4_T5_T6_T7_T9_mT8_P12ihipStream_tbDpT10_ENKUlT_T0_E_clISt17integral_constantIbLb1EES17_IbLb0EEEEDaS13_S14_EUlS13_E_NS1_11comp_targetILNS1_3genE8ELNS1_11target_archE1030ELNS1_3gpuE2ELNS1_3repE0EEENS1_30default_config_static_selectorELNS0_4arch9wavefront6targetE0EEEvT1_.kd
    .uniform_work_group_size: 1
    .uses_dynamic_stack: false
    .vgpr_count:     0
    .vgpr_spill_count: 0
    .wavefront_size: 32
    .workgroup_processor_mode: 1
  - .args:
      - .offset:         0
        .size:           128
        .value_kind:     by_value
    .group_segment_fixed_size: 0
    .kernarg_segment_align: 8
    .kernarg_segment_size: 128
    .language:       OpenCL C
    .language_version:
      - 2
      - 0
    .max_flat_workgroup_size: 128
    .name:           _ZN7rocprim17ROCPRIM_400000_NS6detail17trampoline_kernelINS0_14default_configENS1_25partition_config_selectorILNS1_17partition_subalgoE9EddbEEZZNS1_14partition_implILS5_9ELb0ES3_jN6thrust23THRUST_200600_302600_NS6detail15normal_iteratorINS9_10device_ptrIdEEEESE_PNS0_10empty_typeENS0_5tupleIJSE_SF_EEENSH_IJSE_SG_EEENS0_18inequality_wrapperI22is_equal_div_10_uniqueIdEEEPmJSF_EEE10hipError_tPvRmT3_T4_T5_T6_T7_T9_mT8_P12ihipStream_tbDpT10_ENKUlT_T0_E_clISt17integral_constantIbLb0EES17_IbLb1EEEEDaS13_S14_EUlS13_E_NS1_11comp_targetILNS1_3genE0ELNS1_11target_archE4294967295ELNS1_3gpuE0ELNS1_3repE0EEENS1_30default_config_static_selectorELNS0_4arch9wavefront6targetE0EEEvT1_
    .private_segment_fixed_size: 0
    .sgpr_count:     0
    .sgpr_spill_count: 0
    .symbol:         _ZN7rocprim17ROCPRIM_400000_NS6detail17trampoline_kernelINS0_14default_configENS1_25partition_config_selectorILNS1_17partition_subalgoE9EddbEEZZNS1_14partition_implILS5_9ELb0ES3_jN6thrust23THRUST_200600_302600_NS6detail15normal_iteratorINS9_10device_ptrIdEEEESE_PNS0_10empty_typeENS0_5tupleIJSE_SF_EEENSH_IJSE_SG_EEENS0_18inequality_wrapperI22is_equal_div_10_uniqueIdEEEPmJSF_EEE10hipError_tPvRmT3_T4_T5_T6_T7_T9_mT8_P12ihipStream_tbDpT10_ENKUlT_T0_E_clISt17integral_constantIbLb0EES17_IbLb1EEEEDaS13_S14_EUlS13_E_NS1_11comp_targetILNS1_3genE0ELNS1_11target_archE4294967295ELNS1_3gpuE0ELNS1_3repE0EEENS1_30default_config_static_selectorELNS0_4arch9wavefront6targetE0EEEvT1_.kd
    .uniform_work_group_size: 1
    .uses_dynamic_stack: false
    .vgpr_count:     0
    .vgpr_spill_count: 0
    .wavefront_size: 32
    .workgroup_processor_mode: 1
  - .args:
      - .offset:         0
        .size:           128
        .value_kind:     by_value
    .group_segment_fixed_size: 0
    .kernarg_segment_align: 8
    .kernarg_segment_size: 128
    .language:       OpenCL C
    .language_version:
      - 2
      - 0
    .max_flat_workgroup_size: 512
    .name:           _ZN7rocprim17ROCPRIM_400000_NS6detail17trampoline_kernelINS0_14default_configENS1_25partition_config_selectorILNS1_17partition_subalgoE9EddbEEZZNS1_14partition_implILS5_9ELb0ES3_jN6thrust23THRUST_200600_302600_NS6detail15normal_iteratorINS9_10device_ptrIdEEEESE_PNS0_10empty_typeENS0_5tupleIJSE_SF_EEENSH_IJSE_SG_EEENS0_18inequality_wrapperI22is_equal_div_10_uniqueIdEEEPmJSF_EEE10hipError_tPvRmT3_T4_T5_T6_T7_T9_mT8_P12ihipStream_tbDpT10_ENKUlT_T0_E_clISt17integral_constantIbLb0EES17_IbLb1EEEEDaS13_S14_EUlS13_E_NS1_11comp_targetILNS1_3genE5ELNS1_11target_archE942ELNS1_3gpuE9ELNS1_3repE0EEENS1_30default_config_static_selectorELNS0_4arch9wavefront6targetE0EEEvT1_
    .private_segment_fixed_size: 0
    .sgpr_count:     0
    .sgpr_spill_count: 0
    .symbol:         _ZN7rocprim17ROCPRIM_400000_NS6detail17trampoline_kernelINS0_14default_configENS1_25partition_config_selectorILNS1_17partition_subalgoE9EddbEEZZNS1_14partition_implILS5_9ELb0ES3_jN6thrust23THRUST_200600_302600_NS6detail15normal_iteratorINS9_10device_ptrIdEEEESE_PNS0_10empty_typeENS0_5tupleIJSE_SF_EEENSH_IJSE_SG_EEENS0_18inequality_wrapperI22is_equal_div_10_uniqueIdEEEPmJSF_EEE10hipError_tPvRmT3_T4_T5_T6_T7_T9_mT8_P12ihipStream_tbDpT10_ENKUlT_T0_E_clISt17integral_constantIbLb0EES17_IbLb1EEEEDaS13_S14_EUlS13_E_NS1_11comp_targetILNS1_3genE5ELNS1_11target_archE942ELNS1_3gpuE9ELNS1_3repE0EEENS1_30default_config_static_selectorELNS0_4arch9wavefront6targetE0EEEvT1_.kd
    .uniform_work_group_size: 1
    .uses_dynamic_stack: false
    .vgpr_count:     0
    .vgpr_spill_count: 0
    .wavefront_size: 32
    .workgroup_processor_mode: 1
  - .args:
      - .offset:         0
        .size:           128
        .value_kind:     by_value
    .group_segment_fixed_size: 0
    .kernarg_segment_align: 8
    .kernarg_segment_size: 128
    .language:       OpenCL C
    .language_version:
      - 2
      - 0
    .max_flat_workgroup_size: 128
    .name:           _ZN7rocprim17ROCPRIM_400000_NS6detail17trampoline_kernelINS0_14default_configENS1_25partition_config_selectorILNS1_17partition_subalgoE9EddbEEZZNS1_14partition_implILS5_9ELb0ES3_jN6thrust23THRUST_200600_302600_NS6detail15normal_iteratorINS9_10device_ptrIdEEEESE_PNS0_10empty_typeENS0_5tupleIJSE_SF_EEENSH_IJSE_SG_EEENS0_18inequality_wrapperI22is_equal_div_10_uniqueIdEEEPmJSF_EEE10hipError_tPvRmT3_T4_T5_T6_T7_T9_mT8_P12ihipStream_tbDpT10_ENKUlT_T0_E_clISt17integral_constantIbLb0EES17_IbLb1EEEEDaS13_S14_EUlS13_E_NS1_11comp_targetILNS1_3genE4ELNS1_11target_archE910ELNS1_3gpuE8ELNS1_3repE0EEENS1_30default_config_static_selectorELNS0_4arch9wavefront6targetE0EEEvT1_
    .private_segment_fixed_size: 0
    .sgpr_count:     0
    .sgpr_spill_count: 0
    .symbol:         _ZN7rocprim17ROCPRIM_400000_NS6detail17trampoline_kernelINS0_14default_configENS1_25partition_config_selectorILNS1_17partition_subalgoE9EddbEEZZNS1_14partition_implILS5_9ELb0ES3_jN6thrust23THRUST_200600_302600_NS6detail15normal_iteratorINS9_10device_ptrIdEEEESE_PNS0_10empty_typeENS0_5tupleIJSE_SF_EEENSH_IJSE_SG_EEENS0_18inequality_wrapperI22is_equal_div_10_uniqueIdEEEPmJSF_EEE10hipError_tPvRmT3_T4_T5_T6_T7_T9_mT8_P12ihipStream_tbDpT10_ENKUlT_T0_E_clISt17integral_constantIbLb0EES17_IbLb1EEEEDaS13_S14_EUlS13_E_NS1_11comp_targetILNS1_3genE4ELNS1_11target_archE910ELNS1_3gpuE8ELNS1_3repE0EEENS1_30default_config_static_selectorELNS0_4arch9wavefront6targetE0EEEvT1_.kd
    .uniform_work_group_size: 1
    .uses_dynamic_stack: false
    .vgpr_count:     0
    .vgpr_spill_count: 0
    .wavefront_size: 32
    .workgroup_processor_mode: 1
  - .args:
      - .offset:         0
        .size:           128
        .value_kind:     by_value
    .group_segment_fixed_size: 0
    .kernarg_segment_align: 8
    .kernarg_segment_size: 128
    .language:       OpenCL C
    .language_version:
      - 2
      - 0
    .max_flat_workgroup_size: 128
    .name:           _ZN7rocprim17ROCPRIM_400000_NS6detail17trampoline_kernelINS0_14default_configENS1_25partition_config_selectorILNS1_17partition_subalgoE9EddbEEZZNS1_14partition_implILS5_9ELb0ES3_jN6thrust23THRUST_200600_302600_NS6detail15normal_iteratorINS9_10device_ptrIdEEEESE_PNS0_10empty_typeENS0_5tupleIJSE_SF_EEENSH_IJSE_SG_EEENS0_18inequality_wrapperI22is_equal_div_10_uniqueIdEEEPmJSF_EEE10hipError_tPvRmT3_T4_T5_T6_T7_T9_mT8_P12ihipStream_tbDpT10_ENKUlT_T0_E_clISt17integral_constantIbLb0EES17_IbLb1EEEEDaS13_S14_EUlS13_E_NS1_11comp_targetILNS1_3genE3ELNS1_11target_archE908ELNS1_3gpuE7ELNS1_3repE0EEENS1_30default_config_static_selectorELNS0_4arch9wavefront6targetE0EEEvT1_
    .private_segment_fixed_size: 0
    .sgpr_count:     0
    .sgpr_spill_count: 0
    .symbol:         _ZN7rocprim17ROCPRIM_400000_NS6detail17trampoline_kernelINS0_14default_configENS1_25partition_config_selectorILNS1_17partition_subalgoE9EddbEEZZNS1_14partition_implILS5_9ELb0ES3_jN6thrust23THRUST_200600_302600_NS6detail15normal_iteratorINS9_10device_ptrIdEEEESE_PNS0_10empty_typeENS0_5tupleIJSE_SF_EEENSH_IJSE_SG_EEENS0_18inequality_wrapperI22is_equal_div_10_uniqueIdEEEPmJSF_EEE10hipError_tPvRmT3_T4_T5_T6_T7_T9_mT8_P12ihipStream_tbDpT10_ENKUlT_T0_E_clISt17integral_constantIbLb0EES17_IbLb1EEEEDaS13_S14_EUlS13_E_NS1_11comp_targetILNS1_3genE3ELNS1_11target_archE908ELNS1_3gpuE7ELNS1_3repE0EEENS1_30default_config_static_selectorELNS0_4arch9wavefront6targetE0EEEvT1_.kd
    .uniform_work_group_size: 1
    .uses_dynamic_stack: false
    .vgpr_count:     0
    .vgpr_spill_count: 0
    .wavefront_size: 32
    .workgroup_processor_mode: 1
  - .args:
      - .offset:         0
        .size:           128
        .value_kind:     by_value
    .group_segment_fixed_size: 0
    .kernarg_segment_align: 8
    .kernarg_segment_size: 128
    .language:       OpenCL C
    .language_version:
      - 2
      - 0
    .max_flat_workgroup_size: 256
    .name:           _ZN7rocprim17ROCPRIM_400000_NS6detail17trampoline_kernelINS0_14default_configENS1_25partition_config_selectorILNS1_17partition_subalgoE9EddbEEZZNS1_14partition_implILS5_9ELb0ES3_jN6thrust23THRUST_200600_302600_NS6detail15normal_iteratorINS9_10device_ptrIdEEEESE_PNS0_10empty_typeENS0_5tupleIJSE_SF_EEENSH_IJSE_SG_EEENS0_18inequality_wrapperI22is_equal_div_10_uniqueIdEEEPmJSF_EEE10hipError_tPvRmT3_T4_T5_T6_T7_T9_mT8_P12ihipStream_tbDpT10_ENKUlT_T0_E_clISt17integral_constantIbLb0EES17_IbLb1EEEEDaS13_S14_EUlS13_E_NS1_11comp_targetILNS1_3genE2ELNS1_11target_archE906ELNS1_3gpuE6ELNS1_3repE0EEENS1_30default_config_static_selectorELNS0_4arch9wavefront6targetE0EEEvT1_
    .private_segment_fixed_size: 0
    .sgpr_count:     0
    .sgpr_spill_count: 0
    .symbol:         _ZN7rocprim17ROCPRIM_400000_NS6detail17trampoline_kernelINS0_14default_configENS1_25partition_config_selectorILNS1_17partition_subalgoE9EddbEEZZNS1_14partition_implILS5_9ELb0ES3_jN6thrust23THRUST_200600_302600_NS6detail15normal_iteratorINS9_10device_ptrIdEEEESE_PNS0_10empty_typeENS0_5tupleIJSE_SF_EEENSH_IJSE_SG_EEENS0_18inequality_wrapperI22is_equal_div_10_uniqueIdEEEPmJSF_EEE10hipError_tPvRmT3_T4_T5_T6_T7_T9_mT8_P12ihipStream_tbDpT10_ENKUlT_T0_E_clISt17integral_constantIbLb0EES17_IbLb1EEEEDaS13_S14_EUlS13_E_NS1_11comp_targetILNS1_3genE2ELNS1_11target_archE906ELNS1_3gpuE6ELNS1_3repE0EEENS1_30default_config_static_selectorELNS0_4arch9wavefront6targetE0EEEvT1_.kd
    .uniform_work_group_size: 1
    .uses_dynamic_stack: false
    .vgpr_count:     0
    .vgpr_spill_count: 0
    .wavefront_size: 32
    .workgroup_processor_mode: 1
  - .args:
      - .offset:         0
        .size:           128
        .value_kind:     by_value
    .group_segment_fixed_size: 0
    .kernarg_segment_align: 8
    .kernarg_segment_size: 128
    .language:       OpenCL C
    .language_version:
      - 2
      - 0
    .max_flat_workgroup_size: 384
    .name:           _ZN7rocprim17ROCPRIM_400000_NS6detail17trampoline_kernelINS0_14default_configENS1_25partition_config_selectorILNS1_17partition_subalgoE9EddbEEZZNS1_14partition_implILS5_9ELb0ES3_jN6thrust23THRUST_200600_302600_NS6detail15normal_iteratorINS9_10device_ptrIdEEEESE_PNS0_10empty_typeENS0_5tupleIJSE_SF_EEENSH_IJSE_SG_EEENS0_18inequality_wrapperI22is_equal_div_10_uniqueIdEEEPmJSF_EEE10hipError_tPvRmT3_T4_T5_T6_T7_T9_mT8_P12ihipStream_tbDpT10_ENKUlT_T0_E_clISt17integral_constantIbLb0EES17_IbLb1EEEEDaS13_S14_EUlS13_E_NS1_11comp_targetILNS1_3genE10ELNS1_11target_archE1200ELNS1_3gpuE4ELNS1_3repE0EEENS1_30default_config_static_selectorELNS0_4arch9wavefront6targetE0EEEvT1_
    .private_segment_fixed_size: 0
    .sgpr_count:     0
    .sgpr_spill_count: 0
    .symbol:         _ZN7rocprim17ROCPRIM_400000_NS6detail17trampoline_kernelINS0_14default_configENS1_25partition_config_selectorILNS1_17partition_subalgoE9EddbEEZZNS1_14partition_implILS5_9ELb0ES3_jN6thrust23THRUST_200600_302600_NS6detail15normal_iteratorINS9_10device_ptrIdEEEESE_PNS0_10empty_typeENS0_5tupleIJSE_SF_EEENSH_IJSE_SG_EEENS0_18inequality_wrapperI22is_equal_div_10_uniqueIdEEEPmJSF_EEE10hipError_tPvRmT3_T4_T5_T6_T7_T9_mT8_P12ihipStream_tbDpT10_ENKUlT_T0_E_clISt17integral_constantIbLb0EES17_IbLb1EEEEDaS13_S14_EUlS13_E_NS1_11comp_targetILNS1_3genE10ELNS1_11target_archE1200ELNS1_3gpuE4ELNS1_3repE0EEENS1_30default_config_static_selectorELNS0_4arch9wavefront6targetE0EEEvT1_.kd
    .uniform_work_group_size: 1
    .uses_dynamic_stack: false
    .vgpr_count:     0
    .vgpr_spill_count: 0
    .wavefront_size: 32
    .workgroup_processor_mode: 1
  - .args:
      - .offset:         0
        .size:           128
        .value_kind:     by_value
    .group_segment_fixed_size: 33800
    .kernarg_segment_align: 8
    .kernarg_segment_size: 128
    .language:       OpenCL C
    .language_version:
      - 2
      - 0
    .max_flat_workgroup_size: 512
    .name:           _ZN7rocprim17ROCPRIM_400000_NS6detail17trampoline_kernelINS0_14default_configENS1_25partition_config_selectorILNS1_17partition_subalgoE9EddbEEZZNS1_14partition_implILS5_9ELb0ES3_jN6thrust23THRUST_200600_302600_NS6detail15normal_iteratorINS9_10device_ptrIdEEEESE_PNS0_10empty_typeENS0_5tupleIJSE_SF_EEENSH_IJSE_SG_EEENS0_18inequality_wrapperI22is_equal_div_10_uniqueIdEEEPmJSF_EEE10hipError_tPvRmT3_T4_T5_T6_T7_T9_mT8_P12ihipStream_tbDpT10_ENKUlT_T0_E_clISt17integral_constantIbLb0EES17_IbLb1EEEEDaS13_S14_EUlS13_E_NS1_11comp_targetILNS1_3genE9ELNS1_11target_archE1100ELNS1_3gpuE3ELNS1_3repE0EEENS1_30default_config_static_selectorELNS0_4arch9wavefront6targetE0EEEvT1_
    .private_segment_fixed_size: 0
    .sgpr_count:     31
    .sgpr_spill_count: 0
    .symbol:         _ZN7rocprim17ROCPRIM_400000_NS6detail17trampoline_kernelINS0_14default_configENS1_25partition_config_selectorILNS1_17partition_subalgoE9EddbEEZZNS1_14partition_implILS5_9ELb0ES3_jN6thrust23THRUST_200600_302600_NS6detail15normal_iteratorINS9_10device_ptrIdEEEESE_PNS0_10empty_typeENS0_5tupleIJSE_SF_EEENSH_IJSE_SG_EEENS0_18inequality_wrapperI22is_equal_div_10_uniqueIdEEEPmJSF_EEE10hipError_tPvRmT3_T4_T5_T6_T7_T9_mT8_P12ihipStream_tbDpT10_ENKUlT_T0_E_clISt17integral_constantIbLb0EES17_IbLb1EEEEDaS13_S14_EUlS13_E_NS1_11comp_targetILNS1_3genE9ELNS1_11target_archE1100ELNS1_3gpuE3ELNS1_3repE0EEENS1_30default_config_static_selectorELNS0_4arch9wavefront6targetE0EEEvT1_.kd
    .uniform_work_group_size: 1
    .uses_dynamic_stack: false
    .vgpr_count:     68
    .vgpr_spill_count: 0
    .wavefront_size: 32
    .workgroup_processor_mode: 1
  - .args:
      - .offset:         0
        .size:           128
        .value_kind:     by_value
    .group_segment_fixed_size: 0
    .kernarg_segment_align: 8
    .kernarg_segment_size: 128
    .language:       OpenCL C
    .language_version:
      - 2
      - 0
    .max_flat_workgroup_size: 512
    .name:           _ZN7rocprim17ROCPRIM_400000_NS6detail17trampoline_kernelINS0_14default_configENS1_25partition_config_selectorILNS1_17partition_subalgoE9EddbEEZZNS1_14partition_implILS5_9ELb0ES3_jN6thrust23THRUST_200600_302600_NS6detail15normal_iteratorINS9_10device_ptrIdEEEESE_PNS0_10empty_typeENS0_5tupleIJSE_SF_EEENSH_IJSE_SG_EEENS0_18inequality_wrapperI22is_equal_div_10_uniqueIdEEEPmJSF_EEE10hipError_tPvRmT3_T4_T5_T6_T7_T9_mT8_P12ihipStream_tbDpT10_ENKUlT_T0_E_clISt17integral_constantIbLb0EES17_IbLb1EEEEDaS13_S14_EUlS13_E_NS1_11comp_targetILNS1_3genE8ELNS1_11target_archE1030ELNS1_3gpuE2ELNS1_3repE0EEENS1_30default_config_static_selectorELNS0_4arch9wavefront6targetE0EEEvT1_
    .private_segment_fixed_size: 0
    .sgpr_count:     0
    .sgpr_spill_count: 0
    .symbol:         _ZN7rocprim17ROCPRIM_400000_NS6detail17trampoline_kernelINS0_14default_configENS1_25partition_config_selectorILNS1_17partition_subalgoE9EddbEEZZNS1_14partition_implILS5_9ELb0ES3_jN6thrust23THRUST_200600_302600_NS6detail15normal_iteratorINS9_10device_ptrIdEEEESE_PNS0_10empty_typeENS0_5tupleIJSE_SF_EEENSH_IJSE_SG_EEENS0_18inequality_wrapperI22is_equal_div_10_uniqueIdEEEPmJSF_EEE10hipError_tPvRmT3_T4_T5_T6_T7_T9_mT8_P12ihipStream_tbDpT10_ENKUlT_T0_E_clISt17integral_constantIbLb0EES17_IbLb1EEEEDaS13_S14_EUlS13_E_NS1_11comp_targetILNS1_3genE8ELNS1_11target_archE1030ELNS1_3gpuE2ELNS1_3repE0EEENS1_30default_config_static_selectorELNS0_4arch9wavefront6targetE0EEEvT1_.kd
    .uniform_work_group_size: 1
    .uses_dynamic_stack: false
    .vgpr_count:     0
    .vgpr_spill_count: 0
    .wavefront_size: 32
    .workgroup_processor_mode: 1
  - .args:
      - .offset:         0
        .size:           16
        .value_kind:     by_value
      - .offset:         16
        .size:           8
        .value_kind:     by_value
      - .offset:         24
        .size:           8
        .value_kind:     by_value
    .group_segment_fixed_size: 0
    .kernarg_segment_align: 8
    .kernarg_segment_size: 32
    .language:       OpenCL C
    .language_version:
      - 2
      - 0
    .max_flat_workgroup_size: 256
    .name:           _ZN6thrust23THRUST_200600_302600_NS11hip_rocprim14__parallel_for6kernelILj256ENS1_20__uninitialized_fill7functorINS0_10device_ptrIfEEfEEmLj1EEEvT0_T1_SA_
    .private_segment_fixed_size: 0
    .sgpr_count:     18
    .sgpr_spill_count: 0
    .symbol:         _ZN6thrust23THRUST_200600_302600_NS11hip_rocprim14__parallel_for6kernelILj256ENS1_20__uninitialized_fill7functorINS0_10device_ptrIfEEfEEmLj1EEEvT0_T1_SA_.kd
    .uniform_work_group_size: 1
    .uses_dynamic_stack: false
    .vgpr_count:     3
    .vgpr_spill_count: 0
    .wavefront_size: 32
    .workgroup_processor_mode: 1
  - .args:
      - .offset:         0
        .size:           112
        .value_kind:     by_value
    .group_segment_fixed_size: 0
    .kernarg_segment_align: 8
    .kernarg_segment_size: 112
    .language:       OpenCL C
    .language_version:
      - 2
      - 0
    .max_flat_workgroup_size: 256
    .name:           _ZN7rocprim17ROCPRIM_400000_NS6detail17trampoline_kernelINS0_14default_configENS1_25partition_config_selectorILNS1_17partition_subalgoE9EffbEEZZNS1_14partition_implILS5_9ELb0ES3_jN6thrust23THRUST_200600_302600_NS6detail15normal_iteratorINS9_10device_ptrIfEEEESE_PNS0_10empty_typeENS0_5tupleIJSE_SF_EEENSH_IJSE_SG_EEENS0_18inequality_wrapperINS9_8equal_toIfEEEEPmJSF_EEE10hipError_tPvRmT3_T4_T5_T6_T7_T9_mT8_P12ihipStream_tbDpT10_ENKUlT_T0_E_clISt17integral_constantIbLb0EES18_EEDaS13_S14_EUlS13_E_NS1_11comp_targetILNS1_3genE0ELNS1_11target_archE4294967295ELNS1_3gpuE0ELNS1_3repE0EEENS1_30default_config_static_selectorELNS0_4arch9wavefront6targetE0EEEvT1_
    .private_segment_fixed_size: 0
    .sgpr_count:     0
    .sgpr_spill_count: 0
    .symbol:         _ZN7rocprim17ROCPRIM_400000_NS6detail17trampoline_kernelINS0_14default_configENS1_25partition_config_selectorILNS1_17partition_subalgoE9EffbEEZZNS1_14partition_implILS5_9ELb0ES3_jN6thrust23THRUST_200600_302600_NS6detail15normal_iteratorINS9_10device_ptrIfEEEESE_PNS0_10empty_typeENS0_5tupleIJSE_SF_EEENSH_IJSE_SG_EEENS0_18inequality_wrapperINS9_8equal_toIfEEEEPmJSF_EEE10hipError_tPvRmT3_T4_T5_T6_T7_T9_mT8_P12ihipStream_tbDpT10_ENKUlT_T0_E_clISt17integral_constantIbLb0EES18_EEDaS13_S14_EUlS13_E_NS1_11comp_targetILNS1_3genE0ELNS1_11target_archE4294967295ELNS1_3gpuE0ELNS1_3repE0EEENS1_30default_config_static_selectorELNS0_4arch9wavefront6targetE0EEEvT1_.kd
    .uniform_work_group_size: 1
    .uses_dynamic_stack: false
    .vgpr_count:     0
    .vgpr_spill_count: 0
    .wavefront_size: 32
    .workgroup_processor_mode: 1
  - .args:
      - .offset:         0
        .size:           112
        .value_kind:     by_value
    .group_segment_fixed_size: 0
    .kernarg_segment_align: 8
    .kernarg_segment_size: 112
    .language:       OpenCL C
    .language_version:
      - 2
      - 0
    .max_flat_workgroup_size: 512
    .name:           _ZN7rocprim17ROCPRIM_400000_NS6detail17trampoline_kernelINS0_14default_configENS1_25partition_config_selectorILNS1_17partition_subalgoE9EffbEEZZNS1_14partition_implILS5_9ELb0ES3_jN6thrust23THRUST_200600_302600_NS6detail15normal_iteratorINS9_10device_ptrIfEEEESE_PNS0_10empty_typeENS0_5tupleIJSE_SF_EEENSH_IJSE_SG_EEENS0_18inequality_wrapperINS9_8equal_toIfEEEEPmJSF_EEE10hipError_tPvRmT3_T4_T5_T6_T7_T9_mT8_P12ihipStream_tbDpT10_ENKUlT_T0_E_clISt17integral_constantIbLb0EES18_EEDaS13_S14_EUlS13_E_NS1_11comp_targetILNS1_3genE5ELNS1_11target_archE942ELNS1_3gpuE9ELNS1_3repE0EEENS1_30default_config_static_selectorELNS0_4arch9wavefront6targetE0EEEvT1_
    .private_segment_fixed_size: 0
    .sgpr_count:     0
    .sgpr_spill_count: 0
    .symbol:         _ZN7rocprim17ROCPRIM_400000_NS6detail17trampoline_kernelINS0_14default_configENS1_25partition_config_selectorILNS1_17partition_subalgoE9EffbEEZZNS1_14partition_implILS5_9ELb0ES3_jN6thrust23THRUST_200600_302600_NS6detail15normal_iteratorINS9_10device_ptrIfEEEESE_PNS0_10empty_typeENS0_5tupleIJSE_SF_EEENSH_IJSE_SG_EEENS0_18inequality_wrapperINS9_8equal_toIfEEEEPmJSF_EEE10hipError_tPvRmT3_T4_T5_T6_T7_T9_mT8_P12ihipStream_tbDpT10_ENKUlT_T0_E_clISt17integral_constantIbLb0EES18_EEDaS13_S14_EUlS13_E_NS1_11comp_targetILNS1_3genE5ELNS1_11target_archE942ELNS1_3gpuE9ELNS1_3repE0EEENS1_30default_config_static_selectorELNS0_4arch9wavefront6targetE0EEEvT1_.kd
    .uniform_work_group_size: 1
    .uses_dynamic_stack: false
    .vgpr_count:     0
    .vgpr_spill_count: 0
    .wavefront_size: 32
    .workgroup_processor_mode: 1
  - .args:
      - .offset:         0
        .size:           112
        .value_kind:     by_value
    .group_segment_fixed_size: 0
    .kernarg_segment_align: 8
    .kernarg_segment_size: 112
    .language:       OpenCL C
    .language_version:
      - 2
      - 0
    .max_flat_workgroup_size: 192
    .name:           _ZN7rocprim17ROCPRIM_400000_NS6detail17trampoline_kernelINS0_14default_configENS1_25partition_config_selectorILNS1_17partition_subalgoE9EffbEEZZNS1_14partition_implILS5_9ELb0ES3_jN6thrust23THRUST_200600_302600_NS6detail15normal_iteratorINS9_10device_ptrIfEEEESE_PNS0_10empty_typeENS0_5tupleIJSE_SF_EEENSH_IJSE_SG_EEENS0_18inequality_wrapperINS9_8equal_toIfEEEEPmJSF_EEE10hipError_tPvRmT3_T4_T5_T6_T7_T9_mT8_P12ihipStream_tbDpT10_ENKUlT_T0_E_clISt17integral_constantIbLb0EES18_EEDaS13_S14_EUlS13_E_NS1_11comp_targetILNS1_3genE4ELNS1_11target_archE910ELNS1_3gpuE8ELNS1_3repE0EEENS1_30default_config_static_selectorELNS0_4arch9wavefront6targetE0EEEvT1_
    .private_segment_fixed_size: 0
    .sgpr_count:     0
    .sgpr_spill_count: 0
    .symbol:         _ZN7rocprim17ROCPRIM_400000_NS6detail17trampoline_kernelINS0_14default_configENS1_25partition_config_selectorILNS1_17partition_subalgoE9EffbEEZZNS1_14partition_implILS5_9ELb0ES3_jN6thrust23THRUST_200600_302600_NS6detail15normal_iteratorINS9_10device_ptrIfEEEESE_PNS0_10empty_typeENS0_5tupleIJSE_SF_EEENSH_IJSE_SG_EEENS0_18inequality_wrapperINS9_8equal_toIfEEEEPmJSF_EEE10hipError_tPvRmT3_T4_T5_T6_T7_T9_mT8_P12ihipStream_tbDpT10_ENKUlT_T0_E_clISt17integral_constantIbLb0EES18_EEDaS13_S14_EUlS13_E_NS1_11comp_targetILNS1_3genE4ELNS1_11target_archE910ELNS1_3gpuE8ELNS1_3repE0EEENS1_30default_config_static_selectorELNS0_4arch9wavefront6targetE0EEEvT1_.kd
    .uniform_work_group_size: 1
    .uses_dynamic_stack: false
    .vgpr_count:     0
    .vgpr_spill_count: 0
    .wavefront_size: 32
    .workgroup_processor_mode: 1
  - .args:
      - .offset:         0
        .size:           112
        .value_kind:     by_value
    .group_segment_fixed_size: 0
    .kernarg_segment_align: 8
    .kernarg_segment_size: 112
    .language:       OpenCL C
    .language_version:
      - 2
      - 0
    .max_flat_workgroup_size: 256
    .name:           _ZN7rocprim17ROCPRIM_400000_NS6detail17trampoline_kernelINS0_14default_configENS1_25partition_config_selectorILNS1_17partition_subalgoE9EffbEEZZNS1_14partition_implILS5_9ELb0ES3_jN6thrust23THRUST_200600_302600_NS6detail15normal_iteratorINS9_10device_ptrIfEEEESE_PNS0_10empty_typeENS0_5tupleIJSE_SF_EEENSH_IJSE_SG_EEENS0_18inequality_wrapperINS9_8equal_toIfEEEEPmJSF_EEE10hipError_tPvRmT3_T4_T5_T6_T7_T9_mT8_P12ihipStream_tbDpT10_ENKUlT_T0_E_clISt17integral_constantIbLb0EES18_EEDaS13_S14_EUlS13_E_NS1_11comp_targetILNS1_3genE3ELNS1_11target_archE908ELNS1_3gpuE7ELNS1_3repE0EEENS1_30default_config_static_selectorELNS0_4arch9wavefront6targetE0EEEvT1_
    .private_segment_fixed_size: 0
    .sgpr_count:     0
    .sgpr_spill_count: 0
    .symbol:         _ZN7rocprim17ROCPRIM_400000_NS6detail17trampoline_kernelINS0_14default_configENS1_25partition_config_selectorILNS1_17partition_subalgoE9EffbEEZZNS1_14partition_implILS5_9ELb0ES3_jN6thrust23THRUST_200600_302600_NS6detail15normal_iteratorINS9_10device_ptrIfEEEESE_PNS0_10empty_typeENS0_5tupleIJSE_SF_EEENSH_IJSE_SG_EEENS0_18inequality_wrapperINS9_8equal_toIfEEEEPmJSF_EEE10hipError_tPvRmT3_T4_T5_T6_T7_T9_mT8_P12ihipStream_tbDpT10_ENKUlT_T0_E_clISt17integral_constantIbLb0EES18_EEDaS13_S14_EUlS13_E_NS1_11comp_targetILNS1_3genE3ELNS1_11target_archE908ELNS1_3gpuE7ELNS1_3repE0EEENS1_30default_config_static_selectorELNS0_4arch9wavefront6targetE0EEEvT1_.kd
    .uniform_work_group_size: 1
    .uses_dynamic_stack: false
    .vgpr_count:     0
    .vgpr_spill_count: 0
    .wavefront_size: 32
    .workgroup_processor_mode: 1
  - .args:
      - .offset:         0
        .size:           112
        .value_kind:     by_value
    .group_segment_fixed_size: 0
    .kernarg_segment_align: 8
    .kernarg_segment_size: 112
    .language:       OpenCL C
    .language_version:
      - 2
      - 0
    .max_flat_workgroup_size: 256
    .name:           _ZN7rocprim17ROCPRIM_400000_NS6detail17trampoline_kernelINS0_14default_configENS1_25partition_config_selectorILNS1_17partition_subalgoE9EffbEEZZNS1_14partition_implILS5_9ELb0ES3_jN6thrust23THRUST_200600_302600_NS6detail15normal_iteratorINS9_10device_ptrIfEEEESE_PNS0_10empty_typeENS0_5tupleIJSE_SF_EEENSH_IJSE_SG_EEENS0_18inequality_wrapperINS9_8equal_toIfEEEEPmJSF_EEE10hipError_tPvRmT3_T4_T5_T6_T7_T9_mT8_P12ihipStream_tbDpT10_ENKUlT_T0_E_clISt17integral_constantIbLb0EES18_EEDaS13_S14_EUlS13_E_NS1_11comp_targetILNS1_3genE2ELNS1_11target_archE906ELNS1_3gpuE6ELNS1_3repE0EEENS1_30default_config_static_selectorELNS0_4arch9wavefront6targetE0EEEvT1_
    .private_segment_fixed_size: 0
    .sgpr_count:     0
    .sgpr_spill_count: 0
    .symbol:         _ZN7rocprim17ROCPRIM_400000_NS6detail17trampoline_kernelINS0_14default_configENS1_25partition_config_selectorILNS1_17partition_subalgoE9EffbEEZZNS1_14partition_implILS5_9ELb0ES3_jN6thrust23THRUST_200600_302600_NS6detail15normal_iteratorINS9_10device_ptrIfEEEESE_PNS0_10empty_typeENS0_5tupleIJSE_SF_EEENSH_IJSE_SG_EEENS0_18inequality_wrapperINS9_8equal_toIfEEEEPmJSF_EEE10hipError_tPvRmT3_T4_T5_T6_T7_T9_mT8_P12ihipStream_tbDpT10_ENKUlT_T0_E_clISt17integral_constantIbLb0EES18_EEDaS13_S14_EUlS13_E_NS1_11comp_targetILNS1_3genE2ELNS1_11target_archE906ELNS1_3gpuE6ELNS1_3repE0EEENS1_30default_config_static_selectorELNS0_4arch9wavefront6targetE0EEEvT1_.kd
    .uniform_work_group_size: 1
    .uses_dynamic_stack: false
    .vgpr_count:     0
    .vgpr_spill_count: 0
    .wavefront_size: 32
    .workgroup_processor_mode: 1
  - .args:
      - .offset:         0
        .size:           112
        .value_kind:     by_value
    .group_segment_fixed_size: 0
    .kernarg_segment_align: 8
    .kernarg_segment_size: 112
    .language:       OpenCL C
    .language_version:
      - 2
      - 0
    .max_flat_workgroup_size: 384
    .name:           _ZN7rocprim17ROCPRIM_400000_NS6detail17trampoline_kernelINS0_14default_configENS1_25partition_config_selectorILNS1_17partition_subalgoE9EffbEEZZNS1_14partition_implILS5_9ELb0ES3_jN6thrust23THRUST_200600_302600_NS6detail15normal_iteratorINS9_10device_ptrIfEEEESE_PNS0_10empty_typeENS0_5tupleIJSE_SF_EEENSH_IJSE_SG_EEENS0_18inequality_wrapperINS9_8equal_toIfEEEEPmJSF_EEE10hipError_tPvRmT3_T4_T5_T6_T7_T9_mT8_P12ihipStream_tbDpT10_ENKUlT_T0_E_clISt17integral_constantIbLb0EES18_EEDaS13_S14_EUlS13_E_NS1_11comp_targetILNS1_3genE10ELNS1_11target_archE1200ELNS1_3gpuE4ELNS1_3repE0EEENS1_30default_config_static_selectorELNS0_4arch9wavefront6targetE0EEEvT1_
    .private_segment_fixed_size: 0
    .sgpr_count:     0
    .sgpr_spill_count: 0
    .symbol:         _ZN7rocprim17ROCPRIM_400000_NS6detail17trampoline_kernelINS0_14default_configENS1_25partition_config_selectorILNS1_17partition_subalgoE9EffbEEZZNS1_14partition_implILS5_9ELb0ES3_jN6thrust23THRUST_200600_302600_NS6detail15normal_iteratorINS9_10device_ptrIfEEEESE_PNS0_10empty_typeENS0_5tupleIJSE_SF_EEENSH_IJSE_SG_EEENS0_18inequality_wrapperINS9_8equal_toIfEEEEPmJSF_EEE10hipError_tPvRmT3_T4_T5_T6_T7_T9_mT8_P12ihipStream_tbDpT10_ENKUlT_T0_E_clISt17integral_constantIbLb0EES18_EEDaS13_S14_EUlS13_E_NS1_11comp_targetILNS1_3genE10ELNS1_11target_archE1200ELNS1_3gpuE4ELNS1_3repE0EEENS1_30default_config_static_selectorELNS0_4arch9wavefront6targetE0EEEvT1_.kd
    .uniform_work_group_size: 1
    .uses_dynamic_stack: false
    .vgpr_count:     0
    .vgpr_spill_count: 0
    .wavefront_size: 32
    .workgroup_processor_mode: 1
  - .args:
      - .offset:         0
        .size:           112
        .value_kind:     by_value
    .group_segment_fixed_size: 12680
    .kernarg_segment_align: 8
    .kernarg_segment_size: 112
    .language:       OpenCL C
    .language_version:
      - 2
      - 0
    .max_flat_workgroup_size: 384
    .name:           _ZN7rocprim17ROCPRIM_400000_NS6detail17trampoline_kernelINS0_14default_configENS1_25partition_config_selectorILNS1_17partition_subalgoE9EffbEEZZNS1_14partition_implILS5_9ELb0ES3_jN6thrust23THRUST_200600_302600_NS6detail15normal_iteratorINS9_10device_ptrIfEEEESE_PNS0_10empty_typeENS0_5tupleIJSE_SF_EEENSH_IJSE_SG_EEENS0_18inequality_wrapperINS9_8equal_toIfEEEEPmJSF_EEE10hipError_tPvRmT3_T4_T5_T6_T7_T9_mT8_P12ihipStream_tbDpT10_ENKUlT_T0_E_clISt17integral_constantIbLb0EES18_EEDaS13_S14_EUlS13_E_NS1_11comp_targetILNS1_3genE9ELNS1_11target_archE1100ELNS1_3gpuE3ELNS1_3repE0EEENS1_30default_config_static_selectorELNS0_4arch9wavefront6targetE0EEEvT1_
    .private_segment_fixed_size: 0
    .sgpr_count:     27
    .sgpr_spill_count: 0
    .symbol:         _ZN7rocprim17ROCPRIM_400000_NS6detail17trampoline_kernelINS0_14default_configENS1_25partition_config_selectorILNS1_17partition_subalgoE9EffbEEZZNS1_14partition_implILS5_9ELb0ES3_jN6thrust23THRUST_200600_302600_NS6detail15normal_iteratorINS9_10device_ptrIfEEEESE_PNS0_10empty_typeENS0_5tupleIJSE_SF_EEENSH_IJSE_SG_EEENS0_18inequality_wrapperINS9_8equal_toIfEEEEPmJSF_EEE10hipError_tPvRmT3_T4_T5_T6_T7_T9_mT8_P12ihipStream_tbDpT10_ENKUlT_T0_E_clISt17integral_constantIbLb0EES18_EEDaS13_S14_EUlS13_E_NS1_11comp_targetILNS1_3genE9ELNS1_11target_archE1100ELNS1_3gpuE3ELNS1_3repE0EEENS1_30default_config_static_selectorELNS0_4arch9wavefront6targetE0EEEvT1_.kd
    .uniform_work_group_size: 1
    .uses_dynamic_stack: false
    .vgpr_count:     51
    .vgpr_spill_count: 0
    .wavefront_size: 32
    .workgroup_processor_mode: 1
  - .args:
      - .offset:         0
        .size:           112
        .value_kind:     by_value
    .group_segment_fixed_size: 0
    .kernarg_segment_align: 8
    .kernarg_segment_size: 112
    .language:       OpenCL C
    .language_version:
      - 2
      - 0
    .max_flat_workgroup_size: 512
    .name:           _ZN7rocprim17ROCPRIM_400000_NS6detail17trampoline_kernelINS0_14default_configENS1_25partition_config_selectorILNS1_17partition_subalgoE9EffbEEZZNS1_14partition_implILS5_9ELb0ES3_jN6thrust23THRUST_200600_302600_NS6detail15normal_iteratorINS9_10device_ptrIfEEEESE_PNS0_10empty_typeENS0_5tupleIJSE_SF_EEENSH_IJSE_SG_EEENS0_18inequality_wrapperINS9_8equal_toIfEEEEPmJSF_EEE10hipError_tPvRmT3_T4_T5_T6_T7_T9_mT8_P12ihipStream_tbDpT10_ENKUlT_T0_E_clISt17integral_constantIbLb0EES18_EEDaS13_S14_EUlS13_E_NS1_11comp_targetILNS1_3genE8ELNS1_11target_archE1030ELNS1_3gpuE2ELNS1_3repE0EEENS1_30default_config_static_selectorELNS0_4arch9wavefront6targetE0EEEvT1_
    .private_segment_fixed_size: 0
    .sgpr_count:     0
    .sgpr_spill_count: 0
    .symbol:         _ZN7rocprim17ROCPRIM_400000_NS6detail17trampoline_kernelINS0_14default_configENS1_25partition_config_selectorILNS1_17partition_subalgoE9EffbEEZZNS1_14partition_implILS5_9ELb0ES3_jN6thrust23THRUST_200600_302600_NS6detail15normal_iteratorINS9_10device_ptrIfEEEESE_PNS0_10empty_typeENS0_5tupleIJSE_SF_EEENSH_IJSE_SG_EEENS0_18inequality_wrapperINS9_8equal_toIfEEEEPmJSF_EEE10hipError_tPvRmT3_T4_T5_T6_T7_T9_mT8_P12ihipStream_tbDpT10_ENKUlT_T0_E_clISt17integral_constantIbLb0EES18_EEDaS13_S14_EUlS13_E_NS1_11comp_targetILNS1_3genE8ELNS1_11target_archE1030ELNS1_3gpuE2ELNS1_3repE0EEENS1_30default_config_static_selectorELNS0_4arch9wavefront6targetE0EEEvT1_.kd
    .uniform_work_group_size: 1
    .uses_dynamic_stack: false
    .vgpr_count:     0
    .vgpr_spill_count: 0
    .wavefront_size: 32
    .workgroup_processor_mode: 1
  - .args:
      - .offset:         0
        .size:           128
        .value_kind:     by_value
    .group_segment_fixed_size: 0
    .kernarg_segment_align: 8
    .kernarg_segment_size: 128
    .language:       OpenCL C
    .language_version:
      - 2
      - 0
    .max_flat_workgroup_size: 256
    .name:           _ZN7rocprim17ROCPRIM_400000_NS6detail17trampoline_kernelINS0_14default_configENS1_25partition_config_selectorILNS1_17partition_subalgoE9EffbEEZZNS1_14partition_implILS5_9ELb0ES3_jN6thrust23THRUST_200600_302600_NS6detail15normal_iteratorINS9_10device_ptrIfEEEESE_PNS0_10empty_typeENS0_5tupleIJSE_SF_EEENSH_IJSE_SG_EEENS0_18inequality_wrapperINS9_8equal_toIfEEEEPmJSF_EEE10hipError_tPvRmT3_T4_T5_T6_T7_T9_mT8_P12ihipStream_tbDpT10_ENKUlT_T0_E_clISt17integral_constantIbLb1EES18_EEDaS13_S14_EUlS13_E_NS1_11comp_targetILNS1_3genE0ELNS1_11target_archE4294967295ELNS1_3gpuE0ELNS1_3repE0EEENS1_30default_config_static_selectorELNS0_4arch9wavefront6targetE0EEEvT1_
    .private_segment_fixed_size: 0
    .sgpr_count:     0
    .sgpr_spill_count: 0
    .symbol:         _ZN7rocprim17ROCPRIM_400000_NS6detail17trampoline_kernelINS0_14default_configENS1_25partition_config_selectorILNS1_17partition_subalgoE9EffbEEZZNS1_14partition_implILS5_9ELb0ES3_jN6thrust23THRUST_200600_302600_NS6detail15normal_iteratorINS9_10device_ptrIfEEEESE_PNS0_10empty_typeENS0_5tupleIJSE_SF_EEENSH_IJSE_SG_EEENS0_18inequality_wrapperINS9_8equal_toIfEEEEPmJSF_EEE10hipError_tPvRmT3_T4_T5_T6_T7_T9_mT8_P12ihipStream_tbDpT10_ENKUlT_T0_E_clISt17integral_constantIbLb1EES18_EEDaS13_S14_EUlS13_E_NS1_11comp_targetILNS1_3genE0ELNS1_11target_archE4294967295ELNS1_3gpuE0ELNS1_3repE0EEENS1_30default_config_static_selectorELNS0_4arch9wavefront6targetE0EEEvT1_.kd
    .uniform_work_group_size: 1
    .uses_dynamic_stack: false
    .vgpr_count:     0
    .vgpr_spill_count: 0
    .wavefront_size: 32
    .workgroup_processor_mode: 1
  - .args:
      - .offset:         0
        .size:           128
        .value_kind:     by_value
    .group_segment_fixed_size: 0
    .kernarg_segment_align: 8
    .kernarg_segment_size: 128
    .language:       OpenCL C
    .language_version:
      - 2
      - 0
    .max_flat_workgroup_size: 512
    .name:           _ZN7rocprim17ROCPRIM_400000_NS6detail17trampoline_kernelINS0_14default_configENS1_25partition_config_selectorILNS1_17partition_subalgoE9EffbEEZZNS1_14partition_implILS5_9ELb0ES3_jN6thrust23THRUST_200600_302600_NS6detail15normal_iteratorINS9_10device_ptrIfEEEESE_PNS0_10empty_typeENS0_5tupleIJSE_SF_EEENSH_IJSE_SG_EEENS0_18inequality_wrapperINS9_8equal_toIfEEEEPmJSF_EEE10hipError_tPvRmT3_T4_T5_T6_T7_T9_mT8_P12ihipStream_tbDpT10_ENKUlT_T0_E_clISt17integral_constantIbLb1EES18_EEDaS13_S14_EUlS13_E_NS1_11comp_targetILNS1_3genE5ELNS1_11target_archE942ELNS1_3gpuE9ELNS1_3repE0EEENS1_30default_config_static_selectorELNS0_4arch9wavefront6targetE0EEEvT1_
    .private_segment_fixed_size: 0
    .sgpr_count:     0
    .sgpr_spill_count: 0
    .symbol:         _ZN7rocprim17ROCPRIM_400000_NS6detail17trampoline_kernelINS0_14default_configENS1_25partition_config_selectorILNS1_17partition_subalgoE9EffbEEZZNS1_14partition_implILS5_9ELb0ES3_jN6thrust23THRUST_200600_302600_NS6detail15normal_iteratorINS9_10device_ptrIfEEEESE_PNS0_10empty_typeENS0_5tupleIJSE_SF_EEENSH_IJSE_SG_EEENS0_18inequality_wrapperINS9_8equal_toIfEEEEPmJSF_EEE10hipError_tPvRmT3_T4_T5_T6_T7_T9_mT8_P12ihipStream_tbDpT10_ENKUlT_T0_E_clISt17integral_constantIbLb1EES18_EEDaS13_S14_EUlS13_E_NS1_11comp_targetILNS1_3genE5ELNS1_11target_archE942ELNS1_3gpuE9ELNS1_3repE0EEENS1_30default_config_static_selectorELNS0_4arch9wavefront6targetE0EEEvT1_.kd
    .uniform_work_group_size: 1
    .uses_dynamic_stack: false
    .vgpr_count:     0
    .vgpr_spill_count: 0
    .wavefront_size: 32
    .workgroup_processor_mode: 1
  - .args:
      - .offset:         0
        .size:           128
        .value_kind:     by_value
    .group_segment_fixed_size: 0
    .kernarg_segment_align: 8
    .kernarg_segment_size: 128
    .language:       OpenCL C
    .language_version:
      - 2
      - 0
    .max_flat_workgroup_size: 192
    .name:           _ZN7rocprim17ROCPRIM_400000_NS6detail17trampoline_kernelINS0_14default_configENS1_25partition_config_selectorILNS1_17partition_subalgoE9EffbEEZZNS1_14partition_implILS5_9ELb0ES3_jN6thrust23THRUST_200600_302600_NS6detail15normal_iteratorINS9_10device_ptrIfEEEESE_PNS0_10empty_typeENS0_5tupleIJSE_SF_EEENSH_IJSE_SG_EEENS0_18inequality_wrapperINS9_8equal_toIfEEEEPmJSF_EEE10hipError_tPvRmT3_T4_T5_T6_T7_T9_mT8_P12ihipStream_tbDpT10_ENKUlT_T0_E_clISt17integral_constantIbLb1EES18_EEDaS13_S14_EUlS13_E_NS1_11comp_targetILNS1_3genE4ELNS1_11target_archE910ELNS1_3gpuE8ELNS1_3repE0EEENS1_30default_config_static_selectorELNS0_4arch9wavefront6targetE0EEEvT1_
    .private_segment_fixed_size: 0
    .sgpr_count:     0
    .sgpr_spill_count: 0
    .symbol:         _ZN7rocprim17ROCPRIM_400000_NS6detail17trampoline_kernelINS0_14default_configENS1_25partition_config_selectorILNS1_17partition_subalgoE9EffbEEZZNS1_14partition_implILS5_9ELb0ES3_jN6thrust23THRUST_200600_302600_NS6detail15normal_iteratorINS9_10device_ptrIfEEEESE_PNS0_10empty_typeENS0_5tupleIJSE_SF_EEENSH_IJSE_SG_EEENS0_18inequality_wrapperINS9_8equal_toIfEEEEPmJSF_EEE10hipError_tPvRmT3_T4_T5_T6_T7_T9_mT8_P12ihipStream_tbDpT10_ENKUlT_T0_E_clISt17integral_constantIbLb1EES18_EEDaS13_S14_EUlS13_E_NS1_11comp_targetILNS1_3genE4ELNS1_11target_archE910ELNS1_3gpuE8ELNS1_3repE0EEENS1_30default_config_static_selectorELNS0_4arch9wavefront6targetE0EEEvT1_.kd
    .uniform_work_group_size: 1
    .uses_dynamic_stack: false
    .vgpr_count:     0
    .vgpr_spill_count: 0
    .wavefront_size: 32
    .workgroup_processor_mode: 1
  - .args:
      - .offset:         0
        .size:           128
        .value_kind:     by_value
    .group_segment_fixed_size: 0
    .kernarg_segment_align: 8
    .kernarg_segment_size: 128
    .language:       OpenCL C
    .language_version:
      - 2
      - 0
    .max_flat_workgroup_size: 256
    .name:           _ZN7rocprim17ROCPRIM_400000_NS6detail17trampoline_kernelINS0_14default_configENS1_25partition_config_selectorILNS1_17partition_subalgoE9EffbEEZZNS1_14partition_implILS5_9ELb0ES3_jN6thrust23THRUST_200600_302600_NS6detail15normal_iteratorINS9_10device_ptrIfEEEESE_PNS0_10empty_typeENS0_5tupleIJSE_SF_EEENSH_IJSE_SG_EEENS0_18inequality_wrapperINS9_8equal_toIfEEEEPmJSF_EEE10hipError_tPvRmT3_T4_T5_T6_T7_T9_mT8_P12ihipStream_tbDpT10_ENKUlT_T0_E_clISt17integral_constantIbLb1EES18_EEDaS13_S14_EUlS13_E_NS1_11comp_targetILNS1_3genE3ELNS1_11target_archE908ELNS1_3gpuE7ELNS1_3repE0EEENS1_30default_config_static_selectorELNS0_4arch9wavefront6targetE0EEEvT1_
    .private_segment_fixed_size: 0
    .sgpr_count:     0
    .sgpr_spill_count: 0
    .symbol:         _ZN7rocprim17ROCPRIM_400000_NS6detail17trampoline_kernelINS0_14default_configENS1_25partition_config_selectorILNS1_17partition_subalgoE9EffbEEZZNS1_14partition_implILS5_9ELb0ES3_jN6thrust23THRUST_200600_302600_NS6detail15normal_iteratorINS9_10device_ptrIfEEEESE_PNS0_10empty_typeENS0_5tupleIJSE_SF_EEENSH_IJSE_SG_EEENS0_18inequality_wrapperINS9_8equal_toIfEEEEPmJSF_EEE10hipError_tPvRmT3_T4_T5_T6_T7_T9_mT8_P12ihipStream_tbDpT10_ENKUlT_T0_E_clISt17integral_constantIbLb1EES18_EEDaS13_S14_EUlS13_E_NS1_11comp_targetILNS1_3genE3ELNS1_11target_archE908ELNS1_3gpuE7ELNS1_3repE0EEENS1_30default_config_static_selectorELNS0_4arch9wavefront6targetE0EEEvT1_.kd
    .uniform_work_group_size: 1
    .uses_dynamic_stack: false
    .vgpr_count:     0
    .vgpr_spill_count: 0
    .wavefront_size: 32
    .workgroup_processor_mode: 1
  - .args:
      - .offset:         0
        .size:           128
        .value_kind:     by_value
    .group_segment_fixed_size: 0
    .kernarg_segment_align: 8
    .kernarg_segment_size: 128
    .language:       OpenCL C
    .language_version:
      - 2
      - 0
    .max_flat_workgroup_size: 256
    .name:           _ZN7rocprim17ROCPRIM_400000_NS6detail17trampoline_kernelINS0_14default_configENS1_25partition_config_selectorILNS1_17partition_subalgoE9EffbEEZZNS1_14partition_implILS5_9ELb0ES3_jN6thrust23THRUST_200600_302600_NS6detail15normal_iteratorINS9_10device_ptrIfEEEESE_PNS0_10empty_typeENS0_5tupleIJSE_SF_EEENSH_IJSE_SG_EEENS0_18inequality_wrapperINS9_8equal_toIfEEEEPmJSF_EEE10hipError_tPvRmT3_T4_T5_T6_T7_T9_mT8_P12ihipStream_tbDpT10_ENKUlT_T0_E_clISt17integral_constantIbLb1EES18_EEDaS13_S14_EUlS13_E_NS1_11comp_targetILNS1_3genE2ELNS1_11target_archE906ELNS1_3gpuE6ELNS1_3repE0EEENS1_30default_config_static_selectorELNS0_4arch9wavefront6targetE0EEEvT1_
    .private_segment_fixed_size: 0
    .sgpr_count:     0
    .sgpr_spill_count: 0
    .symbol:         _ZN7rocprim17ROCPRIM_400000_NS6detail17trampoline_kernelINS0_14default_configENS1_25partition_config_selectorILNS1_17partition_subalgoE9EffbEEZZNS1_14partition_implILS5_9ELb0ES3_jN6thrust23THRUST_200600_302600_NS6detail15normal_iteratorINS9_10device_ptrIfEEEESE_PNS0_10empty_typeENS0_5tupleIJSE_SF_EEENSH_IJSE_SG_EEENS0_18inequality_wrapperINS9_8equal_toIfEEEEPmJSF_EEE10hipError_tPvRmT3_T4_T5_T6_T7_T9_mT8_P12ihipStream_tbDpT10_ENKUlT_T0_E_clISt17integral_constantIbLb1EES18_EEDaS13_S14_EUlS13_E_NS1_11comp_targetILNS1_3genE2ELNS1_11target_archE906ELNS1_3gpuE6ELNS1_3repE0EEENS1_30default_config_static_selectorELNS0_4arch9wavefront6targetE0EEEvT1_.kd
    .uniform_work_group_size: 1
    .uses_dynamic_stack: false
    .vgpr_count:     0
    .vgpr_spill_count: 0
    .wavefront_size: 32
    .workgroup_processor_mode: 1
  - .args:
      - .offset:         0
        .size:           128
        .value_kind:     by_value
    .group_segment_fixed_size: 0
    .kernarg_segment_align: 8
    .kernarg_segment_size: 128
    .language:       OpenCL C
    .language_version:
      - 2
      - 0
    .max_flat_workgroup_size: 384
    .name:           _ZN7rocprim17ROCPRIM_400000_NS6detail17trampoline_kernelINS0_14default_configENS1_25partition_config_selectorILNS1_17partition_subalgoE9EffbEEZZNS1_14partition_implILS5_9ELb0ES3_jN6thrust23THRUST_200600_302600_NS6detail15normal_iteratorINS9_10device_ptrIfEEEESE_PNS0_10empty_typeENS0_5tupleIJSE_SF_EEENSH_IJSE_SG_EEENS0_18inequality_wrapperINS9_8equal_toIfEEEEPmJSF_EEE10hipError_tPvRmT3_T4_T5_T6_T7_T9_mT8_P12ihipStream_tbDpT10_ENKUlT_T0_E_clISt17integral_constantIbLb1EES18_EEDaS13_S14_EUlS13_E_NS1_11comp_targetILNS1_3genE10ELNS1_11target_archE1200ELNS1_3gpuE4ELNS1_3repE0EEENS1_30default_config_static_selectorELNS0_4arch9wavefront6targetE0EEEvT1_
    .private_segment_fixed_size: 0
    .sgpr_count:     0
    .sgpr_spill_count: 0
    .symbol:         _ZN7rocprim17ROCPRIM_400000_NS6detail17trampoline_kernelINS0_14default_configENS1_25partition_config_selectorILNS1_17partition_subalgoE9EffbEEZZNS1_14partition_implILS5_9ELb0ES3_jN6thrust23THRUST_200600_302600_NS6detail15normal_iteratorINS9_10device_ptrIfEEEESE_PNS0_10empty_typeENS0_5tupleIJSE_SF_EEENSH_IJSE_SG_EEENS0_18inequality_wrapperINS9_8equal_toIfEEEEPmJSF_EEE10hipError_tPvRmT3_T4_T5_T6_T7_T9_mT8_P12ihipStream_tbDpT10_ENKUlT_T0_E_clISt17integral_constantIbLb1EES18_EEDaS13_S14_EUlS13_E_NS1_11comp_targetILNS1_3genE10ELNS1_11target_archE1200ELNS1_3gpuE4ELNS1_3repE0EEENS1_30default_config_static_selectorELNS0_4arch9wavefront6targetE0EEEvT1_.kd
    .uniform_work_group_size: 1
    .uses_dynamic_stack: false
    .vgpr_count:     0
    .vgpr_spill_count: 0
    .wavefront_size: 32
    .workgroup_processor_mode: 1
  - .args:
      - .offset:         0
        .size:           128
        .value_kind:     by_value
    .group_segment_fixed_size: 12680
    .kernarg_segment_align: 8
    .kernarg_segment_size: 128
    .language:       OpenCL C
    .language_version:
      - 2
      - 0
    .max_flat_workgroup_size: 384
    .name:           _ZN7rocprim17ROCPRIM_400000_NS6detail17trampoline_kernelINS0_14default_configENS1_25partition_config_selectorILNS1_17partition_subalgoE9EffbEEZZNS1_14partition_implILS5_9ELb0ES3_jN6thrust23THRUST_200600_302600_NS6detail15normal_iteratorINS9_10device_ptrIfEEEESE_PNS0_10empty_typeENS0_5tupleIJSE_SF_EEENSH_IJSE_SG_EEENS0_18inequality_wrapperINS9_8equal_toIfEEEEPmJSF_EEE10hipError_tPvRmT3_T4_T5_T6_T7_T9_mT8_P12ihipStream_tbDpT10_ENKUlT_T0_E_clISt17integral_constantIbLb1EES18_EEDaS13_S14_EUlS13_E_NS1_11comp_targetILNS1_3genE9ELNS1_11target_archE1100ELNS1_3gpuE3ELNS1_3repE0EEENS1_30default_config_static_selectorELNS0_4arch9wavefront6targetE0EEEvT1_
    .private_segment_fixed_size: 0
    .sgpr_count:     31
    .sgpr_spill_count: 0
    .symbol:         _ZN7rocprim17ROCPRIM_400000_NS6detail17trampoline_kernelINS0_14default_configENS1_25partition_config_selectorILNS1_17partition_subalgoE9EffbEEZZNS1_14partition_implILS5_9ELb0ES3_jN6thrust23THRUST_200600_302600_NS6detail15normal_iteratorINS9_10device_ptrIfEEEESE_PNS0_10empty_typeENS0_5tupleIJSE_SF_EEENSH_IJSE_SG_EEENS0_18inequality_wrapperINS9_8equal_toIfEEEEPmJSF_EEE10hipError_tPvRmT3_T4_T5_T6_T7_T9_mT8_P12ihipStream_tbDpT10_ENKUlT_T0_E_clISt17integral_constantIbLb1EES18_EEDaS13_S14_EUlS13_E_NS1_11comp_targetILNS1_3genE9ELNS1_11target_archE1100ELNS1_3gpuE3ELNS1_3repE0EEENS1_30default_config_static_selectorELNS0_4arch9wavefront6targetE0EEEvT1_.kd
    .uniform_work_group_size: 1
    .uses_dynamic_stack: false
    .vgpr_count:     51
    .vgpr_spill_count: 0
    .wavefront_size: 32
    .workgroup_processor_mode: 1
  - .args:
      - .offset:         0
        .size:           128
        .value_kind:     by_value
    .group_segment_fixed_size: 0
    .kernarg_segment_align: 8
    .kernarg_segment_size: 128
    .language:       OpenCL C
    .language_version:
      - 2
      - 0
    .max_flat_workgroup_size: 512
    .name:           _ZN7rocprim17ROCPRIM_400000_NS6detail17trampoline_kernelINS0_14default_configENS1_25partition_config_selectorILNS1_17partition_subalgoE9EffbEEZZNS1_14partition_implILS5_9ELb0ES3_jN6thrust23THRUST_200600_302600_NS6detail15normal_iteratorINS9_10device_ptrIfEEEESE_PNS0_10empty_typeENS0_5tupleIJSE_SF_EEENSH_IJSE_SG_EEENS0_18inequality_wrapperINS9_8equal_toIfEEEEPmJSF_EEE10hipError_tPvRmT3_T4_T5_T6_T7_T9_mT8_P12ihipStream_tbDpT10_ENKUlT_T0_E_clISt17integral_constantIbLb1EES18_EEDaS13_S14_EUlS13_E_NS1_11comp_targetILNS1_3genE8ELNS1_11target_archE1030ELNS1_3gpuE2ELNS1_3repE0EEENS1_30default_config_static_selectorELNS0_4arch9wavefront6targetE0EEEvT1_
    .private_segment_fixed_size: 0
    .sgpr_count:     0
    .sgpr_spill_count: 0
    .symbol:         _ZN7rocprim17ROCPRIM_400000_NS6detail17trampoline_kernelINS0_14default_configENS1_25partition_config_selectorILNS1_17partition_subalgoE9EffbEEZZNS1_14partition_implILS5_9ELb0ES3_jN6thrust23THRUST_200600_302600_NS6detail15normal_iteratorINS9_10device_ptrIfEEEESE_PNS0_10empty_typeENS0_5tupleIJSE_SF_EEENSH_IJSE_SG_EEENS0_18inequality_wrapperINS9_8equal_toIfEEEEPmJSF_EEE10hipError_tPvRmT3_T4_T5_T6_T7_T9_mT8_P12ihipStream_tbDpT10_ENKUlT_T0_E_clISt17integral_constantIbLb1EES18_EEDaS13_S14_EUlS13_E_NS1_11comp_targetILNS1_3genE8ELNS1_11target_archE1030ELNS1_3gpuE2ELNS1_3repE0EEENS1_30default_config_static_selectorELNS0_4arch9wavefront6targetE0EEEvT1_.kd
    .uniform_work_group_size: 1
    .uses_dynamic_stack: false
    .vgpr_count:     0
    .vgpr_spill_count: 0
    .wavefront_size: 32
    .workgroup_processor_mode: 1
  - .args:
      - .offset:         0
        .size:           112
        .value_kind:     by_value
    .group_segment_fixed_size: 0
    .kernarg_segment_align: 8
    .kernarg_segment_size: 112
    .language:       OpenCL C
    .language_version:
      - 2
      - 0
    .max_flat_workgroup_size: 256
    .name:           _ZN7rocprim17ROCPRIM_400000_NS6detail17trampoline_kernelINS0_14default_configENS1_25partition_config_selectorILNS1_17partition_subalgoE9EffbEEZZNS1_14partition_implILS5_9ELb0ES3_jN6thrust23THRUST_200600_302600_NS6detail15normal_iteratorINS9_10device_ptrIfEEEESE_PNS0_10empty_typeENS0_5tupleIJSE_SF_EEENSH_IJSE_SG_EEENS0_18inequality_wrapperINS9_8equal_toIfEEEEPmJSF_EEE10hipError_tPvRmT3_T4_T5_T6_T7_T9_mT8_P12ihipStream_tbDpT10_ENKUlT_T0_E_clISt17integral_constantIbLb1EES17_IbLb0EEEEDaS13_S14_EUlS13_E_NS1_11comp_targetILNS1_3genE0ELNS1_11target_archE4294967295ELNS1_3gpuE0ELNS1_3repE0EEENS1_30default_config_static_selectorELNS0_4arch9wavefront6targetE0EEEvT1_
    .private_segment_fixed_size: 0
    .sgpr_count:     0
    .sgpr_spill_count: 0
    .symbol:         _ZN7rocprim17ROCPRIM_400000_NS6detail17trampoline_kernelINS0_14default_configENS1_25partition_config_selectorILNS1_17partition_subalgoE9EffbEEZZNS1_14partition_implILS5_9ELb0ES3_jN6thrust23THRUST_200600_302600_NS6detail15normal_iteratorINS9_10device_ptrIfEEEESE_PNS0_10empty_typeENS0_5tupleIJSE_SF_EEENSH_IJSE_SG_EEENS0_18inequality_wrapperINS9_8equal_toIfEEEEPmJSF_EEE10hipError_tPvRmT3_T4_T5_T6_T7_T9_mT8_P12ihipStream_tbDpT10_ENKUlT_T0_E_clISt17integral_constantIbLb1EES17_IbLb0EEEEDaS13_S14_EUlS13_E_NS1_11comp_targetILNS1_3genE0ELNS1_11target_archE4294967295ELNS1_3gpuE0ELNS1_3repE0EEENS1_30default_config_static_selectorELNS0_4arch9wavefront6targetE0EEEvT1_.kd
    .uniform_work_group_size: 1
    .uses_dynamic_stack: false
    .vgpr_count:     0
    .vgpr_spill_count: 0
    .wavefront_size: 32
    .workgroup_processor_mode: 1
  - .args:
      - .offset:         0
        .size:           112
        .value_kind:     by_value
    .group_segment_fixed_size: 0
    .kernarg_segment_align: 8
    .kernarg_segment_size: 112
    .language:       OpenCL C
    .language_version:
      - 2
      - 0
    .max_flat_workgroup_size: 512
    .name:           _ZN7rocprim17ROCPRIM_400000_NS6detail17trampoline_kernelINS0_14default_configENS1_25partition_config_selectorILNS1_17partition_subalgoE9EffbEEZZNS1_14partition_implILS5_9ELb0ES3_jN6thrust23THRUST_200600_302600_NS6detail15normal_iteratorINS9_10device_ptrIfEEEESE_PNS0_10empty_typeENS0_5tupleIJSE_SF_EEENSH_IJSE_SG_EEENS0_18inequality_wrapperINS9_8equal_toIfEEEEPmJSF_EEE10hipError_tPvRmT3_T4_T5_T6_T7_T9_mT8_P12ihipStream_tbDpT10_ENKUlT_T0_E_clISt17integral_constantIbLb1EES17_IbLb0EEEEDaS13_S14_EUlS13_E_NS1_11comp_targetILNS1_3genE5ELNS1_11target_archE942ELNS1_3gpuE9ELNS1_3repE0EEENS1_30default_config_static_selectorELNS0_4arch9wavefront6targetE0EEEvT1_
    .private_segment_fixed_size: 0
    .sgpr_count:     0
    .sgpr_spill_count: 0
    .symbol:         _ZN7rocprim17ROCPRIM_400000_NS6detail17trampoline_kernelINS0_14default_configENS1_25partition_config_selectorILNS1_17partition_subalgoE9EffbEEZZNS1_14partition_implILS5_9ELb0ES3_jN6thrust23THRUST_200600_302600_NS6detail15normal_iteratorINS9_10device_ptrIfEEEESE_PNS0_10empty_typeENS0_5tupleIJSE_SF_EEENSH_IJSE_SG_EEENS0_18inequality_wrapperINS9_8equal_toIfEEEEPmJSF_EEE10hipError_tPvRmT3_T4_T5_T6_T7_T9_mT8_P12ihipStream_tbDpT10_ENKUlT_T0_E_clISt17integral_constantIbLb1EES17_IbLb0EEEEDaS13_S14_EUlS13_E_NS1_11comp_targetILNS1_3genE5ELNS1_11target_archE942ELNS1_3gpuE9ELNS1_3repE0EEENS1_30default_config_static_selectorELNS0_4arch9wavefront6targetE0EEEvT1_.kd
    .uniform_work_group_size: 1
    .uses_dynamic_stack: false
    .vgpr_count:     0
    .vgpr_spill_count: 0
    .wavefront_size: 32
    .workgroup_processor_mode: 1
  - .args:
      - .offset:         0
        .size:           112
        .value_kind:     by_value
    .group_segment_fixed_size: 0
    .kernarg_segment_align: 8
    .kernarg_segment_size: 112
    .language:       OpenCL C
    .language_version:
      - 2
      - 0
    .max_flat_workgroup_size: 192
    .name:           _ZN7rocprim17ROCPRIM_400000_NS6detail17trampoline_kernelINS0_14default_configENS1_25partition_config_selectorILNS1_17partition_subalgoE9EffbEEZZNS1_14partition_implILS5_9ELb0ES3_jN6thrust23THRUST_200600_302600_NS6detail15normal_iteratorINS9_10device_ptrIfEEEESE_PNS0_10empty_typeENS0_5tupleIJSE_SF_EEENSH_IJSE_SG_EEENS0_18inequality_wrapperINS9_8equal_toIfEEEEPmJSF_EEE10hipError_tPvRmT3_T4_T5_T6_T7_T9_mT8_P12ihipStream_tbDpT10_ENKUlT_T0_E_clISt17integral_constantIbLb1EES17_IbLb0EEEEDaS13_S14_EUlS13_E_NS1_11comp_targetILNS1_3genE4ELNS1_11target_archE910ELNS1_3gpuE8ELNS1_3repE0EEENS1_30default_config_static_selectorELNS0_4arch9wavefront6targetE0EEEvT1_
    .private_segment_fixed_size: 0
    .sgpr_count:     0
    .sgpr_spill_count: 0
    .symbol:         _ZN7rocprim17ROCPRIM_400000_NS6detail17trampoline_kernelINS0_14default_configENS1_25partition_config_selectorILNS1_17partition_subalgoE9EffbEEZZNS1_14partition_implILS5_9ELb0ES3_jN6thrust23THRUST_200600_302600_NS6detail15normal_iteratorINS9_10device_ptrIfEEEESE_PNS0_10empty_typeENS0_5tupleIJSE_SF_EEENSH_IJSE_SG_EEENS0_18inequality_wrapperINS9_8equal_toIfEEEEPmJSF_EEE10hipError_tPvRmT3_T4_T5_T6_T7_T9_mT8_P12ihipStream_tbDpT10_ENKUlT_T0_E_clISt17integral_constantIbLb1EES17_IbLb0EEEEDaS13_S14_EUlS13_E_NS1_11comp_targetILNS1_3genE4ELNS1_11target_archE910ELNS1_3gpuE8ELNS1_3repE0EEENS1_30default_config_static_selectorELNS0_4arch9wavefront6targetE0EEEvT1_.kd
    .uniform_work_group_size: 1
    .uses_dynamic_stack: false
    .vgpr_count:     0
    .vgpr_spill_count: 0
    .wavefront_size: 32
    .workgroup_processor_mode: 1
  - .args:
      - .offset:         0
        .size:           112
        .value_kind:     by_value
    .group_segment_fixed_size: 0
    .kernarg_segment_align: 8
    .kernarg_segment_size: 112
    .language:       OpenCL C
    .language_version:
      - 2
      - 0
    .max_flat_workgroup_size: 256
    .name:           _ZN7rocprim17ROCPRIM_400000_NS6detail17trampoline_kernelINS0_14default_configENS1_25partition_config_selectorILNS1_17partition_subalgoE9EffbEEZZNS1_14partition_implILS5_9ELb0ES3_jN6thrust23THRUST_200600_302600_NS6detail15normal_iteratorINS9_10device_ptrIfEEEESE_PNS0_10empty_typeENS0_5tupleIJSE_SF_EEENSH_IJSE_SG_EEENS0_18inequality_wrapperINS9_8equal_toIfEEEEPmJSF_EEE10hipError_tPvRmT3_T4_T5_T6_T7_T9_mT8_P12ihipStream_tbDpT10_ENKUlT_T0_E_clISt17integral_constantIbLb1EES17_IbLb0EEEEDaS13_S14_EUlS13_E_NS1_11comp_targetILNS1_3genE3ELNS1_11target_archE908ELNS1_3gpuE7ELNS1_3repE0EEENS1_30default_config_static_selectorELNS0_4arch9wavefront6targetE0EEEvT1_
    .private_segment_fixed_size: 0
    .sgpr_count:     0
    .sgpr_spill_count: 0
    .symbol:         _ZN7rocprim17ROCPRIM_400000_NS6detail17trampoline_kernelINS0_14default_configENS1_25partition_config_selectorILNS1_17partition_subalgoE9EffbEEZZNS1_14partition_implILS5_9ELb0ES3_jN6thrust23THRUST_200600_302600_NS6detail15normal_iteratorINS9_10device_ptrIfEEEESE_PNS0_10empty_typeENS0_5tupleIJSE_SF_EEENSH_IJSE_SG_EEENS0_18inequality_wrapperINS9_8equal_toIfEEEEPmJSF_EEE10hipError_tPvRmT3_T4_T5_T6_T7_T9_mT8_P12ihipStream_tbDpT10_ENKUlT_T0_E_clISt17integral_constantIbLb1EES17_IbLb0EEEEDaS13_S14_EUlS13_E_NS1_11comp_targetILNS1_3genE3ELNS1_11target_archE908ELNS1_3gpuE7ELNS1_3repE0EEENS1_30default_config_static_selectorELNS0_4arch9wavefront6targetE0EEEvT1_.kd
    .uniform_work_group_size: 1
    .uses_dynamic_stack: false
    .vgpr_count:     0
    .vgpr_spill_count: 0
    .wavefront_size: 32
    .workgroup_processor_mode: 1
  - .args:
      - .offset:         0
        .size:           112
        .value_kind:     by_value
    .group_segment_fixed_size: 0
    .kernarg_segment_align: 8
    .kernarg_segment_size: 112
    .language:       OpenCL C
    .language_version:
      - 2
      - 0
    .max_flat_workgroup_size: 256
    .name:           _ZN7rocprim17ROCPRIM_400000_NS6detail17trampoline_kernelINS0_14default_configENS1_25partition_config_selectorILNS1_17partition_subalgoE9EffbEEZZNS1_14partition_implILS5_9ELb0ES3_jN6thrust23THRUST_200600_302600_NS6detail15normal_iteratorINS9_10device_ptrIfEEEESE_PNS0_10empty_typeENS0_5tupleIJSE_SF_EEENSH_IJSE_SG_EEENS0_18inequality_wrapperINS9_8equal_toIfEEEEPmJSF_EEE10hipError_tPvRmT3_T4_T5_T6_T7_T9_mT8_P12ihipStream_tbDpT10_ENKUlT_T0_E_clISt17integral_constantIbLb1EES17_IbLb0EEEEDaS13_S14_EUlS13_E_NS1_11comp_targetILNS1_3genE2ELNS1_11target_archE906ELNS1_3gpuE6ELNS1_3repE0EEENS1_30default_config_static_selectorELNS0_4arch9wavefront6targetE0EEEvT1_
    .private_segment_fixed_size: 0
    .sgpr_count:     0
    .sgpr_spill_count: 0
    .symbol:         _ZN7rocprim17ROCPRIM_400000_NS6detail17trampoline_kernelINS0_14default_configENS1_25partition_config_selectorILNS1_17partition_subalgoE9EffbEEZZNS1_14partition_implILS5_9ELb0ES3_jN6thrust23THRUST_200600_302600_NS6detail15normal_iteratorINS9_10device_ptrIfEEEESE_PNS0_10empty_typeENS0_5tupleIJSE_SF_EEENSH_IJSE_SG_EEENS0_18inequality_wrapperINS9_8equal_toIfEEEEPmJSF_EEE10hipError_tPvRmT3_T4_T5_T6_T7_T9_mT8_P12ihipStream_tbDpT10_ENKUlT_T0_E_clISt17integral_constantIbLb1EES17_IbLb0EEEEDaS13_S14_EUlS13_E_NS1_11comp_targetILNS1_3genE2ELNS1_11target_archE906ELNS1_3gpuE6ELNS1_3repE0EEENS1_30default_config_static_selectorELNS0_4arch9wavefront6targetE0EEEvT1_.kd
    .uniform_work_group_size: 1
    .uses_dynamic_stack: false
    .vgpr_count:     0
    .vgpr_spill_count: 0
    .wavefront_size: 32
    .workgroup_processor_mode: 1
  - .args:
      - .offset:         0
        .size:           112
        .value_kind:     by_value
    .group_segment_fixed_size: 0
    .kernarg_segment_align: 8
    .kernarg_segment_size: 112
    .language:       OpenCL C
    .language_version:
      - 2
      - 0
    .max_flat_workgroup_size: 384
    .name:           _ZN7rocprim17ROCPRIM_400000_NS6detail17trampoline_kernelINS0_14default_configENS1_25partition_config_selectorILNS1_17partition_subalgoE9EffbEEZZNS1_14partition_implILS5_9ELb0ES3_jN6thrust23THRUST_200600_302600_NS6detail15normal_iteratorINS9_10device_ptrIfEEEESE_PNS0_10empty_typeENS0_5tupleIJSE_SF_EEENSH_IJSE_SG_EEENS0_18inequality_wrapperINS9_8equal_toIfEEEEPmJSF_EEE10hipError_tPvRmT3_T4_T5_T6_T7_T9_mT8_P12ihipStream_tbDpT10_ENKUlT_T0_E_clISt17integral_constantIbLb1EES17_IbLb0EEEEDaS13_S14_EUlS13_E_NS1_11comp_targetILNS1_3genE10ELNS1_11target_archE1200ELNS1_3gpuE4ELNS1_3repE0EEENS1_30default_config_static_selectorELNS0_4arch9wavefront6targetE0EEEvT1_
    .private_segment_fixed_size: 0
    .sgpr_count:     0
    .sgpr_spill_count: 0
    .symbol:         _ZN7rocprim17ROCPRIM_400000_NS6detail17trampoline_kernelINS0_14default_configENS1_25partition_config_selectorILNS1_17partition_subalgoE9EffbEEZZNS1_14partition_implILS5_9ELb0ES3_jN6thrust23THRUST_200600_302600_NS6detail15normal_iteratorINS9_10device_ptrIfEEEESE_PNS0_10empty_typeENS0_5tupleIJSE_SF_EEENSH_IJSE_SG_EEENS0_18inequality_wrapperINS9_8equal_toIfEEEEPmJSF_EEE10hipError_tPvRmT3_T4_T5_T6_T7_T9_mT8_P12ihipStream_tbDpT10_ENKUlT_T0_E_clISt17integral_constantIbLb1EES17_IbLb0EEEEDaS13_S14_EUlS13_E_NS1_11comp_targetILNS1_3genE10ELNS1_11target_archE1200ELNS1_3gpuE4ELNS1_3repE0EEENS1_30default_config_static_selectorELNS0_4arch9wavefront6targetE0EEEvT1_.kd
    .uniform_work_group_size: 1
    .uses_dynamic_stack: false
    .vgpr_count:     0
    .vgpr_spill_count: 0
    .wavefront_size: 32
    .workgroup_processor_mode: 1
  - .args:
      - .offset:         0
        .size:           112
        .value_kind:     by_value
    .group_segment_fixed_size: 12680
    .kernarg_segment_align: 8
    .kernarg_segment_size: 112
    .language:       OpenCL C
    .language_version:
      - 2
      - 0
    .max_flat_workgroup_size: 384
    .name:           _ZN7rocprim17ROCPRIM_400000_NS6detail17trampoline_kernelINS0_14default_configENS1_25partition_config_selectorILNS1_17partition_subalgoE9EffbEEZZNS1_14partition_implILS5_9ELb0ES3_jN6thrust23THRUST_200600_302600_NS6detail15normal_iteratorINS9_10device_ptrIfEEEESE_PNS0_10empty_typeENS0_5tupleIJSE_SF_EEENSH_IJSE_SG_EEENS0_18inequality_wrapperINS9_8equal_toIfEEEEPmJSF_EEE10hipError_tPvRmT3_T4_T5_T6_T7_T9_mT8_P12ihipStream_tbDpT10_ENKUlT_T0_E_clISt17integral_constantIbLb1EES17_IbLb0EEEEDaS13_S14_EUlS13_E_NS1_11comp_targetILNS1_3genE9ELNS1_11target_archE1100ELNS1_3gpuE3ELNS1_3repE0EEENS1_30default_config_static_selectorELNS0_4arch9wavefront6targetE0EEEvT1_
    .private_segment_fixed_size: 0
    .sgpr_count:     27
    .sgpr_spill_count: 0
    .symbol:         _ZN7rocprim17ROCPRIM_400000_NS6detail17trampoline_kernelINS0_14default_configENS1_25partition_config_selectorILNS1_17partition_subalgoE9EffbEEZZNS1_14partition_implILS5_9ELb0ES3_jN6thrust23THRUST_200600_302600_NS6detail15normal_iteratorINS9_10device_ptrIfEEEESE_PNS0_10empty_typeENS0_5tupleIJSE_SF_EEENSH_IJSE_SG_EEENS0_18inequality_wrapperINS9_8equal_toIfEEEEPmJSF_EEE10hipError_tPvRmT3_T4_T5_T6_T7_T9_mT8_P12ihipStream_tbDpT10_ENKUlT_T0_E_clISt17integral_constantIbLb1EES17_IbLb0EEEEDaS13_S14_EUlS13_E_NS1_11comp_targetILNS1_3genE9ELNS1_11target_archE1100ELNS1_3gpuE3ELNS1_3repE0EEENS1_30default_config_static_selectorELNS0_4arch9wavefront6targetE0EEEvT1_.kd
    .uniform_work_group_size: 1
    .uses_dynamic_stack: false
    .vgpr_count:     51
    .vgpr_spill_count: 0
    .wavefront_size: 32
    .workgroup_processor_mode: 1
  - .args:
      - .offset:         0
        .size:           112
        .value_kind:     by_value
    .group_segment_fixed_size: 0
    .kernarg_segment_align: 8
    .kernarg_segment_size: 112
    .language:       OpenCL C
    .language_version:
      - 2
      - 0
    .max_flat_workgroup_size: 512
    .name:           _ZN7rocprim17ROCPRIM_400000_NS6detail17trampoline_kernelINS0_14default_configENS1_25partition_config_selectorILNS1_17partition_subalgoE9EffbEEZZNS1_14partition_implILS5_9ELb0ES3_jN6thrust23THRUST_200600_302600_NS6detail15normal_iteratorINS9_10device_ptrIfEEEESE_PNS0_10empty_typeENS0_5tupleIJSE_SF_EEENSH_IJSE_SG_EEENS0_18inequality_wrapperINS9_8equal_toIfEEEEPmJSF_EEE10hipError_tPvRmT3_T4_T5_T6_T7_T9_mT8_P12ihipStream_tbDpT10_ENKUlT_T0_E_clISt17integral_constantIbLb1EES17_IbLb0EEEEDaS13_S14_EUlS13_E_NS1_11comp_targetILNS1_3genE8ELNS1_11target_archE1030ELNS1_3gpuE2ELNS1_3repE0EEENS1_30default_config_static_selectorELNS0_4arch9wavefront6targetE0EEEvT1_
    .private_segment_fixed_size: 0
    .sgpr_count:     0
    .sgpr_spill_count: 0
    .symbol:         _ZN7rocprim17ROCPRIM_400000_NS6detail17trampoline_kernelINS0_14default_configENS1_25partition_config_selectorILNS1_17partition_subalgoE9EffbEEZZNS1_14partition_implILS5_9ELb0ES3_jN6thrust23THRUST_200600_302600_NS6detail15normal_iteratorINS9_10device_ptrIfEEEESE_PNS0_10empty_typeENS0_5tupleIJSE_SF_EEENSH_IJSE_SG_EEENS0_18inequality_wrapperINS9_8equal_toIfEEEEPmJSF_EEE10hipError_tPvRmT3_T4_T5_T6_T7_T9_mT8_P12ihipStream_tbDpT10_ENKUlT_T0_E_clISt17integral_constantIbLb1EES17_IbLb0EEEEDaS13_S14_EUlS13_E_NS1_11comp_targetILNS1_3genE8ELNS1_11target_archE1030ELNS1_3gpuE2ELNS1_3repE0EEENS1_30default_config_static_selectorELNS0_4arch9wavefront6targetE0EEEvT1_.kd
    .uniform_work_group_size: 1
    .uses_dynamic_stack: false
    .vgpr_count:     0
    .vgpr_spill_count: 0
    .wavefront_size: 32
    .workgroup_processor_mode: 1
  - .args:
      - .offset:         0
        .size:           128
        .value_kind:     by_value
    .group_segment_fixed_size: 0
    .kernarg_segment_align: 8
    .kernarg_segment_size: 128
    .language:       OpenCL C
    .language_version:
      - 2
      - 0
    .max_flat_workgroup_size: 256
    .name:           _ZN7rocprim17ROCPRIM_400000_NS6detail17trampoline_kernelINS0_14default_configENS1_25partition_config_selectorILNS1_17partition_subalgoE9EffbEEZZNS1_14partition_implILS5_9ELb0ES3_jN6thrust23THRUST_200600_302600_NS6detail15normal_iteratorINS9_10device_ptrIfEEEESE_PNS0_10empty_typeENS0_5tupleIJSE_SF_EEENSH_IJSE_SG_EEENS0_18inequality_wrapperINS9_8equal_toIfEEEEPmJSF_EEE10hipError_tPvRmT3_T4_T5_T6_T7_T9_mT8_P12ihipStream_tbDpT10_ENKUlT_T0_E_clISt17integral_constantIbLb0EES17_IbLb1EEEEDaS13_S14_EUlS13_E_NS1_11comp_targetILNS1_3genE0ELNS1_11target_archE4294967295ELNS1_3gpuE0ELNS1_3repE0EEENS1_30default_config_static_selectorELNS0_4arch9wavefront6targetE0EEEvT1_
    .private_segment_fixed_size: 0
    .sgpr_count:     0
    .sgpr_spill_count: 0
    .symbol:         _ZN7rocprim17ROCPRIM_400000_NS6detail17trampoline_kernelINS0_14default_configENS1_25partition_config_selectorILNS1_17partition_subalgoE9EffbEEZZNS1_14partition_implILS5_9ELb0ES3_jN6thrust23THRUST_200600_302600_NS6detail15normal_iteratorINS9_10device_ptrIfEEEESE_PNS0_10empty_typeENS0_5tupleIJSE_SF_EEENSH_IJSE_SG_EEENS0_18inequality_wrapperINS9_8equal_toIfEEEEPmJSF_EEE10hipError_tPvRmT3_T4_T5_T6_T7_T9_mT8_P12ihipStream_tbDpT10_ENKUlT_T0_E_clISt17integral_constantIbLb0EES17_IbLb1EEEEDaS13_S14_EUlS13_E_NS1_11comp_targetILNS1_3genE0ELNS1_11target_archE4294967295ELNS1_3gpuE0ELNS1_3repE0EEENS1_30default_config_static_selectorELNS0_4arch9wavefront6targetE0EEEvT1_.kd
    .uniform_work_group_size: 1
    .uses_dynamic_stack: false
    .vgpr_count:     0
    .vgpr_spill_count: 0
    .wavefront_size: 32
    .workgroup_processor_mode: 1
  - .args:
      - .offset:         0
        .size:           128
        .value_kind:     by_value
    .group_segment_fixed_size: 0
    .kernarg_segment_align: 8
    .kernarg_segment_size: 128
    .language:       OpenCL C
    .language_version:
      - 2
      - 0
    .max_flat_workgroup_size: 512
    .name:           _ZN7rocprim17ROCPRIM_400000_NS6detail17trampoline_kernelINS0_14default_configENS1_25partition_config_selectorILNS1_17partition_subalgoE9EffbEEZZNS1_14partition_implILS5_9ELb0ES3_jN6thrust23THRUST_200600_302600_NS6detail15normal_iteratorINS9_10device_ptrIfEEEESE_PNS0_10empty_typeENS0_5tupleIJSE_SF_EEENSH_IJSE_SG_EEENS0_18inequality_wrapperINS9_8equal_toIfEEEEPmJSF_EEE10hipError_tPvRmT3_T4_T5_T6_T7_T9_mT8_P12ihipStream_tbDpT10_ENKUlT_T0_E_clISt17integral_constantIbLb0EES17_IbLb1EEEEDaS13_S14_EUlS13_E_NS1_11comp_targetILNS1_3genE5ELNS1_11target_archE942ELNS1_3gpuE9ELNS1_3repE0EEENS1_30default_config_static_selectorELNS0_4arch9wavefront6targetE0EEEvT1_
    .private_segment_fixed_size: 0
    .sgpr_count:     0
    .sgpr_spill_count: 0
    .symbol:         _ZN7rocprim17ROCPRIM_400000_NS6detail17trampoline_kernelINS0_14default_configENS1_25partition_config_selectorILNS1_17partition_subalgoE9EffbEEZZNS1_14partition_implILS5_9ELb0ES3_jN6thrust23THRUST_200600_302600_NS6detail15normal_iteratorINS9_10device_ptrIfEEEESE_PNS0_10empty_typeENS0_5tupleIJSE_SF_EEENSH_IJSE_SG_EEENS0_18inequality_wrapperINS9_8equal_toIfEEEEPmJSF_EEE10hipError_tPvRmT3_T4_T5_T6_T7_T9_mT8_P12ihipStream_tbDpT10_ENKUlT_T0_E_clISt17integral_constantIbLb0EES17_IbLb1EEEEDaS13_S14_EUlS13_E_NS1_11comp_targetILNS1_3genE5ELNS1_11target_archE942ELNS1_3gpuE9ELNS1_3repE0EEENS1_30default_config_static_selectorELNS0_4arch9wavefront6targetE0EEEvT1_.kd
    .uniform_work_group_size: 1
    .uses_dynamic_stack: false
    .vgpr_count:     0
    .vgpr_spill_count: 0
    .wavefront_size: 32
    .workgroup_processor_mode: 1
  - .args:
      - .offset:         0
        .size:           128
        .value_kind:     by_value
    .group_segment_fixed_size: 0
    .kernarg_segment_align: 8
    .kernarg_segment_size: 128
    .language:       OpenCL C
    .language_version:
      - 2
      - 0
    .max_flat_workgroup_size: 192
    .name:           _ZN7rocprim17ROCPRIM_400000_NS6detail17trampoline_kernelINS0_14default_configENS1_25partition_config_selectorILNS1_17partition_subalgoE9EffbEEZZNS1_14partition_implILS5_9ELb0ES3_jN6thrust23THRUST_200600_302600_NS6detail15normal_iteratorINS9_10device_ptrIfEEEESE_PNS0_10empty_typeENS0_5tupleIJSE_SF_EEENSH_IJSE_SG_EEENS0_18inequality_wrapperINS9_8equal_toIfEEEEPmJSF_EEE10hipError_tPvRmT3_T4_T5_T6_T7_T9_mT8_P12ihipStream_tbDpT10_ENKUlT_T0_E_clISt17integral_constantIbLb0EES17_IbLb1EEEEDaS13_S14_EUlS13_E_NS1_11comp_targetILNS1_3genE4ELNS1_11target_archE910ELNS1_3gpuE8ELNS1_3repE0EEENS1_30default_config_static_selectorELNS0_4arch9wavefront6targetE0EEEvT1_
    .private_segment_fixed_size: 0
    .sgpr_count:     0
    .sgpr_spill_count: 0
    .symbol:         _ZN7rocprim17ROCPRIM_400000_NS6detail17trampoline_kernelINS0_14default_configENS1_25partition_config_selectorILNS1_17partition_subalgoE9EffbEEZZNS1_14partition_implILS5_9ELb0ES3_jN6thrust23THRUST_200600_302600_NS6detail15normal_iteratorINS9_10device_ptrIfEEEESE_PNS0_10empty_typeENS0_5tupleIJSE_SF_EEENSH_IJSE_SG_EEENS0_18inequality_wrapperINS9_8equal_toIfEEEEPmJSF_EEE10hipError_tPvRmT3_T4_T5_T6_T7_T9_mT8_P12ihipStream_tbDpT10_ENKUlT_T0_E_clISt17integral_constantIbLb0EES17_IbLb1EEEEDaS13_S14_EUlS13_E_NS1_11comp_targetILNS1_3genE4ELNS1_11target_archE910ELNS1_3gpuE8ELNS1_3repE0EEENS1_30default_config_static_selectorELNS0_4arch9wavefront6targetE0EEEvT1_.kd
    .uniform_work_group_size: 1
    .uses_dynamic_stack: false
    .vgpr_count:     0
    .vgpr_spill_count: 0
    .wavefront_size: 32
    .workgroup_processor_mode: 1
  - .args:
      - .offset:         0
        .size:           128
        .value_kind:     by_value
    .group_segment_fixed_size: 0
    .kernarg_segment_align: 8
    .kernarg_segment_size: 128
    .language:       OpenCL C
    .language_version:
      - 2
      - 0
    .max_flat_workgroup_size: 256
    .name:           _ZN7rocprim17ROCPRIM_400000_NS6detail17trampoline_kernelINS0_14default_configENS1_25partition_config_selectorILNS1_17partition_subalgoE9EffbEEZZNS1_14partition_implILS5_9ELb0ES3_jN6thrust23THRUST_200600_302600_NS6detail15normal_iteratorINS9_10device_ptrIfEEEESE_PNS0_10empty_typeENS0_5tupleIJSE_SF_EEENSH_IJSE_SG_EEENS0_18inequality_wrapperINS9_8equal_toIfEEEEPmJSF_EEE10hipError_tPvRmT3_T4_T5_T6_T7_T9_mT8_P12ihipStream_tbDpT10_ENKUlT_T0_E_clISt17integral_constantIbLb0EES17_IbLb1EEEEDaS13_S14_EUlS13_E_NS1_11comp_targetILNS1_3genE3ELNS1_11target_archE908ELNS1_3gpuE7ELNS1_3repE0EEENS1_30default_config_static_selectorELNS0_4arch9wavefront6targetE0EEEvT1_
    .private_segment_fixed_size: 0
    .sgpr_count:     0
    .sgpr_spill_count: 0
    .symbol:         _ZN7rocprim17ROCPRIM_400000_NS6detail17trampoline_kernelINS0_14default_configENS1_25partition_config_selectorILNS1_17partition_subalgoE9EffbEEZZNS1_14partition_implILS5_9ELb0ES3_jN6thrust23THRUST_200600_302600_NS6detail15normal_iteratorINS9_10device_ptrIfEEEESE_PNS0_10empty_typeENS0_5tupleIJSE_SF_EEENSH_IJSE_SG_EEENS0_18inequality_wrapperINS9_8equal_toIfEEEEPmJSF_EEE10hipError_tPvRmT3_T4_T5_T6_T7_T9_mT8_P12ihipStream_tbDpT10_ENKUlT_T0_E_clISt17integral_constantIbLb0EES17_IbLb1EEEEDaS13_S14_EUlS13_E_NS1_11comp_targetILNS1_3genE3ELNS1_11target_archE908ELNS1_3gpuE7ELNS1_3repE0EEENS1_30default_config_static_selectorELNS0_4arch9wavefront6targetE0EEEvT1_.kd
    .uniform_work_group_size: 1
    .uses_dynamic_stack: false
    .vgpr_count:     0
    .vgpr_spill_count: 0
    .wavefront_size: 32
    .workgroup_processor_mode: 1
  - .args:
      - .offset:         0
        .size:           128
        .value_kind:     by_value
    .group_segment_fixed_size: 0
    .kernarg_segment_align: 8
    .kernarg_segment_size: 128
    .language:       OpenCL C
    .language_version:
      - 2
      - 0
    .max_flat_workgroup_size: 256
    .name:           _ZN7rocprim17ROCPRIM_400000_NS6detail17trampoline_kernelINS0_14default_configENS1_25partition_config_selectorILNS1_17partition_subalgoE9EffbEEZZNS1_14partition_implILS5_9ELb0ES3_jN6thrust23THRUST_200600_302600_NS6detail15normal_iteratorINS9_10device_ptrIfEEEESE_PNS0_10empty_typeENS0_5tupleIJSE_SF_EEENSH_IJSE_SG_EEENS0_18inequality_wrapperINS9_8equal_toIfEEEEPmJSF_EEE10hipError_tPvRmT3_T4_T5_T6_T7_T9_mT8_P12ihipStream_tbDpT10_ENKUlT_T0_E_clISt17integral_constantIbLb0EES17_IbLb1EEEEDaS13_S14_EUlS13_E_NS1_11comp_targetILNS1_3genE2ELNS1_11target_archE906ELNS1_3gpuE6ELNS1_3repE0EEENS1_30default_config_static_selectorELNS0_4arch9wavefront6targetE0EEEvT1_
    .private_segment_fixed_size: 0
    .sgpr_count:     0
    .sgpr_spill_count: 0
    .symbol:         _ZN7rocprim17ROCPRIM_400000_NS6detail17trampoline_kernelINS0_14default_configENS1_25partition_config_selectorILNS1_17partition_subalgoE9EffbEEZZNS1_14partition_implILS5_9ELb0ES3_jN6thrust23THRUST_200600_302600_NS6detail15normal_iteratorINS9_10device_ptrIfEEEESE_PNS0_10empty_typeENS0_5tupleIJSE_SF_EEENSH_IJSE_SG_EEENS0_18inequality_wrapperINS9_8equal_toIfEEEEPmJSF_EEE10hipError_tPvRmT3_T4_T5_T6_T7_T9_mT8_P12ihipStream_tbDpT10_ENKUlT_T0_E_clISt17integral_constantIbLb0EES17_IbLb1EEEEDaS13_S14_EUlS13_E_NS1_11comp_targetILNS1_3genE2ELNS1_11target_archE906ELNS1_3gpuE6ELNS1_3repE0EEENS1_30default_config_static_selectorELNS0_4arch9wavefront6targetE0EEEvT1_.kd
    .uniform_work_group_size: 1
    .uses_dynamic_stack: false
    .vgpr_count:     0
    .vgpr_spill_count: 0
    .wavefront_size: 32
    .workgroup_processor_mode: 1
  - .args:
      - .offset:         0
        .size:           128
        .value_kind:     by_value
    .group_segment_fixed_size: 0
    .kernarg_segment_align: 8
    .kernarg_segment_size: 128
    .language:       OpenCL C
    .language_version:
      - 2
      - 0
    .max_flat_workgroup_size: 384
    .name:           _ZN7rocprim17ROCPRIM_400000_NS6detail17trampoline_kernelINS0_14default_configENS1_25partition_config_selectorILNS1_17partition_subalgoE9EffbEEZZNS1_14partition_implILS5_9ELb0ES3_jN6thrust23THRUST_200600_302600_NS6detail15normal_iteratorINS9_10device_ptrIfEEEESE_PNS0_10empty_typeENS0_5tupleIJSE_SF_EEENSH_IJSE_SG_EEENS0_18inequality_wrapperINS9_8equal_toIfEEEEPmJSF_EEE10hipError_tPvRmT3_T4_T5_T6_T7_T9_mT8_P12ihipStream_tbDpT10_ENKUlT_T0_E_clISt17integral_constantIbLb0EES17_IbLb1EEEEDaS13_S14_EUlS13_E_NS1_11comp_targetILNS1_3genE10ELNS1_11target_archE1200ELNS1_3gpuE4ELNS1_3repE0EEENS1_30default_config_static_selectorELNS0_4arch9wavefront6targetE0EEEvT1_
    .private_segment_fixed_size: 0
    .sgpr_count:     0
    .sgpr_spill_count: 0
    .symbol:         _ZN7rocprim17ROCPRIM_400000_NS6detail17trampoline_kernelINS0_14default_configENS1_25partition_config_selectorILNS1_17partition_subalgoE9EffbEEZZNS1_14partition_implILS5_9ELb0ES3_jN6thrust23THRUST_200600_302600_NS6detail15normal_iteratorINS9_10device_ptrIfEEEESE_PNS0_10empty_typeENS0_5tupleIJSE_SF_EEENSH_IJSE_SG_EEENS0_18inequality_wrapperINS9_8equal_toIfEEEEPmJSF_EEE10hipError_tPvRmT3_T4_T5_T6_T7_T9_mT8_P12ihipStream_tbDpT10_ENKUlT_T0_E_clISt17integral_constantIbLb0EES17_IbLb1EEEEDaS13_S14_EUlS13_E_NS1_11comp_targetILNS1_3genE10ELNS1_11target_archE1200ELNS1_3gpuE4ELNS1_3repE0EEENS1_30default_config_static_selectorELNS0_4arch9wavefront6targetE0EEEvT1_.kd
    .uniform_work_group_size: 1
    .uses_dynamic_stack: false
    .vgpr_count:     0
    .vgpr_spill_count: 0
    .wavefront_size: 32
    .workgroup_processor_mode: 1
  - .args:
      - .offset:         0
        .size:           128
        .value_kind:     by_value
    .group_segment_fixed_size: 12680
    .kernarg_segment_align: 8
    .kernarg_segment_size: 128
    .language:       OpenCL C
    .language_version:
      - 2
      - 0
    .max_flat_workgroup_size: 384
    .name:           _ZN7rocprim17ROCPRIM_400000_NS6detail17trampoline_kernelINS0_14default_configENS1_25partition_config_selectorILNS1_17partition_subalgoE9EffbEEZZNS1_14partition_implILS5_9ELb0ES3_jN6thrust23THRUST_200600_302600_NS6detail15normal_iteratorINS9_10device_ptrIfEEEESE_PNS0_10empty_typeENS0_5tupleIJSE_SF_EEENSH_IJSE_SG_EEENS0_18inequality_wrapperINS9_8equal_toIfEEEEPmJSF_EEE10hipError_tPvRmT3_T4_T5_T6_T7_T9_mT8_P12ihipStream_tbDpT10_ENKUlT_T0_E_clISt17integral_constantIbLb0EES17_IbLb1EEEEDaS13_S14_EUlS13_E_NS1_11comp_targetILNS1_3genE9ELNS1_11target_archE1100ELNS1_3gpuE3ELNS1_3repE0EEENS1_30default_config_static_selectorELNS0_4arch9wavefront6targetE0EEEvT1_
    .private_segment_fixed_size: 0
    .sgpr_count:     31
    .sgpr_spill_count: 0
    .symbol:         _ZN7rocprim17ROCPRIM_400000_NS6detail17trampoline_kernelINS0_14default_configENS1_25partition_config_selectorILNS1_17partition_subalgoE9EffbEEZZNS1_14partition_implILS5_9ELb0ES3_jN6thrust23THRUST_200600_302600_NS6detail15normal_iteratorINS9_10device_ptrIfEEEESE_PNS0_10empty_typeENS0_5tupleIJSE_SF_EEENSH_IJSE_SG_EEENS0_18inequality_wrapperINS9_8equal_toIfEEEEPmJSF_EEE10hipError_tPvRmT3_T4_T5_T6_T7_T9_mT8_P12ihipStream_tbDpT10_ENKUlT_T0_E_clISt17integral_constantIbLb0EES17_IbLb1EEEEDaS13_S14_EUlS13_E_NS1_11comp_targetILNS1_3genE9ELNS1_11target_archE1100ELNS1_3gpuE3ELNS1_3repE0EEENS1_30default_config_static_selectorELNS0_4arch9wavefront6targetE0EEEvT1_.kd
    .uniform_work_group_size: 1
    .uses_dynamic_stack: false
    .vgpr_count:     51
    .vgpr_spill_count: 0
    .wavefront_size: 32
    .workgroup_processor_mode: 1
  - .args:
      - .offset:         0
        .size:           128
        .value_kind:     by_value
    .group_segment_fixed_size: 0
    .kernarg_segment_align: 8
    .kernarg_segment_size: 128
    .language:       OpenCL C
    .language_version:
      - 2
      - 0
    .max_flat_workgroup_size: 512
    .name:           _ZN7rocprim17ROCPRIM_400000_NS6detail17trampoline_kernelINS0_14default_configENS1_25partition_config_selectorILNS1_17partition_subalgoE9EffbEEZZNS1_14partition_implILS5_9ELb0ES3_jN6thrust23THRUST_200600_302600_NS6detail15normal_iteratorINS9_10device_ptrIfEEEESE_PNS0_10empty_typeENS0_5tupleIJSE_SF_EEENSH_IJSE_SG_EEENS0_18inequality_wrapperINS9_8equal_toIfEEEEPmJSF_EEE10hipError_tPvRmT3_T4_T5_T6_T7_T9_mT8_P12ihipStream_tbDpT10_ENKUlT_T0_E_clISt17integral_constantIbLb0EES17_IbLb1EEEEDaS13_S14_EUlS13_E_NS1_11comp_targetILNS1_3genE8ELNS1_11target_archE1030ELNS1_3gpuE2ELNS1_3repE0EEENS1_30default_config_static_selectorELNS0_4arch9wavefront6targetE0EEEvT1_
    .private_segment_fixed_size: 0
    .sgpr_count:     0
    .sgpr_spill_count: 0
    .symbol:         _ZN7rocprim17ROCPRIM_400000_NS6detail17trampoline_kernelINS0_14default_configENS1_25partition_config_selectorILNS1_17partition_subalgoE9EffbEEZZNS1_14partition_implILS5_9ELb0ES3_jN6thrust23THRUST_200600_302600_NS6detail15normal_iteratorINS9_10device_ptrIfEEEESE_PNS0_10empty_typeENS0_5tupleIJSE_SF_EEENSH_IJSE_SG_EEENS0_18inequality_wrapperINS9_8equal_toIfEEEEPmJSF_EEE10hipError_tPvRmT3_T4_T5_T6_T7_T9_mT8_P12ihipStream_tbDpT10_ENKUlT_T0_E_clISt17integral_constantIbLb0EES17_IbLb1EEEEDaS13_S14_EUlS13_E_NS1_11comp_targetILNS1_3genE8ELNS1_11target_archE1030ELNS1_3gpuE2ELNS1_3repE0EEENS1_30default_config_static_selectorELNS0_4arch9wavefront6targetE0EEEvT1_.kd
    .uniform_work_group_size: 1
    .uses_dynamic_stack: false
    .vgpr_count:     0
    .vgpr_spill_count: 0
    .wavefront_size: 32
    .workgroup_processor_mode: 1
  - .args:
      - .offset:         0
        .size:           112
        .value_kind:     by_value
    .group_segment_fixed_size: 0
    .kernarg_segment_align: 8
    .kernarg_segment_size: 112
    .language:       OpenCL C
    .language_version:
      - 2
      - 0
    .max_flat_workgroup_size: 256
    .name:           _ZN7rocprim17ROCPRIM_400000_NS6detail17trampoline_kernelINS0_14default_configENS1_25partition_config_selectorILNS1_17partition_subalgoE9EffbEEZZNS1_14partition_implILS5_9ELb0ES3_jN6thrust23THRUST_200600_302600_NS6detail15normal_iteratorINS9_10device_ptrIfEEEESE_PNS0_10empty_typeENS0_5tupleIJSE_SF_EEENSH_IJSE_SG_EEENS0_18inequality_wrapperI22is_equal_div_10_uniqueIfEEEPmJSF_EEE10hipError_tPvRmT3_T4_T5_T6_T7_T9_mT8_P12ihipStream_tbDpT10_ENKUlT_T0_E_clISt17integral_constantIbLb0EES18_EEDaS13_S14_EUlS13_E_NS1_11comp_targetILNS1_3genE0ELNS1_11target_archE4294967295ELNS1_3gpuE0ELNS1_3repE0EEENS1_30default_config_static_selectorELNS0_4arch9wavefront6targetE0EEEvT1_
    .private_segment_fixed_size: 0
    .sgpr_count:     0
    .sgpr_spill_count: 0
    .symbol:         _ZN7rocprim17ROCPRIM_400000_NS6detail17trampoline_kernelINS0_14default_configENS1_25partition_config_selectorILNS1_17partition_subalgoE9EffbEEZZNS1_14partition_implILS5_9ELb0ES3_jN6thrust23THRUST_200600_302600_NS6detail15normal_iteratorINS9_10device_ptrIfEEEESE_PNS0_10empty_typeENS0_5tupleIJSE_SF_EEENSH_IJSE_SG_EEENS0_18inequality_wrapperI22is_equal_div_10_uniqueIfEEEPmJSF_EEE10hipError_tPvRmT3_T4_T5_T6_T7_T9_mT8_P12ihipStream_tbDpT10_ENKUlT_T0_E_clISt17integral_constantIbLb0EES18_EEDaS13_S14_EUlS13_E_NS1_11comp_targetILNS1_3genE0ELNS1_11target_archE4294967295ELNS1_3gpuE0ELNS1_3repE0EEENS1_30default_config_static_selectorELNS0_4arch9wavefront6targetE0EEEvT1_.kd
    .uniform_work_group_size: 1
    .uses_dynamic_stack: false
    .vgpr_count:     0
    .vgpr_spill_count: 0
    .wavefront_size: 32
    .workgroup_processor_mode: 1
  - .args:
      - .offset:         0
        .size:           112
        .value_kind:     by_value
    .group_segment_fixed_size: 0
    .kernarg_segment_align: 8
    .kernarg_segment_size: 112
    .language:       OpenCL C
    .language_version:
      - 2
      - 0
    .max_flat_workgroup_size: 512
    .name:           _ZN7rocprim17ROCPRIM_400000_NS6detail17trampoline_kernelINS0_14default_configENS1_25partition_config_selectorILNS1_17partition_subalgoE9EffbEEZZNS1_14partition_implILS5_9ELb0ES3_jN6thrust23THRUST_200600_302600_NS6detail15normal_iteratorINS9_10device_ptrIfEEEESE_PNS0_10empty_typeENS0_5tupleIJSE_SF_EEENSH_IJSE_SG_EEENS0_18inequality_wrapperI22is_equal_div_10_uniqueIfEEEPmJSF_EEE10hipError_tPvRmT3_T4_T5_T6_T7_T9_mT8_P12ihipStream_tbDpT10_ENKUlT_T0_E_clISt17integral_constantIbLb0EES18_EEDaS13_S14_EUlS13_E_NS1_11comp_targetILNS1_3genE5ELNS1_11target_archE942ELNS1_3gpuE9ELNS1_3repE0EEENS1_30default_config_static_selectorELNS0_4arch9wavefront6targetE0EEEvT1_
    .private_segment_fixed_size: 0
    .sgpr_count:     0
    .sgpr_spill_count: 0
    .symbol:         _ZN7rocprim17ROCPRIM_400000_NS6detail17trampoline_kernelINS0_14default_configENS1_25partition_config_selectorILNS1_17partition_subalgoE9EffbEEZZNS1_14partition_implILS5_9ELb0ES3_jN6thrust23THRUST_200600_302600_NS6detail15normal_iteratorINS9_10device_ptrIfEEEESE_PNS0_10empty_typeENS0_5tupleIJSE_SF_EEENSH_IJSE_SG_EEENS0_18inequality_wrapperI22is_equal_div_10_uniqueIfEEEPmJSF_EEE10hipError_tPvRmT3_T4_T5_T6_T7_T9_mT8_P12ihipStream_tbDpT10_ENKUlT_T0_E_clISt17integral_constantIbLb0EES18_EEDaS13_S14_EUlS13_E_NS1_11comp_targetILNS1_3genE5ELNS1_11target_archE942ELNS1_3gpuE9ELNS1_3repE0EEENS1_30default_config_static_selectorELNS0_4arch9wavefront6targetE0EEEvT1_.kd
    .uniform_work_group_size: 1
    .uses_dynamic_stack: false
    .vgpr_count:     0
    .vgpr_spill_count: 0
    .wavefront_size: 32
    .workgroup_processor_mode: 1
  - .args:
      - .offset:         0
        .size:           112
        .value_kind:     by_value
    .group_segment_fixed_size: 0
    .kernarg_segment_align: 8
    .kernarg_segment_size: 112
    .language:       OpenCL C
    .language_version:
      - 2
      - 0
    .max_flat_workgroup_size: 192
    .name:           _ZN7rocprim17ROCPRIM_400000_NS6detail17trampoline_kernelINS0_14default_configENS1_25partition_config_selectorILNS1_17partition_subalgoE9EffbEEZZNS1_14partition_implILS5_9ELb0ES3_jN6thrust23THRUST_200600_302600_NS6detail15normal_iteratorINS9_10device_ptrIfEEEESE_PNS0_10empty_typeENS0_5tupleIJSE_SF_EEENSH_IJSE_SG_EEENS0_18inequality_wrapperI22is_equal_div_10_uniqueIfEEEPmJSF_EEE10hipError_tPvRmT3_T4_T5_T6_T7_T9_mT8_P12ihipStream_tbDpT10_ENKUlT_T0_E_clISt17integral_constantIbLb0EES18_EEDaS13_S14_EUlS13_E_NS1_11comp_targetILNS1_3genE4ELNS1_11target_archE910ELNS1_3gpuE8ELNS1_3repE0EEENS1_30default_config_static_selectorELNS0_4arch9wavefront6targetE0EEEvT1_
    .private_segment_fixed_size: 0
    .sgpr_count:     0
    .sgpr_spill_count: 0
    .symbol:         _ZN7rocprim17ROCPRIM_400000_NS6detail17trampoline_kernelINS0_14default_configENS1_25partition_config_selectorILNS1_17partition_subalgoE9EffbEEZZNS1_14partition_implILS5_9ELb0ES3_jN6thrust23THRUST_200600_302600_NS6detail15normal_iteratorINS9_10device_ptrIfEEEESE_PNS0_10empty_typeENS0_5tupleIJSE_SF_EEENSH_IJSE_SG_EEENS0_18inequality_wrapperI22is_equal_div_10_uniqueIfEEEPmJSF_EEE10hipError_tPvRmT3_T4_T5_T6_T7_T9_mT8_P12ihipStream_tbDpT10_ENKUlT_T0_E_clISt17integral_constantIbLb0EES18_EEDaS13_S14_EUlS13_E_NS1_11comp_targetILNS1_3genE4ELNS1_11target_archE910ELNS1_3gpuE8ELNS1_3repE0EEENS1_30default_config_static_selectorELNS0_4arch9wavefront6targetE0EEEvT1_.kd
    .uniform_work_group_size: 1
    .uses_dynamic_stack: false
    .vgpr_count:     0
    .vgpr_spill_count: 0
    .wavefront_size: 32
    .workgroup_processor_mode: 1
  - .args:
      - .offset:         0
        .size:           112
        .value_kind:     by_value
    .group_segment_fixed_size: 0
    .kernarg_segment_align: 8
    .kernarg_segment_size: 112
    .language:       OpenCL C
    .language_version:
      - 2
      - 0
    .max_flat_workgroup_size: 256
    .name:           _ZN7rocprim17ROCPRIM_400000_NS6detail17trampoline_kernelINS0_14default_configENS1_25partition_config_selectorILNS1_17partition_subalgoE9EffbEEZZNS1_14partition_implILS5_9ELb0ES3_jN6thrust23THRUST_200600_302600_NS6detail15normal_iteratorINS9_10device_ptrIfEEEESE_PNS0_10empty_typeENS0_5tupleIJSE_SF_EEENSH_IJSE_SG_EEENS0_18inequality_wrapperI22is_equal_div_10_uniqueIfEEEPmJSF_EEE10hipError_tPvRmT3_T4_T5_T6_T7_T9_mT8_P12ihipStream_tbDpT10_ENKUlT_T0_E_clISt17integral_constantIbLb0EES18_EEDaS13_S14_EUlS13_E_NS1_11comp_targetILNS1_3genE3ELNS1_11target_archE908ELNS1_3gpuE7ELNS1_3repE0EEENS1_30default_config_static_selectorELNS0_4arch9wavefront6targetE0EEEvT1_
    .private_segment_fixed_size: 0
    .sgpr_count:     0
    .sgpr_spill_count: 0
    .symbol:         _ZN7rocprim17ROCPRIM_400000_NS6detail17trampoline_kernelINS0_14default_configENS1_25partition_config_selectorILNS1_17partition_subalgoE9EffbEEZZNS1_14partition_implILS5_9ELb0ES3_jN6thrust23THRUST_200600_302600_NS6detail15normal_iteratorINS9_10device_ptrIfEEEESE_PNS0_10empty_typeENS0_5tupleIJSE_SF_EEENSH_IJSE_SG_EEENS0_18inequality_wrapperI22is_equal_div_10_uniqueIfEEEPmJSF_EEE10hipError_tPvRmT3_T4_T5_T6_T7_T9_mT8_P12ihipStream_tbDpT10_ENKUlT_T0_E_clISt17integral_constantIbLb0EES18_EEDaS13_S14_EUlS13_E_NS1_11comp_targetILNS1_3genE3ELNS1_11target_archE908ELNS1_3gpuE7ELNS1_3repE0EEENS1_30default_config_static_selectorELNS0_4arch9wavefront6targetE0EEEvT1_.kd
    .uniform_work_group_size: 1
    .uses_dynamic_stack: false
    .vgpr_count:     0
    .vgpr_spill_count: 0
    .wavefront_size: 32
    .workgroup_processor_mode: 1
  - .args:
      - .offset:         0
        .size:           112
        .value_kind:     by_value
    .group_segment_fixed_size: 0
    .kernarg_segment_align: 8
    .kernarg_segment_size: 112
    .language:       OpenCL C
    .language_version:
      - 2
      - 0
    .max_flat_workgroup_size: 256
    .name:           _ZN7rocprim17ROCPRIM_400000_NS6detail17trampoline_kernelINS0_14default_configENS1_25partition_config_selectorILNS1_17partition_subalgoE9EffbEEZZNS1_14partition_implILS5_9ELb0ES3_jN6thrust23THRUST_200600_302600_NS6detail15normal_iteratorINS9_10device_ptrIfEEEESE_PNS0_10empty_typeENS0_5tupleIJSE_SF_EEENSH_IJSE_SG_EEENS0_18inequality_wrapperI22is_equal_div_10_uniqueIfEEEPmJSF_EEE10hipError_tPvRmT3_T4_T5_T6_T7_T9_mT8_P12ihipStream_tbDpT10_ENKUlT_T0_E_clISt17integral_constantIbLb0EES18_EEDaS13_S14_EUlS13_E_NS1_11comp_targetILNS1_3genE2ELNS1_11target_archE906ELNS1_3gpuE6ELNS1_3repE0EEENS1_30default_config_static_selectorELNS0_4arch9wavefront6targetE0EEEvT1_
    .private_segment_fixed_size: 0
    .sgpr_count:     0
    .sgpr_spill_count: 0
    .symbol:         _ZN7rocprim17ROCPRIM_400000_NS6detail17trampoline_kernelINS0_14default_configENS1_25partition_config_selectorILNS1_17partition_subalgoE9EffbEEZZNS1_14partition_implILS5_9ELb0ES3_jN6thrust23THRUST_200600_302600_NS6detail15normal_iteratorINS9_10device_ptrIfEEEESE_PNS0_10empty_typeENS0_5tupleIJSE_SF_EEENSH_IJSE_SG_EEENS0_18inequality_wrapperI22is_equal_div_10_uniqueIfEEEPmJSF_EEE10hipError_tPvRmT3_T4_T5_T6_T7_T9_mT8_P12ihipStream_tbDpT10_ENKUlT_T0_E_clISt17integral_constantIbLb0EES18_EEDaS13_S14_EUlS13_E_NS1_11comp_targetILNS1_3genE2ELNS1_11target_archE906ELNS1_3gpuE6ELNS1_3repE0EEENS1_30default_config_static_selectorELNS0_4arch9wavefront6targetE0EEEvT1_.kd
    .uniform_work_group_size: 1
    .uses_dynamic_stack: false
    .vgpr_count:     0
    .vgpr_spill_count: 0
    .wavefront_size: 32
    .workgroup_processor_mode: 1
  - .args:
      - .offset:         0
        .size:           112
        .value_kind:     by_value
    .group_segment_fixed_size: 0
    .kernarg_segment_align: 8
    .kernarg_segment_size: 112
    .language:       OpenCL C
    .language_version:
      - 2
      - 0
    .max_flat_workgroup_size: 384
    .name:           _ZN7rocprim17ROCPRIM_400000_NS6detail17trampoline_kernelINS0_14default_configENS1_25partition_config_selectorILNS1_17partition_subalgoE9EffbEEZZNS1_14partition_implILS5_9ELb0ES3_jN6thrust23THRUST_200600_302600_NS6detail15normal_iteratorINS9_10device_ptrIfEEEESE_PNS0_10empty_typeENS0_5tupleIJSE_SF_EEENSH_IJSE_SG_EEENS0_18inequality_wrapperI22is_equal_div_10_uniqueIfEEEPmJSF_EEE10hipError_tPvRmT3_T4_T5_T6_T7_T9_mT8_P12ihipStream_tbDpT10_ENKUlT_T0_E_clISt17integral_constantIbLb0EES18_EEDaS13_S14_EUlS13_E_NS1_11comp_targetILNS1_3genE10ELNS1_11target_archE1200ELNS1_3gpuE4ELNS1_3repE0EEENS1_30default_config_static_selectorELNS0_4arch9wavefront6targetE0EEEvT1_
    .private_segment_fixed_size: 0
    .sgpr_count:     0
    .sgpr_spill_count: 0
    .symbol:         _ZN7rocprim17ROCPRIM_400000_NS6detail17trampoline_kernelINS0_14default_configENS1_25partition_config_selectorILNS1_17partition_subalgoE9EffbEEZZNS1_14partition_implILS5_9ELb0ES3_jN6thrust23THRUST_200600_302600_NS6detail15normal_iteratorINS9_10device_ptrIfEEEESE_PNS0_10empty_typeENS0_5tupleIJSE_SF_EEENSH_IJSE_SG_EEENS0_18inequality_wrapperI22is_equal_div_10_uniqueIfEEEPmJSF_EEE10hipError_tPvRmT3_T4_T5_T6_T7_T9_mT8_P12ihipStream_tbDpT10_ENKUlT_T0_E_clISt17integral_constantIbLb0EES18_EEDaS13_S14_EUlS13_E_NS1_11comp_targetILNS1_3genE10ELNS1_11target_archE1200ELNS1_3gpuE4ELNS1_3repE0EEENS1_30default_config_static_selectorELNS0_4arch9wavefront6targetE0EEEvT1_.kd
    .uniform_work_group_size: 1
    .uses_dynamic_stack: false
    .vgpr_count:     0
    .vgpr_spill_count: 0
    .wavefront_size: 32
    .workgroup_processor_mode: 1
  - .args:
      - .offset:         0
        .size:           112
        .value_kind:     by_value
    .group_segment_fixed_size: 12680
    .kernarg_segment_align: 8
    .kernarg_segment_size: 112
    .language:       OpenCL C
    .language_version:
      - 2
      - 0
    .max_flat_workgroup_size: 384
    .name:           _ZN7rocprim17ROCPRIM_400000_NS6detail17trampoline_kernelINS0_14default_configENS1_25partition_config_selectorILNS1_17partition_subalgoE9EffbEEZZNS1_14partition_implILS5_9ELb0ES3_jN6thrust23THRUST_200600_302600_NS6detail15normal_iteratorINS9_10device_ptrIfEEEESE_PNS0_10empty_typeENS0_5tupleIJSE_SF_EEENSH_IJSE_SG_EEENS0_18inequality_wrapperI22is_equal_div_10_uniqueIfEEEPmJSF_EEE10hipError_tPvRmT3_T4_T5_T6_T7_T9_mT8_P12ihipStream_tbDpT10_ENKUlT_T0_E_clISt17integral_constantIbLb0EES18_EEDaS13_S14_EUlS13_E_NS1_11comp_targetILNS1_3genE9ELNS1_11target_archE1100ELNS1_3gpuE3ELNS1_3repE0EEENS1_30default_config_static_selectorELNS0_4arch9wavefront6targetE0EEEvT1_
    .private_segment_fixed_size: 0
    .sgpr_count:     27
    .sgpr_spill_count: 0
    .symbol:         _ZN7rocprim17ROCPRIM_400000_NS6detail17trampoline_kernelINS0_14default_configENS1_25partition_config_selectorILNS1_17partition_subalgoE9EffbEEZZNS1_14partition_implILS5_9ELb0ES3_jN6thrust23THRUST_200600_302600_NS6detail15normal_iteratorINS9_10device_ptrIfEEEESE_PNS0_10empty_typeENS0_5tupleIJSE_SF_EEENSH_IJSE_SG_EEENS0_18inequality_wrapperI22is_equal_div_10_uniqueIfEEEPmJSF_EEE10hipError_tPvRmT3_T4_T5_T6_T7_T9_mT8_P12ihipStream_tbDpT10_ENKUlT_T0_E_clISt17integral_constantIbLb0EES18_EEDaS13_S14_EUlS13_E_NS1_11comp_targetILNS1_3genE9ELNS1_11target_archE1100ELNS1_3gpuE3ELNS1_3repE0EEENS1_30default_config_static_selectorELNS0_4arch9wavefront6targetE0EEEvT1_.kd
    .uniform_work_group_size: 1
    .uses_dynamic_stack: false
    .vgpr_count:     51
    .vgpr_spill_count: 0
    .wavefront_size: 32
    .workgroup_processor_mode: 1
  - .args:
      - .offset:         0
        .size:           112
        .value_kind:     by_value
    .group_segment_fixed_size: 0
    .kernarg_segment_align: 8
    .kernarg_segment_size: 112
    .language:       OpenCL C
    .language_version:
      - 2
      - 0
    .max_flat_workgroup_size: 512
    .name:           _ZN7rocprim17ROCPRIM_400000_NS6detail17trampoline_kernelINS0_14default_configENS1_25partition_config_selectorILNS1_17partition_subalgoE9EffbEEZZNS1_14partition_implILS5_9ELb0ES3_jN6thrust23THRUST_200600_302600_NS6detail15normal_iteratorINS9_10device_ptrIfEEEESE_PNS0_10empty_typeENS0_5tupleIJSE_SF_EEENSH_IJSE_SG_EEENS0_18inequality_wrapperI22is_equal_div_10_uniqueIfEEEPmJSF_EEE10hipError_tPvRmT3_T4_T5_T6_T7_T9_mT8_P12ihipStream_tbDpT10_ENKUlT_T0_E_clISt17integral_constantIbLb0EES18_EEDaS13_S14_EUlS13_E_NS1_11comp_targetILNS1_3genE8ELNS1_11target_archE1030ELNS1_3gpuE2ELNS1_3repE0EEENS1_30default_config_static_selectorELNS0_4arch9wavefront6targetE0EEEvT1_
    .private_segment_fixed_size: 0
    .sgpr_count:     0
    .sgpr_spill_count: 0
    .symbol:         _ZN7rocprim17ROCPRIM_400000_NS6detail17trampoline_kernelINS0_14default_configENS1_25partition_config_selectorILNS1_17partition_subalgoE9EffbEEZZNS1_14partition_implILS5_9ELb0ES3_jN6thrust23THRUST_200600_302600_NS6detail15normal_iteratorINS9_10device_ptrIfEEEESE_PNS0_10empty_typeENS0_5tupleIJSE_SF_EEENSH_IJSE_SG_EEENS0_18inequality_wrapperI22is_equal_div_10_uniqueIfEEEPmJSF_EEE10hipError_tPvRmT3_T4_T5_T6_T7_T9_mT8_P12ihipStream_tbDpT10_ENKUlT_T0_E_clISt17integral_constantIbLb0EES18_EEDaS13_S14_EUlS13_E_NS1_11comp_targetILNS1_3genE8ELNS1_11target_archE1030ELNS1_3gpuE2ELNS1_3repE0EEENS1_30default_config_static_selectorELNS0_4arch9wavefront6targetE0EEEvT1_.kd
    .uniform_work_group_size: 1
    .uses_dynamic_stack: false
    .vgpr_count:     0
    .vgpr_spill_count: 0
    .wavefront_size: 32
    .workgroup_processor_mode: 1
  - .args:
      - .offset:         0
        .size:           128
        .value_kind:     by_value
    .group_segment_fixed_size: 0
    .kernarg_segment_align: 8
    .kernarg_segment_size: 128
    .language:       OpenCL C
    .language_version:
      - 2
      - 0
    .max_flat_workgroup_size: 256
    .name:           _ZN7rocprim17ROCPRIM_400000_NS6detail17trampoline_kernelINS0_14default_configENS1_25partition_config_selectorILNS1_17partition_subalgoE9EffbEEZZNS1_14partition_implILS5_9ELb0ES3_jN6thrust23THRUST_200600_302600_NS6detail15normal_iteratorINS9_10device_ptrIfEEEESE_PNS0_10empty_typeENS0_5tupleIJSE_SF_EEENSH_IJSE_SG_EEENS0_18inequality_wrapperI22is_equal_div_10_uniqueIfEEEPmJSF_EEE10hipError_tPvRmT3_T4_T5_T6_T7_T9_mT8_P12ihipStream_tbDpT10_ENKUlT_T0_E_clISt17integral_constantIbLb1EES18_EEDaS13_S14_EUlS13_E_NS1_11comp_targetILNS1_3genE0ELNS1_11target_archE4294967295ELNS1_3gpuE0ELNS1_3repE0EEENS1_30default_config_static_selectorELNS0_4arch9wavefront6targetE0EEEvT1_
    .private_segment_fixed_size: 0
    .sgpr_count:     0
    .sgpr_spill_count: 0
    .symbol:         _ZN7rocprim17ROCPRIM_400000_NS6detail17trampoline_kernelINS0_14default_configENS1_25partition_config_selectorILNS1_17partition_subalgoE9EffbEEZZNS1_14partition_implILS5_9ELb0ES3_jN6thrust23THRUST_200600_302600_NS6detail15normal_iteratorINS9_10device_ptrIfEEEESE_PNS0_10empty_typeENS0_5tupleIJSE_SF_EEENSH_IJSE_SG_EEENS0_18inequality_wrapperI22is_equal_div_10_uniqueIfEEEPmJSF_EEE10hipError_tPvRmT3_T4_T5_T6_T7_T9_mT8_P12ihipStream_tbDpT10_ENKUlT_T0_E_clISt17integral_constantIbLb1EES18_EEDaS13_S14_EUlS13_E_NS1_11comp_targetILNS1_3genE0ELNS1_11target_archE4294967295ELNS1_3gpuE0ELNS1_3repE0EEENS1_30default_config_static_selectorELNS0_4arch9wavefront6targetE0EEEvT1_.kd
    .uniform_work_group_size: 1
    .uses_dynamic_stack: false
    .vgpr_count:     0
    .vgpr_spill_count: 0
    .wavefront_size: 32
    .workgroup_processor_mode: 1
  - .args:
      - .offset:         0
        .size:           128
        .value_kind:     by_value
    .group_segment_fixed_size: 0
    .kernarg_segment_align: 8
    .kernarg_segment_size: 128
    .language:       OpenCL C
    .language_version:
      - 2
      - 0
    .max_flat_workgroup_size: 512
    .name:           _ZN7rocprim17ROCPRIM_400000_NS6detail17trampoline_kernelINS0_14default_configENS1_25partition_config_selectorILNS1_17partition_subalgoE9EffbEEZZNS1_14partition_implILS5_9ELb0ES3_jN6thrust23THRUST_200600_302600_NS6detail15normal_iteratorINS9_10device_ptrIfEEEESE_PNS0_10empty_typeENS0_5tupleIJSE_SF_EEENSH_IJSE_SG_EEENS0_18inequality_wrapperI22is_equal_div_10_uniqueIfEEEPmJSF_EEE10hipError_tPvRmT3_T4_T5_T6_T7_T9_mT8_P12ihipStream_tbDpT10_ENKUlT_T0_E_clISt17integral_constantIbLb1EES18_EEDaS13_S14_EUlS13_E_NS1_11comp_targetILNS1_3genE5ELNS1_11target_archE942ELNS1_3gpuE9ELNS1_3repE0EEENS1_30default_config_static_selectorELNS0_4arch9wavefront6targetE0EEEvT1_
    .private_segment_fixed_size: 0
    .sgpr_count:     0
    .sgpr_spill_count: 0
    .symbol:         _ZN7rocprim17ROCPRIM_400000_NS6detail17trampoline_kernelINS0_14default_configENS1_25partition_config_selectorILNS1_17partition_subalgoE9EffbEEZZNS1_14partition_implILS5_9ELb0ES3_jN6thrust23THRUST_200600_302600_NS6detail15normal_iteratorINS9_10device_ptrIfEEEESE_PNS0_10empty_typeENS0_5tupleIJSE_SF_EEENSH_IJSE_SG_EEENS0_18inequality_wrapperI22is_equal_div_10_uniqueIfEEEPmJSF_EEE10hipError_tPvRmT3_T4_T5_T6_T7_T9_mT8_P12ihipStream_tbDpT10_ENKUlT_T0_E_clISt17integral_constantIbLb1EES18_EEDaS13_S14_EUlS13_E_NS1_11comp_targetILNS1_3genE5ELNS1_11target_archE942ELNS1_3gpuE9ELNS1_3repE0EEENS1_30default_config_static_selectorELNS0_4arch9wavefront6targetE0EEEvT1_.kd
    .uniform_work_group_size: 1
    .uses_dynamic_stack: false
    .vgpr_count:     0
    .vgpr_spill_count: 0
    .wavefront_size: 32
    .workgroup_processor_mode: 1
  - .args:
      - .offset:         0
        .size:           128
        .value_kind:     by_value
    .group_segment_fixed_size: 0
    .kernarg_segment_align: 8
    .kernarg_segment_size: 128
    .language:       OpenCL C
    .language_version:
      - 2
      - 0
    .max_flat_workgroup_size: 192
    .name:           _ZN7rocprim17ROCPRIM_400000_NS6detail17trampoline_kernelINS0_14default_configENS1_25partition_config_selectorILNS1_17partition_subalgoE9EffbEEZZNS1_14partition_implILS5_9ELb0ES3_jN6thrust23THRUST_200600_302600_NS6detail15normal_iteratorINS9_10device_ptrIfEEEESE_PNS0_10empty_typeENS0_5tupleIJSE_SF_EEENSH_IJSE_SG_EEENS0_18inequality_wrapperI22is_equal_div_10_uniqueIfEEEPmJSF_EEE10hipError_tPvRmT3_T4_T5_T6_T7_T9_mT8_P12ihipStream_tbDpT10_ENKUlT_T0_E_clISt17integral_constantIbLb1EES18_EEDaS13_S14_EUlS13_E_NS1_11comp_targetILNS1_3genE4ELNS1_11target_archE910ELNS1_3gpuE8ELNS1_3repE0EEENS1_30default_config_static_selectorELNS0_4arch9wavefront6targetE0EEEvT1_
    .private_segment_fixed_size: 0
    .sgpr_count:     0
    .sgpr_spill_count: 0
    .symbol:         _ZN7rocprim17ROCPRIM_400000_NS6detail17trampoline_kernelINS0_14default_configENS1_25partition_config_selectorILNS1_17partition_subalgoE9EffbEEZZNS1_14partition_implILS5_9ELb0ES3_jN6thrust23THRUST_200600_302600_NS6detail15normal_iteratorINS9_10device_ptrIfEEEESE_PNS0_10empty_typeENS0_5tupleIJSE_SF_EEENSH_IJSE_SG_EEENS0_18inequality_wrapperI22is_equal_div_10_uniqueIfEEEPmJSF_EEE10hipError_tPvRmT3_T4_T5_T6_T7_T9_mT8_P12ihipStream_tbDpT10_ENKUlT_T0_E_clISt17integral_constantIbLb1EES18_EEDaS13_S14_EUlS13_E_NS1_11comp_targetILNS1_3genE4ELNS1_11target_archE910ELNS1_3gpuE8ELNS1_3repE0EEENS1_30default_config_static_selectorELNS0_4arch9wavefront6targetE0EEEvT1_.kd
    .uniform_work_group_size: 1
    .uses_dynamic_stack: false
    .vgpr_count:     0
    .vgpr_spill_count: 0
    .wavefront_size: 32
    .workgroup_processor_mode: 1
  - .args:
      - .offset:         0
        .size:           128
        .value_kind:     by_value
    .group_segment_fixed_size: 0
    .kernarg_segment_align: 8
    .kernarg_segment_size: 128
    .language:       OpenCL C
    .language_version:
      - 2
      - 0
    .max_flat_workgroup_size: 256
    .name:           _ZN7rocprim17ROCPRIM_400000_NS6detail17trampoline_kernelINS0_14default_configENS1_25partition_config_selectorILNS1_17partition_subalgoE9EffbEEZZNS1_14partition_implILS5_9ELb0ES3_jN6thrust23THRUST_200600_302600_NS6detail15normal_iteratorINS9_10device_ptrIfEEEESE_PNS0_10empty_typeENS0_5tupleIJSE_SF_EEENSH_IJSE_SG_EEENS0_18inequality_wrapperI22is_equal_div_10_uniqueIfEEEPmJSF_EEE10hipError_tPvRmT3_T4_T5_T6_T7_T9_mT8_P12ihipStream_tbDpT10_ENKUlT_T0_E_clISt17integral_constantIbLb1EES18_EEDaS13_S14_EUlS13_E_NS1_11comp_targetILNS1_3genE3ELNS1_11target_archE908ELNS1_3gpuE7ELNS1_3repE0EEENS1_30default_config_static_selectorELNS0_4arch9wavefront6targetE0EEEvT1_
    .private_segment_fixed_size: 0
    .sgpr_count:     0
    .sgpr_spill_count: 0
    .symbol:         _ZN7rocprim17ROCPRIM_400000_NS6detail17trampoline_kernelINS0_14default_configENS1_25partition_config_selectorILNS1_17partition_subalgoE9EffbEEZZNS1_14partition_implILS5_9ELb0ES3_jN6thrust23THRUST_200600_302600_NS6detail15normal_iteratorINS9_10device_ptrIfEEEESE_PNS0_10empty_typeENS0_5tupleIJSE_SF_EEENSH_IJSE_SG_EEENS0_18inequality_wrapperI22is_equal_div_10_uniqueIfEEEPmJSF_EEE10hipError_tPvRmT3_T4_T5_T6_T7_T9_mT8_P12ihipStream_tbDpT10_ENKUlT_T0_E_clISt17integral_constantIbLb1EES18_EEDaS13_S14_EUlS13_E_NS1_11comp_targetILNS1_3genE3ELNS1_11target_archE908ELNS1_3gpuE7ELNS1_3repE0EEENS1_30default_config_static_selectorELNS0_4arch9wavefront6targetE0EEEvT1_.kd
    .uniform_work_group_size: 1
    .uses_dynamic_stack: false
    .vgpr_count:     0
    .vgpr_spill_count: 0
    .wavefront_size: 32
    .workgroup_processor_mode: 1
  - .args:
      - .offset:         0
        .size:           128
        .value_kind:     by_value
    .group_segment_fixed_size: 0
    .kernarg_segment_align: 8
    .kernarg_segment_size: 128
    .language:       OpenCL C
    .language_version:
      - 2
      - 0
    .max_flat_workgroup_size: 256
    .name:           _ZN7rocprim17ROCPRIM_400000_NS6detail17trampoline_kernelINS0_14default_configENS1_25partition_config_selectorILNS1_17partition_subalgoE9EffbEEZZNS1_14partition_implILS5_9ELb0ES3_jN6thrust23THRUST_200600_302600_NS6detail15normal_iteratorINS9_10device_ptrIfEEEESE_PNS0_10empty_typeENS0_5tupleIJSE_SF_EEENSH_IJSE_SG_EEENS0_18inequality_wrapperI22is_equal_div_10_uniqueIfEEEPmJSF_EEE10hipError_tPvRmT3_T4_T5_T6_T7_T9_mT8_P12ihipStream_tbDpT10_ENKUlT_T0_E_clISt17integral_constantIbLb1EES18_EEDaS13_S14_EUlS13_E_NS1_11comp_targetILNS1_3genE2ELNS1_11target_archE906ELNS1_3gpuE6ELNS1_3repE0EEENS1_30default_config_static_selectorELNS0_4arch9wavefront6targetE0EEEvT1_
    .private_segment_fixed_size: 0
    .sgpr_count:     0
    .sgpr_spill_count: 0
    .symbol:         _ZN7rocprim17ROCPRIM_400000_NS6detail17trampoline_kernelINS0_14default_configENS1_25partition_config_selectorILNS1_17partition_subalgoE9EffbEEZZNS1_14partition_implILS5_9ELb0ES3_jN6thrust23THRUST_200600_302600_NS6detail15normal_iteratorINS9_10device_ptrIfEEEESE_PNS0_10empty_typeENS0_5tupleIJSE_SF_EEENSH_IJSE_SG_EEENS0_18inequality_wrapperI22is_equal_div_10_uniqueIfEEEPmJSF_EEE10hipError_tPvRmT3_T4_T5_T6_T7_T9_mT8_P12ihipStream_tbDpT10_ENKUlT_T0_E_clISt17integral_constantIbLb1EES18_EEDaS13_S14_EUlS13_E_NS1_11comp_targetILNS1_3genE2ELNS1_11target_archE906ELNS1_3gpuE6ELNS1_3repE0EEENS1_30default_config_static_selectorELNS0_4arch9wavefront6targetE0EEEvT1_.kd
    .uniform_work_group_size: 1
    .uses_dynamic_stack: false
    .vgpr_count:     0
    .vgpr_spill_count: 0
    .wavefront_size: 32
    .workgroup_processor_mode: 1
  - .args:
      - .offset:         0
        .size:           128
        .value_kind:     by_value
    .group_segment_fixed_size: 0
    .kernarg_segment_align: 8
    .kernarg_segment_size: 128
    .language:       OpenCL C
    .language_version:
      - 2
      - 0
    .max_flat_workgroup_size: 384
    .name:           _ZN7rocprim17ROCPRIM_400000_NS6detail17trampoline_kernelINS0_14default_configENS1_25partition_config_selectorILNS1_17partition_subalgoE9EffbEEZZNS1_14partition_implILS5_9ELb0ES3_jN6thrust23THRUST_200600_302600_NS6detail15normal_iteratorINS9_10device_ptrIfEEEESE_PNS0_10empty_typeENS0_5tupleIJSE_SF_EEENSH_IJSE_SG_EEENS0_18inequality_wrapperI22is_equal_div_10_uniqueIfEEEPmJSF_EEE10hipError_tPvRmT3_T4_T5_T6_T7_T9_mT8_P12ihipStream_tbDpT10_ENKUlT_T0_E_clISt17integral_constantIbLb1EES18_EEDaS13_S14_EUlS13_E_NS1_11comp_targetILNS1_3genE10ELNS1_11target_archE1200ELNS1_3gpuE4ELNS1_3repE0EEENS1_30default_config_static_selectorELNS0_4arch9wavefront6targetE0EEEvT1_
    .private_segment_fixed_size: 0
    .sgpr_count:     0
    .sgpr_spill_count: 0
    .symbol:         _ZN7rocprim17ROCPRIM_400000_NS6detail17trampoline_kernelINS0_14default_configENS1_25partition_config_selectorILNS1_17partition_subalgoE9EffbEEZZNS1_14partition_implILS5_9ELb0ES3_jN6thrust23THRUST_200600_302600_NS6detail15normal_iteratorINS9_10device_ptrIfEEEESE_PNS0_10empty_typeENS0_5tupleIJSE_SF_EEENSH_IJSE_SG_EEENS0_18inequality_wrapperI22is_equal_div_10_uniqueIfEEEPmJSF_EEE10hipError_tPvRmT3_T4_T5_T6_T7_T9_mT8_P12ihipStream_tbDpT10_ENKUlT_T0_E_clISt17integral_constantIbLb1EES18_EEDaS13_S14_EUlS13_E_NS1_11comp_targetILNS1_3genE10ELNS1_11target_archE1200ELNS1_3gpuE4ELNS1_3repE0EEENS1_30default_config_static_selectorELNS0_4arch9wavefront6targetE0EEEvT1_.kd
    .uniform_work_group_size: 1
    .uses_dynamic_stack: false
    .vgpr_count:     0
    .vgpr_spill_count: 0
    .wavefront_size: 32
    .workgroup_processor_mode: 1
  - .args:
      - .offset:         0
        .size:           128
        .value_kind:     by_value
    .group_segment_fixed_size: 12680
    .kernarg_segment_align: 8
    .kernarg_segment_size: 128
    .language:       OpenCL C
    .language_version:
      - 2
      - 0
    .max_flat_workgroup_size: 384
    .name:           _ZN7rocprim17ROCPRIM_400000_NS6detail17trampoline_kernelINS0_14default_configENS1_25partition_config_selectorILNS1_17partition_subalgoE9EffbEEZZNS1_14partition_implILS5_9ELb0ES3_jN6thrust23THRUST_200600_302600_NS6detail15normal_iteratorINS9_10device_ptrIfEEEESE_PNS0_10empty_typeENS0_5tupleIJSE_SF_EEENSH_IJSE_SG_EEENS0_18inequality_wrapperI22is_equal_div_10_uniqueIfEEEPmJSF_EEE10hipError_tPvRmT3_T4_T5_T6_T7_T9_mT8_P12ihipStream_tbDpT10_ENKUlT_T0_E_clISt17integral_constantIbLb1EES18_EEDaS13_S14_EUlS13_E_NS1_11comp_targetILNS1_3genE9ELNS1_11target_archE1100ELNS1_3gpuE3ELNS1_3repE0EEENS1_30default_config_static_selectorELNS0_4arch9wavefront6targetE0EEEvT1_
    .private_segment_fixed_size: 0
    .sgpr_count:     31
    .sgpr_spill_count: 0
    .symbol:         _ZN7rocprim17ROCPRIM_400000_NS6detail17trampoline_kernelINS0_14default_configENS1_25partition_config_selectorILNS1_17partition_subalgoE9EffbEEZZNS1_14partition_implILS5_9ELb0ES3_jN6thrust23THRUST_200600_302600_NS6detail15normal_iteratorINS9_10device_ptrIfEEEESE_PNS0_10empty_typeENS0_5tupleIJSE_SF_EEENSH_IJSE_SG_EEENS0_18inequality_wrapperI22is_equal_div_10_uniqueIfEEEPmJSF_EEE10hipError_tPvRmT3_T4_T5_T6_T7_T9_mT8_P12ihipStream_tbDpT10_ENKUlT_T0_E_clISt17integral_constantIbLb1EES18_EEDaS13_S14_EUlS13_E_NS1_11comp_targetILNS1_3genE9ELNS1_11target_archE1100ELNS1_3gpuE3ELNS1_3repE0EEENS1_30default_config_static_selectorELNS0_4arch9wavefront6targetE0EEEvT1_.kd
    .uniform_work_group_size: 1
    .uses_dynamic_stack: false
    .vgpr_count:     51
    .vgpr_spill_count: 0
    .wavefront_size: 32
    .workgroup_processor_mode: 1
  - .args:
      - .offset:         0
        .size:           128
        .value_kind:     by_value
    .group_segment_fixed_size: 0
    .kernarg_segment_align: 8
    .kernarg_segment_size: 128
    .language:       OpenCL C
    .language_version:
      - 2
      - 0
    .max_flat_workgroup_size: 512
    .name:           _ZN7rocprim17ROCPRIM_400000_NS6detail17trampoline_kernelINS0_14default_configENS1_25partition_config_selectorILNS1_17partition_subalgoE9EffbEEZZNS1_14partition_implILS5_9ELb0ES3_jN6thrust23THRUST_200600_302600_NS6detail15normal_iteratorINS9_10device_ptrIfEEEESE_PNS0_10empty_typeENS0_5tupleIJSE_SF_EEENSH_IJSE_SG_EEENS0_18inequality_wrapperI22is_equal_div_10_uniqueIfEEEPmJSF_EEE10hipError_tPvRmT3_T4_T5_T6_T7_T9_mT8_P12ihipStream_tbDpT10_ENKUlT_T0_E_clISt17integral_constantIbLb1EES18_EEDaS13_S14_EUlS13_E_NS1_11comp_targetILNS1_3genE8ELNS1_11target_archE1030ELNS1_3gpuE2ELNS1_3repE0EEENS1_30default_config_static_selectorELNS0_4arch9wavefront6targetE0EEEvT1_
    .private_segment_fixed_size: 0
    .sgpr_count:     0
    .sgpr_spill_count: 0
    .symbol:         _ZN7rocprim17ROCPRIM_400000_NS6detail17trampoline_kernelINS0_14default_configENS1_25partition_config_selectorILNS1_17partition_subalgoE9EffbEEZZNS1_14partition_implILS5_9ELb0ES3_jN6thrust23THRUST_200600_302600_NS6detail15normal_iteratorINS9_10device_ptrIfEEEESE_PNS0_10empty_typeENS0_5tupleIJSE_SF_EEENSH_IJSE_SG_EEENS0_18inequality_wrapperI22is_equal_div_10_uniqueIfEEEPmJSF_EEE10hipError_tPvRmT3_T4_T5_T6_T7_T9_mT8_P12ihipStream_tbDpT10_ENKUlT_T0_E_clISt17integral_constantIbLb1EES18_EEDaS13_S14_EUlS13_E_NS1_11comp_targetILNS1_3genE8ELNS1_11target_archE1030ELNS1_3gpuE2ELNS1_3repE0EEENS1_30default_config_static_selectorELNS0_4arch9wavefront6targetE0EEEvT1_.kd
    .uniform_work_group_size: 1
    .uses_dynamic_stack: false
    .vgpr_count:     0
    .vgpr_spill_count: 0
    .wavefront_size: 32
    .workgroup_processor_mode: 1
  - .args:
      - .offset:         0
        .size:           112
        .value_kind:     by_value
    .group_segment_fixed_size: 0
    .kernarg_segment_align: 8
    .kernarg_segment_size: 112
    .language:       OpenCL C
    .language_version:
      - 2
      - 0
    .max_flat_workgroup_size: 256
    .name:           _ZN7rocprim17ROCPRIM_400000_NS6detail17trampoline_kernelINS0_14default_configENS1_25partition_config_selectorILNS1_17partition_subalgoE9EffbEEZZNS1_14partition_implILS5_9ELb0ES3_jN6thrust23THRUST_200600_302600_NS6detail15normal_iteratorINS9_10device_ptrIfEEEESE_PNS0_10empty_typeENS0_5tupleIJSE_SF_EEENSH_IJSE_SG_EEENS0_18inequality_wrapperI22is_equal_div_10_uniqueIfEEEPmJSF_EEE10hipError_tPvRmT3_T4_T5_T6_T7_T9_mT8_P12ihipStream_tbDpT10_ENKUlT_T0_E_clISt17integral_constantIbLb1EES17_IbLb0EEEEDaS13_S14_EUlS13_E_NS1_11comp_targetILNS1_3genE0ELNS1_11target_archE4294967295ELNS1_3gpuE0ELNS1_3repE0EEENS1_30default_config_static_selectorELNS0_4arch9wavefront6targetE0EEEvT1_
    .private_segment_fixed_size: 0
    .sgpr_count:     0
    .sgpr_spill_count: 0
    .symbol:         _ZN7rocprim17ROCPRIM_400000_NS6detail17trampoline_kernelINS0_14default_configENS1_25partition_config_selectorILNS1_17partition_subalgoE9EffbEEZZNS1_14partition_implILS5_9ELb0ES3_jN6thrust23THRUST_200600_302600_NS6detail15normal_iteratorINS9_10device_ptrIfEEEESE_PNS0_10empty_typeENS0_5tupleIJSE_SF_EEENSH_IJSE_SG_EEENS0_18inequality_wrapperI22is_equal_div_10_uniqueIfEEEPmJSF_EEE10hipError_tPvRmT3_T4_T5_T6_T7_T9_mT8_P12ihipStream_tbDpT10_ENKUlT_T0_E_clISt17integral_constantIbLb1EES17_IbLb0EEEEDaS13_S14_EUlS13_E_NS1_11comp_targetILNS1_3genE0ELNS1_11target_archE4294967295ELNS1_3gpuE0ELNS1_3repE0EEENS1_30default_config_static_selectorELNS0_4arch9wavefront6targetE0EEEvT1_.kd
    .uniform_work_group_size: 1
    .uses_dynamic_stack: false
    .vgpr_count:     0
    .vgpr_spill_count: 0
    .wavefront_size: 32
    .workgroup_processor_mode: 1
  - .args:
      - .offset:         0
        .size:           112
        .value_kind:     by_value
    .group_segment_fixed_size: 0
    .kernarg_segment_align: 8
    .kernarg_segment_size: 112
    .language:       OpenCL C
    .language_version:
      - 2
      - 0
    .max_flat_workgroup_size: 512
    .name:           _ZN7rocprim17ROCPRIM_400000_NS6detail17trampoline_kernelINS0_14default_configENS1_25partition_config_selectorILNS1_17partition_subalgoE9EffbEEZZNS1_14partition_implILS5_9ELb0ES3_jN6thrust23THRUST_200600_302600_NS6detail15normal_iteratorINS9_10device_ptrIfEEEESE_PNS0_10empty_typeENS0_5tupleIJSE_SF_EEENSH_IJSE_SG_EEENS0_18inequality_wrapperI22is_equal_div_10_uniqueIfEEEPmJSF_EEE10hipError_tPvRmT3_T4_T5_T6_T7_T9_mT8_P12ihipStream_tbDpT10_ENKUlT_T0_E_clISt17integral_constantIbLb1EES17_IbLb0EEEEDaS13_S14_EUlS13_E_NS1_11comp_targetILNS1_3genE5ELNS1_11target_archE942ELNS1_3gpuE9ELNS1_3repE0EEENS1_30default_config_static_selectorELNS0_4arch9wavefront6targetE0EEEvT1_
    .private_segment_fixed_size: 0
    .sgpr_count:     0
    .sgpr_spill_count: 0
    .symbol:         _ZN7rocprim17ROCPRIM_400000_NS6detail17trampoline_kernelINS0_14default_configENS1_25partition_config_selectorILNS1_17partition_subalgoE9EffbEEZZNS1_14partition_implILS5_9ELb0ES3_jN6thrust23THRUST_200600_302600_NS6detail15normal_iteratorINS9_10device_ptrIfEEEESE_PNS0_10empty_typeENS0_5tupleIJSE_SF_EEENSH_IJSE_SG_EEENS0_18inequality_wrapperI22is_equal_div_10_uniqueIfEEEPmJSF_EEE10hipError_tPvRmT3_T4_T5_T6_T7_T9_mT8_P12ihipStream_tbDpT10_ENKUlT_T0_E_clISt17integral_constantIbLb1EES17_IbLb0EEEEDaS13_S14_EUlS13_E_NS1_11comp_targetILNS1_3genE5ELNS1_11target_archE942ELNS1_3gpuE9ELNS1_3repE0EEENS1_30default_config_static_selectorELNS0_4arch9wavefront6targetE0EEEvT1_.kd
    .uniform_work_group_size: 1
    .uses_dynamic_stack: false
    .vgpr_count:     0
    .vgpr_spill_count: 0
    .wavefront_size: 32
    .workgroup_processor_mode: 1
  - .args:
      - .offset:         0
        .size:           112
        .value_kind:     by_value
    .group_segment_fixed_size: 0
    .kernarg_segment_align: 8
    .kernarg_segment_size: 112
    .language:       OpenCL C
    .language_version:
      - 2
      - 0
    .max_flat_workgroup_size: 192
    .name:           _ZN7rocprim17ROCPRIM_400000_NS6detail17trampoline_kernelINS0_14default_configENS1_25partition_config_selectorILNS1_17partition_subalgoE9EffbEEZZNS1_14partition_implILS5_9ELb0ES3_jN6thrust23THRUST_200600_302600_NS6detail15normal_iteratorINS9_10device_ptrIfEEEESE_PNS0_10empty_typeENS0_5tupleIJSE_SF_EEENSH_IJSE_SG_EEENS0_18inequality_wrapperI22is_equal_div_10_uniqueIfEEEPmJSF_EEE10hipError_tPvRmT3_T4_T5_T6_T7_T9_mT8_P12ihipStream_tbDpT10_ENKUlT_T0_E_clISt17integral_constantIbLb1EES17_IbLb0EEEEDaS13_S14_EUlS13_E_NS1_11comp_targetILNS1_3genE4ELNS1_11target_archE910ELNS1_3gpuE8ELNS1_3repE0EEENS1_30default_config_static_selectorELNS0_4arch9wavefront6targetE0EEEvT1_
    .private_segment_fixed_size: 0
    .sgpr_count:     0
    .sgpr_spill_count: 0
    .symbol:         _ZN7rocprim17ROCPRIM_400000_NS6detail17trampoline_kernelINS0_14default_configENS1_25partition_config_selectorILNS1_17partition_subalgoE9EffbEEZZNS1_14partition_implILS5_9ELb0ES3_jN6thrust23THRUST_200600_302600_NS6detail15normal_iteratorINS9_10device_ptrIfEEEESE_PNS0_10empty_typeENS0_5tupleIJSE_SF_EEENSH_IJSE_SG_EEENS0_18inequality_wrapperI22is_equal_div_10_uniqueIfEEEPmJSF_EEE10hipError_tPvRmT3_T4_T5_T6_T7_T9_mT8_P12ihipStream_tbDpT10_ENKUlT_T0_E_clISt17integral_constantIbLb1EES17_IbLb0EEEEDaS13_S14_EUlS13_E_NS1_11comp_targetILNS1_3genE4ELNS1_11target_archE910ELNS1_3gpuE8ELNS1_3repE0EEENS1_30default_config_static_selectorELNS0_4arch9wavefront6targetE0EEEvT1_.kd
    .uniform_work_group_size: 1
    .uses_dynamic_stack: false
    .vgpr_count:     0
    .vgpr_spill_count: 0
    .wavefront_size: 32
    .workgroup_processor_mode: 1
  - .args:
      - .offset:         0
        .size:           112
        .value_kind:     by_value
    .group_segment_fixed_size: 0
    .kernarg_segment_align: 8
    .kernarg_segment_size: 112
    .language:       OpenCL C
    .language_version:
      - 2
      - 0
    .max_flat_workgroup_size: 256
    .name:           _ZN7rocprim17ROCPRIM_400000_NS6detail17trampoline_kernelINS0_14default_configENS1_25partition_config_selectorILNS1_17partition_subalgoE9EffbEEZZNS1_14partition_implILS5_9ELb0ES3_jN6thrust23THRUST_200600_302600_NS6detail15normal_iteratorINS9_10device_ptrIfEEEESE_PNS0_10empty_typeENS0_5tupleIJSE_SF_EEENSH_IJSE_SG_EEENS0_18inequality_wrapperI22is_equal_div_10_uniqueIfEEEPmJSF_EEE10hipError_tPvRmT3_T4_T5_T6_T7_T9_mT8_P12ihipStream_tbDpT10_ENKUlT_T0_E_clISt17integral_constantIbLb1EES17_IbLb0EEEEDaS13_S14_EUlS13_E_NS1_11comp_targetILNS1_3genE3ELNS1_11target_archE908ELNS1_3gpuE7ELNS1_3repE0EEENS1_30default_config_static_selectorELNS0_4arch9wavefront6targetE0EEEvT1_
    .private_segment_fixed_size: 0
    .sgpr_count:     0
    .sgpr_spill_count: 0
    .symbol:         _ZN7rocprim17ROCPRIM_400000_NS6detail17trampoline_kernelINS0_14default_configENS1_25partition_config_selectorILNS1_17partition_subalgoE9EffbEEZZNS1_14partition_implILS5_9ELb0ES3_jN6thrust23THRUST_200600_302600_NS6detail15normal_iteratorINS9_10device_ptrIfEEEESE_PNS0_10empty_typeENS0_5tupleIJSE_SF_EEENSH_IJSE_SG_EEENS0_18inequality_wrapperI22is_equal_div_10_uniqueIfEEEPmJSF_EEE10hipError_tPvRmT3_T4_T5_T6_T7_T9_mT8_P12ihipStream_tbDpT10_ENKUlT_T0_E_clISt17integral_constantIbLb1EES17_IbLb0EEEEDaS13_S14_EUlS13_E_NS1_11comp_targetILNS1_3genE3ELNS1_11target_archE908ELNS1_3gpuE7ELNS1_3repE0EEENS1_30default_config_static_selectorELNS0_4arch9wavefront6targetE0EEEvT1_.kd
    .uniform_work_group_size: 1
    .uses_dynamic_stack: false
    .vgpr_count:     0
    .vgpr_spill_count: 0
    .wavefront_size: 32
    .workgroup_processor_mode: 1
  - .args:
      - .offset:         0
        .size:           112
        .value_kind:     by_value
    .group_segment_fixed_size: 0
    .kernarg_segment_align: 8
    .kernarg_segment_size: 112
    .language:       OpenCL C
    .language_version:
      - 2
      - 0
    .max_flat_workgroup_size: 256
    .name:           _ZN7rocprim17ROCPRIM_400000_NS6detail17trampoline_kernelINS0_14default_configENS1_25partition_config_selectorILNS1_17partition_subalgoE9EffbEEZZNS1_14partition_implILS5_9ELb0ES3_jN6thrust23THRUST_200600_302600_NS6detail15normal_iteratorINS9_10device_ptrIfEEEESE_PNS0_10empty_typeENS0_5tupleIJSE_SF_EEENSH_IJSE_SG_EEENS0_18inequality_wrapperI22is_equal_div_10_uniqueIfEEEPmJSF_EEE10hipError_tPvRmT3_T4_T5_T6_T7_T9_mT8_P12ihipStream_tbDpT10_ENKUlT_T0_E_clISt17integral_constantIbLb1EES17_IbLb0EEEEDaS13_S14_EUlS13_E_NS1_11comp_targetILNS1_3genE2ELNS1_11target_archE906ELNS1_3gpuE6ELNS1_3repE0EEENS1_30default_config_static_selectorELNS0_4arch9wavefront6targetE0EEEvT1_
    .private_segment_fixed_size: 0
    .sgpr_count:     0
    .sgpr_spill_count: 0
    .symbol:         _ZN7rocprim17ROCPRIM_400000_NS6detail17trampoline_kernelINS0_14default_configENS1_25partition_config_selectorILNS1_17partition_subalgoE9EffbEEZZNS1_14partition_implILS5_9ELb0ES3_jN6thrust23THRUST_200600_302600_NS6detail15normal_iteratorINS9_10device_ptrIfEEEESE_PNS0_10empty_typeENS0_5tupleIJSE_SF_EEENSH_IJSE_SG_EEENS0_18inequality_wrapperI22is_equal_div_10_uniqueIfEEEPmJSF_EEE10hipError_tPvRmT3_T4_T5_T6_T7_T9_mT8_P12ihipStream_tbDpT10_ENKUlT_T0_E_clISt17integral_constantIbLb1EES17_IbLb0EEEEDaS13_S14_EUlS13_E_NS1_11comp_targetILNS1_3genE2ELNS1_11target_archE906ELNS1_3gpuE6ELNS1_3repE0EEENS1_30default_config_static_selectorELNS0_4arch9wavefront6targetE0EEEvT1_.kd
    .uniform_work_group_size: 1
    .uses_dynamic_stack: false
    .vgpr_count:     0
    .vgpr_spill_count: 0
    .wavefront_size: 32
    .workgroup_processor_mode: 1
  - .args:
      - .offset:         0
        .size:           112
        .value_kind:     by_value
    .group_segment_fixed_size: 0
    .kernarg_segment_align: 8
    .kernarg_segment_size: 112
    .language:       OpenCL C
    .language_version:
      - 2
      - 0
    .max_flat_workgroup_size: 384
    .name:           _ZN7rocprim17ROCPRIM_400000_NS6detail17trampoline_kernelINS0_14default_configENS1_25partition_config_selectorILNS1_17partition_subalgoE9EffbEEZZNS1_14partition_implILS5_9ELb0ES3_jN6thrust23THRUST_200600_302600_NS6detail15normal_iteratorINS9_10device_ptrIfEEEESE_PNS0_10empty_typeENS0_5tupleIJSE_SF_EEENSH_IJSE_SG_EEENS0_18inequality_wrapperI22is_equal_div_10_uniqueIfEEEPmJSF_EEE10hipError_tPvRmT3_T4_T5_T6_T7_T9_mT8_P12ihipStream_tbDpT10_ENKUlT_T0_E_clISt17integral_constantIbLb1EES17_IbLb0EEEEDaS13_S14_EUlS13_E_NS1_11comp_targetILNS1_3genE10ELNS1_11target_archE1200ELNS1_3gpuE4ELNS1_3repE0EEENS1_30default_config_static_selectorELNS0_4arch9wavefront6targetE0EEEvT1_
    .private_segment_fixed_size: 0
    .sgpr_count:     0
    .sgpr_spill_count: 0
    .symbol:         _ZN7rocprim17ROCPRIM_400000_NS6detail17trampoline_kernelINS0_14default_configENS1_25partition_config_selectorILNS1_17partition_subalgoE9EffbEEZZNS1_14partition_implILS5_9ELb0ES3_jN6thrust23THRUST_200600_302600_NS6detail15normal_iteratorINS9_10device_ptrIfEEEESE_PNS0_10empty_typeENS0_5tupleIJSE_SF_EEENSH_IJSE_SG_EEENS0_18inequality_wrapperI22is_equal_div_10_uniqueIfEEEPmJSF_EEE10hipError_tPvRmT3_T4_T5_T6_T7_T9_mT8_P12ihipStream_tbDpT10_ENKUlT_T0_E_clISt17integral_constantIbLb1EES17_IbLb0EEEEDaS13_S14_EUlS13_E_NS1_11comp_targetILNS1_3genE10ELNS1_11target_archE1200ELNS1_3gpuE4ELNS1_3repE0EEENS1_30default_config_static_selectorELNS0_4arch9wavefront6targetE0EEEvT1_.kd
    .uniform_work_group_size: 1
    .uses_dynamic_stack: false
    .vgpr_count:     0
    .vgpr_spill_count: 0
    .wavefront_size: 32
    .workgroup_processor_mode: 1
  - .args:
      - .offset:         0
        .size:           112
        .value_kind:     by_value
    .group_segment_fixed_size: 12680
    .kernarg_segment_align: 8
    .kernarg_segment_size: 112
    .language:       OpenCL C
    .language_version:
      - 2
      - 0
    .max_flat_workgroup_size: 384
    .name:           _ZN7rocprim17ROCPRIM_400000_NS6detail17trampoline_kernelINS0_14default_configENS1_25partition_config_selectorILNS1_17partition_subalgoE9EffbEEZZNS1_14partition_implILS5_9ELb0ES3_jN6thrust23THRUST_200600_302600_NS6detail15normal_iteratorINS9_10device_ptrIfEEEESE_PNS0_10empty_typeENS0_5tupleIJSE_SF_EEENSH_IJSE_SG_EEENS0_18inequality_wrapperI22is_equal_div_10_uniqueIfEEEPmJSF_EEE10hipError_tPvRmT3_T4_T5_T6_T7_T9_mT8_P12ihipStream_tbDpT10_ENKUlT_T0_E_clISt17integral_constantIbLb1EES17_IbLb0EEEEDaS13_S14_EUlS13_E_NS1_11comp_targetILNS1_3genE9ELNS1_11target_archE1100ELNS1_3gpuE3ELNS1_3repE0EEENS1_30default_config_static_selectorELNS0_4arch9wavefront6targetE0EEEvT1_
    .private_segment_fixed_size: 0
    .sgpr_count:     27
    .sgpr_spill_count: 0
    .symbol:         _ZN7rocprim17ROCPRIM_400000_NS6detail17trampoline_kernelINS0_14default_configENS1_25partition_config_selectorILNS1_17partition_subalgoE9EffbEEZZNS1_14partition_implILS5_9ELb0ES3_jN6thrust23THRUST_200600_302600_NS6detail15normal_iteratorINS9_10device_ptrIfEEEESE_PNS0_10empty_typeENS0_5tupleIJSE_SF_EEENSH_IJSE_SG_EEENS0_18inequality_wrapperI22is_equal_div_10_uniqueIfEEEPmJSF_EEE10hipError_tPvRmT3_T4_T5_T6_T7_T9_mT8_P12ihipStream_tbDpT10_ENKUlT_T0_E_clISt17integral_constantIbLb1EES17_IbLb0EEEEDaS13_S14_EUlS13_E_NS1_11comp_targetILNS1_3genE9ELNS1_11target_archE1100ELNS1_3gpuE3ELNS1_3repE0EEENS1_30default_config_static_selectorELNS0_4arch9wavefront6targetE0EEEvT1_.kd
    .uniform_work_group_size: 1
    .uses_dynamic_stack: false
    .vgpr_count:     51
    .vgpr_spill_count: 0
    .wavefront_size: 32
    .workgroup_processor_mode: 1
  - .args:
      - .offset:         0
        .size:           112
        .value_kind:     by_value
    .group_segment_fixed_size: 0
    .kernarg_segment_align: 8
    .kernarg_segment_size: 112
    .language:       OpenCL C
    .language_version:
      - 2
      - 0
    .max_flat_workgroup_size: 512
    .name:           _ZN7rocprim17ROCPRIM_400000_NS6detail17trampoline_kernelINS0_14default_configENS1_25partition_config_selectorILNS1_17partition_subalgoE9EffbEEZZNS1_14partition_implILS5_9ELb0ES3_jN6thrust23THRUST_200600_302600_NS6detail15normal_iteratorINS9_10device_ptrIfEEEESE_PNS0_10empty_typeENS0_5tupleIJSE_SF_EEENSH_IJSE_SG_EEENS0_18inequality_wrapperI22is_equal_div_10_uniqueIfEEEPmJSF_EEE10hipError_tPvRmT3_T4_T5_T6_T7_T9_mT8_P12ihipStream_tbDpT10_ENKUlT_T0_E_clISt17integral_constantIbLb1EES17_IbLb0EEEEDaS13_S14_EUlS13_E_NS1_11comp_targetILNS1_3genE8ELNS1_11target_archE1030ELNS1_3gpuE2ELNS1_3repE0EEENS1_30default_config_static_selectorELNS0_4arch9wavefront6targetE0EEEvT1_
    .private_segment_fixed_size: 0
    .sgpr_count:     0
    .sgpr_spill_count: 0
    .symbol:         _ZN7rocprim17ROCPRIM_400000_NS6detail17trampoline_kernelINS0_14default_configENS1_25partition_config_selectorILNS1_17partition_subalgoE9EffbEEZZNS1_14partition_implILS5_9ELb0ES3_jN6thrust23THRUST_200600_302600_NS6detail15normal_iteratorINS9_10device_ptrIfEEEESE_PNS0_10empty_typeENS0_5tupleIJSE_SF_EEENSH_IJSE_SG_EEENS0_18inequality_wrapperI22is_equal_div_10_uniqueIfEEEPmJSF_EEE10hipError_tPvRmT3_T4_T5_T6_T7_T9_mT8_P12ihipStream_tbDpT10_ENKUlT_T0_E_clISt17integral_constantIbLb1EES17_IbLb0EEEEDaS13_S14_EUlS13_E_NS1_11comp_targetILNS1_3genE8ELNS1_11target_archE1030ELNS1_3gpuE2ELNS1_3repE0EEENS1_30default_config_static_selectorELNS0_4arch9wavefront6targetE0EEEvT1_.kd
    .uniform_work_group_size: 1
    .uses_dynamic_stack: false
    .vgpr_count:     0
    .vgpr_spill_count: 0
    .wavefront_size: 32
    .workgroup_processor_mode: 1
  - .args:
      - .offset:         0
        .size:           128
        .value_kind:     by_value
    .group_segment_fixed_size: 0
    .kernarg_segment_align: 8
    .kernarg_segment_size: 128
    .language:       OpenCL C
    .language_version:
      - 2
      - 0
    .max_flat_workgroup_size: 256
    .name:           _ZN7rocprim17ROCPRIM_400000_NS6detail17trampoline_kernelINS0_14default_configENS1_25partition_config_selectorILNS1_17partition_subalgoE9EffbEEZZNS1_14partition_implILS5_9ELb0ES3_jN6thrust23THRUST_200600_302600_NS6detail15normal_iteratorINS9_10device_ptrIfEEEESE_PNS0_10empty_typeENS0_5tupleIJSE_SF_EEENSH_IJSE_SG_EEENS0_18inequality_wrapperI22is_equal_div_10_uniqueIfEEEPmJSF_EEE10hipError_tPvRmT3_T4_T5_T6_T7_T9_mT8_P12ihipStream_tbDpT10_ENKUlT_T0_E_clISt17integral_constantIbLb0EES17_IbLb1EEEEDaS13_S14_EUlS13_E_NS1_11comp_targetILNS1_3genE0ELNS1_11target_archE4294967295ELNS1_3gpuE0ELNS1_3repE0EEENS1_30default_config_static_selectorELNS0_4arch9wavefront6targetE0EEEvT1_
    .private_segment_fixed_size: 0
    .sgpr_count:     0
    .sgpr_spill_count: 0
    .symbol:         _ZN7rocprim17ROCPRIM_400000_NS6detail17trampoline_kernelINS0_14default_configENS1_25partition_config_selectorILNS1_17partition_subalgoE9EffbEEZZNS1_14partition_implILS5_9ELb0ES3_jN6thrust23THRUST_200600_302600_NS6detail15normal_iteratorINS9_10device_ptrIfEEEESE_PNS0_10empty_typeENS0_5tupleIJSE_SF_EEENSH_IJSE_SG_EEENS0_18inequality_wrapperI22is_equal_div_10_uniqueIfEEEPmJSF_EEE10hipError_tPvRmT3_T4_T5_T6_T7_T9_mT8_P12ihipStream_tbDpT10_ENKUlT_T0_E_clISt17integral_constantIbLb0EES17_IbLb1EEEEDaS13_S14_EUlS13_E_NS1_11comp_targetILNS1_3genE0ELNS1_11target_archE4294967295ELNS1_3gpuE0ELNS1_3repE0EEENS1_30default_config_static_selectorELNS0_4arch9wavefront6targetE0EEEvT1_.kd
    .uniform_work_group_size: 1
    .uses_dynamic_stack: false
    .vgpr_count:     0
    .vgpr_spill_count: 0
    .wavefront_size: 32
    .workgroup_processor_mode: 1
  - .args:
      - .offset:         0
        .size:           128
        .value_kind:     by_value
    .group_segment_fixed_size: 0
    .kernarg_segment_align: 8
    .kernarg_segment_size: 128
    .language:       OpenCL C
    .language_version:
      - 2
      - 0
    .max_flat_workgroup_size: 512
    .name:           _ZN7rocprim17ROCPRIM_400000_NS6detail17trampoline_kernelINS0_14default_configENS1_25partition_config_selectorILNS1_17partition_subalgoE9EffbEEZZNS1_14partition_implILS5_9ELb0ES3_jN6thrust23THRUST_200600_302600_NS6detail15normal_iteratorINS9_10device_ptrIfEEEESE_PNS0_10empty_typeENS0_5tupleIJSE_SF_EEENSH_IJSE_SG_EEENS0_18inequality_wrapperI22is_equal_div_10_uniqueIfEEEPmJSF_EEE10hipError_tPvRmT3_T4_T5_T6_T7_T9_mT8_P12ihipStream_tbDpT10_ENKUlT_T0_E_clISt17integral_constantIbLb0EES17_IbLb1EEEEDaS13_S14_EUlS13_E_NS1_11comp_targetILNS1_3genE5ELNS1_11target_archE942ELNS1_3gpuE9ELNS1_3repE0EEENS1_30default_config_static_selectorELNS0_4arch9wavefront6targetE0EEEvT1_
    .private_segment_fixed_size: 0
    .sgpr_count:     0
    .sgpr_spill_count: 0
    .symbol:         _ZN7rocprim17ROCPRIM_400000_NS6detail17trampoline_kernelINS0_14default_configENS1_25partition_config_selectorILNS1_17partition_subalgoE9EffbEEZZNS1_14partition_implILS5_9ELb0ES3_jN6thrust23THRUST_200600_302600_NS6detail15normal_iteratorINS9_10device_ptrIfEEEESE_PNS0_10empty_typeENS0_5tupleIJSE_SF_EEENSH_IJSE_SG_EEENS0_18inequality_wrapperI22is_equal_div_10_uniqueIfEEEPmJSF_EEE10hipError_tPvRmT3_T4_T5_T6_T7_T9_mT8_P12ihipStream_tbDpT10_ENKUlT_T0_E_clISt17integral_constantIbLb0EES17_IbLb1EEEEDaS13_S14_EUlS13_E_NS1_11comp_targetILNS1_3genE5ELNS1_11target_archE942ELNS1_3gpuE9ELNS1_3repE0EEENS1_30default_config_static_selectorELNS0_4arch9wavefront6targetE0EEEvT1_.kd
    .uniform_work_group_size: 1
    .uses_dynamic_stack: false
    .vgpr_count:     0
    .vgpr_spill_count: 0
    .wavefront_size: 32
    .workgroup_processor_mode: 1
  - .args:
      - .offset:         0
        .size:           128
        .value_kind:     by_value
    .group_segment_fixed_size: 0
    .kernarg_segment_align: 8
    .kernarg_segment_size: 128
    .language:       OpenCL C
    .language_version:
      - 2
      - 0
    .max_flat_workgroup_size: 192
    .name:           _ZN7rocprim17ROCPRIM_400000_NS6detail17trampoline_kernelINS0_14default_configENS1_25partition_config_selectorILNS1_17partition_subalgoE9EffbEEZZNS1_14partition_implILS5_9ELb0ES3_jN6thrust23THRUST_200600_302600_NS6detail15normal_iteratorINS9_10device_ptrIfEEEESE_PNS0_10empty_typeENS0_5tupleIJSE_SF_EEENSH_IJSE_SG_EEENS0_18inequality_wrapperI22is_equal_div_10_uniqueIfEEEPmJSF_EEE10hipError_tPvRmT3_T4_T5_T6_T7_T9_mT8_P12ihipStream_tbDpT10_ENKUlT_T0_E_clISt17integral_constantIbLb0EES17_IbLb1EEEEDaS13_S14_EUlS13_E_NS1_11comp_targetILNS1_3genE4ELNS1_11target_archE910ELNS1_3gpuE8ELNS1_3repE0EEENS1_30default_config_static_selectorELNS0_4arch9wavefront6targetE0EEEvT1_
    .private_segment_fixed_size: 0
    .sgpr_count:     0
    .sgpr_spill_count: 0
    .symbol:         _ZN7rocprim17ROCPRIM_400000_NS6detail17trampoline_kernelINS0_14default_configENS1_25partition_config_selectorILNS1_17partition_subalgoE9EffbEEZZNS1_14partition_implILS5_9ELb0ES3_jN6thrust23THRUST_200600_302600_NS6detail15normal_iteratorINS9_10device_ptrIfEEEESE_PNS0_10empty_typeENS0_5tupleIJSE_SF_EEENSH_IJSE_SG_EEENS0_18inequality_wrapperI22is_equal_div_10_uniqueIfEEEPmJSF_EEE10hipError_tPvRmT3_T4_T5_T6_T7_T9_mT8_P12ihipStream_tbDpT10_ENKUlT_T0_E_clISt17integral_constantIbLb0EES17_IbLb1EEEEDaS13_S14_EUlS13_E_NS1_11comp_targetILNS1_3genE4ELNS1_11target_archE910ELNS1_3gpuE8ELNS1_3repE0EEENS1_30default_config_static_selectorELNS0_4arch9wavefront6targetE0EEEvT1_.kd
    .uniform_work_group_size: 1
    .uses_dynamic_stack: false
    .vgpr_count:     0
    .vgpr_spill_count: 0
    .wavefront_size: 32
    .workgroup_processor_mode: 1
  - .args:
      - .offset:         0
        .size:           128
        .value_kind:     by_value
    .group_segment_fixed_size: 0
    .kernarg_segment_align: 8
    .kernarg_segment_size: 128
    .language:       OpenCL C
    .language_version:
      - 2
      - 0
    .max_flat_workgroup_size: 256
    .name:           _ZN7rocprim17ROCPRIM_400000_NS6detail17trampoline_kernelINS0_14default_configENS1_25partition_config_selectorILNS1_17partition_subalgoE9EffbEEZZNS1_14partition_implILS5_9ELb0ES3_jN6thrust23THRUST_200600_302600_NS6detail15normal_iteratorINS9_10device_ptrIfEEEESE_PNS0_10empty_typeENS0_5tupleIJSE_SF_EEENSH_IJSE_SG_EEENS0_18inequality_wrapperI22is_equal_div_10_uniqueIfEEEPmJSF_EEE10hipError_tPvRmT3_T4_T5_T6_T7_T9_mT8_P12ihipStream_tbDpT10_ENKUlT_T0_E_clISt17integral_constantIbLb0EES17_IbLb1EEEEDaS13_S14_EUlS13_E_NS1_11comp_targetILNS1_3genE3ELNS1_11target_archE908ELNS1_3gpuE7ELNS1_3repE0EEENS1_30default_config_static_selectorELNS0_4arch9wavefront6targetE0EEEvT1_
    .private_segment_fixed_size: 0
    .sgpr_count:     0
    .sgpr_spill_count: 0
    .symbol:         _ZN7rocprim17ROCPRIM_400000_NS6detail17trampoline_kernelINS0_14default_configENS1_25partition_config_selectorILNS1_17partition_subalgoE9EffbEEZZNS1_14partition_implILS5_9ELb0ES3_jN6thrust23THRUST_200600_302600_NS6detail15normal_iteratorINS9_10device_ptrIfEEEESE_PNS0_10empty_typeENS0_5tupleIJSE_SF_EEENSH_IJSE_SG_EEENS0_18inequality_wrapperI22is_equal_div_10_uniqueIfEEEPmJSF_EEE10hipError_tPvRmT3_T4_T5_T6_T7_T9_mT8_P12ihipStream_tbDpT10_ENKUlT_T0_E_clISt17integral_constantIbLb0EES17_IbLb1EEEEDaS13_S14_EUlS13_E_NS1_11comp_targetILNS1_3genE3ELNS1_11target_archE908ELNS1_3gpuE7ELNS1_3repE0EEENS1_30default_config_static_selectorELNS0_4arch9wavefront6targetE0EEEvT1_.kd
    .uniform_work_group_size: 1
    .uses_dynamic_stack: false
    .vgpr_count:     0
    .vgpr_spill_count: 0
    .wavefront_size: 32
    .workgroup_processor_mode: 1
  - .args:
      - .offset:         0
        .size:           128
        .value_kind:     by_value
    .group_segment_fixed_size: 0
    .kernarg_segment_align: 8
    .kernarg_segment_size: 128
    .language:       OpenCL C
    .language_version:
      - 2
      - 0
    .max_flat_workgroup_size: 256
    .name:           _ZN7rocprim17ROCPRIM_400000_NS6detail17trampoline_kernelINS0_14default_configENS1_25partition_config_selectorILNS1_17partition_subalgoE9EffbEEZZNS1_14partition_implILS5_9ELb0ES3_jN6thrust23THRUST_200600_302600_NS6detail15normal_iteratorINS9_10device_ptrIfEEEESE_PNS0_10empty_typeENS0_5tupleIJSE_SF_EEENSH_IJSE_SG_EEENS0_18inequality_wrapperI22is_equal_div_10_uniqueIfEEEPmJSF_EEE10hipError_tPvRmT3_T4_T5_T6_T7_T9_mT8_P12ihipStream_tbDpT10_ENKUlT_T0_E_clISt17integral_constantIbLb0EES17_IbLb1EEEEDaS13_S14_EUlS13_E_NS1_11comp_targetILNS1_3genE2ELNS1_11target_archE906ELNS1_3gpuE6ELNS1_3repE0EEENS1_30default_config_static_selectorELNS0_4arch9wavefront6targetE0EEEvT1_
    .private_segment_fixed_size: 0
    .sgpr_count:     0
    .sgpr_spill_count: 0
    .symbol:         _ZN7rocprim17ROCPRIM_400000_NS6detail17trampoline_kernelINS0_14default_configENS1_25partition_config_selectorILNS1_17partition_subalgoE9EffbEEZZNS1_14partition_implILS5_9ELb0ES3_jN6thrust23THRUST_200600_302600_NS6detail15normal_iteratorINS9_10device_ptrIfEEEESE_PNS0_10empty_typeENS0_5tupleIJSE_SF_EEENSH_IJSE_SG_EEENS0_18inequality_wrapperI22is_equal_div_10_uniqueIfEEEPmJSF_EEE10hipError_tPvRmT3_T4_T5_T6_T7_T9_mT8_P12ihipStream_tbDpT10_ENKUlT_T0_E_clISt17integral_constantIbLb0EES17_IbLb1EEEEDaS13_S14_EUlS13_E_NS1_11comp_targetILNS1_3genE2ELNS1_11target_archE906ELNS1_3gpuE6ELNS1_3repE0EEENS1_30default_config_static_selectorELNS0_4arch9wavefront6targetE0EEEvT1_.kd
    .uniform_work_group_size: 1
    .uses_dynamic_stack: false
    .vgpr_count:     0
    .vgpr_spill_count: 0
    .wavefront_size: 32
    .workgroup_processor_mode: 1
  - .args:
      - .offset:         0
        .size:           128
        .value_kind:     by_value
    .group_segment_fixed_size: 0
    .kernarg_segment_align: 8
    .kernarg_segment_size: 128
    .language:       OpenCL C
    .language_version:
      - 2
      - 0
    .max_flat_workgroup_size: 384
    .name:           _ZN7rocprim17ROCPRIM_400000_NS6detail17trampoline_kernelINS0_14default_configENS1_25partition_config_selectorILNS1_17partition_subalgoE9EffbEEZZNS1_14partition_implILS5_9ELb0ES3_jN6thrust23THRUST_200600_302600_NS6detail15normal_iteratorINS9_10device_ptrIfEEEESE_PNS0_10empty_typeENS0_5tupleIJSE_SF_EEENSH_IJSE_SG_EEENS0_18inequality_wrapperI22is_equal_div_10_uniqueIfEEEPmJSF_EEE10hipError_tPvRmT3_T4_T5_T6_T7_T9_mT8_P12ihipStream_tbDpT10_ENKUlT_T0_E_clISt17integral_constantIbLb0EES17_IbLb1EEEEDaS13_S14_EUlS13_E_NS1_11comp_targetILNS1_3genE10ELNS1_11target_archE1200ELNS1_3gpuE4ELNS1_3repE0EEENS1_30default_config_static_selectorELNS0_4arch9wavefront6targetE0EEEvT1_
    .private_segment_fixed_size: 0
    .sgpr_count:     0
    .sgpr_spill_count: 0
    .symbol:         _ZN7rocprim17ROCPRIM_400000_NS6detail17trampoline_kernelINS0_14default_configENS1_25partition_config_selectorILNS1_17partition_subalgoE9EffbEEZZNS1_14partition_implILS5_9ELb0ES3_jN6thrust23THRUST_200600_302600_NS6detail15normal_iteratorINS9_10device_ptrIfEEEESE_PNS0_10empty_typeENS0_5tupleIJSE_SF_EEENSH_IJSE_SG_EEENS0_18inequality_wrapperI22is_equal_div_10_uniqueIfEEEPmJSF_EEE10hipError_tPvRmT3_T4_T5_T6_T7_T9_mT8_P12ihipStream_tbDpT10_ENKUlT_T0_E_clISt17integral_constantIbLb0EES17_IbLb1EEEEDaS13_S14_EUlS13_E_NS1_11comp_targetILNS1_3genE10ELNS1_11target_archE1200ELNS1_3gpuE4ELNS1_3repE0EEENS1_30default_config_static_selectorELNS0_4arch9wavefront6targetE0EEEvT1_.kd
    .uniform_work_group_size: 1
    .uses_dynamic_stack: false
    .vgpr_count:     0
    .vgpr_spill_count: 0
    .wavefront_size: 32
    .workgroup_processor_mode: 1
  - .args:
      - .offset:         0
        .size:           128
        .value_kind:     by_value
    .group_segment_fixed_size: 12680
    .kernarg_segment_align: 8
    .kernarg_segment_size: 128
    .language:       OpenCL C
    .language_version:
      - 2
      - 0
    .max_flat_workgroup_size: 384
    .name:           _ZN7rocprim17ROCPRIM_400000_NS6detail17trampoline_kernelINS0_14default_configENS1_25partition_config_selectorILNS1_17partition_subalgoE9EffbEEZZNS1_14partition_implILS5_9ELb0ES3_jN6thrust23THRUST_200600_302600_NS6detail15normal_iteratorINS9_10device_ptrIfEEEESE_PNS0_10empty_typeENS0_5tupleIJSE_SF_EEENSH_IJSE_SG_EEENS0_18inequality_wrapperI22is_equal_div_10_uniqueIfEEEPmJSF_EEE10hipError_tPvRmT3_T4_T5_T6_T7_T9_mT8_P12ihipStream_tbDpT10_ENKUlT_T0_E_clISt17integral_constantIbLb0EES17_IbLb1EEEEDaS13_S14_EUlS13_E_NS1_11comp_targetILNS1_3genE9ELNS1_11target_archE1100ELNS1_3gpuE3ELNS1_3repE0EEENS1_30default_config_static_selectorELNS0_4arch9wavefront6targetE0EEEvT1_
    .private_segment_fixed_size: 0
    .sgpr_count:     31
    .sgpr_spill_count: 0
    .symbol:         _ZN7rocprim17ROCPRIM_400000_NS6detail17trampoline_kernelINS0_14default_configENS1_25partition_config_selectorILNS1_17partition_subalgoE9EffbEEZZNS1_14partition_implILS5_9ELb0ES3_jN6thrust23THRUST_200600_302600_NS6detail15normal_iteratorINS9_10device_ptrIfEEEESE_PNS0_10empty_typeENS0_5tupleIJSE_SF_EEENSH_IJSE_SG_EEENS0_18inequality_wrapperI22is_equal_div_10_uniqueIfEEEPmJSF_EEE10hipError_tPvRmT3_T4_T5_T6_T7_T9_mT8_P12ihipStream_tbDpT10_ENKUlT_T0_E_clISt17integral_constantIbLb0EES17_IbLb1EEEEDaS13_S14_EUlS13_E_NS1_11comp_targetILNS1_3genE9ELNS1_11target_archE1100ELNS1_3gpuE3ELNS1_3repE0EEENS1_30default_config_static_selectorELNS0_4arch9wavefront6targetE0EEEvT1_.kd
    .uniform_work_group_size: 1
    .uses_dynamic_stack: false
    .vgpr_count:     51
    .vgpr_spill_count: 0
    .wavefront_size: 32
    .workgroup_processor_mode: 1
  - .args:
      - .offset:         0
        .size:           128
        .value_kind:     by_value
    .group_segment_fixed_size: 0
    .kernarg_segment_align: 8
    .kernarg_segment_size: 128
    .language:       OpenCL C
    .language_version:
      - 2
      - 0
    .max_flat_workgroup_size: 512
    .name:           _ZN7rocprim17ROCPRIM_400000_NS6detail17trampoline_kernelINS0_14default_configENS1_25partition_config_selectorILNS1_17partition_subalgoE9EffbEEZZNS1_14partition_implILS5_9ELb0ES3_jN6thrust23THRUST_200600_302600_NS6detail15normal_iteratorINS9_10device_ptrIfEEEESE_PNS0_10empty_typeENS0_5tupleIJSE_SF_EEENSH_IJSE_SG_EEENS0_18inequality_wrapperI22is_equal_div_10_uniqueIfEEEPmJSF_EEE10hipError_tPvRmT3_T4_T5_T6_T7_T9_mT8_P12ihipStream_tbDpT10_ENKUlT_T0_E_clISt17integral_constantIbLb0EES17_IbLb1EEEEDaS13_S14_EUlS13_E_NS1_11comp_targetILNS1_3genE8ELNS1_11target_archE1030ELNS1_3gpuE2ELNS1_3repE0EEENS1_30default_config_static_selectorELNS0_4arch9wavefront6targetE0EEEvT1_
    .private_segment_fixed_size: 0
    .sgpr_count:     0
    .sgpr_spill_count: 0
    .symbol:         _ZN7rocprim17ROCPRIM_400000_NS6detail17trampoline_kernelINS0_14default_configENS1_25partition_config_selectorILNS1_17partition_subalgoE9EffbEEZZNS1_14partition_implILS5_9ELb0ES3_jN6thrust23THRUST_200600_302600_NS6detail15normal_iteratorINS9_10device_ptrIfEEEESE_PNS0_10empty_typeENS0_5tupleIJSE_SF_EEENSH_IJSE_SG_EEENS0_18inequality_wrapperI22is_equal_div_10_uniqueIfEEEPmJSF_EEE10hipError_tPvRmT3_T4_T5_T6_T7_T9_mT8_P12ihipStream_tbDpT10_ENKUlT_T0_E_clISt17integral_constantIbLb0EES17_IbLb1EEEEDaS13_S14_EUlS13_E_NS1_11comp_targetILNS1_3genE8ELNS1_11target_archE1030ELNS1_3gpuE2ELNS1_3repE0EEENS1_30default_config_static_selectorELNS0_4arch9wavefront6targetE0EEEvT1_.kd
    .uniform_work_group_size: 1
    .uses_dynamic_stack: false
    .vgpr_count:     0
    .vgpr_spill_count: 0
    .wavefront_size: 32
    .workgroup_processor_mode: 1
  - .args:
      - .offset:         0
        .size:           16
        .value_kind:     by_value
      - .offset:         16
        .size:           8
        .value_kind:     by_value
      - .offset:         24
        .size:           8
        .value_kind:     by_value
    .group_segment_fixed_size: 0
    .kernarg_segment_align: 8
    .kernarg_segment_size: 32
    .language:       OpenCL C
    .language_version:
      - 2
      - 0
    .max_flat_workgroup_size: 256
    .name:           _ZN6thrust23THRUST_200600_302600_NS11hip_rocprim14__parallel_for6kernelILj256ENS1_20__uninitialized_fill7functorINS0_10device_ptrIyEEyEEmLj1EEEvT0_T1_SA_
    .private_segment_fixed_size: 0
    .sgpr_count:     18
    .sgpr_spill_count: 0
    .symbol:         _ZN6thrust23THRUST_200600_302600_NS11hip_rocprim14__parallel_for6kernelILj256ENS1_20__uninitialized_fill7functorINS0_10device_ptrIyEEyEEmLj1EEEvT0_T1_SA_.kd
    .uniform_work_group_size: 1
    .uses_dynamic_stack: false
    .vgpr_count:     4
    .vgpr_spill_count: 0
    .wavefront_size: 32
    .workgroup_processor_mode: 1
  - .args:
      - .offset:         0
        .size:           112
        .value_kind:     by_value
    .group_segment_fixed_size: 0
    .kernarg_segment_align: 8
    .kernarg_segment_size: 112
    .language:       OpenCL C
    .language_version:
      - 2
      - 0
    .max_flat_workgroup_size: 128
    .name:           _ZN7rocprim17ROCPRIM_400000_NS6detail17trampoline_kernelINS0_14default_configENS1_25partition_config_selectorILNS1_17partition_subalgoE9EyybEEZZNS1_14partition_implILS5_9ELb0ES3_jN6thrust23THRUST_200600_302600_NS6detail15normal_iteratorINS9_10device_ptrIyEEEESE_PNS0_10empty_typeENS0_5tupleIJSE_SF_EEENSH_IJSE_SG_EEENS0_18inequality_wrapperINS9_8equal_toIyEEEEPmJSF_EEE10hipError_tPvRmT3_T4_T5_T6_T7_T9_mT8_P12ihipStream_tbDpT10_ENKUlT_T0_E_clISt17integral_constantIbLb0EES18_EEDaS13_S14_EUlS13_E_NS1_11comp_targetILNS1_3genE0ELNS1_11target_archE4294967295ELNS1_3gpuE0ELNS1_3repE0EEENS1_30default_config_static_selectorELNS0_4arch9wavefront6targetE0EEEvT1_
    .private_segment_fixed_size: 0
    .sgpr_count:     0
    .sgpr_spill_count: 0
    .symbol:         _ZN7rocprim17ROCPRIM_400000_NS6detail17trampoline_kernelINS0_14default_configENS1_25partition_config_selectorILNS1_17partition_subalgoE9EyybEEZZNS1_14partition_implILS5_9ELb0ES3_jN6thrust23THRUST_200600_302600_NS6detail15normal_iteratorINS9_10device_ptrIyEEEESE_PNS0_10empty_typeENS0_5tupleIJSE_SF_EEENSH_IJSE_SG_EEENS0_18inequality_wrapperINS9_8equal_toIyEEEEPmJSF_EEE10hipError_tPvRmT3_T4_T5_T6_T7_T9_mT8_P12ihipStream_tbDpT10_ENKUlT_T0_E_clISt17integral_constantIbLb0EES18_EEDaS13_S14_EUlS13_E_NS1_11comp_targetILNS1_3genE0ELNS1_11target_archE4294967295ELNS1_3gpuE0ELNS1_3repE0EEENS1_30default_config_static_selectorELNS0_4arch9wavefront6targetE0EEEvT1_.kd
    .uniform_work_group_size: 1
    .uses_dynamic_stack: false
    .vgpr_count:     0
    .vgpr_spill_count: 0
    .wavefront_size: 32
    .workgroup_processor_mode: 1
  - .args:
      - .offset:         0
        .size:           112
        .value_kind:     by_value
    .group_segment_fixed_size: 0
    .kernarg_segment_align: 8
    .kernarg_segment_size: 112
    .language:       OpenCL C
    .language_version:
      - 2
      - 0
    .max_flat_workgroup_size: 512
    .name:           _ZN7rocprim17ROCPRIM_400000_NS6detail17trampoline_kernelINS0_14default_configENS1_25partition_config_selectorILNS1_17partition_subalgoE9EyybEEZZNS1_14partition_implILS5_9ELb0ES3_jN6thrust23THRUST_200600_302600_NS6detail15normal_iteratorINS9_10device_ptrIyEEEESE_PNS0_10empty_typeENS0_5tupleIJSE_SF_EEENSH_IJSE_SG_EEENS0_18inequality_wrapperINS9_8equal_toIyEEEEPmJSF_EEE10hipError_tPvRmT3_T4_T5_T6_T7_T9_mT8_P12ihipStream_tbDpT10_ENKUlT_T0_E_clISt17integral_constantIbLb0EES18_EEDaS13_S14_EUlS13_E_NS1_11comp_targetILNS1_3genE5ELNS1_11target_archE942ELNS1_3gpuE9ELNS1_3repE0EEENS1_30default_config_static_selectorELNS0_4arch9wavefront6targetE0EEEvT1_
    .private_segment_fixed_size: 0
    .sgpr_count:     0
    .sgpr_spill_count: 0
    .symbol:         _ZN7rocprim17ROCPRIM_400000_NS6detail17trampoline_kernelINS0_14default_configENS1_25partition_config_selectorILNS1_17partition_subalgoE9EyybEEZZNS1_14partition_implILS5_9ELb0ES3_jN6thrust23THRUST_200600_302600_NS6detail15normal_iteratorINS9_10device_ptrIyEEEESE_PNS0_10empty_typeENS0_5tupleIJSE_SF_EEENSH_IJSE_SG_EEENS0_18inequality_wrapperINS9_8equal_toIyEEEEPmJSF_EEE10hipError_tPvRmT3_T4_T5_T6_T7_T9_mT8_P12ihipStream_tbDpT10_ENKUlT_T0_E_clISt17integral_constantIbLb0EES18_EEDaS13_S14_EUlS13_E_NS1_11comp_targetILNS1_3genE5ELNS1_11target_archE942ELNS1_3gpuE9ELNS1_3repE0EEENS1_30default_config_static_selectorELNS0_4arch9wavefront6targetE0EEEvT1_.kd
    .uniform_work_group_size: 1
    .uses_dynamic_stack: false
    .vgpr_count:     0
    .vgpr_spill_count: 0
    .wavefront_size: 32
    .workgroup_processor_mode: 1
  - .args:
      - .offset:         0
        .size:           112
        .value_kind:     by_value
    .group_segment_fixed_size: 0
    .kernarg_segment_align: 8
    .kernarg_segment_size: 112
    .language:       OpenCL C
    .language_version:
      - 2
      - 0
    .max_flat_workgroup_size: 128
    .name:           _ZN7rocprim17ROCPRIM_400000_NS6detail17trampoline_kernelINS0_14default_configENS1_25partition_config_selectorILNS1_17partition_subalgoE9EyybEEZZNS1_14partition_implILS5_9ELb0ES3_jN6thrust23THRUST_200600_302600_NS6detail15normal_iteratorINS9_10device_ptrIyEEEESE_PNS0_10empty_typeENS0_5tupleIJSE_SF_EEENSH_IJSE_SG_EEENS0_18inequality_wrapperINS9_8equal_toIyEEEEPmJSF_EEE10hipError_tPvRmT3_T4_T5_T6_T7_T9_mT8_P12ihipStream_tbDpT10_ENKUlT_T0_E_clISt17integral_constantIbLb0EES18_EEDaS13_S14_EUlS13_E_NS1_11comp_targetILNS1_3genE4ELNS1_11target_archE910ELNS1_3gpuE8ELNS1_3repE0EEENS1_30default_config_static_selectorELNS0_4arch9wavefront6targetE0EEEvT1_
    .private_segment_fixed_size: 0
    .sgpr_count:     0
    .sgpr_spill_count: 0
    .symbol:         _ZN7rocprim17ROCPRIM_400000_NS6detail17trampoline_kernelINS0_14default_configENS1_25partition_config_selectorILNS1_17partition_subalgoE9EyybEEZZNS1_14partition_implILS5_9ELb0ES3_jN6thrust23THRUST_200600_302600_NS6detail15normal_iteratorINS9_10device_ptrIyEEEESE_PNS0_10empty_typeENS0_5tupleIJSE_SF_EEENSH_IJSE_SG_EEENS0_18inequality_wrapperINS9_8equal_toIyEEEEPmJSF_EEE10hipError_tPvRmT3_T4_T5_T6_T7_T9_mT8_P12ihipStream_tbDpT10_ENKUlT_T0_E_clISt17integral_constantIbLb0EES18_EEDaS13_S14_EUlS13_E_NS1_11comp_targetILNS1_3genE4ELNS1_11target_archE910ELNS1_3gpuE8ELNS1_3repE0EEENS1_30default_config_static_selectorELNS0_4arch9wavefront6targetE0EEEvT1_.kd
    .uniform_work_group_size: 1
    .uses_dynamic_stack: false
    .vgpr_count:     0
    .vgpr_spill_count: 0
    .wavefront_size: 32
    .workgroup_processor_mode: 1
  - .args:
      - .offset:         0
        .size:           112
        .value_kind:     by_value
    .group_segment_fixed_size: 0
    .kernarg_segment_align: 8
    .kernarg_segment_size: 112
    .language:       OpenCL C
    .language_version:
      - 2
      - 0
    .max_flat_workgroup_size: 128
    .name:           _ZN7rocprim17ROCPRIM_400000_NS6detail17trampoline_kernelINS0_14default_configENS1_25partition_config_selectorILNS1_17partition_subalgoE9EyybEEZZNS1_14partition_implILS5_9ELb0ES3_jN6thrust23THRUST_200600_302600_NS6detail15normal_iteratorINS9_10device_ptrIyEEEESE_PNS0_10empty_typeENS0_5tupleIJSE_SF_EEENSH_IJSE_SG_EEENS0_18inequality_wrapperINS9_8equal_toIyEEEEPmJSF_EEE10hipError_tPvRmT3_T4_T5_T6_T7_T9_mT8_P12ihipStream_tbDpT10_ENKUlT_T0_E_clISt17integral_constantIbLb0EES18_EEDaS13_S14_EUlS13_E_NS1_11comp_targetILNS1_3genE3ELNS1_11target_archE908ELNS1_3gpuE7ELNS1_3repE0EEENS1_30default_config_static_selectorELNS0_4arch9wavefront6targetE0EEEvT1_
    .private_segment_fixed_size: 0
    .sgpr_count:     0
    .sgpr_spill_count: 0
    .symbol:         _ZN7rocprim17ROCPRIM_400000_NS6detail17trampoline_kernelINS0_14default_configENS1_25partition_config_selectorILNS1_17partition_subalgoE9EyybEEZZNS1_14partition_implILS5_9ELb0ES3_jN6thrust23THRUST_200600_302600_NS6detail15normal_iteratorINS9_10device_ptrIyEEEESE_PNS0_10empty_typeENS0_5tupleIJSE_SF_EEENSH_IJSE_SG_EEENS0_18inequality_wrapperINS9_8equal_toIyEEEEPmJSF_EEE10hipError_tPvRmT3_T4_T5_T6_T7_T9_mT8_P12ihipStream_tbDpT10_ENKUlT_T0_E_clISt17integral_constantIbLb0EES18_EEDaS13_S14_EUlS13_E_NS1_11comp_targetILNS1_3genE3ELNS1_11target_archE908ELNS1_3gpuE7ELNS1_3repE0EEENS1_30default_config_static_selectorELNS0_4arch9wavefront6targetE0EEEvT1_.kd
    .uniform_work_group_size: 1
    .uses_dynamic_stack: false
    .vgpr_count:     0
    .vgpr_spill_count: 0
    .wavefront_size: 32
    .workgroup_processor_mode: 1
  - .args:
      - .offset:         0
        .size:           112
        .value_kind:     by_value
    .group_segment_fixed_size: 0
    .kernarg_segment_align: 8
    .kernarg_segment_size: 112
    .language:       OpenCL C
    .language_version:
      - 2
      - 0
    .max_flat_workgroup_size: 192
    .name:           _ZN7rocprim17ROCPRIM_400000_NS6detail17trampoline_kernelINS0_14default_configENS1_25partition_config_selectorILNS1_17partition_subalgoE9EyybEEZZNS1_14partition_implILS5_9ELb0ES3_jN6thrust23THRUST_200600_302600_NS6detail15normal_iteratorINS9_10device_ptrIyEEEESE_PNS0_10empty_typeENS0_5tupleIJSE_SF_EEENSH_IJSE_SG_EEENS0_18inequality_wrapperINS9_8equal_toIyEEEEPmJSF_EEE10hipError_tPvRmT3_T4_T5_T6_T7_T9_mT8_P12ihipStream_tbDpT10_ENKUlT_T0_E_clISt17integral_constantIbLb0EES18_EEDaS13_S14_EUlS13_E_NS1_11comp_targetILNS1_3genE2ELNS1_11target_archE906ELNS1_3gpuE6ELNS1_3repE0EEENS1_30default_config_static_selectorELNS0_4arch9wavefront6targetE0EEEvT1_
    .private_segment_fixed_size: 0
    .sgpr_count:     0
    .sgpr_spill_count: 0
    .symbol:         _ZN7rocprim17ROCPRIM_400000_NS6detail17trampoline_kernelINS0_14default_configENS1_25partition_config_selectorILNS1_17partition_subalgoE9EyybEEZZNS1_14partition_implILS5_9ELb0ES3_jN6thrust23THRUST_200600_302600_NS6detail15normal_iteratorINS9_10device_ptrIyEEEESE_PNS0_10empty_typeENS0_5tupleIJSE_SF_EEENSH_IJSE_SG_EEENS0_18inequality_wrapperINS9_8equal_toIyEEEEPmJSF_EEE10hipError_tPvRmT3_T4_T5_T6_T7_T9_mT8_P12ihipStream_tbDpT10_ENKUlT_T0_E_clISt17integral_constantIbLb0EES18_EEDaS13_S14_EUlS13_E_NS1_11comp_targetILNS1_3genE2ELNS1_11target_archE906ELNS1_3gpuE6ELNS1_3repE0EEENS1_30default_config_static_selectorELNS0_4arch9wavefront6targetE0EEEvT1_.kd
    .uniform_work_group_size: 1
    .uses_dynamic_stack: false
    .vgpr_count:     0
    .vgpr_spill_count: 0
    .wavefront_size: 32
    .workgroup_processor_mode: 1
  - .args:
      - .offset:         0
        .size:           112
        .value_kind:     by_value
    .group_segment_fixed_size: 0
    .kernarg_segment_align: 8
    .kernarg_segment_size: 112
    .language:       OpenCL C
    .language_version:
      - 2
      - 0
    .max_flat_workgroup_size: 384
    .name:           _ZN7rocprim17ROCPRIM_400000_NS6detail17trampoline_kernelINS0_14default_configENS1_25partition_config_selectorILNS1_17partition_subalgoE9EyybEEZZNS1_14partition_implILS5_9ELb0ES3_jN6thrust23THRUST_200600_302600_NS6detail15normal_iteratorINS9_10device_ptrIyEEEESE_PNS0_10empty_typeENS0_5tupleIJSE_SF_EEENSH_IJSE_SG_EEENS0_18inequality_wrapperINS9_8equal_toIyEEEEPmJSF_EEE10hipError_tPvRmT3_T4_T5_T6_T7_T9_mT8_P12ihipStream_tbDpT10_ENKUlT_T0_E_clISt17integral_constantIbLb0EES18_EEDaS13_S14_EUlS13_E_NS1_11comp_targetILNS1_3genE10ELNS1_11target_archE1200ELNS1_3gpuE4ELNS1_3repE0EEENS1_30default_config_static_selectorELNS0_4arch9wavefront6targetE0EEEvT1_
    .private_segment_fixed_size: 0
    .sgpr_count:     0
    .sgpr_spill_count: 0
    .symbol:         _ZN7rocprim17ROCPRIM_400000_NS6detail17trampoline_kernelINS0_14default_configENS1_25partition_config_selectorILNS1_17partition_subalgoE9EyybEEZZNS1_14partition_implILS5_9ELb0ES3_jN6thrust23THRUST_200600_302600_NS6detail15normal_iteratorINS9_10device_ptrIyEEEESE_PNS0_10empty_typeENS0_5tupleIJSE_SF_EEENSH_IJSE_SG_EEENS0_18inequality_wrapperINS9_8equal_toIyEEEEPmJSF_EEE10hipError_tPvRmT3_T4_T5_T6_T7_T9_mT8_P12ihipStream_tbDpT10_ENKUlT_T0_E_clISt17integral_constantIbLb0EES18_EEDaS13_S14_EUlS13_E_NS1_11comp_targetILNS1_3genE10ELNS1_11target_archE1200ELNS1_3gpuE4ELNS1_3repE0EEENS1_30default_config_static_selectorELNS0_4arch9wavefront6targetE0EEEvT1_.kd
    .uniform_work_group_size: 1
    .uses_dynamic_stack: false
    .vgpr_count:     0
    .vgpr_spill_count: 0
    .wavefront_size: 32
    .workgroup_processor_mode: 1
  - .args:
      - .offset:         0
        .size:           112
        .value_kind:     by_value
    .group_segment_fixed_size: 33800
    .kernarg_segment_align: 8
    .kernarg_segment_size: 112
    .language:       OpenCL C
    .language_version:
      - 2
      - 0
    .max_flat_workgroup_size: 512
    .name:           _ZN7rocprim17ROCPRIM_400000_NS6detail17trampoline_kernelINS0_14default_configENS1_25partition_config_selectorILNS1_17partition_subalgoE9EyybEEZZNS1_14partition_implILS5_9ELb0ES3_jN6thrust23THRUST_200600_302600_NS6detail15normal_iteratorINS9_10device_ptrIyEEEESE_PNS0_10empty_typeENS0_5tupleIJSE_SF_EEENSH_IJSE_SG_EEENS0_18inequality_wrapperINS9_8equal_toIyEEEEPmJSF_EEE10hipError_tPvRmT3_T4_T5_T6_T7_T9_mT8_P12ihipStream_tbDpT10_ENKUlT_T0_E_clISt17integral_constantIbLb0EES18_EEDaS13_S14_EUlS13_E_NS1_11comp_targetILNS1_3genE9ELNS1_11target_archE1100ELNS1_3gpuE3ELNS1_3repE0EEENS1_30default_config_static_selectorELNS0_4arch9wavefront6targetE0EEEvT1_
    .private_segment_fixed_size: 0
    .sgpr_count:     27
    .sgpr_spill_count: 0
    .symbol:         _ZN7rocprim17ROCPRIM_400000_NS6detail17trampoline_kernelINS0_14default_configENS1_25partition_config_selectorILNS1_17partition_subalgoE9EyybEEZZNS1_14partition_implILS5_9ELb0ES3_jN6thrust23THRUST_200600_302600_NS6detail15normal_iteratorINS9_10device_ptrIyEEEESE_PNS0_10empty_typeENS0_5tupleIJSE_SF_EEENSH_IJSE_SG_EEENS0_18inequality_wrapperINS9_8equal_toIyEEEEPmJSF_EEE10hipError_tPvRmT3_T4_T5_T6_T7_T9_mT8_P12ihipStream_tbDpT10_ENKUlT_T0_E_clISt17integral_constantIbLb0EES18_EEDaS13_S14_EUlS13_E_NS1_11comp_targetILNS1_3genE9ELNS1_11target_archE1100ELNS1_3gpuE3ELNS1_3repE0EEENS1_30default_config_static_selectorELNS0_4arch9wavefront6targetE0EEEvT1_.kd
    .uniform_work_group_size: 1
    .uses_dynamic_stack: false
    .vgpr_count:     68
    .vgpr_spill_count: 0
    .wavefront_size: 32
    .workgroup_processor_mode: 1
  - .args:
      - .offset:         0
        .size:           112
        .value_kind:     by_value
    .group_segment_fixed_size: 0
    .kernarg_segment_align: 8
    .kernarg_segment_size: 112
    .language:       OpenCL C
    .language_version:
      - 2
      - 0
    .max_flat_workgroup_size: 512
    .name:           _ZN7rocprim17ROCPRIM_400000_NS6detail17trampoline_kernelINS0_14default_configENS1_25partition_config_selectorILNS1_17partition_subalgoE9EyybEEZZNS1_14partition_implILS5_9ELb0ES3_jN6thrust23THRUST_200600_302600_NS6detail15normal_iteratorINS9_10device_ptrIyEEEESE_PNS0_10empty_typeENS0_5tupleIJSE_SF_EEENSH_IJSE_SG_EEENS0_18inequality_wrapperINS9_8equal_toIyEEEEPmJSF_EEE10hipError_tPvRmT3_T4_T5_T6_T7_T9_mT8_P12ihipStream_tbDpT10_ENKUlT_T0_E_clISt17integral_constantIbLb0EES18_EEDaS13_S14_EUlS13_E_NS1_11comp_targetILNS1_3genE8ELNS1_11target_archE1030ELNS1_3gpuE2ELNS1_3repE0EEENS1_30default_config_static_selectorELNS0_4arch9wavefront6targetE0EEEvT1_
    .private_segment_fixed_size: 0
    .sgpr_count:     0
    .sgpr_spill_count: 0
    .symbol:         _ZN7rocprim17ROCPRIM_400000_NS6detail17trampoline_kernelINS0_14default_configENS1_25partition_config_selectorILNS1_17partition_subalgoE9EyybEEZZNS1_14partition_implILS5_9ELb0ES3_jN6thrust23THRUST_200600_302600_NS6detail15normal_iteratorINS9_10device_ptrIyEEEESE_PNS0_10empty_typeENS0_5tupleIJSE_SF_EEENSH_IJSE_SG_EEENS0_18inequality_wrapperINS9_8equal_toIyEEEEPmJSF_EEE10hipError_tPvRmT3_T4_T5_T6_T7_T9_mT8_P12ihipStream_tbDpT10_ENKUlT_T0_E_clISt17integral_constantIbLb0EES18_EEDaS13_S14_EUlS13_E_NS1_11comp_targetILNS1_3genE8ELNS1_11target_archE1030ELNS1_3gpuE2ELNS1_3repE0EEENS1_30default_config_static_selectorELNS0_4arch9wavefront6targetE0EEEvT1_.kd
    .uniform_work_group_size: 1
    .uses_dynamic_stack: false
    .vgpr_count:     0
    .vgpr_spill_count: 0
    .wavefront_size: 32
    .workgroup_processor_mode: 1
  - .args:
      - .offset:         0
        .size:           128
        .value_kind:     by_value
    .group_segment_fixed_size: 0
    .kernarg_segment_align: 8
    .kernarg_segment_size: 128
    .language:       OpenCL C
    .language_version:
      - 2
      - 0
    .max_flat_workgroup_size: 128
    .name:           _ZN7rocprim17ROCPRIM_400000_NS6detail17trampoline_kernelINS0_14default_configENS1_25partition_config_selectorILNS1_17partition_subalgoE9EyybEEZZNS1_14partition_implILS5_9ELb0ES3_jN6thrust23THRUST_200600_302600_NS6detail15normal_iteratorINS9_10device_ptrIyEEEESE_PNS0_10empty_typeENS0_5tupleIJSE_SF_EEENSH_IJSE_SG_EEENS0_18inequality_wrapperINS9_8equal_toIyEEEEPmJSF_EEE10hipError_tPvRmT3_T4_T5_T6_T7_T9_mT8_P12ihipStream_tbDpT10_ENKUlT_T0_E_clISt17integral_constantIbLb1EES18_EEDaS13_S14_EUlS13_E_NS1_11comp_targetILNS1_3genE0ELNS1_11target_archE4294967295ELNS1_3gpuE0ELNS1_3repE0EEENS1_30default_config_static_selectorELNS0_4arch9wavefront6targetE0EEEvT1_
    .private_segment_fixed_size: 0
    .sgpr_count:     0
    .sgpr_spill_count: 0
    .symbol:         _ZN7rocprim17ROCPRIM_400000_NS6detail17trampoline_kernelINS0_14default_configENS1_25partition_config_selectorILNS1_17partition_subalgoE9EyybEEZZNS1_14partition_implILS5_9ELb0ES3_jN6thrust23THRUST_200600_302600_NS6detail15normal_iteratorINS9_10device_ptrIyEEEESE_PNS0_10empty_typeENS0_5tupleIJSE_SF_EEENSH_IJSE_SG_EEENS0_18inequality_wrapperINS9_8equal_toIyEEEEPmJSF_EEE10hipError_tPvRmT3_T4_T5_T6_T7_T9_mT8_P12ihipStream_tbDpT10_ENKUlT_T0_E_clISt17integral_constantIbLb1EES18_EEDaS13_S14_EUlS13_E_NS1_11comp_targetILNS1_3genE0ELNS1_11target_archE4294967295ELNS1_3gpuE0ELNS1_3repE0EEENS1_30default_config_static_selectorELNS0_4arch9wavefront6targetE0EEEvT1_.kd
    .uniform_work_group_size: 1
    .uses_dynamic_stack: false
    .vgpr_count:     0
    .vgpr_spill_count: 0
    .wavefront_size: 32
    .workgroup_processor_mode: 1
  - .args:
      - .offset:         0
        .size:           128
        .value_kind:     by_value
    .group_segment_fixed_size: 0
    .kernarg_segment_align: 8
    .kernarg_segment_size: 128
    .language:       OpenCL C
    .language_version:
      - 2
      - 0
    .max_flat_workgroup_size: 512
    .name:           _ZN7rocprim17ROCPRIM_400000_NS6detail17trampoline_kernelINS0_14default_configENS1_25partition_config_selectorILNS1_17partition_subalgoE9EyybEEZZNS1_14partition_implILS5_9ELb0ES3_jN6thrust23THRUST_200600_302600_NS6detail15normal_iteratorINS9_10device_ptrIyEEEESE_PNS0_10empty_typeENS0_5tupleIJSE_SF_EEENSH_IJSE_SG_EEENS0_18inequality_wrapperINS9_8equal_toIyEEEEPmJSF_EEE10hipError_tPvRmT3_T4_T5_T6_T7_T9_mT8_P12ihipStream_tbDpT10_ENKUlT_T0_E_clISt17integral_constantIbLb1EES18_EEDaS13_S14_EUlS13_E_NS1_11comp_targetILNS1_3genE5ELNS1_11target_archE942ELNS1_3gpuE9ELNS1_3repE0EEENS1_30default_config_static_selectorELNS0_4arch9wavefront6targetE0EEEvT1_
    .private_segment_fixed_size: 0
    .sgpr_count:     0
    .sgpr_spill_count: 0
    .symbol:         _ZN7rocprim17ROCPRIM_400000_NS6detail17trampoline_kernelINS0_14default_configENS1_25partition_config_selectorILNS1_17partition_subalgoE9EyybEEZZNS1_14partition_implILS5_9ELb0ES3_jN6thrust23THRUST_200600_302600_NS6detail15normal_iteratorINS9_10device_ptrIyEEEESE_PNS0_10empty_typeENS0_5tupleIJSE_SF_EEENSH_IJSE_SG_EEENS0_18inequality_wrapperINS9_8equal_toIyEEEEPmJSF_EEE10hipError_tPvRmT3_T4_T5_T6_T7_T9_mT8_P12ihipStream_tbDpT10_ENKUlT_T0_E_clISt17integral_constantIbLb1EES18_EEDaS13_S14_EUlS13_E_NS1_11comp_targetILNS1_3genE5ELNS1_11target_archE942ELNS1_3gpuE9ELNS1_3repE0EEENS1_30default_config_static_selectorELNS0_4arch9wavefront6targetE0EEEvT1_.kd
    .uniform_work_group_size: 1
    .uses_dynamic_stack: false
    .vgpr_count:     0
    .vgpr_spill_count: 0
    .wavefront_size: 32
    .workgroup_processor_mode: 1
  - .args:
      - .offset:         0
        .size:           128
        .value_kind:     by_value
    .group_segment_fixed_size: 0
    .kernarg_segment_align: 8
    .kernarg_segment_size: 128
    .language:       OpenCL C
    .language_version:
      - 2
      - 0
    .max_flat_workgroup_size: 128
    .name:           _ZN7rocprim17ROCPRIM_400000_NS6detail17trampoline_kernelINS0_14default_configENS1_25partition_config_selectorILNS1_17partition_subalgoE9EyybEEZZNS1_14partition_implILS5_9ELb0ES3_jN6thrust23THRUST_200600_302600_NS6detail15normal_iteratorINS9_10device_ptrIyEEEESE_PNS0_10empty_typeENS0_5tupleIJSE_SF_EEENSH_IJSE_SG_EEENS0_18inequality_wrapperINS9_8equal_toIyEEEEPmJSF_EEE10hipError_tPvRmT3_T4_T5_T6_T7_T9_mT8_P12ihipStream_tbDpT10_ENKUlT_T0_E_clISt17integral_constantIbLb1EES18_EEDaS13_S14_EUlS13_E_NS1_11comp_targetILNS1_3genE4ELNS1_11target_archE910ELNS1_3gpuE8ELNS1_3repE0EEENS1_30default_config_static_selectorELNS0_4arch9wavefront6targetE0EEEvT1_
    .private_segment_fixed_size: 0
    .sgpr_count:     0
    .sgpr_spill_count: 0
    .symbol:         _ZN7rocprim17ROCPRIM_400000_NS6detail17trampoline_kernelINS0_14default_configENS1_25partition_config_selectorILNS1_17partition_subalgoE9EyybEEZZNS1_14partition_implILS5_9ELb0ES3_jN6thrust23THRUST_200600_302600_NS6detail15normal_iteratorINS9_10device_ptrIyEEEESE_PNS0_10empty_typeENS0_5tupleIJSE_SF_EEENSH_IJSE_SG_EEENS0_18inequality_wrapperINS9_8equal_toIyEEEEPmJSF_EEE10hipError_tPvRmT3_T4_T5_T6_T7_T9_mT8_P12ihipStream_tbDpT10_ENKUlT_T0_E_clISt17integral_constantIbLb1EES18_EEDaS13_S14_EUlS13_E_NS1_11comp_targetILNS1_3genE4ELNS1_11target_archE910ELNS1_3gpuE8ELNS1_3repE0EEENS1_30default_config_static_selectorELNS0_4arch9wavefront6targetE0EEEvT1_.kd
    .uniform_work_group_size: 1
    .uses_dynamic_stack: false
    .vgpr_count:     0
    .vgpr_spill_count: 0
    .wavefront_size: 32
    .workgroup_processor_mode: 1
  - .args:
      - .offset:         0
        .size:           128
        .value_kind:     by_value
    .group_segment_fixed_size: 0
    .kernarg_segment_align: 8
    .kernarg_segment_size: 128
    .language:       OpenCL C
    .language_version:
      - 2
      - 0
    .max_flat_workgroup_size: 128
    .name:           _ZN7rocprim17ROCPRIM_400000_NS6detail17trampoline_kernelINS0_14default_configENS1_25partition_config_selectorILNS1_17partition_subalgoE9EyybEEZZNS1_14partition_implILS5_9ELb0ES3_jN6thrust23THRUST_200600_302600_NS6detail15normal_iteratorINS9_10device_ptrIyEEEESE_PNS0_10empty_typeENS0_5tupleIJSE_SF_EEENSH_IJSE_SG_EEENS0_18inequality_wrapperINS9_8equal_toIyEEEEPmJSF_EEE10hipError_tPvRmT3_T4_T5_T6_T7_T9_mT8_P12ihipStream_tbDpT10_ENKUlT_T0_E_clISt17integral_constantIbLb1EES18_EEDaS13_S14_EUlS13_E_NS1_11comp_targetILNS1_3genE3ELNS1_11target_archE908ELNS1_3gpuE7ELNS1_3repE0EEENS1_30default_config_static_selectorELNS0_4arch9wavefront6targetE0EEEvT1_
    .private_segment_fixed_size: 0
    .sgpr_count:     0
    .sgpr_spill_count: 0
    .symbol:         _ZN7rocprim17ROCPRIM_400000_NS6detail17trampoline_kernelINS0_14default_configENS1_25partition_config_selectorILNS1_17partition_subalgoE9EyybEEZZNS1_14partition_implILS5_9ELb0ES3_jN6thrust23THRUST_200600_302600_NS6detail15normal_iteratorINS9_10device_ptrIyEEEESE_PNS0_10empty_typeENS0_5tupleIJSE_SF_EEENSH_IJSE_SG_EEENS0_18inequality_wrapperINS9_8equal_toIyEEEEPmJSF_EEE10hipError_tPvRmT3_T4_T5_T6_T7_T9_mT8_P12ihipStream_tbDpT10_ENKUlT_T0_E_clISt17integral_constantIbLb1EES18_EEDaS13_S14_EUlS13_E_NS1_11comp_targetILNS1_3genE3ELNS1_11target_archE908ELNS1_3gpuE7ELNS1_3repE0EEENS1_30default_config_static_selectorELNS0_4arch9wavefront6targetE0EEEvT1_.kd
    .uniform_work_group_size: 1
    .uses_dynamic_stack: false
    .vgpr_count:     0
    .vgpr_spill_count: 0
    .wavefront_size: 32
    .workgroup_processor_mode: 1
  - .args:
      - .offset:         0
        .size:           128
        .value_kind:     by_value
    .group_segment_fixed_size: 0
    .kernarg_segment_align: 8
    .kernarg_segment_size: 128
    .language:       OpenCL C
    .language_version:
      - 2
      - 0
    .max_flat_workgroup_size: 192
    .name:           _ZN7rocprim17ROCPRIM_400000_NS6detail17trampoline_kernelINS0_14default_configENS1_25partition_config_selectorILNS1_17partition_subalgoE9EyybEEZZNS1_14partition_implILS5_9ELb0ES3_jN6thrust23THRUST_200600_302600_NS6detail15normal_iteratorINS9_10device_ptrIyEEEESE_PNS0_10empty_typeENS0_5tupleIJSE_SF_EEENSH_IJSE_SG_EEENS0_18inequality_wrapperINS9_8equal_toIyEEEEPmJSF_EEE10hipError_tPvRmT3_T4_T5_T6_T7_T9_mT8_P12ihipStream_tbDpT10_ENKUlT_T0_E_clISt17integral_constantIbLb1EES18_EEDaS13_S14_EUlS13_E_NS1_11comp_targetILNS1_3genE2ELNS1_11target_archE906ELNS1_3gpuE6ELNS1_3repE0EEENS1_30default_config_static_selectorELNS0_4arch9wavefront6targetE0EEEvT1_
    .private_segment_fixed_size: 0
    .sgpr_count:     0
    .sgpr_spill_count: 0
    .symbol:         _ZN7rocprim17ROCPRIM_400000_NS6detail17trampoline_kernelINS0_14default_configENS1_25partition_config_selectorILNS1_17partition_subalgoE9EyybEEZZNS1_14partition_implILS5_9ELb0ES3_jN6thrust23THRUST_200600_302600_NS6detail15normal_iteratorINS9_10device_ptrIyEEEESE_PNS0_10empty_typeENS0_5tupleIJSE_SF_EEENSH_IJSE_SG_EEENS0_18inequality_wrapperINS9_8equal_toIyEEEEPmJSF_EEE10hipError_tPvRmT3_T4_T5_T6_T7_T9_mT8_P12ihipStream_tbDpT10_ENKUlT_T0_E_clISt17integral_constantIbLb1EES18_EEDaS13_S14_EUlS13_E_NS1_11comp_targetILNS1_3genE2ELNS1_11target_archE906ELNS1_3gpuE6ELNS1_3repE0EEENS1_30default_config_static_selectorELNS0_4arch9wavefront6targetE0EEEvT1_.kd
    .uniform_work_group_size: 1
    .uses_dynamic_stack: false
    .vgpr_count:     0
    .vgpr_spill_count: 0
    .wavefront_size: 32
    .workgroup_processor_mode: 1
  - .args:
      - .offset:         0
        .size:           128
        .value_kind:     by_value
    .group_segment_fixed_size: 0
    .kernarg_segment_align: 8
    .kernarg_segment_size: 128
    .language:       OpenCL C
    .language_version:
      - 2
      - 0
    .max_flat_workgroup_size: 384
    .name:           _ZN7rocprim17ROCPRIM_400000_NS6detail17trampoline_kernelINS0_14default_configENS1_25partition_config_selectorILNS1_17partition_subalgoE9EyybEEZZNS1_14partition_implILS5_9ELb0ES3_jN6thrust23THRUST_200600_302600_NS6detail15normal_iteratorINS9_10device_ptrIyEEEESE_PNS0_10empty_typeENS0_5tupleIJSE_SF_EEENSH_IJSE_SG_EEENS0_18inequality_wrapperINS9_8equal_toIyEEEEPmJSF_EEE10hipError_tPvRmT3_T4_T5_T6_T7_T9_mT8_P12ihipStream_tbDpT10_ENKUlT_T0_E_clISt17integral_constantIbLb1EES18_EEDaS13_S14_EUlS13_E_NS1_11comp_targetILNS1_3genE10ELNS1_11target_archE1200ELNS1_3gpuE4ELNS1_3repE0EEENS1_30default_config_static_selectorELNS0_4arch9wavefront6targetE0EEEvT1_
    .private_segment_fixed_size: 0
    .sgpr_count:     0
    .sgpr_spill_count: 0
    .symbol:         _ZN7rocprim17ROCPRIM_400000_NS6detail17trampoline_kernelINS0_14default_configENS1_25partition_config_selectorILNS1_17partition_subalgoE9EyybEEZZNS1_14partition_implILS5_9ELb0ES3_jN6thrust23THRUST_200600_302600_NS6detail15normal_iteratorINS9_10device_ptrIyEEEESE_PNS0_10empty_typeENS0_5tupleIJSE_SF_EEENSH_IJSE_SG_EEENS0_18inequality_wrapperINS9_8equal_toIyEEEEPmJSF_EEE10hipError_tPvRmT3_T4_T5_T6_T7_T9_mT8_P12ihipStream_tbDpT10_ENKUlT_T0_E_clISt17integral_constantIbLb1EES18_EEDaS13_S14_EUlS13_E_NS1_11comp_targetILNS1_3genE10ELNS1_11target_archE1200ELNS1_3gpuE4ELNS1_3repE0EEENS1_30default_config_static_selectorELNS0_4arch9wavefront6targetE0EEEvT1_.kd
    .uniform_work_group_size: 1
    .uses_dynamic_stack: false
    .vgpr_count:     0
    .vgpr_spill_count: 0
    .wavefront_size: 32
    .workgroup_processor_mode: 1
  - .args:
      - .offset:         0
        .size:           128
        .value_kind:     by_value
    .group_segment_fixed_size: 33800
    .kernarg_segment_align: 8
    .kernarg_segment_size: 128
    .language:       OpenCL C
    .language_version:
      - 2
      - 0
    .max_flat_workgroup_size: 512
    .name:           _ZN7rocprim17ROCPRIM_400000_NS6detail17trampoline_kernelINS0_14default_configENS1_25partition_config_selectorILNS1_17partition_subalgoE9EyybEEZZNS1_14partition_implILS5_9ELb0ES3_jN6thrust23THRUST_200600_302600_NS6detail15normal_iteratorINS9_10device_ptrIyEEEESE_PNS0_10empty_typeENS0_5tupleIJSE_SF_EEENSH_IJSE_SG_EEENS0_18inequality_wrapperINS9_8equal_toIyEEEEPmJSF_EEE10hipError_tPvRmT3_T4_T5_T6_T7_T9_mT8_P12ihipStream_tbDpT10_ENKUlT_T0_E_clISt17integral_constantIbLb1EES18_EEDaS13_S14_EUlS13_E_NS1_11comp_targetILNS1_3genE9ELNS1_11target_archE1100ELNS1_3gpuE3ELNS1_3repE0EEENS1_30default_config_static_selectorELNS0_4arch9wavefront6targetE0EEEvT1_
    .private_segment_fixed_size: 0
    .sgpr_count:     31
    .sgpr_spill_count: 0
    .symbol:         _ZN7rocprim17ROCPRIM_400000_NS6detail17trampoline_kernelINS0_14default_configENS1_25partition_config_selectorILNS1_17partition_subalgoE9EyybEEZZNS1_14partition_implILS5_9ELb0ES3_jN6thrust23THRUST_200600_302600_NS6detail15normal_iteratorINS9_10device_ptrIyEEEESE_PNS0_10empty_typeENS0_5tupleIJSE_SF_EEENSH_IJSE_SG_EEENS0_18inequality_wrapperINS9_8equal_toIyEEEEPmJSF_EEE10hipError_tPvRmT3_T4_T5_T6_T7_T9_mT8_P12ihipStream_tbDpT10_ENKUlT_T0_E_clISt17integral_constantIbLb1EES18_EEDaS13_S14_EUlS13_E_NS1_11comp_targetILNS1_3genE9ELNS1_11target_archE1100ELNS1_3gpuE3ELNS1_3repE0EEENS1_30default_config_static_selectorELNS0_4arch9wavefront6targetE0EEEvT1_.kd
    .uniform_work_group_size: 1
    .uses_dynamic_stack: false
    .vgpr_count:     68
    .vgpr_spill_count: 0
    .wavefront_size: 32
    .workgroup_processor_mode: 1
  - .args:
      - .offset:         0
        .size:           128
        .value_kind:     by_value
    .group_segment_fixed_size: 0
    .kernarg_segment_align: 8
    .kernarg_segment_size: 128
    .language:       OpenCL C
    .language_version:
      - 2
      - 0
    .max_flat_workgroup_size: 512
    .name:           _ZN7rocprim17ROCPRIM_400000_NS6detail17trampoline_kernelINS0_14default_configENS1_25partition_config_selectorILNS1_17partition_subalgoE9EyybEEZZNS1_14partition_implILS5_9ELb0ES3_jN6thrust23THRUST_200600_302600_NS6detail15normal_iteratorINS9_10device_ptrIyEEEESE_PNS0_10empty_typeENS0_5tupleIJSE_SF_EEENSH_IJSE_SG_EEENS0_18inequality_wrapperINS9_8equal_toIyEEEEPmJSF_EEE10hipError_tPvRmT3_T4_T5_T6_T7_T9_mT8_P12ihipStream_tbDpT10_ENKUlT_T0_E_clISt17integral_constantIbLb1EES18_EEDaS13_S14_EUlS13_E_NS1_11comp_targetILNS1_3genE8ELNS1_11target_archE1030ELNS1_3gpuE2ELNS1_3repE0EEENS1_30default_config_static_selectorELNS0_4arch9wavefront6targetE0EEEvT1_
    .private_segment_fixed_size: 0
    .sgpr_count:     0
    .sgpr_spill_count: 0
    .symbol:         _ZN7rocprim17ROCPRIM_400000_NS6detail17trampoline_kernelINS0_14default_configENS1_25partition_config_selectorILNS1_17partition_subalgoE9EyybEEZZNS1_14partition_implILS5_9ELb0ES3_jN6thrust23THRUST_200600_302600_NS6detail15normal_iteratorINS9_10device_ptrIyEEEESE_PNS0_10empty_typeENS0_5tupleIJSE_SF_EEENSH_IJSE_SG_EEENS0_18inequality_wrapperINS9_8equal_toIyEEEEPmJSF_EEE10hipError_tPvRmT3_T4_T5_T6_T7_T9_mT8_P12ihipStream_tbDpT10_ENKUlT_T0_E_clISt17integral_constantIbLb1EES18_EEDaS13_S14_EUlS13_E_NS1_11comp_targetILNS1_3genE8ELNS1_11target_archE1030ELNS1_3gpuE2ELNS1_3repE0EEENS1_30default_config_static_selectorELNS0_4arch9wavefront6targetE0EEEvT1_.kd
    .uniform_work_group_size: 1
    .uses_dynamic_stack: false
    .vgpr_count:     0
    .vgpr_spill_count: 0
    .wavefront_size: 32
    .workgroup_processor_mode: 1
  - .args:
      - .offset:         0
        .size:           112
        .value_kind:     by_value
    .group_segment_fixed_size: 0
    .kernarg_segment_align: 8
    .kernarg_segment_size: 112
    .language:       OpenCL C
    .language_version:
      - 2
      - 0
    .max_flat_workgroup_size: 128
    .name:           _ZN7rocprim17ROCPRIM_400000_NS6detail17trampoline_kernelINS0_14default_configENS1_25partition_config_selectorILNS1_17partition_subalgoE9EyybEEZZNS1_14partition_implILS5_9ELb0ES3_jN6thrust23THRUST_200600_302600_NS6detail15normal_iteratorINS9_10device_ptrIyEEEESE_PNS0_10empty_typeENS0_5tupleIJSE_SF_EEENSH_IJSE_SG_EEENS0_18inequality_wrapperINS9_8equal_toIyEEEEPmJSF_EEE10hipError_tPvRmT3_T4_T5_T6_T7_T9_mT8_P12ihipStream_tbDpT10_ENKUlT_T0_E_clISt17integral_constantIbLb1EES17_IbLb0EEEEDaS13_S14_EUlS13_E_NS1_11comp_targetILNS1_3genE0ELNS1_11target_archE4294967295ELNS1_3gpuE0ELNS1_3repE0EEENS1_30default_config_static_selectorELNS0_4arch9wavefront6targetE0EEEvT1_
    .private_segment_fixed_size: 0
    .sgpr_count:     0
    .sgpr_spill_count: 0
    .symbol:         _ZN7rocprim17ROCPRIM_400000_NS6detail17trampoline_kernelINS0_14default_configENS1_25partition_config_selectorILNS1_17partition_subalgoE9EyybEEZZNS1_14partition_implILS5_9ELb0ES3_jN6thrust23THRUST_200600_302600_NS6detail15normal_iteratorINS9_10device_ptrIyEEEESE_PNS0_10empty_typeENS0_5tupleIJSE_SF_EEENSH_IJSE_SG_EEENS0_18inequality_wrapperINS9_8equal_toIyEEEEPmJSF_EEE10hipError_tPvRmT3_T4_T5_T6_T7_T9_mT8_P12ihipStream_tbDpT10_ENKUlT_T0_E_clISt17integral_constantIbLb1EES17_IbLb0EEEEDaS13_S14_EUlS13_E_NS1_11comp_targetILNS1_3genE0ELNS1_11target_archE4294967295ELNS1_3gpuE0ELNS1_3repE0EEENS1_30default_config_static_selectorELNS0_4arch9wavefront6targetE0EEEvT1_.kd
    .uniform_work_group_size: 1
    .uses_dynamic_stack: false
    .vgpr_count:     0
    .vgpr_spill_count: 0
    .wavefront_size: 32
    .workgroup_processor_mode: 1
  - .args:
      - .offset:         0
        .size:           112
        .value_kind:     by_value
    .group_segment_fixed_size: 0
    .kernarg_segment_align: 8
    .kernarg_segment_size: 112
    .language:       OpenCL C
    .language_version:
      - 2
      - 0
    .max_flat_workgroup_size: 512
    .name:           _ZN7rocprim17ROCPRIM_400000_NS6detail17trampoline_kernelINS0_14default_configENS1_25partition_config_selectorILNS1_17partition_subalgoE9EyybEEZZNS1_14partition_implILS5_9ELb0ES3_jN6thrust23THRUST_200600_302600_NS6detail15normal_iteratorINS9_10device_ptrIyEEEESE_PNS0_10empty_typeENS0_5tupleIJSE_SF_EEENSH_IJSE_SG_EEENS0_18inequality_wrapperINS9_8equal_toIyEEEEPmJSF_EEE10hipError_tPvRmT3_T4_T5_T6_T7_T9_mT8_P12ihipStream_tbDpT10_ENKUlT_T0_E_clISt17integral_constantIbLb1EES17_IbLb0EEEEDaS13_S14_EUlS13_E_NS1_11comp_targetILNS1_3genE5ELNS1_11target_archE942ELNS1_3gpuE9ELNS1_3repE0EEENS1_30default_config_static_selectorELNS0_4arch9wavefront6targetE0EEEvT1_
    .private_segment_fixed_size: 0
    .sgpr_count:     0
    .sgpr_spill_count: 0
    .symbol:         _ZN7rocprim17ROCPRIM_400000_NS6detail17trampoline_kernelINS0_14default_configENS1_25partition_config_selectorILNS1_17partition_subalgoE9EyybEEZZNS1_14partition_implILS5_9ELb0ES3_jN6thrust23THRUST_200600_302600_NS6detail15normal_iteratorINS9_10device_ptrIyEEEESE_PNS0_10empty_typeENS0_5tupleIJSE_SF_EEENSH_IJSE_SG_EEENS0_18inequality_wrapperINS9_8equal_toIyEEEEPmJSF_EEE10hipError_tPvRmT3_T4_T5_T6_T7_T9_mT8_P12ihipStream_tbDpT10_ENKUlT_T0_E_clISt17integral_constantIbLb1EES17_IbLb0EEEEDaS13_S14_EUlS13_E_NS1_11comp_targetILNS1_3genE5ELNS1_11target_archE942ELNS1_3gpuE9ELNS1_3repE0EEENS1_30default_config_static_selectorELNS0_4arch9wavefront6targetE0EEEvT1_.kd
    .uniform_work_group_size: 1
    .uses_dynamic_stack: false
    .vgpr_count:     0
    .vgpr_spill_count: 0
    .wavefront_size: 32
    .workgroup_processor_mode: 1
  - .args:
      - .offset:         0
        .size:           112
        .value_kind:     by_value
    .group_segment_fixed_size: 0
    .kernarg_segment_align: 8
    .kernarg_segment_size: 112
    .language:       OpenCL C
    .language_version:
      - 2
      - 0
    .max_flat_workgroup_size: 128
    .name:           _ZN7rocprim17ROCPRIM_400000_NS6detail17trampoline_kernelINS0_14default_configENS1_25partition_config_selectorILNS1_17partition_subalgoE9EyybEEZZNS1_14partition_implILS5_9ELb0ES3_jN6thrust23THRUST_200600_302600_NS6detail15normal_iteratorINS9_10device_ptrIyEEEESE_PNS0_10empty_typeENS0_5tupleIJSE_SF_EEENSH_IJSE_SG_EEENS0_18inequality_wrapperINS9_8equal_toIyEEEEPmJSF_EEE10hipError_tPvRmT3_T4_T5_T6_T7_T9_mT8_P12ihipStream_tbDpT10_ENKUlT_T0_E_clISt17integral_constantIbLb1EES17_IbLb0EEEEDaS13_S14_EUlS13_E_NS1_11comp_targetILNS1_3genE4ELNS1_11target_archE910ELNS1_3gpuE8ELNS1_3repE0EEENS1_30default_config_static_selectorELNS0_4arch9wavefront6targetE0EEEvT1_
    .private_segment_fixed_size: 0
    .sgpr_count:     0
    .sgpr_spill_count: 0
    .symbol:         _ZN7rocprim17ROCPRIM_400000_NS6detail17trampoline_kernelINS0_14default_configENS1_25partition_config_selectorILNS1_17partition_subalgoE9EyybEEZZNS1_14partition_implILS5_9ELb0ES3_jN6thrust23THRUST_200600_302600_NS6detail15normal_iteratorINS9_10device_ptrIyEEEESE_PNS0_10empty_typeENS0_5tupleIJSE_SF_EEENSH_IJSE_SG_EEENS0_18inequality_wrapperINS9_8equal_toIyEEEEPmJSF_EEE10hipError_tPvRmT3_T4_T5_T6_T7_T9_mT8_P12ihipStream_tbDpT10_ENKUlT_T0_E_clISt17integral_constantIbLb1EES17_IbLb0EEEEDaS13_S14_EUlS13_E_NS1_11comp_targetILNS1_3genE4ELNS1_11target_archE910ELNS1_3gpuE8ELNS1_3repE0EEENS1_30default_config_static_selectorELNS0_4arch9wavefront6targetE0EEEvT1_.kd
    .uniform_work_group_size: 1
    .uses_dynamic_stack: false
    .vgpr_count:     0
    .vgpr_spill_count: 0
    .wavefront_size: 32
    .workgroup_processor_mode: 1
  - .args:
      - .offset:         0
        .size:           112
        .value_kind:     by_value
    .group_segment_fixed_size: 0
    .kernarg_segment_align: 8
    .kernarg_segment_size: 112
    .language:       OpenCL C
    .language_version:
      - 2
      - 0
    .max_flat_workgroup_size: 128
    .name:           _ZN7rocprim17ROCPRIM_400000_NS6detail17trampoline_kernelINS0_14default_configENS1_25partition_config_selectorILNS1_17partition_subalgoE9EyybEEZZNS1_14partition_implILS5_9ELb0ES3_jN6thrust23THRUST_200600_302600_NS6detail15normal_iteratorINS9_10device_ptrIyEEEESE_PNS0_10empty_typeENS0_5tupleIJSE_SF_EEENSH_IJSE_SG_EEENS0_18inequality_wrapperINS9_8equal_toIyEEEEPmJSF_EEE10hipError_tPvRmT3_T4_T5_T6_T7_T9_mT8_P12ihipStream_tbDpT10_ENKUlT_T0_E_clISt17integral_constantIbLb1EES17_IbLb0EEEEDaS13_S14_EUlS13_E_NS1_11comp_targetILNS1_3genE3ELNS1_11target_archE908ELNS1_3gpuE7ELNS1_3repE0EEENS1_30default_config_static_selectorELNS0_4arch9wavefront6targetE0EEEvT1_
    .private_segment_fixed_size: 0
    .sgpr_count:     0
    .sgpr_spill_count: 0
    .symbol:         _ZN7rocprim17ROCPRIM_400000_NS6detail17trampoline_kernelINS0_14default_configENS1_25partition_config_selectorILNS1_17partition_subalgoE9EyybEEZZNS1_14partition_implILS5_9ELb0ES3_jN6thrust23THRUST_200600_302600_NS6detail15normal_iteratorINS9_10device_ptrIyEEEESE_PNS0_10empty_typeENS0_5tupleIJSE_SF_EEENSH_IJSE_SG_EEENS0_18inequality_wrapperINS9_8equal_toIyEEEEPmJSF_EEE10hipError_tPvRmT3_T4_T5_T6_T7_T9_mT8_P12ihipStream_tbDpT10_ENKUlT_T0_E_clISt17integral_constantIbLb1EES17_IbLb0EEEEDaS13_S14_EUlS13_E_NS1_11comp_targetILNS1_3genE3ELNS1_11target_archE908ELNS1_3gpuE7ELNS1_3repE0EEENS1_30default_config_static_selectorELNS0_4arch9wavefront6targetE0EEEvT1_.kd
    .uniform_work_group_size: 1
    .uses_dynamic_stack: false
    .vgpr_count:     0
    .vgpr_spill_count: 0
    .wavefront_size: 32
    .workgroup_processor_mode: 1
  - .args:
      - .offset:         0
        .size:           112
        .value_kind:     by_value
    .group_segment_fixed_size: 0
    .kernarg_segment_align: 8
    .kernarg_segment_size: 112
    .language:       OpenCL C
    .language_version:
      - 2
      - 0
    .max_flat_workgroup_size: 192
    .name:           _ZN7rocprim17ROCPRIM_400000_NS6detail17trampoline_kernelINS0_14default_configENS1_25partition_config_selectorILNS1_17partition_subalgoE9EyybEEZZNS1_14partition_implILS5_9ELb0ES3_jN6thrust23THRUST_200600_302600_NS6detail15normal_iteratorINS9_10device_ptrIyEEEESE_PNS0_10empty_typeENS0_5tupleIJSE_SF_EEENSH_IJSE_SG_EEENS0_18inequality_wrapperINS9_8equal_toIyEEEEPmJSF_EEE10hipError_tPvRmT3_T4_T5_T6_T7_T9_mT8_P12ihipStream_tbDpT10_ENKUlT_T0_E_clISt17integral_constantIbLb1EES17_IbLb0EEEEDaS13_S14_EUlS13_E_NS1_11comp_targetILNS1_3genE2ELNS1_11target_archE906ELNS1_3gpuE6ELNS1_3repE0EEENS1_30default_config_static_selectorELNS0_4arch9wavefront6targetE0EEEvT1_
    .private_segment_fixed_size: 0
    .sgpr_count:     0
    .sgpr_spill_count: 0
    .symbol:         _ZN7rocprim17ROCPRIM_400000_NS6detail17trampoline_kernelINS0_14default_configENS1_25partition_config_selectorILNS1_17partition_subalgoE9EyybEEZZNS1_14partition_implILS5_9ELb0ES3_jN6thrust23THRUST_200600_302600_NS6detail15normal_iteratorINS9_10device_ptrIyEEEESE_PNS0_10empty_typeENS0_5tupleIJSE_SF_EEENSH_IJSE_SG_EEENS0_18inequality_wrapperINS9_8equal_toIyEEEEPmJSF_EEE10hipError_tPvRmT3_T4_T5_T6_T7_T9_mT8_P12ihipStream_tbDpT10_ENKUlT_T0_E_clISt17integral_constantIbLb1EES17_IbLb0EEEEDaS13_S14_EUlS13_E_NS1_11comp_targetILNS1_3genE2ELNS1_11target_archE906ELNS1_3gpuE6ELNS1_3repE0EEENS1_30default_config_static_selectorELNS0_4arch9wavefront6targetE0EEEvT1_.kd
    .uniform_work_group_size: 1
    .uses_dynamic_stack: false
    .vgpr_count:     0
    .vgpr_spill_count: 0
    .wavefront_size: 32
    .workgroup_processor_mode: 1
  - .args:
      - .offset:         0
        .size:           112
        .value_kind:     by_value
    .group_segment_fixed_size: 0
    .kernarg_segment_align: 8
    .kernarg_segment_size: 112
    .language:       OpenCL C
    .language_version:
      - 2
      - 0
    .max_flat_workgroup_size: 384
    .name:           _ZN7rocprim17ROCPRIM_400000_NS6detail17trampoline_kernelINS0_14default_configENS1_25partition_config_selectorILNS1_17partition_subalgoE9EyybEEZZNS1_14partition_implILS5_9ELb0ES3_jN6thrust23THRUST_200600_302600_NS6detail15normal_iteratorINS9_10device_ptrIyEEEESE_PNS0_10empty_typeENS0_5tupleIJSE_SF_EEENSH_IJSE_SG_EEENS0_18inequality_wrapperINS9_8equal_toIyEEEEPmJSF_EEE10hipError_tPvRmT3_T4_T5_T6_T7_T9_mT8_P12ihipStream_tbDpT10_ENKUlT_T0_E_clISt17integral_constantIbLb1EES17_IbLb0EEEEDaS13_S14_EUlS13_E_NS1_11comp_targetILNS1_3genE10ELNS1_11target_archE1200ELNS1_3gpuE4ELNS1_3repE0EEENS1_30default_config_static_selectorELNS0_4arch9wavefront6targetE0EEEvT1_
    .private_segment_fixed_size: 0
    .sgpr_count:     0
    .sgpr_spill_count: 0
    .symbol:         _ZN7rocprim17ROCPRIM_400000_NS6detail17trampoline_kernelINS0_14default_configENS1_25partition_config_selectorILNS1_17partition_subalgoE9EyybEEZZNS1_14partition_implILS5_9ELb0ES3_jN6thrust23THRUST_200600_302600_NS6detail15normal_iteratorINS9_10device_ptrIyEEEESE_PNS0_10empty_typeENS0_5tupleIJSE_SF_EEENSH_IJSE_SG_EEENS0_18inequality_wrapperINS9_8equal_toIyEEEEPmJSF_EEE10hipError_tPvRmT3_T4_T5_T6_T7_T9_mT8_P12ihipStream_tbDpT10_ENKUlT_T0_E_clISt17integral_constantIbLb1EES17_IbLb0EEEEDaS13_S14_EUlS13_E_NS1_11comp_targetILNS1_3genE10ELNS1_11target_archE1200ELNS1_3gpuE4ELNS1_3repE0EEENS1_30default_config_static_selectorELNS0_4arch9wavefront6targetE0EEEvT1_.kd
    .uniform_work_group_size: 1
    .uses_dynamic_stack: false
    .vgpr_count:     0
    .vgpr_spill_count: 0
    .wavefront_size: 32
    .workgroup_processor_mode: 1
  - .args:
      - .offset:         0
        .size:           112
        .value_kind:     by_value
    .group_segment_fixed_size: 33800
    .kernarg_segment_align: 8
    .kernarg_segment_size: 112
    .language:       OpenCL C
    .language_version:
      - 2
      - 0
    .max_flat_workgroup_size: 512
    .name:           _ZN7rocprim17ROCPRIM_400000_NS6detail17trampoline_kernelINS0_14default_configENS1_25partition_config_selectorILNS1_17partition_subalgoE9EyybEEZZNS1_14partition_implILS5_9ELb0ES3_jN6thrust23THRUST_200600_302600_NS6detail15normal_iteratorINS9_10device_ptrIyEEEESE_PNS0_10empty_typeENS0_5tupleIJSE_SF_EEENSH_IJSE_SG_EEENS0_18inequality_wrapperINS9_8equal_toIyEEEEPmJSF_EEE10hipError_tPvRmT3_T4_T5_T6_T7_T9_mT8_P12ihipStream_tbDpT10_ENKUlT_T0_E_clISt17integral_constantIbLb1EES17_IbLb0EEEEDaS13_S14_EUlS13_E_NS1_11comp_targetILNS1_3genE9ELNS1_11target_archE1100ELNS1_3gpuE3ELNS1_3repE0EEENS1_30default_config_static_selectorELNS0_4arch9wavefront6targetE0EEEvT1_
    .private_segment_fixed_size: 0
    .sgpr_count:     27
    .sgpr_spill_count: 0
    .symbol:         _ZN7rocprim17ROCPRIM_400000_NS6detail17trampoline_kernelINS0_14default_configENS1_25partition_config_selectorILNS1_17partition_subalgoE9EyybEEZZNS1_14partition_implILS5_9ELb0ES3_jN6thrust23THRUST_200600_302600_NS6detail15normal_iteratorINS9_10device_ptrIyEEEESE_PNS0_10empty_typeENS0_5tupleIJSE_SF_EEENSH_IJSE_SG_EEENS0_18inequality_wrapperINS9_8equal_toIyEEEEPmJSF_EEE10hipError_tPvRmT3_T4_T5_T6_T7_T9_mT8_P12ihipStream_tbDpT10_ENKUlT_T0_E_clISt17integral_constantIbLb1EES17_IbLb0EEEEDaS13_S14_EUlS13_E_NS1_11comp_targetILNS1_3genE9ELNS1_11target_archE1100ELNS1_3gpuE3ELNS1_3repE0EEENS1_30default_config_static_selectorELNS0_4arch9wavefront6targetE0EEEvT1_.kd
    .uniform_work_group_size: 1
    .uses_dynamic_stack: false
    .vgpr_count:     68
    .vgpr_spill_count: 0
    .wavefront_size: 32
    .workgroup_processor_mode: 1
  - .args:
      - .offset:         0
        .size:           112
        .value_kind:     by_value
    .group_segment_fixed_size: 0
    .kernarg_segment_align: 8
    .kernarg_segment_size: 112
    .language:       OpenCL C
    .language_version:
      - 2
      - 0
    .max_flat_workgroup_size: 512
    .name:           _ZN7rocprim17ROCPRIM_400000_NS6detail17trampoline_kernelINS0_14default_configENS1_25partition_config_selectorILNS1_17partition_subalgoE9EyybEEZZNS1_14partition_implILS5_9ELb0ES3_jN6thrust23THRUST_200600_302600_NS6detail15normal_iteratorINS9_10device_ptrIyEEEESE_PNS0_10empty_typeENS0_5tupleIJSE_SF_EEENSH_IJSE_SG_EEENS0_18inequality_wrapperINS9_8equal_toIyEEEEPmJSF_EEE10hipError_tPvRmT3_T4_T5_T6_T7_T9_mT8_P12ihipStream_tbDpT10_ENKUlT_T0_E_clISt17integral_constantIbLb1EES17_IbLb0EEEEDaS13_S14_EUlS13_E_NS1_11comp_targetILNS1_3genE8ELNS1_11target_archE1030ELNS1_3gpuE2ELNS1_3repE0EEENS1_30default_config_static_selectorELNS0_4arch9wavefront6targetE0EEEvT1_
    .private_segment_fixed_size: 0
    .sgpr_count:     0
    .sgpr_spill_count: 0
    .symbol:         _ZN7rocprim17ROCPRIM_400000_NS6detail17trampoline_kernelINS0_14default_configENS1_25partition_config_selectorILNS1_17partition_subalgoE9EyybEEZZNS1_14partition_implILS5_9ELb0ES3_jN6thrust23THRUST_200600_302600_NS6detail15normal_iteratorINS9_10device_ptrIyEEEESE_PNS0_10empty_typeENS0_5tupleIJSE_SF_EEENSH_IJSE_SG_EEENS0_18inequality_wrapperINS9_8equal_toIyEEEEPmJSF_EEE10hipError_tPvRmT3_T4_T5_T6_T7_T9_mT8_P12ihipStream_tbDpT10_ENKUlT_T0_E_clISt17integral_constantIbLb1EES17_IbLb0EEEEDaS13_S14_EUlS13_E_NS1_11comp_targetILNS1_3genE8ELNS1_11target_archE1030ELNS1_3gpuE2ELNS1_3repE0EEENS1_30default_config_static_selectorELNS0_4arch9wavefront6targetE0EEEvT1_.kd
    .uniform_work_group_size: 1
    .uses_dynamic_stack: false
    .vgpr_count:     0
    .vgpr_spill_count: 0
    .wavefront_size: 32
    .workgroup_processor_mode: 1
  - .args:
      - .offset:         0
        .size:           128
        .value_kind:     by_value
    .group_segment_fixed_size: 0
    .kernarg_segment_align: 8
    .kernarg_segment_size: 128
    .language:       OpenCL C
    .language_version:
      - 2
      - 0
    .max_flat_workgroup_size: 128
    .name:           _ZN7rocprim17ROCPRIM_400000_NS6detail17trampoline_kernelINS0_14default_configENS1_25partition_config_selectorILNS1_17partition_subalgoE9EyybEEZZNS1_14partition_implILS5_9ELb0ES3_jN6thrust23THRUST_200600_302600_NS6detail15normal_iteratorINS9_10device_ptrIyEEEESE_PNS0_10empty_typeENS0_5tupleIJSE_SF_EEENSH_IJSE_SG_EEENS0_18inequality_wrapperINS9_8equal_toIyEEEEPmJSF_EEE10hipError_tPvRmT3_T4_T5_T6_T7_T9_mT8_P12ihipStream_tbDpT10_ENKUlT_T0_E_clISt17integral_constantIbLb0EES17_IbLb1EEEEDaS13_S14_EUlS13_E_NS1_11comp_targetILNS1_3genE0ELNS1_11target_archE4294967295ELNS1_3gpuE0ELNS1_3repE0EEENS1_30default_config_static_selectorELNS0_4arch9wavefront6targetE0EEEvT1_
    .private_segment_fixed_size: 0
    .sgpr_count:     0
    .sgpr_spill_count: 0
    .symbol:         _ZN7rocprim17ROCPRIM_400000_NS6detail17trampoline_kernelINS0_14default_configENS1_25partition_config_selectorILNS1_17partition_subalgoE9EyybEEZZNS1_14partition_implILS5_9ELb0ES3_jN6thrust23THRUST_200600_302600_NS6detail15normal_iteratorINS9_10device_ptrIyEEEESE_PNS0_10empty_typeENS0_5tupleIJSE_SF_EEENSH_IJSE_SG_EEENS0_18inequality_wrapperINS9_8equal_toIyEEEEPmJSF_EEE10hipError_tPvRmT3_T4_T5_T6_T7_T9_mT8_P12ihipStream_tbDpT10_ENKUlT_T0_E_clISt17integral_constantIbLb0EES17_IbLb1EEEEDaS13_S14_EUlS13_E_NS1_11comp_targetILNS1_3genE0ELNS1_11target_archE4294967295ELNS1_3gpuE0ELNS1_3repE0EEENS1_30default_config_static_selectorELNS0_4arch9wavefront6targetE0EEEvT1_.kd
    .uniform_work_group_size: 1
    .uses_dynamic_stack: false
    .vgpr_count:     0
    .vgpr_spill_count: 0
    .wavefront_size: 32
    .workgroup_processor_mode: 1
  - .args:
      - .offset:         0
        .size:           128
        .value_kind:     by_value
    .group_segment_fixed_size: 0
    .kernarg_segment_align: 8
    .kernarg_segment_size: 128
    .language:       OpenCL C
    .language_version:
      - 2
      - 0
    .max_flat_workgroup_size: 512
    .name:           _ZN7rocprim17ROCPRIM_400000_NS6detail17trampoline_kernelINS0_14default_configENS1_25partition_config_selectorILNS1_17partition_subalgoE9EyybEEZZNS1_14partition_implILS5_9ELb0ES3_jN6thrust23THRUST_200600_302600_NS6detail15normal_iteratorINS9_10device_ptrIyEEEESE_PNS0_10empty_typeENS0_5tupleIJSE_SF_EEENSH_IJSE_SG_EEENS0_18inequality_wrapperINS9_8equal_toIyEEEEPmJSF_EEE10hipError_tPvRmT3_T4_T5_T6_T7_T9_mT8_P12ihipStream_tbDpT10_ENKUlT_T0_E_clISt17integral_constantIbLb0EES17_IbLb1EEEEDaS13_S14_EUlS13_E_NS1_11comp_targetILNS1_3genE5ELNS1_11target_archE942ELNS1_3gpuE9ELNS1_3repE0EEENS1_30default_config_static_selectorELNS0_4arch9wavefront6targetE0EEEvT1_
    .private_segment_fixed_size: 0
    .sgpr_count:     0
    .sgpr_spill_count: 0
    .symbol:         _ZN7rocprim17ROCPRIM_400000_NS6detail17trampoline_kernelINS0_14default_configENS1_25partition_config_selectorILNS1_17partition_subalgoE9EyybEEZZNS1_14partition_implILS5_9ELb0ES3_jN6thrust23THRUST_200600_302600_NS6detail15normal_iteratorINS9_10device_ptrIyEEEESE_PNS0_10empty_typeENS0_5tupleIJSE_SF_EEENSH_IJSE_SG_EEENS0_18inequality_wrapperINS9_8equal_toIyEEEEPmJSF_EEE10hipError_tPvRmT3_T4_T5_T6_T7_T9_mT8_P12ihipStream_tbDpT10_ENKUlT_T0_E_clISt17integral_constantIbLb0EES17_IbLb1EEEEDaS13_S14_EUlS13_E_NS1_11comp_targetILNS1_3genE5ELNS1_11target_archE942ELNS1_3gpuE9ELNS1_3repE0EEENS1_30default_config_static_selectorELNS0_4arch9wavefront6targetE0EEEvT1_.kd
    .uniform_work_group_size: 1
    .uses_dynamic_stack: false
    .vgpr_count:     0
    .vgpr_spill_count: 0
    .wavefront_size: 32
    .workgroup_processor_mode: 1
  - .args:
      - .offset:         0
        .size:           128
        .value_kind:     by_value
    .group_segment_fixed_size: 0
    .kernarg_segment_align: 8
    .kernarg_segment_size: 128
    .language:       OpenCL C
    .language_version:
      - 2
      - 0
    .max_flat_workgroup_size: 128
    .name:           _ZN7rocprim17ROCPRIM_400000_NS6detail17trampoline_kernelINS0_14default_configENS1_25partition_config_selectorILNS1_17partition_subalgoE9EyybEEZZNS1_14partition_implILS5_9ELb0ES3_jN6thrust23THRUST_200600_302600_NS6detail15normal_iteratorINS9_10device_ptrIyEEEESE_PNS0_10empty_typeENS0_5tupleIJSE_SF_EEENSH_IJSE_SG_EEENS0_18inequality_wrapperINS9_8equal_toIyEEEEPmJSF_EEE10hipError_tPvRmT3_T4_T5_T6_T7_T9_mT8_P12ihipStream_tbDpT10_ENKUlT_T0_E_clISt17integral_constantIbLb0EES17_IbLb1EEEEDaS13_S14_EUlS13_E_NS1_11comp_targetILNS1_3genE4ELNS1_11target_archE910ELNS1_3gpuE8ELNS1_3repE0EEENS1_30default_config_static_selectorELNS0_4arch9wavefront6targetE0EEEvT1_
    .private_segment_fixed_size: 0
    .sgpr_count:     0
    .sgpr_spill_count: 0
    .symbol:         _ZN7rocprim17ROCPRIM_400000_NS6detail17trampoline_kernelINS0_14default_configENS1_25partition_config_selectorILNS1_17partition_subalgoE9EyybEEZZNS1_14partition_implILS5_9ELb0ES3_jN6thrust23THRUST_200600_302600_NS6detail15normal_iteratorINS9_10device_ptrIyEEEESE_PNS0_10empty_typeENS0_5tupleIJSE_SF_EEENSH_IJSE_SG_EEENS0_18inequality_wrapperINS9_8equal_toIyEEEEPmJSF_EEE10hipError_tPvRmT3_T4_T5_T6_T7_T9_mT8_P12ihipStream_tbDpT10_ENKUlT_T0_E_clISt17integral_constantIbLb0EES17_IbLb1EEEEDaS13_S14_EUlS13_E_NS1_11comp_targetILNS1_3genE4ELNS1_11target_archE910ELNS1_3gpuE8ELNS1_3repE0EEENS1_30default_config_static_selectorELNS0_4arch9wavefront6targetE0EEEvT1_.kd
    .uniform_work_group_size: 1
    .uses_dynamic_stack: false
    .vgpr_count:     0
    .vgpr_spill_count: 0
    .wavefront_size: 32
    .workgroup_processor_mode: 1
  - .args:
      - .offset:         0
        .size:           128
        .value_kind:     by_value
    .group_segment_fixed_size: 0
    .kernarg_segment_align: 8
    .kernarg_segment_size: 128
    .language:       OpenCL C
    .language_version:
      - 2
      - 0
    .max_flat_workgroup_size: 128
    .name:           _ZN7rocprim17ROCPRIM_400000_NS6detail17trampoline_kernelINS0_14default_configENS1_25partition_config_selectorILNS1_17partition_subalgoE9EyybEEZZNS1_14partition_implILS5_9ELb0ES3_jN6thrust23THRUST_200600_302600_NS6detail15normal_iteratorINS9_10device_ptrIyEEEESE_PNS0_10empty_typeENS0_5tupleIJSE_SF_EEENSH_IJSE_SG_EEENS0_18inequality_wrapperINS9_8equal_toIyEEEEPmJSF_EEE10hipError_tPvRmT3_T4_T5_T6_T7_T9_mT8_P12ihipStream_tbDpT10_ENKUlT_T0_E_clISt17integral_constantIbLb0EES17_IbLb1EEEEDaS13_S14_EUlS13_E_NS1_11comp_targetILNS1_3genE3ELNS1_11target_archE908ELNS1_3gpuE7ELNS1_3repE0EEENS1_30default_config_static_selectorELNS0_4arch9wavefront6targetE0EEEvT1_
    .private_segment_fixed_size: 0
    .sgpr_count:     0
    .sgpr_spill_count: 0
    .symbol:         _ZN7rocprim17ROCPRIM_400000_NS6detail17trampoline_kernelINS0_14default_configENS1_25partition_config_selectorILNS1_17partition_subalgoE9EyybEEZZNS1_14partition_implILS5_9ELb0ES3_jN6thrust23THRUST_200600_302600_NS6detail15normal_iteratorINS9_10device_ptrIyEEEESE_PNS0_10empty_typeENS0_5tupleIJSE_SF_EEENSH_IJSE_SG_EEENS0_18inequality_wrapperINS9_8equal_toIyEEEEPmJSF_EEE10hipError_tPvRmT3_T4_T5_T6_T7_T9_mT8_P12ihipStream_tbDpT10_ENKUlT_T0_E_clISt17integral_constantIbLb0EES17_IbLb1EEEEDaS13_S14_EUlS13_E_NS1_11comp_targetILNS1_3genE3ELNS1_11target_archE908ELNS1_3gpuE7ELNS1_3repE0EEENS1_30default_config_static_selectorELNS0_4arch9wavefront6targetE0EEEvT1_.kd
    .uniform_work_group_size: 1
    .uses_dynamic_stack: false
    .vgpr_count:     0
    .vgpr_spill_count: 0
    .wavefront_size: 32
    .workgroup_processor_mode: 1
  - .args:
      - .offset:         0
        .size:           128
        .value_kind:     by_value
    .group_segment_fixed_size: 0
    .kernarg_segment_align: 8
    .kernarg_segment_size: 128
    .language:       OpenCL C
    .language_version:
      - 2
      - 0
    .max_flat_workgroup_size: 192
    .name:           _ZN7rocprim17ROCPRIM_400000_NS6detail17trampoline_kernelINS0_14default_configENS1_25partition_config_selectorILNS1_17partition_subalgoE9EyybEEZZNS1_14partition_implILS5_9ELb0ES3_jN6thrust23THRUST_200600_302600_NS6detail15normal_iteratorINS9_10device_ptrIyEEEESE_PNS0_10empty_typeENS0_5tupleIJSE_SF_EEENSH_IJSE_SG_EEENS0_18inequality_wrapperINS9_8equal_toIyEEEEPmJSF_EEE10hipError_tPvRmT3_T4_T5_T6_T7_T9_mT8_P12ihipStream_tbDpT10_ENKUlT_T0_E_clISt17integral_constantIbLb0EES17_IbLb1EEEEDaS13_S14_EUlS13_E_NS1_11comp_targetILNS1_3genE2ELNS1_11target_archE906ELNS1_3gpuE6ELNS1_3repE0EEENS1_30default_config_static_selectorELNS0_4arch9wavefront6targetE0EEEvT1_
    .private_segment_fixed_size: 0
    .sgpr_count:     0
    .sgpr_spill_count: 0
    .symbol:         _ZN7rocprim17ROCPRIM_400000_NS6detail17trampoline_kernelINS0_14default_configENS1_25partition_config_selectorILNS1_17partition_subalgoE9EyybEEZZNS1_14partition_implILS5_9ELb0ES3_jN6thrust23THRUST_200600_302600_NS6detail15normal_iteratorINS9_10device_ptrIyEEEESE_PNS0_10empty_typeENS0_5tupleIJSE_SF_EEENSH_IJSE_SG_EEENS0_18inequality_wrapperINS9_8equal_toIyEEEEPmJSF_EEE10hipError_tPvRmT3_T4_T5_T6_T7_T9_mT8_P12ihipStream_tbDpT10_ENKUlT_T0_E_clISt17integral_constantIbLb0EES17_IbLb1EEEEDaS13_S14_EUlS13_E_NS1_11comp_targetILNS1_3genE2ELNS1_11target_archE906ELNS1_3gpuE6ELNS1_3repE0EEENS1_30default_config_static_selectorELNS0_4arch9wavefront6targetE0EEEvT1_.kd
    .uniform_work_group_size: 1
    .uses_dynamic_stack: false
    .vgpr_count:     0
    .vgpr_spill_count: 0
    .wavefront_size: 32
    .workgroup_processor_mode: 1
  - .args:
      - .offset:         0
        .size:           128
        .value_kind:     by_value
    .group_segment_fixed_size: 0
    .kernarg_segment_align: 8
    .kernarg_segment_size: 128
    .language:       OpenCL C
    .language_version:
      - 2
      - 0
    .max_flat_workgroup_size: 384
    .name:           _ZN7rocprim17ROCPRIM_400000_NS6detail17trampoline_kernelINS0_14default_configENS1_25partition_config_selectorILNS1_17partition_subalgoE9EyybEEZZNS1_14partition_implILS5_9ELb0ES3_jN6thrust23THRUST_200600_302600_NS6detail15normal_iteratorINS9_10device_ptrIyEEEESE_PNS0_10empty_typeENS0_5tupleIJSE_SF_EEENSH_IJSE_SG_EEENS0_18inequality_wrapperINS9_8equal_toIyEEEEPmJSF_EEE10hipError_tPvRmT3_T4_T5_T6_T7_T9_mT8_P12ihipStream_tbDpT10_ENKUlT_T0_E_clISt17integral_constantIbLb0EES17_IbLb1EEEEDaS13_S14_EUlS13_E_NS1_11comp_targetILNS1_3genE10ELNS1_11target_archE1200ELNS1_3gpuE4ELNS1_3repE0EEENS1_30default_config_static_selectorELNS0_4arch9wavefront6targetE0EEEvT1_
    .private_segment_fixed_size: 0
    .sgpr_count:     0
    .sgpr_spill_count: 0
    .symbol:         _ZN7rocprim17ROCPRIM_400000_NS6detail17trampoline_kernelINS0_14default_configENS1_25partition_config_selectorILNS1_17partition_subalgoE9EyybEEZZNS1_14partition_implILS5_9ELb0ES3_jN6thrust23THRUST_200600_302600_NS6detail15normal_iteratorINS9_10device_ptrIyEEEESE_PNS0_10empty_typeENS0_5tupleIJSE_SF_EEENSH_IJSE_SG_EEENS0_18inequality_wrapperINS9_8equal_toIyEEEEPmJSF_EEE10hipError_tPvRmT3_T4_T5_T6_T7_T9_mT8_P12ihipStream_tbDpT10_ENKUlT_T0_E_clISt17integral_constantIbLb0EES17_IbLb1EEEEDaS13_S14_EUlS13_E_NS1_11comp_targetILNS1_3genE10ELNS1_11target_archE1200ELNS1_3gpuE4ELNS1_3repE0EEENS1_30default_config_static_selectorELNS0_4arch9wavefront6targetE0EEEvT1_.kd
    .uniform_work_group_size: 1
    .uses_dynamic_stack: false
    .vgpr_count:     0
    .vgpr_spill_count: 0
    .wavefront_size: 32
    .workgroup_processor_mode: 1
  - .args:
      - .offset:         0
        .size:           128
        .value_kind:     by_value
    .group_segment_fixed_size: 33800
    .kernarg_segment_align: 8
    .kernarg_segment_size: 128
    .language:       OpenCL C
    .language_version:
      - 2
      - 0
    .max_flat_workgroup_size: 512
    .name:           _ZN7rocprim17ROCPRIM_400000_NS6detail17trampoline_kernelINS0_14default_configENS1_25partition_config_selectorILNS1_17partition_subalgoE9EyybEEZZNS1_14partition_implILS5_9ELb0ES3_jN6thrust23THRUST_200600_302600_NS6detail15normal_iteratorINS9_10device_ptrIyEEEESE_PNS0_10empty_typeENS0_5tupleIJSE_SF_EEENSH_IJSE_SG_EEENS0_18inequality_wrapperINS9_8equal_toIyEEEEPmJSF_EEE10hipError_tPvRmT3_T4_T5_T6_T7_T9_mT8_P12ihipStream_tbDpT10_ENKUlT_T0_E_clISt17integral_constantIbLb0EES17_IbLb1EEEEDaS13_S14_EUlS13_E_NS1_11comp_targetILNS1_3genE9ELNS1_11target_archE1100ELNS1_3gpuE3ELNS1_3repE0EEENS1_30default_config_static_selectorELNS0_4arch9wavefront6targetE0EEEvT1_
    .private_segment_fixed_size: 0
    .sgpr_count:     31
    .sgpr_spill_count: 0
    .symbol:         _ZN7rocprim17ROCPRIM_400000_NS6detail17trampoline_kernelINS0_14default_configENS1_25partition_config_selectorILNS1_17partition_subalgoE9EyybEEZZNS1_14partition_implILS5_9ELb0ES3_jN6thrust23THRUST_200600_302600_NS6detail15normal_iteratorINS9_10device_ptrIyEEEESE_PNS0_10empty_typeENS0_5tupleIJSE_SF_EEENSH_IJSE_SG_EEENS0_18inequality_wrapperINS9_8equal_toIyEEEEPmJSF_EEE10hipError_tPvRmT3_T4_T5_T6_T7_T9_mT8_P12ihipStream_tbDpT10_ENKUlT_T0_E_clISt17integral_constantIbLb0EES17_IbLb1EEEEDaS13_S14_EUlS13_E_NS1_11comp_targetILNS1_3genE9ELNS1_11target_archE1100ELNS1_3gpuE3ELNS1_3repE0EEENS1_30default_config_static_selectorELNS0_4arch9wavefront6targetE0EEEvT1_.kd
    .uniform_work_group_size: 1
    .uses_dynamic_stack: false
    .vgpr_count:     68
    .vgpr_spill_count: 0
    .wavefront_size: 32
    .workgroup_processor_mode: 1
  - .args:
      - .offset:         0
        .size:           128
        .value_kind:     by_value
    .group_segment_fixed_size: 0
    .kernarg_segment_align: 8
    .kernarg_segment_size: 128
    .language:       OpenCL C
    .language_version:
      - 2
      - 0
    .max_flat_workgroup_size: 512
    .name:           _ZN7rocprim17ROCPRIM_400000_NS6detail17trampoline_kernelINS0_14default_configENS1_25partition_config_selectorILNS1_17partition_subalgoE9EyybEEZZNS1_14partition_implILS5_9ELb0ES3_jN6thrust23THRUST_200600_302600_NS6detail15normal_iteratorINS9_10device_ptrIyEEEESE_PNS0_10empty_typeENS0_5tupleIJSE_SF_EEENSH_IJSE_SG_EEENS0_18inequality_wrapperINS9_8equal_toIyEEEEPmJSF_EEE10hipError_tPvRmT3_T4_T5_T6_T7_T9_mT8_P12ihipStream_tbDpT10_ENKUlT_T0_E_clISt17integral_constantIbLb0EES17_IbLb1EEEEDaS13_S14_EUlS13_E_NS1_11comp_targetILNS1_3genE8ELNS1_11target_archE1030ELNS1_3gpuE2ELNS1_3repE0EEENS1_30default_config_static_selectorELNS0_4arch9wavefront6targetE0EEEvT1_
    .private_segment_fixed_size: 0
    .sgpr_count:     0
    .sgpr_spill_count: 0
    .symbol:         _ZN7rocprim17ROCPRIM_400000_NS6detail17trampoline_kernelINS0_14default_configENS1_25partition_config_selectorILNS1_17partition_subalgoE9EyybEEZZNS1_14partition_implILS5_9ELb0ES3_jN6thrust23THRUST_200600_302600_NS6detail15normal_iteratorINS9_10device_ptrIyEEEESE_PNS0_10empty_typeENS0_5tupleIJSE_SF_EEENSH_IJSE_SG_EEENS0_18inequality_wrapperINS9_8equal_toIyEEEEPmJSF_EEE10hipError_tPvRmT3_T4_T5_T6_T7_T9_mT8_P12ihipStream_tbDpT10_ENKUlT_T0_E_clISt17integral_constantIbLb0EES17_IbLb1EEEEDaS13_S14_EUlS13_E_NS1_11comp_targetILNS1_3genE8ELNS1_11target_archE1030ELNS1_3gpuE2ELNS1_3repE0EEENS1_30default_config_static_selectorELNS0_4arch9wavefront6targetE0EEEvT1_.kd
    .uniform_work_group_size: 1
    .uses_dynamic_stack: false
    .vgpr_count:     0
    .vgpr_spill_count: 0
    .wavefront_size: 32
    .workgroup_processor_mode: 1
  - .args:
      - .offset:         0
        .size:           112
        .value_kind:     by_value
    .group_segment_fixed_size: 0
    .kernarg_segment_align: 8
    .kernarg_segment_size: 112
    .language:       OpenCL C
    .language_version:
      - 2
      - 0
    .max_flat_workgroup_size: 128
    .name:           _ZN7rocprim17ROCPRIM_400000_NS6detail17trampoline_kernelINS0_14default_configENS1_25partition_config_selectorILNS1_17partition_subalgoE9EyybEEZZNS1_14partition_implILS5_9ELb0ES3_jN6thrust23THRUST_200600_302600_NS6detail15normal_iteratorINS9_10device_ptrIyEEEESE_PNS0_10empty_typeENS0_5tupleIJSE_SF_EEENSH_IJSE_SG_EEENS0_18inequality_wrapperI22is_equal_div_10_uniqueIyEEEPmJSF_EEE10hipError_tPvRmT3_T4_T5_T6_T7_T9_mT8_P12ihipStream_tbDpT10_ENKUlT_T0_E_clISt17integral_constantIbLb0EES18_EEDaS13_S14_EUlS13_E_NS1_11comp_targetILNS1_3genE0ELNS1_11target_archE4294967295ELNS1_3gpuE0ELNS1_3repE0EEENS1_30default_config_static_selectorELNS0_4arch9wavefront6targetE0EEEvT1_
    .private_segment_fixed_size: 0
    .sgpr_count:     0
    .sgpr_spill_count: 0
    .symbol:         _ZN7rocprim17ROCPRIM_400000_NS6detail17trampoline_kernelINS0_14default_configENS1_25partition_config_selectorILNS1_17partition_subalgoE9EyybEEZZNS1_14partition_implILS5_9ELb0ES3_jN6thrust23THRUST_200600_302600_NS6detail15normal_iteratorINS9_10device_ptrIyEEEESE_PNS0_10empty_typeENS0_5tupleIJSE_SF_EEENSH_IJSE_SG_EEENS0_18inequality_wrapperI22is_equal_div_10_uniqueIyEEEPmJSF_EEE10hipError_tPvRmT3_T4_T5_T6_T7_T9_mT8_P12ihipStream_tbDpT10_ENKUlT_T0_E_clISt17integral_constantIbLb0EES18_EEDaS13_S14_EUlS13_E_NS1_11comp_targetILNS1_3genE0ELNS1_11target_archE4294967295ELNS1_3gpuE0ELNS1_3repE0EEENS1_30default_config_static_selectorELNS0_4arch9wavefront6targetE0EEEvT1_.kd
    .uniform_work_group_size: 1
    .uses_dynamic_stack: false
    .vgpr_count:     0
    .vgpr_spill_count: 0
    .wavefront_size: 32
    .workgroup_processor_mode: 1
  - .args:
      - .offset:         0
        .size:           112
        .value_kind:     by_value
    .group_segment_fixed_size: 0
    .kernarg_segment_align: 8
    .kernarg_segment_size: 112
    .language:       OpenCL C
    .language_version:
      - 2
      - 0
    .max_flat_workgroup_size: 512
    .name:           _ZN7rocprim17ROCPRIM_400000_NS6detail17trampoline_kernelINS0_14default_configENS1_25partition_config_selectorILNS1_17partition_subalgoE9EyybEEZZNS1_14partition_implILS5_9ELb0ES3_jN6thrust23THRUST_200600_302600_NS6detail15normal_iteratorINS9_10device_ptrIyEEEESE_PNS0_10empty_typeENS0_5tupleIJSE_SF_EEENSH_IJSE_SG_EEENS0_18inequality_wrapperI22is_equal_div_10_uniqueIyEEEPmJSF_EEE10hipError_tPvRmT3_T4_T5_T6_T7_T9_mT8_P12ihipStream_tbDpT10_ENKUlT_T0_E_clISt17integral_constantIbLb0EES18_EEDaS13_S14_EUlS13_E_NS1_11comp_targetILNS1_3genE5ELNS1_11target_archE942ELNS1_3gpuE9ELNS1_3repE0EEENS1_30default_config_static_selectorELNS0_4arch9wavefront6targetE0EEEvT1_
    .private_segment_fixed_size: 0
    .sgpr_count:     0
    .sgpr_spill_count: 0
    .symbol:         _ZN7rocprim17ROCPRIM_400000_NS6detail17trampoline_kernelINS0_14default_configENS1_25partition_config_selectorILNS1_17partition_subalgoE9EyybEEZZNS1_14partition_implILS5_9ELb0ES3_jN6thrust23THRUST_200600_302600_NS6detail15normal_iteratorINS9_10device_ptrIyEEEESE_PNS0_10empty_typeENS0_5tupleIJSE_SF_EEENSH_IJSE_SG_EEENS0_18inequality_wrapperI22is_equal_div_10_uniqueIyEEEPmJSF_EEE10hipError_tPvRmT3_T4_T5_T6_T7_T9_mT8_P12ihipStream_tbDpT10_ENKUlT_T0_E_clISt17integral_constantIbLb0EES18_EEDaS13_S14_EUlS13_E_NS1_11comp_targetILNS1_3genE5ELNS1_11target_archE942ELNS1_3gpuE9ELNS1_3repE0EEENS1_30default_config_static_selectorELNS0_4arch9wavefront6targetE0EEEvT1_.kd
    .uniform_work_group_size: 1
    .uses_dynamic_stack: false
    .vgpr_count:     0
    .vgpr_spill_count: 0
    .wavefront_size: 32
    .workgroup_processor_mode: 1
  - .args:
      - .offset:         0
        .size:           112
        .value_kind:     by_value
    .group_segment_fixed_size: 0
    .kernarg_segment_align: 8
    .kernarg_segment_size: 112
    .language:       OpenCL C
    .language_version:
      - 2
      - 0
    .max_flat_workgroup_size: 128
    .name:           _ZN7rocprim17ROCPRIM_400000_NS6detail17trampoline_kernelINS0_14default_configENS1_25partition_config_selectorILNS1_17partition_subalgoE9EyybEEZZNS1_14partition_implILS5_9ELb0ES3_jN6thrust23THRUST_200600_302600_NS6detail15normal_iteratorINS9_10device_ptrIyEEEESE_PNS0_10empty_typeENS0_5tupleIJSE_SF_EEENSH_IJSE_SG_EEENS0_18inequality_wrapperI22is_equal_div_10_uniqueIyEEEPmJSF_EEE10hipError_tPvRmT3_T4_T5_T6_T7_T9_mT8_P12ihipStream_tbDpT10_ENKUlT_T0_E_clISt17integral_constantIbLb0EES18_EEDaS13_S14_EUlS13_E_NS1_11comp_targetILNS1_3genE4ELNS1_11target_archE910ELNS1_3gpuE8ELNS1_3repE0EEENS1_30default_config_static_selectorELNS0_4arch9wavefront6targetE0EEEvT1_
    .private_segment_fixed_size: 0
    .sgpr_count:     0
    .sgpr_spill_count: 0
    .symbol:         _ZN7rocprim17ROCPRIM_400000_NS6detail17trampoline_kernelINS0_14default_configENS1_25partition_config_selectorILNS1_17partition_subalgoE9EyybEEZZNS1_14partition_implILS5_9ELb0ES3_jN6thrust23THRUST_200600_302600_NS6detail15normal_iteratorINS9_10device_ptrIyEEEESE_PNS0_10empty_typeENS0_5tupleIJSE_SF_EEENSH_IJSE_SG_EEENS0_18inequality_wrapperI22is_equal_div_10_uniqueIyEEEPmJSF_EEE10hipError_tPvRmT3_T4_T5_T6_T7_T9_mT8_P12ihipStream_tbDpT10_ENKUlT_T0_E_clISt17integral_constantIbLb0EES18_EEDaS13_S14_EUlS13_E_NS1_11comp_targetILNS1_3genE4ELNS1_11target_archE910ELNS1_3gpuE8ELNS1_3repE0EEENS1_30default_config_static_selectorELNS0_4arch9wavefront6targetE0EEEvT1_.kd
    .uniform_work_group_size: 1
    .uses_dynamic_stack: false
    .vgpr_count:     0
    .vgpr_spill_count: 0
    .wavefront_size: 32
    .workgroup_processor_mode: 1
  - .args:
      - .offset:         0
        .size:           112
        .value_kind:     by_value
    .group_segment_fixed_size: 0
    .kernarg_segment_align: 8
    .kernarg_segment_size: 112
    .language:       OpenCL C
    .language_version:
      - 2
      - 0
    .max_flat_workgroup_size: 128
    .name:           _ZN7rocprim17ROCPRIM_400000_NS6detail17trampoline_kernelINS0_14default_configENS1_25partition_config_selectorILNS1_17partition_subalgoE9EyybEEZZNS1_14partition_implILS5_9ELb0ES3_jN6thrust23THRUST_200600_302600_NS6detail15normal_iteratorINS9_10device_ptrIyEEEESE_PNS0_10empty_typeENS0_5tupleIJSE_SF_EEENSH_IJSE_SG_EEENS0_18inequality_wrapperI22is_equal_div_10_uniqueIyEEEPmJSF_EEE10hipError_tPvRmT3_T4_T5_T6_T7_T9_mT8_P12ihipStream_tbDpT10_ENKUlT_T0_E_clISt17integral_constantIbLb0EES18_EEDaS13_S14_EUlS13_E_NS1_11comp_targetILNS1_3genE3ELNS1_11target_archE908ELNS1_3gpuE7ELNS1_3repE0EEENS1_30default_config_static_selectorELNS0_4arch9wavefront6targetE0EEEvT1_
    .private_segment_fixed_size: 0
    .sgpr_count:     0
    .sgpr_spill_count: 0
    .symbol:         _ZN7rocprim17ROCPRIM_400000_NS6detail17trampoline_kernelINS0_14default_configENS1_25partition_config_selectorILNS1_17partition_subalgoE9EyybEEZZNS1_14partition_implILS5_9ELb0ES3_jN6thrust23THRUST_200600_302600_NS6detail15normal_iteratorINS9_10device_ptrIyEEEESE_PNS0_10empty_typeENS0_5tupleIJSE_SF_EEENSH_IJSE_SG_EEENS0_18inequality_wrapperI22is_equal_div_10_uniqueIyEEEPmJSF_EEE10hipError_tPvRmT3_T4_T5_T6_T7_T9_mT8_P12ihipStream_tbDpT10_ENKUlT_T0_E_clISt17integral_constantIbLb0EES18_EEDaS13_S14_EUlS13_E_NS1_11comp_targetILNS1_3genE3ELNS1_11target_archE908ELNS1_3gpuE7ELNS1_3repE0EEENS1_30default_config_static_selectorELNS0_4arch9wavefront6targetE0EEEvT1_.kd
    .uniform_work_group_size: 1
    .uses_dynamic_stack: false
    .vgpr_count:     0
    .vgpr_spill_count: 0
    .wavefront_size: 32
    .workgroup_processor_mode: 1
  - .args:
      - .offset:         0
        .size:           112
        .value_kind:     by_value
    .group_segment_fixed_size: 0
    .kernarg_segment_align: 8
    .kernarg_segment_size: 112
    .language:       OpenCL C
    .language_version:
      - 2
      - 0
    .max_flat_workgroup_size: 192
    .name:           _ZN7rocprim17ROCPRIM_400000_NS6detail17trampoline_kernelINS0_14default_configENS1_25partition_config_selectorILNS1_17partition_subalgoE9EyybEEZZNS1_14partition_implILS5_9ELb0ES3_jN6thrust23THRUST_200600_302600_NS6detail15normal_iteratorINS9_10device_ptrIyEEEESE_PNS0_10empty_typeENS0_5tupleIJSE_SF_EEENSH_IJSE_SG_EEENS0_18inequality_wrapperI22is_equal_div_10_uniqueIyEEEPmJSF_EEE10hipError_tPvRmT3_T4_T5_T6_T7_T9_mT8_P12ihipStream_tbDpT10_ENKUlT_T0_E_clISt17integral_constantIbLb0EES18_EEDaS13_S14_EUlS13_E_NS1_11comp_targetILNS1_3genE2ELNS1_11target_archE906ELNS1_3gpuE6ELNS1_3repE0EEENS1_30default_config_static_selectorELNS0_4arch9wavefront6targetE0EEEvT1_
    .private_segment_fixed_size: 0
    .sgpr_count:     0
    .sgpr_spill_count: 0
    .symbol:         _ZN7rocprim17ROCPRIM_400000_NS6detail17trampoline_kernelINS0_14default_configENS1_25partition_config_selectorILNS1_17partition_subalgoE9EyybEEZZNS1_14partition_implILS5_9ELb0ES3_jN6thrust23THRUST_200600_302600_NS6detail15normal_iteratorINS9_10device_ptrIyEEEESE_PNS0_10empty_typeENS0_5tupleIJSE_SF_EEENSH_IJSE_SG_EEENS0_18inequality_wrapperI22is_equal_div_10_uniqueIyEEEPmJSF_EEE10hipError_tPvRmT3_T4_T5_T6_T7_T9_mT8_P12ihipStream_tbDpT10_ENKUlT_T0_E_clISt17integral_constantIbLb0EES18_EEDaS13_S14_EUlS13_E_NS1_11comp_targetILNS1_3genE2ELNS1_11target_archE906ELNS1_3gpuE6ELNS1_3repE0EEENS1_30default_config_static_selectorELNS0_4arch9wavefront6targetE0EEEvT1_.kd
    .uniform_work_group_size: 1
    .uses_dynamic_stack: false
    .vgpr_count:     0
    .vgpr_spill_count: 0
    .wavefront_size: 32
    .workgroup_processor_mode: 1
  - .args:
      - .offset:         0
        .size:           112
        .value_kind:     by_value
    .group_segment_fixed_size: 0
    .kernarg_segment_align: 8
    .kernarg_segment_size: 112
    .language:       OpenCL C
    .language_version:
      - 2
      - 0
    .max_flat_workgroup_size: 384
    .name:           _ZN7rocprim17ROCPRIM_400000_NS6detail17trampoline_kernelINS0_14default_configENS1_25partition_config_selectorILNS1_17partition_subalgoE9EyybEEZZNS1_14partition_implILS5_9ELb0ES3_jN6thrust23THRUST_200600_302600_NS6detail15normal_iteratorINS9_10device_ptrIyEEEESE_PNS0_10empty_typeENS0_5tupleIJSE_SF_EEENSH_IJSE_SG_EEENS0_18inequality_wrapperI22is_equal_div_10_uniqueIyEEEPmJSF_EEE10hipError_tPvRmT3_T4_T5_T6_T7_T9_mT8_P12ihipStream_tbDpT10_ENKUlT_T0_E_clISt17integral_constantIbLb0EES18_EEDaS13_S14_EUlS13_E_NS1_11comp_targetILNS1_3genE10ELNS1_11target_archE1200ELNS1_3gpuE4ELNS1_3repE0EEENS1_30default_config_static_selectorELNS0_4arch9wavefront6targetE0EEEvT1_
    .private_segment_fixed_size: 0
    .sgpr_count:     0
    .sgpr_spill_count: 0
    .symbol:         _ZN7rocprim17ROCPRIM_400000_NS6detail17trampoline_kernelINS0_14default_configENS1_25partition_config_selectorILNS1_17partition_subalgoE9EyybEEZZNS1_14partition_implILS5_9ELb0ES3_jN6thrust23THRUST_200600_302600_NS6detail15normal_iteratorINS9_10device_ptrIyEEEESE_PNS0_10empty_typeENS0_5tupleIJSE_SF_EEENSH_IJSE_SG_EEENS0_18inequality_wrapperI22is_equal_div_10_uniqueIyEEEPmJSF_EEE10hipError_tPvRmT3_T4_T5_T6_T7_T9_mT8_P12ihipStream_tbDpT10_ENKUlT_T0_E_clISt17integral_constantIbLb0EES18_EEDaS13_S14_EUlS13_E_NS1_11comp_targetILNS1_3genE10ELNS1_11target_archE1200ELNS1_3gpuE4ELNS1_3repE0EEENS1_30default_config_static_selectorELNS0_4arch9wavefront6targetE0EEEvT1_.kd
    .uniform_work_group_size: 1
    .uses_dynamic_stack: false
    .vgpr_count:     0
    .vgpr_spill_count: 0
    .wavefront_size: 32
    .workgroup_processor_mode: 1
  - .args:
      - .offset:         0
        .size:           112
        .value_kind:     by_value
    .group_segment_fixed_size: 33800
    .kernarg_segment_align: 8
    .kernarg_segment_size: 112
    .language:       OpenCL C
    .language_version:
      - 2
      - 0
    .max_flat_workgroup_size: 512
    .name:           _ZN7rocprim17ROCPRIM_400000_NS6detail17trampoline_kernelINS0_14default_configENS1_25partition_config_selectorILNS1_17partition_subalgoE9EyybEEZZNS1_14partition_implILS5_9ELb0ES3_jN6thrust23THRUST_200600_302600_NS6detail15normal_iteratorINS9_10device_ptrIyEEEESE_PNS0_10empty_typeENS0_5tupleIJSE_SF_EEENSH_IJSE_SG_EEENS0_18inequality_wrapperI22is_equal_div_10_uniqueIyEEEPmJSF_EEE10hipError_tPvRmT3_T4_T5_T6_T7_T9_mT8_P12ihipStream_tbDpT10_ENKUlT_T0_E_clISt17integral_constantIbLb0EES18_EEDaS13_S14_EUlS13_E_NS1_11comp_targetILNS1_3genE9ELNS1_11target_archE1100ELNS1_3gpuE3ELNS1_3repE0EEENS1_30default_config_static_selectorELNS0_4arch9wavefront6targetE0EEEvT1_
    .private_segment_fixed_size: 0
    .sgpr_count:     27
    .sgpr_spill_count: 0
    .symbol:         _ZN7rocprim17ROCPRIM_400000_NS6detail17trampoline_kernelINS0_14default_configENS1_25partition_config_selectorILNS1_17partition_subalgoE9EyybEEZZNS1_14partition_implILS5_9ELb0ES3_jN6thrust23THRUST_200600_302600_NS6detail15normal_iteratorINS9_10device_ptrIyEEEESE_PNS0_10empty_typeENS0_5tupleIJSE_SF_EEENSH_IJSE_SG_EEENS0_18inequality_wrapperI22is_equal_div_10_uniqueIyEEEPmJSF_EEE10hipError_tPvRmT3_T4_T5_T6_T7_T9_mT8_P12ihipStream_tbDpT10_ENKUlT_T0_E_clISt17integral_constantIbLb0EES18_EEDaS13_S14_EUlS13_E_NS1_11comp_targetILNS1_3genE9ELNS1_11target_archE1100ELNS1_3gpuE3ELNS1_3repE0EEENS1_30default_config_static_selectorELNS0_4arch9wavefront6targetE0EEEvT1_.kd
    .uniform_work_group_size: 1
    .uses_dynamic_stack: false
    .vgpr_count:     68
    .vgpr_spill_count: 0
    .wavefront_size: 32
    .workgroup_processor_mode: 1
  - .args:
      - .offset:         0
        .size:           112
        .value_kind:     by_value
    .group_segment_fixed_size: 0
    .kernarg_segment_align: 8
    .kernarg_segment_size: 112
    .language:       OpenCL C
    .language_version:
      - 2
      - 0
    .max_flat_workgroup_size: 512
    .name:           _ZN7rocprim17ROCPRIM_400000_NS6detail17trampoline_kernelINS0_14default_configENS1_25partition_config_selectorILNS1_17partition_subalgoE9EyybEEZZNS1_14partition_implILS5_9ELb0ES3_jN6thrust23THRUST_200600_302600_NS6detail15normal_iteratorINS9_10device_ptrIyEEEESE_PNS0_10empty_typeENS0_5tupleIJSE_SF_EEENSH_IJSE_SG_EEENS0_18inequality_wrapperI22is_equal_div_10_uniqueIyEEEPmJSF_EEE10hipError_tPvRmT3_T4_T5_T6_T7_T9_mT8_P12ihipStream_tbDpT10_ENKUlT_T0_E_clISt17integral_constantIbLb0EES18_EEDaS13_S14_EUlS13_E_NS1_11comp_targetILNS1_3genE8ELNS1_11target_archE1030ELNS1_3gpuE2ELNS1_3repE0EEENS1_30default_config_static_selectorELNS0_4arch9wavefront6targetE0EEEvT1_
    .private_segment_fixed_size: 0
    .sgpr_count:     0
    .sgpr_spill_count: 0
    .symbol:         _ZN7rocprim17ROCPRIM_400000_NS6detail17trampoline_kernelINS0_14default_configENS1_25partition_config_selectorILNS1_17partition_subalgoE9EyybEEZZNS1_14partition_implILS5_9ELb0ES3_jN6thrust23THRUST_200600_302600_NS6detail15normal_iteratorINS9_10device_ptrIyEEEESE_PNS0_10empty_typeENS0_5tupleIJSE_SF_EEENSH_IJSE_SG_EEENS0_18inequality_wrapperI22is_equal_div_10_uniqueIyEEEPmJSF_EEE10hipError_tPvRmT3_T4_T5_T6_T7_T9_mT8_P12ihipStream_tbDpT10_ENKUlT_T0_E_clISt17integral_constantIbLb0EES18_EEDaS13_S14_EUlS13_E_NS1_11comp_targetILNS1_3genE8ELNS1_11target_archE1030ELNS1_3gpuE2ELNS1_3repE0EEENS1_30default_config_static_selectorELNS0_4arch9wavefront6targetE0EEEvT1_.kd
    .uniform_work_group_size: 1
    .uses_dynamic_stack: false
    .vgpr_count:     0
    .vgpr_spill_count: 0
    .wavefront_size: 32
    .workgroup_processor_mode: 1
  - .args:
      - .offset:         0
        .size:           128
        .value_kind:     by_value
    .group_segment_fixed_size: 0
    .kernarg_segment_align: 8
    .kernarg_segment_size: 128
    .language:       OpenCL C
    .language_version:
      - 2
      - 0
    .max_flat_workgroup_size: 128
    .name:           _ZN7rocprim17ROCPRIM_400000_NS6detail17trampoline_kernelINS0_14default_configENS1_25partition_config_selectorILNS1_17partition_subalgoE9EyybEEZZNS1_14partition_implILS5_9ELb0ES3_jN6thrust23THRUST_200600_302600_NS6detail15normal_iteratorINS9_10device_ptrIyEEEESE_PNS0_10empty_typeENS0_5tupleIJSE_SF_EEENSH_IJSE_SG_EEENS0_18inequality_wrapperI22is_equal_div_10_uniqueIyEEEPmJSF_EEE10hipError_tPvRmT3_T4_T5_T6_T7_T9_mT8_P12ihipStream_tbDpT10_ENKUlT_T0_E_clISt17integral_constantIbLb1EES18_EEDaS13_S14_EUlS13_E_NS1_11comp_targetILNS1_3genE0ELNS1_11target_archE4294967295ELNS1_3gpuE0ELNS1_3repE0EEENS1_30default_config_static_selectorELNS0_4arch9wavefront6targetE0EEEvT1_
    .private_segment_fixed_size: 0
    .sgpr_count:     0
    .sgpr_spill_count: 0
    .symbol:         _ZN7rocprim17ROCPRIM_400000_NS6detail17trampoline_kernelINS0_14default_configENS1_25partition_config_selectorILNS1_17partition_subalgoE9EyybEEZZNS1_14partition_implILS5_9ELb0ES3_jN6thrust23THRUST_200600_302600_NS6detail15normal_iteratorINS9_10device_ptrIyEEEESE_PNS0_10empty_typeENS0_5tupleIJSE_SF_EEENSH_IJSE_SG_EEENS0_18inequality_wrapperI22is_equal_div_10_uniqueIyEEEPmJSF_EEE10hipError_tPvRmT3_T4_T5_T6_T7_T9_mT8_P12ihipStream_tbDpT10_ENKUlT_T0_E_clISt17integral_constantIbLb1EES18_EEDaS13_S14_EUlS13_E_NS1_11comp_targetILNS1_3genE0ELNS1_11target_archE4294967295ELNS1_3gpuE0ELNS1_3repE0EEENS1_30default_config_static_selectorELNS0_4arch9wavefront6targetE0EEEvT1_.kd
    .uniform_work_group_size: 1
    .uses_dynamic_stack: false
    .vgpr_count:     0
    .vgpr_spill_count: 0
    .wavefront_size: 32
    .workgroup_processor_mode: 1
  - .args:
      - .offset:         0
        .size:           128
        .value_kind:     by_value
    .group_segment_fixed_size: 0
    .kernarg_segment_align: 8
    .kernarg_segment_size: 128
    .language:       OpenCL C
    .language_version:
      - 2
      - 0
    .max_flat_workgroup_size: 512
    .name:           _ZN7rocprim17ROCPRIM_400000_NS6detail17trampoline_kernelINS0_14default_configENS1_25partition_config_selectorILNS1_17partition_subalgoE9EyybEEZZNS1_14partition_implILS5_9ELb0ES3_jN6thrust23THRUST_200600_302600_NS6detail15normal_iteratorINS9_10device_ptrIyEEEESE_PNS0_10empty_typeENS0_5tupleIJSE_SF_EEENSH_IJSE_SG_EEENS0_18inequality_wrapperI22is_equal_div_10_uniqueIyEEEPmJSF_EEE10hipError_tPvRmT3_T4_T5_T6_T7_T9_mT8_P12ihipStream_tbDpT10_ENKUlT_T0_E_clISt17integral_constantIbLb1EES18_EEDaS13_S14_EUlS13_E_NS1_11comp_targetILNS1_3genE5ELNS1_11target_archE942ELNS1_3gpuE9ELNS1_3repE0EEENS1_30default_config_static_selectorELNS0_4arch9wavefront6targetE0EEEvT1_
    .private_segment_fixed_size: 0
    .sgpr_count:     0
    .sgpr_spill_count: 0
    .symbol:         _ZN7rocprim17ROCPRIM_400000_NS6detail17trampoline_kernelINS0_14default_configENS1_25partition_config_selectorILNS1_17partition_subalgoE9EyybEEZZNS1_14partition_implILS5_9ELb0ES3_jN6thrust23THRUST_200600_302600_NS6detail15normal_iteratorINS9_10device_ptrIyEEEESE_PNS0_10empty_typeENS0_5tupleIJSE_SF_EEENSH_IJSE_SG_EEENS0_18inequality_wrapperI22is_equal_div_10_uniqueIyEEEPmJSF_EEE10hipError_tPvRmT3_T4_T5_T6_T7_T9_mT8_P12ihipStream_tbDpT10_ENKUlT_T0_E_clISt17integral_constantIbLb1EES18_EEDaS13_S14_EUlS13_E_NS1_11comp_targetILNS1_3genE5ELNS1_11target_archE942ELNS1_3gpuE9ELNS1_3repE0EEENS1_30default_config_static_selectorELNS0_4arch9wavefront6targetE0EEEvT1_.kd
    .uniform_work_group_size: 1
    .uses_dynamic_stack: false
    .vgpr_count:     0
    .vgpr_spill_count: 0
    .wavefront_size: 32
    .workgroup_processor_mode: 1
  - .args:
      - .offset:         0
        .size:           128
        .value_kind:     by_value
    .group_segment_fixed_size: 0
    .kernarg_segment_align: 8
    .kernarg_segment_size: 128
    .language:       OpenCL C
    .language_version:
      - 2
      - 0
    .max_flat_workgroup_size: 128
    .name:           _ZN7rocprim17ROCPRIM_400000_NS6detail17trampoline_kernelINS0_14default_configENS1_25partition_config_selectorILNS1_17partition_subalgoE9EyybEEZZNS1_14partition_implILS5_9ELb0ES3_jN6thrust23THRUST_200600_302600_NS6detail15normal_iteratorINS9_10device_ptrIyEEEESE_PNS0_10empty_typeENS0_5tupleIJSE_SF_EEENSH_IJSE_SG_EEENS0_18inequality_wrapperI22is_equal_div_10_uniqueIyEEEPmJSF_EEE10hipError_tPvRmT3_T4_T5_T6_T7_T9_mT8_P12ihipStream_tbDpT10_ENKUlT_T0_E_clISt17integral_constantIbLb1EES18_EEDaS13_S14_EUlS13_E_NS1_11comp_targetILNS1_3genE4ELNS1_11target_archE910ELNS1_3gpuE8ELNS1_3repE0EEENS1_30default_config_static_selectorELNS0_4arch9wavefront6targetE0EEEvT1_
    .private_segment_fixed_size: 0
    .sgpr_count:     0
    .sgpr_spill_count: 0
    .symbol:         _ZN7rocprim17ROCPRIM_400000_NS6detail17trampoline_kernelINS0_14default_configENS1_25partition_config_selectorILNS1_17partition_subalgoE9EyybEEZZNS1_14partition_implILS5_9ELb0ES3_jN6thrust23THRUST_200600_302600_NS6detail15normal_iteratorINS9_10device_ptrIyEEEESE_PNS0_10empty_typeENS0_5tupleIJSE_SF_EEENSH_IJSE_SG_EEENS0_18inequality_wrapperI22is_equal_div_10_uniqueIyEEEPmJSF_EEE10hipError_tPvRmT3_T4_T5_T6_T7_T9_mT8_P12ihipStream_tbDpT10_ENKUlT_T0_E_clISt17integral_constantIbLb1EES18_EEDaS13_S14_EUlS13_E_NS1_11comp_targetILNS1_3genE4ELNS1_11target_archE910ELNS1_3gpuE8ELNS1_3repE0EEENS1_30default_config_static_selectorELNS0_4arch9wavefront6targetE0EEEvT1_.kd
    .uniform_work_group_size: 1
    .uses_dynamic_stack: false
    .vgpr_count:     0
    .vgpr_spill_count: 0
    .wavefront_size: 32
    .workgroup_processor_mode: 1
  - .args:
      - .offset:         0
        .size:           128
        .value_kind:     by_value
    .group_segment_fixed_size: 0
    .kernarg_segment_align: 8
    .kernarg_segment_size: 128
    .language:       OpenCL C
    .language_version:
      - 2
      - 0
    .max_flat_workgroup_size: 128
    .name:           _ZN7rocprim17ROCPRIM_400000_NS6detail17trampoline_kernelINS0_14default_configENS1_25partition_config_selectorILNS1_17partition_subalgoE9EyybEEZZNS1_14partition_implILS5_9ELb0ES3_jN6thrust23THRUST_200600_302600_NS6detail15normal_iteratorINS9_10device_ptrIyEEEESE_PNS0_10empty_typeENS0_5tupleIJSE_SF_EEENSH_IJSE_SG_EEENS0_18inequality_wrapperI22is_equal_div_10_uniqueIyEEEPmJSF_EEE10hipError_tPvRmT3_T4_T5_T6_T7_T9_mT8_P12ihipStream_tbDpT10_ENKUlT_T0_E_clISt17integral_constantIbLb1EES18_EEDaS13_S14_EUlS13_E_NS1_11comp_targetILNS1_3genE3ELNS1_11target_archE908ELNS1_3gpuE7ELNS1_3repE0EEENS1_30default_config_static_selectorELNS0_4arch9wavefront6targetE0EEEvT1_
    .private_segment_fixed_size: 0
    .sgpr_count:     0
    .sgpr_spill_count: 0
    .symbol:         _ZN7rocprim17ROCPRIM_400000_NS6detail17trampoline_kernelINS0_14default_configENS1_25partition_config_selectorILNS1_17partition_subalgoE9EyybEEZZNS1_14partition_implILS5_9ELb0ES3_jN6thrust23THRUST_200600_302600_NS6detail15normal_iteratorINS9_10device_ptrIyEEEESE_PNS0_10empty_typeENS0_5tupleIJSE_SF_EEENSH_IJSE_SG_EEENS0_18inequality_wrapperI22is_equal_div_10_uniqueIyEEEPmJSF_EEE10hipError_tPvRmT3_T4_T5_T6_T7_T9_mT8_P12ihipStream_tbDpT10_ENKUlT_T0_E_clISt17integral_constantIbLb1EES18_EEDaS13_S14_EUlS13_E_NS1_11comp_targetILNS1_3genE3ELNS1_11target_archE908ELNS1_3gpuE7ELNS1_3repE0EEENS1_30default_config_static_selectorELNS0_4arch9wavefront6targetE0EEEvT1_.kd
    .uniform_work_group_size: 1
    .uses_dynamic_stack: false
    .vgpr_count:     0
    .vgpr_spill_count: 0
    .wavefront_size: 32
    .workgroup_processor_mode: 1
  - .args:
      - .offset:         0
        .size:           128
        .value_kind:     by_value
    .group_segment_fixed_size: 0
    .kernarg_segment_align: 8
    .kernarg_segment_size: 128
    .language:       OpenCL C
    .language_version:
      - 2
      - 0
    .max_flat_workgroup_size: 192
    .name:           _ZN7rocprim17ROCPRIM_400000_NS6detail17trampoline_kernelINS0_14default_configENS1_25partition_config_selectorILNS1_17partition_subalgoE9EyybEEZZNS1_14partition_implILS5_9ELb0ES3_jN6thrust23THRUST_200600_302600_NS6detail15normal_iteratorINS9_10device_ptrIyEEEESE_PNS0_10empty_typeENS0_5tupleIJSE_SF_EEENSH_IJSE_SG_EEENS0_18inequality_wrapperI22is_equal_div_10_uniqueIyEEEPmJSF_EEE10hipError_tPvRmT3_T4_T5_T6_T7_T9_mT8_P12ihipStream_tbDpT10_ENKUlT_T0_E_clISt17integral_constantIbLb1EES18_EEDaS13_S14_EUlS13_E_NS1_11comp_targetILNS1_3genE2ELNS1_11target_archE906ELNS1_3gpuE6ELNS1_3repE0EEENS1_30default_config_static_selectorELNS0_4arch9wavefront6targetE0EEEvT1_
    .private_segment_fixed_size: 0
    .sgpr_count:     0
    .sgpr_spill_count: 0
    .symbol:         _ZN7rocprim17ROCPRIM_400000_NS6detail17trampoline_kernelINS0_14default_configENS1_25partition_config_selectorILNS1_17partition_subalgoE9EyybEEZZNS1_14partition_implILS5_9ELb0ES3_jN6thrust23THRUST_200600_302600_NS6detail15normal_iteratorINS9_10device_ptrIyEEEESE_PNS0_10empty_typeENS0_5tupleIJSE_SF_EEENSH_IJSE_SG_EEENS0_18inequality_wrapperI22is_equal_div_10_uniqueIyEEEPmJSF_EEE10hipError_tPvRmT3_T4_T5_T6_T7_T9_mT8_P12ihipStream_tbDpT10_ENKUlT_T0_E_clISt17integral_constantIbLb1EES18_EEDaS13_S14_EUlS13_E_NS1_11comp_targetILNS1_3genE2ELNS1_11target_archE906ELNS1_3gpuE6ELNS1_3repE0EEENS1_30default_config_static_selectorELNS0_4arch9wavefront6targetE0EEEvT1_.kd
    .uniform_work_group_size: 1
    .uses_dynamic_stack: false
    .vgpr_count:     0
    .vgpr_spill_count: 0
    .wavefront_size: 32
    .workgroup_processor_mode: 1
  - .args:
      - .offset:         0
        .size:           128
        .value_kind:     by_value
    .group_segment_fixed_size: 0
    .kernarg_segment_align: 8
    .kernarg_segment_size: 128
    .language:       OpenCL C
    .language_version:
      - 2
      - 0
    .max_flat_workgroup_size: 384
    .name:           _ZN7rocprim17ROCPRIM_400000_NS6detail17trampoline_kernelINS0_14default_configENS1_25partition_config_selectorILNS1_17partition_subalgoE9EyybEEZZNS1_14partition_implILS5_9ELb0ES3_jN6thrust23THRUST_200600_302600_NS6detail15normal_iteratorINS9_10device_ptrIyEEEESE_PNS0_10empty_typeENS0_5tupleIJSE_SF_EEENSH_IJSE_SG_EEENS0_18inequality_wrapperI22is_equal_div_10_uniqueIyEEEPmJSF_EEE10hipError_tPvRmT3_T4_T5_T6_T7_T9_mT8_P12ihipStream_tbDpT10_ENKUlT_T0_E_clISt17integral_constantIbLb1EES18_EEDaS13_S14_EUlS13_E_NS1_11comp_targetILNS1_3genE10ELNS1_11target_archE1200ELNS1_3gpuE4ELNS1_3repE0EEENS1_30default_config_static_selectorELNS0_4arch9wavefront6targetE0EEEvT1_
    .private_segment_fixed_size: 0
    .sgpr_count:     0
    .sgpr_spill_count: 0
    .symbol:         _ZN7rocprim17ROCPRIM_400000_NS6detail17trampoline_kernelINS0_14default_configENS1_25partition_config_selectorILNS1_17partition_subalgoE9EyybEEZZNS1_14partition_implILS5_9ELb0ES3_jN6thrust23THRUST_200600_302600_NS6detail15normal_iteratorINS9_10device_ptrIyEEEESE_PNS0_10empty_typeENS0_5tupleIJSE_SF_EEENSH_IJSE_SG_EEENS0_18inequality_wrapperI22is_equal_div_10_uniqueIyEEEPmJSF_EEE10hipError_tPvRmT3_T4_T5_T6_T7_T9_mT8_P12ihipStream_tbDpT10_ENKUlT_T0_E_clISt17integral_constantIbLb1EES18_EEDaS13_S14_EUlS13_E_NS1_11comp_targetILNS1_3genE10ELNS1_11target_archE1200ELNS1_3gpuE4ELNS1_3repE0EEENS1_30default_config_static_selectorELNS0_4arch9wavefront6targetE0EEEvT1_.kd
    .uniform_work_group_size: 1
    .uses_dynamic_stack: false
    .vgpr_count:     0
    .vgpr_spill_count: 0
    .wavefront_size: 32
    .workgroup_processor_mode: 1
  - .args:
      - .offset:         0
        .size:           128
        .value_kind:     by_value
    .group_segment_fixed_size: 33800
    .kernarg_segment_align: 8
    .kernarg_segment_size: 128
    .language:       OpenCL C
    .language_version:
      - 2
      - 0
    .max_flat_workgroup_size: 512
    .name:           _ZN7rocprim17ROCPRIM_400000_NS6detail17trampoline_kernelINS0_14default_configENS1_25partition_config_selectorILNS1_17partition_subalgoE9EyybEEZZNS1_14partition_implILS5_9ELb0ES3_jN6thrust23THRUST_200600_302600_NS6detail15normal_iteratorINS9_10device_ptrIyEEEESE_PNS0_10empty_typeENS0_5tupleIJSE_SF_EEENSH_IJSE_SG_EEENS0_18inequality_wrapperI22is_equal_div_10_uniqueIyEEEPmJSF_EEE10hipError_tPvRmT3_T4_T5_T6_T7_T9_mT8_P12ihipStream_tbDpT10_ENKUlT_T0_E_clISt17integral_constantIbLb1EES18_EEDaS13_S14_EUlS13_E_NS1_11comp_targetILNS1_3genE9ELNS1_11target_archE1100ELNS1_3gpuE3ELNS1_3repE0EEENS1_30default_config_static_selectorELNS0_4arch9wavefront6targetE0EEEvT1_
    .private_segment_fixed_size: 0
    .sgpr_count:     31
    .sgpr_spill_count: 0
    .symbol:         _ZN7rocprim17ROCPRIM_400000_NS6detail17trampoline_kernelINS0_14default_configENS1_25partition_config_selectorILNS1_17partition_subalgoE9EyybEEZZNS1_14partition_implILS5_9ELb0ES3_jN6thrust23THRUST_200600_302600_NS6detail15normal_iteratorINS9_10device_ptrIyEEEESE_PNS0_10empty_typeENS0_5tupleIJSE_SF_EEENSH_IJSE_SG_EEENS0_18inequality_wrapperI22is_equal_div_10_uniqueIyEEEPmJSF_EEE10hipError_tPvRmT3_T4_T5_T6_T7_T9_mT8_P12ihipStream_tbDpT10_ENKUlT_T0_E_clISt17integral_constantIbLb1EES18_EEDaS13_S14_EUlS13_E_NS1_11comp_targetILNS1_3genE9ELNS1_11target_archE1100ELNS1_3gpuE3ELNS1_3repE0EEENS1_30default_config_static_selectorELNS0_4arch9wavefront6targetE0EEEvT1_.kd
    .uniform_work_group_size: 1
    .uses_dynamic_stack: false
    .vgpr_count:     68
    .vgpr_spill_count: 0
    .wavefront_size: 32
    .workgroup_processor_mode: 1
  - .args:
      - .offset:         0
        .size:           128
        .value_kind:     by_value
    .group_segment_fixed_size: 0
    .kernarg_segment_align: 8
    .kernarg_segment_size: 128
    .language:       OpenCL C
    .language_version:
      - 2
      - 0
    .max_flat_workgroup_size: 512
    .name:           _ZN7rocprim17ROCPRIM_400000_NS6detail17trampoline_kernelINS0_14default_configENS1_25partition_config_selectorILNS1_17partition_subalgoE9EyybEEZZNS1_14partition_implILS5_9ELb0ES3_jN6thrust23THRUST_200600_302600_NS6detail15normal_iteratorINS9_10device_ptrIyEEEESE_PNS0_10empty_typeENS0_5tupleIJSE_SF_EEENSH_IJSE_SG_EEENS0_18inequality_wrapperI22is_equal_div_10_uniqueIyEEEPmJSF_EEE10hipError_tPvRmT3_T4_T5_T6_T7_T9_mT8_P12ihipStream_tbDpT10_ENKUlT_T0_E_clISt17integral_constantIbLb1EES18_EEDaS13_S14_EUlS13_E_NS1_11comp_targetILNS1_3genE8ELNS1_11target_archE1030ELNS1_3gpuE2ELNS1_3repE0EEENS1_30default_config_static_selectorELNS0_4arch9wavefront6targetE0EEEvT1_
    .private_segment_fixed_size: 0
    .sgpr_count:     0
    .sgpr_spill_count: 0
    .symbol:         _ZN7rocprim17ROCPRIM_400000_NS6detail17trampoline_kernelINS0_14default_configENS1_25partition_config_selectorILNS1_17partition_subalgoE9EyybEEZZNS1_14partition_implILS5_9ELb0ES3_jN6thrust23THRUST_200600_302600_NS6detail15normal_iteratorINS9_10device_ptrIyEEEESE_PNS0_10empty_typeENS0_5tupleIJSE_SF_EEENSH_IJSE_SG_EEENS0_18inequality_wrapperI22is_equal_div_10_uniqueIyEEEPmJSF_EEE10hipError_tPvRmT3_T4_T5_T6_T7_T9_mT8_P12ihipStream_tbDpT10_ENKUlT_T0_E_clISt17integral_constantIbLb1EES18_EEDaS13_S14_EUlS13_E_NS1_11comp_targetILNS1_3genE8ELNS1_11target_archE1030ELNS1_3gpuE2ELNS1_3repE0EEENS1_30default_config_static_selectorELNS0_4arch9wavefront6targetE0EEEvT1_.kd
    .uniform_work_group_size: 1
    .uses_dynamic_stack: false
    .vgpr_count:     0
    .vgpr_spill_count: 0
    .wavefront_size: 32
    .workgroup_processor_mode: 1
  - .args:
      - .offset:         0
        .size:           112
        .value_kind:     by_value
    .group_segment_fixed_size: 0
    .kernarg_segment_align: 8
    .kernarg_segment_size: 112
    .language:       OpenCL C
    .language_version:
      - 2
      - 0
    .max_flat_workgroup_size: 128
    .name:           _ZN7rocprim17ROCPRIM_400000_NS6detail17trampoline_kernelINS0_14default_configENS1_25partition_config_selectorILNS1_17partition_subalgoE9EyybEEZZNS1_14partition_implILS5_9ELb0ES3_jN6thrust23THRUST_200600_302600_NS6detail15normal_iteratorINS9_10device_ptrIyEEEESE_PNS0_10empty_typeENS0_5tupleIJSE_SF_EEENSH_IJSE_SG_EEENS0_18inequality_wrapperI22is_equal_div_10_uniqueIyEEEPmJSF_EEE10hipError_tPvRmT3_T4_T5_T6_T7_T9_mT8_P12ihipStream_tbDpT10_ENKUlT_T0_E_clISt17integral_constantIbLb1EES17_IbLb0EEEEDaS13_S14_EUlS13_E_NS1_11comp_targetILNS1_3genE0ELNS1_11target_archE4294967295ELNS1_3gpuE0ELNS1_3repE0EEENS1_30default_config_static_selectorELNS0_4arch9wavefront6targetE0EEEvT1_
    .private_segment_fixed_size: 0
    .sgpr_count:     0
    .sgpr_spill_count: 0
    .symbol:         _ZN7rocprim17ROCPRIM_400000_NS6detail17trampoline_kernelINS0_14default_configENS1_25partition_config_selectorILNS1_17partition_subalgoE9EyybEEZZNS1_14partition_implILS5_9ELb0ES3_jN6thrust23THRUST_200600_302600_NS6detail15normal_iteratorINS9_10device_ptrIyEEEESE_PNS0_10empty_typeENS0_5tupleIJSE_SF_EEENSH_IJSE_SG_EEENS0_18inequality_wrapperI22is_equal_div_10_uniqueIyEEEPmJSF_EEE10hipError_tPvRmT3_T4_T5_T6_T7_T9_mT8_P12ihipStream_tbDpT10_ENKUlT_T0_E_clISt17integral_constantIbLb1EES17_IbLb0EEEEDaS13_S14_EUlS13_E_NS1_11comp_targetILNS1_3genE0ELNS1_11target_archE4294967295ELNS1_3gpuE0ELNS1_3repE0EEENS1_30default_config_static_selectorELNS0_4arch9wavefront6targetE0EEEvT1_.kd
    .uniform_work_group_size: 1
    .uses_dynamic_stack: false
    .vgpr_count:     0
    .vgpr_spill_count: 0
    .wavefront_size: 32
    .workgroup_processor_mode: 1
  - .args:
      - .offset:         0
        .size:           112
        .value_kind:     by_value
    .group_segment_fixed_size: 0
    .kernarg_segment_align: 8
    .kernarg_segment_size: 112
    .language:       OpenCL C
    .language_version:
      - 2
      - 0
    .max_flat_workgroup_size: 512
    .name:           _ZN7rocprim17ROCPRIM_400000_NS6detail17trampoline_kernelINS0_14default_configENS1_25partition_config_selectorILNS1_17partition_subalgoE9EyybEEZZNS1_14partition_implILS5_9ELb0ES3_jN6thrust23THRUST_200600_302600_NS6detail15normal_iteratorINS9_10device_ptrIyEEEESE_PNS0_10empty_typeENS0_5tupleIJSE_SF_EEENSH_IJSE_SG_EEENS0_18inequality_wrapperI22is_equal_div_10_uniqueIyEEEPmJSF_EEE10hipError_tPvRmT3_T4_T5_T6_T7_T9_mT8_P12ihipStream_tbDpT10_ENKUlT_T0_E_clISt17integral_constantIbLb1EES17_IbLb0EEEEDaS13_S14_EUlS13_E_NS1_11comp_targetILNS1_3genE5ELNS1_11target_archE942ELNS1_3gpuE9ELNS1_3repE0EEENS1_30default_config_static_selectorELNS0_4arch9wavefront6targetE0EEEvT1_
    .private_segment_fixed_size: 0
    .sgpr_count:     0
    .sgpr_spill_count: 0
    .symbol:         _ZN7rocprim17ROCPRIM_400000_NS6detail17trampoline_kernelINS0_14default_configENS1_25partition_config_selectorILNS1_17partition_subalgoE9EyybEEZZNS1_14partition_implILS5_9ELb0ES3_jN6thrust23THRUST_200600_302600_NS6detail15normal_iteratorINS9_10device_ptrIyEEEESE_PNS0_10empty_typeENS0_5tupleIJSE_SF_EEENSH_IJSE_SG_EEENS0_18inequality_wrapperI22is_equal_div_10_uniqueIyEEEPmJSF_EEE10hipError_tPvRmT3_T4_T5_T6_T7_T9_mT8_P12ihipStream_tbDpT10_ENKUlT_T0_E_clISt17integral_constantIbLb1EES17_IbLb0EEEEDaS13_S14_EUlS13_E_NS1_11comp_targetILNS1_3genE5ELNS1_11target_archE942ELNS1_3gpuE9ELNS1_3repE0EEENS1_30default_config_static_selectorELNS0_4arch9wavefront6targetE0EEEvT1_.kd
    .uniform_work_group_size: 1
    .uses_dynamic_stack: false
    .vgpr_count:     0
    .vgpr_spill_count: 0
    .wavefront_size: 32
    .workgroup_processor_mode: 1
  - .args:
      - .offset:         0
        .size:           112
        .value_kind:     by_value
    .group_segment_fixed_size: 0
    .kernarg_segment_align: 8
    .kernarg_segment_size: 112
    .language:       OpenCL C
    .language_version:
      - 2
      - 0
    .max_flat_workgroup_size: 128
    .name:           _ZN7rocprim17ROCPRIM_400000_NS6detail17trampoline_kernelINS0_14default_configENS1_25partition_config_selectorILNS1_17partition_subalgoE9EyybEEZZNS1_14partition_implILS5_9ELb0ES3_jN6thrust23THRUST_200600_302600_NS6detail15normal_iteratorINS9_10device_ptrIyEEEESE_PNS0_10empty_typeENS0_5tupleIJSE_SF_EEENSH_IJSE_SG_EEENS0_18inequality_wrapperI22is_equal_div_10_uniqueIyEEEPmJSF_EEE10hipError_tPvRmT3_T4_T5_T6_T7_T9_mT8_P12ihipStream_tbDpT10_ENKUlT_T0_E_clISt17integral_constantIbLb1EES17_IbLb0EEEEDaS13_S14_EUlS13_E_NS1_11comp_targetILNS1_3genE4ELNS1_11target_archE910ELNS1_3gpuE8ELNS1_3repE0EEENS1_30default_config_static_selectorELNS0_4arch9wavefront6targetE0EEEvT1_
    .private_segment_fixed_size: 0
    .sgpr_count:     0
    .sgpr_spill_count: 0
    .symbol:         _ZN7rocprim17ROCPRIM_400000_NS6detail17trampoline_kernelINS0_14default_configENS1_25partition_config_selectorILNS1_17partition_subalgoE9EyybEEZZNS1_14partition_implILS5_9ELb0ES3_jN6thrust23THRUST_200600_302600_NS6detail15normal_iteratorINS9_10device_ptrIyEEEESE_PNS0_10empty_typeENS0_5tupleIJSE_SF_EEENSH_IJSE_SG_EEENS0_18inequality_wrapperI22is_equal_div_10_uniqueIyEEEPmJSF_EEE10hipError_tPvRmT3_T4_T5_T6_T7_T9_mT8_P12ihipStream_tbDpT10_ENKUlT_T0_E_clISt17integral_constantIbLb1EES17_IbLb0EEEEDaS13_S14_EUlS13_E_NS1_11comp_targetILNS1_3genE4ELNS1_11target_archE910ELNS1_3gpuE8ELNS1_3repE0EEENS1_30default_config_static_selectorELNS0_4arch9wavefront6targetE0EEEvT1_.kd
    .uniform_work_group_size: 1
    .uses_dynamic_stack: false
    .vgpr_count:     0
    .vgpr_spill_count: 0
    .wavefront_size: 32
    .workgroup_processor_mode: 1
  - .args:
      - .offset:         0
        .size:           112
        .value_kind:     by_value
    .group_segment_fixed_size: 0
    .kernarg_segment_align: 8
    .kernarg_segment_size: 112
    .language:       OpenCL C
    .language_version:
      - 2
      - 0
    .max_flat_workgroup_size: 128
    .name:           _ZN7rocprim17ROCPRIM_400000_NS6detail17trampoline_kernelINS0_14default_configENS1_25partition_config_selectorILNS1_17partition_subalgoE9EyybEEZZNS1_14partition_implILS5_9ELb0ES3_jN6thrust23THRUST_200600_302600_NS6detail15normal_iteratorINS9_10device_ptrIyEEEESE_PNS0_10empty_typeENS0_5tupleIJSE_SF_EEENSH_IJSE_SG_EEENS0_18inequality_wrapperI22is_equal_div_10_uniqueIyEEEPmJSF_EEE10hipError_tPvRmT3_T4_T5_T6_T7_T9_mT8_P12ihipStream_tbDpT10_ENKUlT_T0_E_clISt17integral_constantIbLb1EES17_IbLb0EEEEDaS13_S14_EUlS13_E_NS1_11comp_targetILNS1_3genE3ELNS1_11target_archE908ELNS1_3gpuE7ELNS1_3repE0EEENS1_30default_config_static_selectorELNS0_4arch9wavefront6targetE0EEEvT1_
    .private_segment_fixed_size: 0
    .sgpr_count:     0
    .sgpr_spill_count: 0
    .symbol:         _ZN7rocprim17ROCPRIM_400000_NS6detail17trampoline_kernelINS0_14default_configENS1_25partition_config_selectorILNS1_17partition_subalgoE9EyybEEZZNS1_14partition_implILS5_9ELb0ES3_jN6thrust23THRUST_200600_302600_NS6detail15normal_iteratorINS9_10device_ptrIyEEEESE_PNS0_10empty_typeENS0_5tupleIJSE_SF_EEENSH_IJSE_SG_EEENS0_18inequality_wrapperI22is_equal_div_10_uniqueIyEEEPmJSF_EEE10hipError_tPvRmT3_T4_T5_T6_T7_T9_mT8_P12ihipStream_tbDpT10_ENKUlT_T0_E_clISt17integral_constantIbLb1EES17_IbLb0EEEEDaS13_S14_EUlS13_E_NS1_11comp_targetILNS1_3genE3ELNS1_11target_archE908ELNS1_3gpuE7ELNS1_3repE0EEENS1_30default_config_static_selectorELNS0_4arch9wavefront6targetE0EEEvT1_.kd
    .uniform_work_group_size: 1
    .uses_dynamic_stack: false
    .vgpr_count:     0
    .vgpr_spill_count: 0
    .wavefront_size: 32
    .workgroup_processor_mode: 1
  - .args:
      - .offset:         0
        .size:           112
        .value_kind:     by_value
    .group_segment_fixed_size: 0
    .kernarg_segment_align: 8
    .kernarg_segment_size: 112
    .language:       OpenCL C
    .language_version:
      - 2
      - 0
    .max_flat_workgroup_size: 192
    .name:           _ZN7rocprim17ROCPRIM_400000_NS6detail17trampoline_kernelINS0_14default_configENS1_25partition_config_selectorILNS1_17partition_subalgoE9EyybEEZZNS1_14partition_implILS5_9ELb0ES3_jN6thrust23THRUST_200600_302600_NS6detail15normal_iteratorINS9_10device_ptrIyEEEESE_PNS0_10empty_typeENS0_5tupleIJSE_SF_EEENSH_IJSE_SG_EEENS0_18inequality_wrapperI22is_equal_div_10_uniqueIyEEEPmJSF_EEE10hipError_tPvRmT3_T4_T5_T6_T7_T9_mT8_P12ihipStream_tbDpT10_ENKUlT_T0_E_clISt17integral_constantIbLb1EES17_IbLb0EEEEDaS13_S14_EUlS13_E_NS1_11comp_targetILNS1_3genE2ELNS1_11target_archE906ELNS1_3gpuE6ELNS1_3repE0EEENS1_30default_config_static_selectorELNS0_4arch9wavefront6targetE0EEEvT1_
    .private_segment_fixed_size: 0
    .sgpr_count:     0
    .sgpr_spill_count: 0
    .symbol:         _ZN7rocprim17ROCPRIM_400000_NS6detail17trampoline_kernelINS0_14default_configENS1_25partition_config_selectorILNS1_17partition_subalgoE9EyybEEZZNS1_14partition_implILS5_9ELb0ES3_jN6thrust23THRUST_200600_302600_NS6detail15normal_iteratorINS9_10device_ptrIyEEEESE_PNS0_10empty_typeENS0_5tupleIJSE_SF_EEENSH_IJSE_SG_EEENS0_18inequality_wrapperI22is_equal_div_10_uniqueIyEEEPmJSF_EEE10hipError_tPvRmT3_T4_T5_T6_T7_T9_mT8_P12ihipStream_tbDpT10_ENKUlT_T0_E_clISt17integral_constantIbLb1EES17_IbLb0EEEEDaS13_S14_EUlS13_E_NS1_11comp_targetILNS1_3genE2ELNS1_11target_archE906ELNS1_3gpuE6ELNS1_3repE0EEENS1_30default_config_static_selectorELNS0_4arch9wavefront6targetE0EEEvT1_.kd
    .uniform_work_group_size: 1
    .uses_dynamic_stack: false
    .vgpr_count:     0
    .vgpr_spill_count: 0
    .wavefront_size: 32
    .workgroup_processor_mode: 1
  - .args:
      - .offset:         0
        .size:           112
        .value_kind:     by_value
    .group_segment_fixed_size: 0
    .kernarg_segment_align: 8
    .kernarg_segment_size: 112
    .language:       OpenCL C
    .language_version:
      - 2
      - 0
    .max_flat_workgroup_size: 384
    .name:           _ZN7rocprim17ROCPRIM_400000_NS6detail17trampoline_kernelINS0_14default_configENS1_25partition_config_selectorILNS1_17partition_subalgoE9EyybEEZZNS1_14partition_implILS5_9ELb0ES3_jN6thrust23THRUST_200600_302600_NS6detail15normal_iteratorINS9_10device_ptrIyEEEESE_PNS0_10empty_typeENS0_5tupleIJSE_SF_EEENSH_IJSE_SG_EEENS0_18inequality_wrapperI22is_equal_div_10_uniqueIyEEEPmJSF_EEE10hipError_tPvRmT3_T4_T5_T6_T7_T9_mT8_P12ihipStream_tbDpT10_ENKUlT_T0_E_clISt17integral_constantIbLb1EES17_IbLb0EEEEDaS13_S14_EUlS13_E_NS1_11comp_targetILNS1_3genE10ELNS1_11target_archE1200ELNS1_3gpuE4ELNS1_3repE0EEENS1_30default_config_static_selectorELNS0_4arch9wavefront6targetE0EEEvT1_
    .private_segment_fixed_size: 0
    .sgpr_count:     0
    .sgpr_spill_count: 0
    .symbol:         _ZN7rocprim17ROCPRIM_400000_NS6detail17trampoline_kernelINS0_14default_configENS1_25partition_config_selectorILNS1_17partition_subalgoE9EyybEEZZNS1_14partition_implILS5_9ELb0ES3_jN6thrust23THRUST_200600_302600_NS6detail15normal_iteratorINS9_10device_ptrIyEEEESE_PNS0_10empty_typeENS0_5tupleIJSE_SF_EEENSH_IJSE_SG_EEENS0_18inequality_wrapperI22is_equal_div_10_uniqueIyEEEPmJSF_EEE10hipError_tPvRmT3_T4_T5_T6_T7_T9_mT8_P12ihipStream_tbDpT10_ENKUlT_T0_E_clISt17integral_constantIbLb1EES17_IbLb0EEEEDaS13_S14_EUlS13_E_NS1_11comp_targetILNS1_3genE10ELNS1_11target_archE1200ELNS1_3gpuE4ELNS1_3repE0EEENS1_30default_config_static_selectorELNS0_4arch9wavefront6targetE0EEEvT1_.kd
    .uniform_work_group_size: 1
    .uses_dynamic_stack: false
    .vgpr_count:     0
    .vgpr_spill_count: 0
    .wavefront_size: 32
    .workgroup_processor_mode: 1
  - .args:
      - .offset:         0
        .size:           112
        .value_kind:     by_value
    .group_segment_fixed_size: 33800
    .kernarg_segment_align: 8
    .kernarg_segment_size: 112
    .language:       OpenCL C
    .language_version:
      - 2
      - 0
    .max_flat_workgroup_size: 512
    .name:           _ZN7rocprim17ROCPRIM_400000_NS6detail17trampoline_kernelINS0_14default_configENS1_25partition_config_selectorILNS1_17partition_subalgoE9EyybEEZZNS1_14partition_implILS5_9ELb0ES3_jN6thrust23THRUST_200600_302600_NS6detail15normal_iteratorINS9_10device_ptrIyEEEESE_PNS0_10empty_typeENS0_5tupleIJSE_SF_EEENSH_IJSE_SG_EEENS0_18inequality_wrapperI22is_equal_div_10_uniqueIyEEEPmJSF_EEE10hipError_tPvRmT3_T4_T5_T6_T7_T9_mT8_P12ihipStream_tbDpT10_ENKUlT_T0_E_clISt17integral_constantIbLb1EES17_IbLb0EEEEDaS13_S14_EUlS13_E_NS1_11comp_targetILNS1_3genE9ELNS1_11target_archE1100ELNS1_3gpuE3ELNS1_3repE0EEENS1_30default_config_static_selectorELNS0_4arch9wavefront6targetE0EEEvT1_
    .private_segment_fixed_size: 0
    .sgpr_count:     27
    .sgpr_spill_count: 0
    .symbol:         _ZN7rocprim17ROCPRIM_400000_NS6detail17trampoline_kernelINS0_14default_configENS1_25partition_config_selectorILNS1_17partition_subalgoE9EyybEEZZNS1_14partition_implILS5_9ELb0ES3_jN6thrust23THRUST_200600_302600_NS6detail15normal_iteratorINS9_10device_ptrIyEEEESE_PNS0_10empty_typeENS0_5tupleIJSE_SF_EEENSH_IJSE_SG_EEENS0_18inequality_wrapperI22is_equal_div_10_uniqueIyEEEPmJSF_EEE10hipError_tPvRmT3_T4_T5_T6_T7_T9_mT8_P12ihipStream_tbDpT10_ENKUlT_T0_E_clISt17integral_constantIbLb1EES17_IbLb0EEEEDaS13_S14_EUlS13_E_NS1_11comp_targetILNS1_3genE9ELNS1_11target_archE1100ELNS1_3gpuE3ELNS1_3repE0EEENS1_30default_config_static_selectorELNS0_4arch9wavefront6targetE0EEEvT1_.kd
    .uniform_work_group_size: 1
    .uses_dynamic_stack: false
    .vgpr_count:     68
    .vgpr_spill_count: 0
    .wavefront_size: 32
    .workgroup_processor_mode: 1
  - .args:
      - .offset:         0
        .size:           112
        .value_kind:     by_value
    .group_segment_fixed_size: 0
    .kernarg_segment_align: 8
    .kernarg_segment_size: 112
    .language:       OpenCL C
    .language_version:
      - 2
      - 0
    .max_flat_workgroup_size: 512
    .name:           _ZN7rocprim17ROCPRIM_400000_NS6detail17trampoline_kernelINS0_14default_configENS1_25partition_config_selectorILNS1_17partition_subalgoE9EyybEEZZNS1_14partition_implILS5_9ELb0ES3_jN6thrust23THRUST_200600_302600_NS6detail15normal_iteratorINS9_10device_ptrIyEEEESE_PNS0_10empty_typeENS0_5tupleIJSE_SF_EEENSH_IJSE_SG_EEENS0_18inequality_wrapperI22is_equal_div_10_uniqueIyEEEPmJSF_EEE10hipError_tPvRmT3_T4_T5_T6_T7_T9_mT8_P12ihipStream_tbDpT10_ENKUlT_T0_E_clISt17integral_constantIbLb1EES17_IbLb0EEEEDaS13_S14_EUlS13_E_NS1_11comp_targetILNS1_3genE8ELNS1_11target_archE1030ELNS1_3gpuE2ELNS1_3repE0EEENS1_30default_config_static_selectorELNS0_4arch9wavefront6targetE0EEEvT1_
    .private_segment_fixed_size: 0
    .sgpr_count:     0
    .sgpr_spill_count: 0
    .symbol:         _ZN7rocprim17ROCPRIM_400000_NS6detail17trampoline_kernelINS0_14default_configENS1_25partition_config_selectorILNS1_17partition_subalgoE9EyybEEZZNS1_14partition_implILS5_9ELb0ES3_jN6thrust23THRUST_200600_302600_NS6detail15normal_iteratorINS9_10device_ptrIyEEEESE_PNS0_10empty_typeENS0_5tupleIJSE_SF_EEENSH_IJSE_SG_EEENS0_18inequality_wrapperI22is_equal_div_10_uniqueIyEEEPmJSF_EEE10hipError_tPvRmT3_T4_T5_T6_T7_T9_mT8_P12ihipStream_tbDpT10_ENKUlT_T0_E_clISt17integral_constantIbLb1EES17_IbLb0EEEEDaS13_S14_EUlS13_E_NS1_11comp_targetILNS1_3genE8ELNS1_11target_archE1030ELNS1_3gpuE2ELNS1_3repE0EEENS1_30default_config_static_selectorELNS0_4arch9wavefront6targetE0EEEvT1_.kd
    .uniform_work_group_size: 1
    .uses_dynamic_stack: false
    .vgpr_count:     0
    .vgpr_spill_count: 0
    .wavefront_size: 32
    .workgroup_processor_mode: 1
  - .args:
      - .offset:         0
        .size:           128
        .value_kind:     by_value
    .group_segment_fixed_size: 0
    .kernarg_segment_align: 8
    .kernarg_segment_size: 128
    .language:       OpenCL C
    .language_version:
      - 2
      - 0
    .max_flat_workgroup_size: 128
    .name:           _ZN7rocprim17ROCPRIM_400000_NS6detail17trampoline_kernelINS0_14default_configENS1_25partition_config_selectorILNS1_17partition_subalgoE9EyybEEZZNS1_14partition_implILS5_9ELb0ES3_jN6thrust23THRUST_200600_302600_NS6detail15normal_iteratorINS9_10device_ptrIyEEEESE_PNS0_10empty_typeENS0_5tupleIJSE_SF_EEENSH_IJSE_SG_EEENS0_18inequality_wrapperI22is_equal_div_10_uniqueIyEEEPmJSF_EEE10hipError_tPvRmT3_T4_T5_T6_T7_T9_mT8_P12ihipStream_tbDpT10_ENKUlT_T0_E_clISt17integral_constantIbLb0EES17_IbLb1EEEEDaS13_S14_EUlS13_E_NS1_11comp_targetILNS1_3genE0ELNS1_11target_archE4294967295ELNS1_3gpuE0ELNS1_3repE0EEENS1_30default_config_static_selectorELNS0_4arch9wavefront6targetE0EEEvT1_
    .private_segment_fixed_size: 0
    .sgpr_count:     0
    .sgpr_spill_count: 0
    .symbol:         _ZN7rocprim17ROCPRIM_400000_NS6detail17trampoline_kernelINS0_14default_configENS1_25partition_config_selectorILNS1_17partition_subalgoE9EyybEEZZNS1_14partition_implILS5_9ELb0ES3_jN6thrust23THRUST_200600_302600_NS6detail15normal_iteratorINS9_10device_ptrIyEEEESE_PNS0_10empty_typeENS0_5tupleIJSE_SF_EEENSH_IJSE_SG_EEENS0_18inequality_wrapperI22is_equal_div_10_uniqueIyEEEPmJSF_EEE10hipError_tPvRmT3_T4_T5_T6_T7_T9_mT8_P12ihipStream_tbDpT10_ENKUlT_T0_E_clISt17integral_constantIbLb0EES17_IbLb1EEEEDaS13_S14_EUlS13_E_NS1_11comp_targetILNS1_3genE0ELNS1_11target_archE4294967295ELNS1_3gpuE0ELNS1_3repE0EEENS1_30default_config_static_selectorELNS0_4arch9wavefront6targetE0EEEvT1_.kd
    .uniform_work_group_size: 1
    .uses_dynamic_stack: false
    .vgpr_count:     0
    .vgpr_spill_count: 0
    .wavefront_size: 32
    .workgroup_processor_mode: 1
  - .args:
      - .offset:         0
        .size:           128
        .value_kind:     by_value
    .group_segment_fixed_size: 0
    .kernarg_segment_align: 8
    .kernarg_segment_size: 128
    .language:       OpenCL C
    .language_version:
      - 2
      - 0
    .max_flat_workgroup_size: 512
    .name:           _ZN7rocprim17ROCPRIM_400000_NS6detail17trampoline_kernelINS0_14default_configENS1_25partition_config_selectorILNS1_17partition_subalgoE9EyybEEZZNS1_14partition_implILS5_9ELb0ES3_jN6thrust23THRUST_200600_302600_NS6detail15normal_iteratorINS9_10device_ptrIyEEEESE_PNS0_10empty_typeENS0_5tupleIJSE_SF_EEENSH_IJSE_SG_EEENS0_18inequality_wrapperI22is_equal_div_10_uniqueIyEEEPmJSF_EEE10hipError_tPvRmT3_T4_T5_T6_T7_T9_mT8_P12ihipStream_tbDpT10_ENKUlT_T0_E_clISt17integral_constantIbLb0EES17_IbLb1EEEEDaS13_S14_EUlS13_E_NS1_11comp_targetILNS1_3genE5ELNS1_11target_archE942ELNS1_3gpuE9ELNS1_3repE0EEENS1_30default_config_static_selectorELNS0_4arch9wavefront6targetE0EEEvT1_
    .private_segment_fixed_size: 0
    .sgpr_count:     0
    .sgpr_spill_count: 0
    .symbol:         _ZN7rocprim17ROCPRIM_400000_NS6detail17trampoline_kernelINS0_14default_configENS1_25partition_config_selectorILNS1_17partition_subalgoE9EyybEEZZNS1_14partition_implILS5_9ELb0ES3_jN6thrust23THRUST_200600_302600_NS6detail15normal_iteratorINS9_10device_ptrIyEEEESE_PNS0_10empty_typeENS0_5tupleIJSE_SF_EEENSH_IJSE_SG_EEENS0_18inequality_wrapperI22is_equal_div_10_uniqueIyEEEPmJSF_EEE10hipError_tPvRmT3_T4_T5_T6_T7_T9_mT8_P12ihipStream_tbDpT10_ENKUlT_T0_E_clISt17integral_constantIbLb0EES17_IbLb1EEEEDaS13_S14_EUlS13_E_NS1_11comp_targetILNS1_3genE5ELNS1_11target_archE942ELNS1_3gpuE9ELNS1_3repE0EEENS1_30default_config_static_selectorELNS0_4arch9wavefront6targetE0EEEvT1_.kd
    .uniform_work_group_size: 1
    .uses_dynamic_stack: false
    .vgpr_count:     0
    .vgpr_spill_count: 0
    .wavefront_size: 32
    .workgroup_processor_mode: 1
  - .args:
      - .offset:         0
        .size:           128
        .value_kind:     by_value
    .group_segment_fixed_size: 0
    .kernarg_segment_align: 8
    .kernarg_segment_size: 128
    .language:       OpenCL C
    .language_version:
      - 2
      - 0
    .max_flat_workgroup_size: 128
    .name:           _ZN7rocprim17ROCPRIM_400000_NS6detail17trampoline_kernelINS0_14default_configENS1_25partition_config_selectorILNS1_17partition_subalgoE9EyybEEZZNS1_14partition_implILS5_9ELb0ES3_jN6thrust23THRUST_200600_302600_NS6detail15normal_iteratorINS9_10device_ptrIyEEEESE_PNS0_10empty_typeENS0_5tupleIJSE_SF_EEENSH_IJSE_SG_EEENS0_18inequality_wrapperI22is_equal_div_10_uniqueIyEEEPmJSF_EEE10hipError_tPvRmT3_T4_T5_T6_T7_T9_mT8_P12ihipStream_tbDpT10_ENKUlT_T0_E_clISt17integral_constantIbLb0EES17_IbLb1EEEEDaS13_S14_EUlS13_E_NS1_11comp_targetILNS1_3genE4ELNS1_11target_archE910ELNS1_3gpuE8ELNS1_3repE0EEENS1_30default_config_static_selectorELNS0_4arch9wavefront6targetE0EEEvT1_
    .private_segment_fixed_size: 0
    .sgpr_count:     0
    .sgpr_spill_count: 0
    .symbol:         _ZN7rocprim17ROCPRIM_400000_NS6detail17trampoline_kernelINS0_14default_configENS1_25partition_config_selectorILNS1_17partition_subalgoE9EyybEEZZNS1_14partition_implILS5_9ELb0ES3_jN6thrust23THRUST_200600_302600_NS6detail15normal_iteratorINS9_10device_ptrIyEEEESE_PNS0_10empty_typeENS0_5tupleIJSE_SF_EEENSH_IJSE_SG_EEENS0_18inequality_wrapperI22is_equal_div_10_uniqueIyEEEPmJSF_EEE10hipError_tPvRmT3_T4_T5_T6_T7_T9_mT8_P12ihipStream_tbDpT10_ENKUlT_T0_E_clISt17integral_constantIbLb0EES17_IbLb1EEEEDaS13_S14_EUlS13_E_NS1_11comp_targetILNS1_3genE4ELNS1_11target_archE910ELNS1_3gpuE8ELNS1_3repE0EEENS1_30default_config_static_selectorELNS0_4arch9wavefront6targetE0EEEvT1_.kd
    .uniform_work_group_size: 1
    .uses_dynamic_stack: false
    .vgpr_count:     0
    .vgpr_spill_count: 0
    .wavefront_size: 32
    .workgroup_processor_mode: 1
  - .args:
      - .offset:         0
        .size:           128
        .value_kind:     by_value
    .group_segment_fixed_size: 0
    .kernarg_segment_align: 8
    .kernarg_segment_size: 128
    .language:       OpenCL C
    .language_version:
      - 2
      - 0
    .max_flat_workgroup_size: 128
    .name:           _ZN7rocprim17ROCPRIM_400000_NS6detail17trampoline_kernelINS0_14default_configENS1_25partition_config_selectorILNS1_17partition_subalgoE9EyybEEZZNS1_14partition_implILS5_9ELb0ES3_jN6thrust23THRUST_200600_302600_NS6detail15normal_iteratorINS9_10device_ptrIyEEEESE_PNS0_10empty_typeENS0_5tupleIJSE_SF_EEENSH_IJSE_SG_EEENS0_18inequality_wrapperI22is_equal_div_10_uniqueIyEEEPmJSF_EEE10hipError_tPvRmT3_T4_T5_T6_T7_T9_mT8_P12ihipStream_tbDpT10_ENKUlT_T0_E_clISt17integral_constantIbLb0EES17_IbLb1EEEEDaS13_S14_EUlS13_E_NS1_11comp_targetILNS1_3genE3ELNS1_11target_archE908ELNS1_3gpuE7ELNS1_3repE0EEENS1_30default_config_static_selectorELNS0_4arch9wavefront6targetE0EEEvT1_
    .private_segment_fixed_size: 0
    .sgpr_count:     0
    .sgpr_spill_count: 0
    .symbol:         _ZN7rocprim17ROCPRIM_400000_NS6detail17trampoline_kernelINS0_14default_configENS1_25partition_config_selectorILNS1_17partition_subalgoE9EyybEEZZNS1_14partition_implILS5_9ELb0ES3_jN6thrust23THRUST_200600_302600_NS6detail15normal_iteratorINS9_10device_ptrIyEEEESE_PNS0_10empty_typeENS0_5tupleIJSE_SF_EEENSH_IJSE_SG_EEENS0_18inequality_wrapperI22is_equal_div_10_uniqueIyEEEPmJSF_EEE10hipError_tPvRmT3_T4_T5_T6_T7_T9_mT8_P12ihipStream_tbDpT10_ENKUlT_T0_E_clISt17integral_constantIbLb0EES17_IbLb1EEEEDaS13_S14_EUlS13_E_NS1_11comp_targetILNS1_3genE3ELNS1_11target_archE908ELNS1_3gpuE7ELNS1_3repE0EEENS1_30default_config_static_selectorELNS0_4arch9wavefront6targetE0EEEvT1_.kd
    .uniform_work_group_size: 1
    .uses_dynamic_stack: false
    .vgpr_count:     0
    .vgpr_spill_count: 0
    .wavefront_size: 32
    .workgroup_processor_mode: 1
  - .args:
      - .offset:         0
        .size:           128
        .value_kind:     by_value
    .group_segment_fixed_size: 0
    .kernarg_segment_align: 8
    .kernarg_segment_size: 128
    .language:       OpenCL C
    .language_version:
      - 2
      - 0
    .max_flat_workgroup_size: 192
    .name:           _ZN7rocprim17ROCPRIM_400000_NS6detail17trampoline_kernelINS0_14default_configENS1_25partition_config_selectorILNS1_17partition_subalgoE9EyybEEZZNS1_14partition_implILS5_9ELb0ES3_jN6thrust23THRUST_200600_302600_NS6detail15normal_iteratorINS9_10device_ptrIyEEEESE_PNS0_10empty_typeENS0_5tupleIJSE_SF_EEENSH_IJSE_SG_EEENS0_18inequality_wrapperI22is_equal_div_10_uniqueIyEEEPmJSF_EEE10hipError_tPvRmT3_T4_T5_T6_T7_T9_mT8_P12ihipStream_tbDpT10_ENKUlT_T0_E_clISt17integral_constantIbLb0EES17_IbLb1EEEEDaS13_S14_EUlS13_E_NS1_11comp_targetILNS1_3genE2ELNS1_11target_archE906ELNS1_3gpuE6ELNS1_3repE0EEENS1_30default_config_static_selectorELNS0_4arch9wavefront6targetE0EEEvT1_
    .private_segment_fixed_size: 0
    .sgpr_count:     0
    .sgpr_spill_count: 0
    .symbol:         _ZN7rocprim17ROCPRIM_400000_NS6detail17trampoline_kernelINS0_14default_configENS1_25partition_config_selectorILNS1_17partition_subalgoE9EyybEEZZNS1_14partition_implILS5_9ELb0ES3_jN6thrust23THRUST_200600_302600_NS6detail15normal_iteratorINS9_10device_ptrIyEEEESE_PNS0_10empty_typeENS0_5tupleIJSE_SF_EEENSH_IJSE_SG_EEENS0_18inequality_wrapperI22is_equal_div_10_uniqueIyEEEPmJSF_EEE10hipError_tPvRmT3_T4_T5_T6_T7_T9_mT8_P12ihipStream_tbDpT10_ENKUlT_T0_E_clISt17integral_constantIbLb0EES17_IbLb1EEEEDaS13_S14_EUlS13_E_NS1_11comp_targetILNS1_3genE2ELNS1_11target_archE906ELNS1_3gpuE6ELNS1_3repE0EEENS1_30default_config_static_selectorELNS0_4arch9wavefront6targetE0EEEvT1_.kd
    .uniform_work_group_size: 1
    .uses_dynamic_stack: false
    .vgpr_count:     0
    .vgpr_spill_count: 0
    .wavefront_size: 32
    .workgroup_processor_mode: 1
  - .args:
      - .offset:         0
        .size:           128
        .value_kind:     by_value
    .group_segment_fixed_size: 0
    .kernarg_segment_align: 8
    .kernarg_segment_size: 128
    .language:       OpenCL C
    .language_version:
      - 2
      - 0
    .max_flat_workgroup_size: 384
    .name:           _ZN7rocprim17ROCPRIM_400000_NS6detail17trampoline_kernelINS0_14default_configENS1_25partition_config_selectorILNS1_17partition_subalgoE9EyybEEZZNS1_14partition_implILS5_9ELb0ES3_jN6thrust23THRUST_200600_302600_NS6detail15normal_iteratorINS9_10device_ptrIyEEEESE_PNS0_10empty_typeENS0_5tupleIJSE_SF_EEENSH_IJSE_SG_EEENS0_18inequality_wrapperI22is_equal_div_10_uniqueIyEEEPmJSF_EEE10hipError_tPvRmT3_T4_T5_T6_T7_T9_mT8_P12ihipStream_tbDpT10_ENKUlT_T0_E_clISt17integral_constantIbLb0EES17_IbLb1EEEEDaS13_S14_EUlS13_E_NS1_11comp_targetILNS1_3genE10ELNS1_11target_archE1200ELNS1_3gpuE4ELNS1_3repE0EEENS1_30default_config_static_selectorELNS0_4arch9wavefront6targetE0EEEvT1_
    .private_segment_fixed_size: 0
    .sgpr_count:     0
    .sgpr_spill_count: 0
    .symbol:         _ZN7rocprim17ROCPRIM_400000_NS6detail17trampoline_kernelINS0_14default_configENS1_25partition_config_selectorILNS1_17partition_subalgoE9EyybEEZZNS1_14partition_implILS5_9ELb0ES3_jN6thrust23THRUST_200600_302600_NS6detail15normal_iteratorINS9_10device_ptrIyEEEESE_PNS0_10empty_typeENS0_5tupleIJSE_SF_EEENSH_IJSE_SG_EEENS0_18inequality_wrapperI22is_equal_div_10_uniqueIyEEEPmJSF_EEE10hipError_tPvRmT3_T4_T5_T6_T7_T9_mT8_P12ihipStream_tbDpT10_ENKUlT_T0_E_clISt17integral_constantIbLb0EES17_IbLb1EEEEDaS13_S14_EUlS13_E_NS1_11comp_targetILNS1_3genE10ELNS1_11target_archE1200ELNS1_3gpuE4ELNS1_3repE0EEENS1_30default_config_static_selectorELNS0_4arch9wavefront6targetE0EEEvT1_.kd
    .uniform_work_group_size: 1
    .uses_dynamic_stack: false
    .vgpr_count:     0
    .vgpr_spill_count: 0
    .wavefront_size: 32
    .workgroup_processor_mode: 1
  - .args:
      - .offset:         0
        .size:           128
        .value_kind:     by_value
    .group_segment_fixed_size: 33800
    .kernarg_segment_align: 8
    .kernarg_segment_size: 128
    .language:       OpenCL C
    .language_version:
      - 2
      - 0
    .max_flat_workgroup_size: 512
    .name:           _ZN7rocprim17ROCPRIM_400000_NS6detail17trampoline_kernelINS0_14default_configENS1_25partition_config_selectorILNS1_17partition_subalgoE9EyybEEZZNS1_14partition_implILS5_9ELb0ES3_jN6thrust23THRUST_200600_302600_NS6detail15normal_iteratorINS9_10device_ptrIyEEEESE_PNS0_10empty_typeENS0_5tupleIJSE_SF_EEENSH_IJSE_SG_EEENS0_18inequality_wrapperI22is_equal_div_10_uniqueIyEEEPmJSF_EEE10hipError_tPvRmT3_T4_T5_T6_T7_T9_mT8_P12ihipStream_tbDpT10_ENKUlT_T0_E_clISt17integral_constantIbLb0EES17_IbLb1EEEEDaS13_S14_EUlS13_E_NS1_11comp_targetILNS1_3genE9ELNS1_11target_archE1100ELNS1_3gpuE3ELNS1_3repE0EEENS1_30default_config_static_selectorELNS0_4arch9wavefront6targetE0EEEvT1_
    .private_segment_fixed_size: 0
    .sgpr_count:     31
    .sgpr_spill_count: 0
    .symbol:         _ZN7rocprim17ROCPRIM_400000_NS6detail17trampoline_kernelINS0_14default_configENS1_25partition_config_selectorILNS1_17partition_subalgoE9EyybEEZZNS1_14partition_implILS5_9ELb0ES3_jN6thrust23THRUST_200600_302600_NS6detail15normal_iteratorINS9_10device_ptrIyEEEESE_PNS0_10empty_typeENS0_5tupleIJSE_SF_EEENSH_IJSE_SG_EEENS0_18inequality_wrapperI22is_equal_div_10_uniqueIyEEEPmJSF_EEE10hipError_tPvRmT3_T4_T5_T6_T7_T9_mT8_P12ihipStream_tbDpT10_ENKUlT_T0_E_clISt17integral_constantIbLb0EES17_IbLb1EEEEDaS13_S14_EUlS13_E_NS1_11comp_targetILNS1_3genE9ELNS1_11target_archE1100ELNS1_3gpuE3ELNS1_3repE0EEENS1_30default_config_static_selectorELNS0_4arch9wavefront6targetE0EEEvT1_.kd
    .uniform_work_group_size: 1
    .uses_dynamic_stack: false
    .vgpr_count:     68
    .vgpr_spill_count: 0
    .wavefront_size: 32
    .workgroup_processor_mode: 1
  - .args:
      - .offset:         0
        .size:           128
        .value_kind:     by_value
    .group_segment_fixed_size: 0
    .kernarg_segment_align: 8
    .kernarg_segment_size: 128
    .language:       OpenCL C
    .language_version:
      - 2
      - 0
    .max_flat_workgroup_size: 512
    .name:           _ZN7rocprim17ROCPRIM_400000_NS6detail17trampoline_kernelINS0_14default_configENS1_25partition_config_selectorILNS1_17partition_subalgoE9EyybEEZZNS1_14partition_implILS5_9ELb0ES3_jN6thrust23THRUST_200600_302600_NS6detail15normal_iteratorINS9_10device_ptrIyEEEESE_PNS0_10empty_typeENS0_5tupleIJSE_SF_EEENSH_IJSE_SG_EEENS0_18inequality_wrapperI22is_equal_div_10_uniqueIyEEEPmJSF_EEE10hipError_tPvRmT3_T4_T5_T6_T7_T9_mT8_P12ihipStream_tbDpT10_ENKUlT_T0_E_clISt17integral_constantIbLb0EES17_IbLb1EEEEDaS13_S14_EUlS13_E_NS1_11comp_targetILNS1_3genE8ELNS1_11target_archE1030ELNS1_3gpuE2ELNS1_3repE0EEENS1_30default_config_static_selectorELNS0_4arch9wavefront6targetE0EEEvT1_
    .private_segment_fixed_size: 0
    .sgpr_count:     0
    .sgpr_spill_count: 0
    .symbol:         _ZN7rocprim17ROCPRIM_400000_NS6detail17trampoline_kernelINS0_14default_configENS1_25partition_config_selectorILNS1_17partition_subalgoE9EyybEEZZNS1_14partition_implILS5_9ELb0ES3_jN6thrust23THRUST_200600_302600_NS6detail15normal_iteratorINS9_10device_ptrIyEEEESE_PNS0_10empty_typeENS0_5tupleIJSE_SF_EEENSH_IJSE_SG_EEENS0_18inequality_wrapperI22is_equal_div_10_uniqueIyEEEPmJSF_EEE10hipError_tPvRmT3_T4_T5_T6_T7_T9_mT8_P12ihipStream_tbDpT10_ENKUlT_T0_E_clISt17integral_constantIbLb0EES17_IbLb1EEEEDaS13_S14_EUlS13_E_NS1_11comp_targetILNS1_3genE8ELNS1_11target_archE1030ELNS1_3gpuE2ELNS1_3repE0EEENS1_30default_config_static_selectorELNS0_4arch9wavefront6targetE0EEEvT1_.kd
    .uniform_work_group_size: 1
    .uses_dynamic_stack: false
    .vgpr_count:     0
    .vgpr_spill_count: 0
    .wavefront_size: 32
    .workgroup_processor_mode: 1
  - .args:
      - .offset:         0
        .size:           16
        .value_kind:     by_value
      - .offset:         16
        .size:           8
        .value_kind:     by_value
      - .offset:         24
        .size:           8
        .value_kind:     by_value
    .group_segment_fixed_size: 0
    .kernarg_segment_align: 8
    .kernarg_segment_size: 32
    .language:       OpenCL C
    .language_version:
      - 2
      - 0
    .max_flat_workgroup_size: 256
    .name:           _ZN6thrust23THRUST_200600_302600_NS11hip_rocprim14__parallel_for6kernelILj256ENS1_20__uninitialized_fill7functorINS0_10device_ptrIjEEjEEmLj1EEEvT0_T1_SA_
    .private_segment_fixed_size: 0
    .sgpr_count:     18
    .sgpr_spill_count: 0
    .symbol:         _ZN6thrust23THRUST_200600_302600_NS11hip_rocprim14__parallel_for6kernelILj256ENS1_20__uninitialized_fill7functorINS0_10device_ptrIjEEjEEmLj1EEEvT0_T1_SA_.kd
    .uniform_work_group_size: 1
    .uses_dynamic_stack: false
    .vgpr_count:     3
    .vgpr_spill_count: 0
    .wavefront_size: 32
    .workgroup_processor_mode: 1
  - .args:
      - .offset:         0
        .size:           112
        .value_kind:     by_value
    .group_segment_fixed_size: 0
    .kernarg_segment_align: 8
    .kernarg_segment_size: 112
    .language:       OpenCL C
    .language_version:
      - 2
      - 0
    .max_flat_workgroup_size: 256
    .name:           _ZN7rocprim17ROCPRIM_400000_NS6detail17trampoline_kernelINS0_14default_configENS1_25partition_config_selectorILNS1_17partition_subalgoE9EjjbEEZZNS1_14partition_implILS5_9ELb0ES3_jN6thrust23THRUST_200600_302600_NS6detail15normal_iteratorINS9_10device_ptrIjEEEESE_PNS0_10empty_typeENS0_5tupleIJSE_SF_EEENSH_IJSE_SG_EEENS0_18inequality_wrapperINS9_8equal_toIjEEEEPmJSF_EEE10hipError_tPvRmT3_T4_T5_T6_T7_T9_mT8_P12ihipStream_tbDpT10_ENKUlT_T0_E_clISt17integral_constantIbLb0EES18_EEDaS13_S14_EUlS13_E_NS1_11comp_targetILNS1_3genE0ELNS1_11target_archE4294967295ELNS1_3gpuE0ELNS1_3repE0EEENS1_30default_config_static_selectorELNS0_4arch9wavefront6targetE0EEEvT1_
    .private_segment_fixed_size: 0
    .sgpr_count:     0
    .sgpr_spill_count: 0
    .symbol:         _ZN7rocprim17ROCPRIM_400000_NS6detail17trampoline_kernelINS0_14default_configENS1_25partition_config_selectorILNS1_17partition_subalgoE9EjjbEEZZNS1_14partition_implILS5_9ELb0ES3_jN6thrust23THRUST_200600_302600_NS6detail15normal_iteratorINS9_10device_ptrIjEEEESE_PNS0_10empty_typeENS0_5tupleIJSE_SF_EEENSH_IJSE_SG_EEENS0_18inequality_wrapperINS9_8equal_toIjEEEEPmJSF_EEE10hipError_tPvRmT3_T4_T5_T6_T7_T9_mT8_P12ihipStream_tbDpT10_ENKUlT_T0_E_clISt17integral_constantIbLb0EES18_EEDaS13_S14_EUlS13_E_NS1_11comp_targetILNS1_3genE0ELNS1_11target_archE4294967295ELNS1_3gpuE0ELNS1_3repE0EEENS1_30default_config_static_selectorELNS0_4arch9wavefront6targetE0EEEvT1_.kd
    .uniform_work_group_size: 1
    .uses_dynamic_stack: false
    .vgpr_count:     0
    .vgpr_spill_count: 0
    .wavefront_size: 32
    .workgroup_processor_mode: 1
  - .args:
      - .offset:         0
        .size:           112
        .value_kind:     by_value
    .group_segment_fixed_size: 0
    .kernarg_segment_align: 8
    .kernarg_segment_size: 112
    .language:       OpenCL C
    .language_version:
      - 2
      - 0
    .max_flat_workgroup_size: 512
    .name:           _ZN7rocprim17ROCPRIM_400000_NS6detail17trampoline_kernelINS0_14default_configENS1_25partition_config_selectorILNS1_17partition_subalgoE9EjjbEEZZNS1_14partition_implILS5_9ELb0ES3_jN6thrust23THRUST_200600_302600_NS6detail15normal_iteratorINS9_10device_ptrIjEEEESE_PNS0_10empty_typeENS0_5tupleIJSE_SF_EEENSH_IJSE_SG_EEENS0_18inequality_wrapperINS9_8equal_toIjEEEEPmJSF_EEE10hipError_tPvRmT3_T4_T5_T6_T7_T9_mT8_P12ihipStream_tbDpT10_ENKUlT_T0_E_clISt17integral_constantIbLb0EES18_EEDaS13_S14_EUlS13_E_NS1_11comp_targetILNS1_3genE5ELNS1_11target_archE942ELNS1_3gpuE9ELNS1_3repE0EEENS1_30default_config_static_selectorELNS0_4arch9wavefront6targetE0EEEvT1_
    .private_segment_fixed_size: 0
    .sgpr_count:     0
    .sgpr_spill_count: 0
    .symbol:         _ZN7rocprim17ROCPRIM_400000_NS6detail17trampoline_kernelINS0_14default_configENS1_25partition_config_selectorILNS1_17partition_subalgoE9EjjbEEZZNS1_14partition_implILS5_9ELb0ES3_jN6thrust23THRUST_200600_302600_NS6detail15normal_iteratorINS9_10device_ptrIjEEEESE_PNS0_10empty_typeENS0_5tupleIJSE_SF_EEENSH_IJSE_SG_EEENS0_18inequality_wrapperINS9_8equal_toIjEEEEPmJSF_EEE10hipError_tPvRmT3_T4_T5_T6_T7_T9_mT8_P12ihipStream_tbDpT10_ENKUlT_T0_E_clISt17integral_constantIbLb0EES18_EEDaS13_S14_EUlS13_E_NS1_11comp_targetILNS1_3genE5ELNS1_11target_archE942ELNS1_3gpuE9ELNS1_3repE0EEENS1_30default_config_static_selectorELNS0_4arch9wavefront6targetE0EEEvT1_.kd
    .uniform_work_group_size: 1
    .uses_dynamic_stack: false
    .vgpr_count:     0
    .vgpr_spill_count: 0
    .wavefront_size: 32
    .workgroup_processor_mode: 1
  - .args:
      - .offset:         0
        .size:           112
        .value_kind:     by_value
    .group_segment_fixed_size: 0
    .kernarg_segment_align: 8
    .kernarg_segment_size: 112
    .language:       OpenCL C
    .language_version:
      - 2
      - 0
    .max_flat_workgroup_size: 192
    .name:           _ZN7rocprim17ROCPRIM_400000_NS6detail17trampoline_kernelINS0_14default_configENS1_25partition_config_selectorILNS1_17partition_subalgoE9EjjbEEZZNS1_14partition_implILS5_9ELb0ES3_jN6thrust23THRUST_200600_302600_NS6detail15normal_iteratorINS9_10device_ptrIjEEEESE_PNS0_10empty_typeENS0_5tupleIJSE_SF_EEENSH_IJSE_SG_EEENS0_18inequality_wrapperINS9_8equal_toIjEEEEPmJSF_EEE10hipError_tPvRmT3_T4_T5_T6_T7_T9_mT8_P12ihipStream_tbDpT10_ENKUlT_T0_E_clISt17integral_constantIbLb0EES18_EEDaS13_S14_EUlS13_E_NS1_11comp_targetILNS1_3genE4ELNS1_11target_archE910ELNS1_3gpuE8ELNS1_3repE0EEENS1_30default_config_static_selectorELNS0_4arch9wavefront6targetE0EEEvT1_
    .private_segment_fixed_size: 0
    .sgpr_count:     0
    .sgpr_spill_count: 0
    .symbol:         _ZN7rocprim17ROCPRIM_400000_NS6detail17trampoline_kernelINS0_14default_configENS1_25partition_config_selectorILNS1_17partition_subalgoE9EjjbEEZZNS1_14partition_implILS5_9ELb0ES3_jN6thrust23THRUST_200600_302600_NS6detail15normal_iteratorINS9_10device_ptrIjEEEESE_PNS0_10empty_typeENS0_5tupleIJSE_SF_EEENSH_IJSE_SG_EEENS0_18inequality_wrapperINS9_8equal_toIjEEEEPmJSF_EEE10hipError_tPvRmT3_T4_T5_T6_T7_T9_mT8_P12ihipStream_tbDpT10_ENKUlT_T0_E_clISt17integral_constantIbLb0EES18_EEDaS13_S14_EUlS13_E_NS1_11comp_targetILNS1_3genE4ELNS1_11target_archE910ELNS1_3gpuE8ELNS1_3repE0EEENS1_30default_config_static_selectorELNS0_4arch9wavefront6targetE0EEEvT1_.kd
    .uniform_work_group_size: 1
    .uses_dynamic_stack: false
    .vgpr_count:     0
    .vgpr_spill_count: 0
    .wavefront_size: 32
    .workgroup_processor_mode: 1
  - .args:
      - .offset:         0
        .size:           112
        .value_kind:     by_value
    .group_segment_fixed_size: 0
    .kernarg_segment_align: 8
    .kernarg_segment_size: 112
    .language:       OpenCL C
    .language_version:
      - 2
      - 0
    .max_flat_workgroup_size: 256
    .name:           _ZN7rocprim17ROCPRIM_400000_NS6detail17trampoline_kernelINS0_14default_configENS1_25partition_config_selectorILNS1_17partition_subalgoE9EjjbEEZZNS1_14partition_implILS5_9ELb0ES3_jN6thrust23THRUST_200600_302600_NS6detail15normal_iteratorINS9_10device_ptrIjEEEESE_PNS0_10empty_typeENS0_5tupleIJSE_SF_EEENSH_IJSE_SG_EEENS0_18inequality_wrapperINS9_8equal_toIjEEEEPmJSF_EEE10hipError_tPvRmT3_T4_T5_T6_T7_T9_mT8_P12ihipStream_tbDpT10_ENKUlT_T0_E_clISt17integral_constantIbLb0EES18_EEDaS13_S14_EUlS13_E_NS1_11comp_targetILNS1_3genE3ELNS1_11target_archE908ELNS1_3gpuE7ELNS1_3repE0EEENS1_30default_config_static_selectorELNS0_4arch9wavefront6targetE0EEEvT1_
    .private_segment_fixed_size: 0
    .sgpr_count:     0
    .sgpr_spill_count: 0
    .symbol:         _ZN7rocprim17ROCPRIM_400000_NS6detail17trampoline_kernelINS0_14default_configENS1_25partition_config_selectorILNS1_17partition_subalgoE9EjjbEEZZNS1_14partition_implILS5_9ELb0ES3_jN6thrust23THRUST_200600_302600_NS6detail15normal_iteratorINS9_10device_ptrIjEEEESE_PNS0_10empty_typeENS0_5tupleIJSE_SF_EEENSH_IJSE_SG_EEENS0_18inequality_wrapperINS9_8equal_toIjEEEEPmJSF_EEE10hipError_tPvRmT3_T4_T5_T6_T7_T9_mT8_P12ihipStream_tbDpT10_ENKUlT_T0_E_clISt17integral_constantIbLb0EES18_EEDaS13_S14_EUlS13_E_NS1_11comp_targetILNS1_3genE3ELNS1_11target_archE908ELNS1_3gpuE7ELNS1_3repE0EEENS1_30default_config_static_selectorELNS0_4arch9wavefront6targetE0EEEvT1_.kd
    .uniform_work_group_size: 1
    .uses_dynamic_stack: false
    .vgpr_count:     0
    .vgpr_spill_count: 0
    .wavefront_size: 32
    .workgroup_processor_mode: 1
  - .args:
      - .offset:         0
        .size:           112
        .value_kind:     by_value
    .group_segment_fixed_size: 0
    .kernarg_segment_align: 8
    .kernarg_segment_size: 112
    .language:       OpenCL C
    .language_version:
      - 2
      - 0
    .max_flat_workgroup_size: 256
    .name:           _ZN7rocprim17ROCPRIM_400000_NS6detail17trampoline_kernelINS0_14default_configENS1_25partition_config_selectorILNS1_17partition_subalgoE9EjjbEEZZNS1_14partition_implILS5_9ELb0ES3_jN6thrust23THRUST_200600_302600_NS6detail15normal_iteratorINS9_10device_ptrIjEEEESE_PNS0_10empty_typeENS0_5tupleIJSE_SF_EEENSH_IJSE_SG_EEENS0_18inequality_wrapperINS9_8equal_toIjEEEEPmJSF_EEE10hipError_tPvRmT3_T4_T5_T6_T7_T9_mT8_P12ihipStream_tbDpT10_ENKUlT_T0_E_clISt17integral_constantIbLb0EES18_EEDaS13_S14_EUlS13_E_NS1_11comp_targetILNS1_3genE2ELNS1_11target_archE906ELNS1_3gpuE6ELNS1_3repE0EEENS1_30default_config_static_selectorELNS0_4arch9wavefront6targetE0EEEvT1_
    .private_segment_fixed_size: 0
    .sgpr_count:     0
    .sgpr_spill_count: 0
    .symbol:         _ZN7rocprim17ROCPRIM_400000_NS6detail17trampoline_kernelINS0_14default_configENS1_25partition_config_selectorILNS1_17partition_subalgoE9EjjbEEZZNS1_14partition_implILS5_9ELb0ES3_jN6thrust23THRUST_200600_302600_NS6detail15normal_iteratorINS9_10device_ptrIjEEEESE_PNS0_10empty_typeENS0_5tupleIJSE_SF_EEENSH_IJSE_SG_EEENS0_18inequality_wrapperINS9_8equal_toIjEEEEPmJSF_EEE10hipError_tPvRmT3_T4_T5_T6_T7_T9_mT8_P12ihipStream_tbDpT10_ENKUlT_T0_E_clISt17integral_constantIbLb0EES18_EEDaS13_S14_EUlS13_E_NS1_11comp_targetILNS1_3genE2ELNS1_11target_archE906ELNS1_3gpuE6ELNS1_3repE0EEENS1_30default_config_static_selectorELNS0_4arch9wavefront6targetE0EEEvT1_.kd
    .uniform_work_group_size: 1
    .uses_dynamic_stack: false
    .vgpr_count:     0
    .vgpr_spill_count: 0
    .wavefront_size: 32
    .workgroup_processor_mode: 1
  - .args:
      - .offset:         0
        .size:           112
        .value_kind:     by_value
    .group_segment_fixed_size: 0
    .kernarg_segment_align: 8
    .kernarg_segment_size: 112
    .language:       OpenCL C
    .language_version:
      - 2
      - 0
    .max_flat_workgroup_size: 384
    .name:           _ZN7rocprim17ROCPRIM_400000_NS6detail17trampoline_kernelINS0_14default_configENS1_25partition_config_selectorILNS1_17partition_subalgoE9EjjbEEZZNS1_14partition_implILS5_9ELb0ES3_jN6thrust23THRUST_200600_302600_NS6detail15normal_iteratorINS9_10device_ptrIjEEEESE_PNS0_10empty_typeENS0_5tupleIJSE_SF_EEENSH_IJSE_SG_EEENS0_18inequality_wrapperINS9_8equal_toIjEEEEPmJSF_EEE10hipError_tPvRmT3_T4_T5_T6_T7_T9_mT8_P12ihipStream_tbDpT10_ENKUlT_T0_E_clISt17integral_constantIbLb0EES18_EEDaS13_S14_EUlS13_E_NS1_11comp_targetILNS1_3genE10ELNS1_11target_archE1200ELNS1_3gpuE4ELNS1_3repE0EEENS1_30default_config_static_selectorELNS0_4arch9wavefront6targetE0EEEvT1_
    .private_segment_fixed_size: 0
    .sgpr_count:     0
    .sgpr_spill_count: 0
    .symbol:         _ZN7rocprim17ROCPRIM_400000_NS6detail17trampoline_kernelINS0_14default_configENS1_25partition_config_selectorILNS1_17partition_subalgoE9EjjbEEZZNS1_14partition_implILS5_9ELb0ES3_jN6thrust23THRUST_200600_302600_NS6detail15normal_iteratorINS9_10device_ptrIjEEEESE_PNS0_10empty_typeENS0_5tupleIJSE_SF_EEENSH_IJSE_SG_EEENS0_18inequality_wrapperINS9_8equal_toIjEEEEPmJSF_EEE10hipError_tPvRmT3_T4_T5_T6_T7_T9_mT8_P12ihipStream_tbDpT10_ENKUlT_T0_E_clISt17integral_constantIbLb0EES18_EEDaS13_S14_EUlS13_E_NS1_11comp_targetILNS1_3genE10ELNS1_11target_archE1200ELNS1_3gpuE4ELNS1_3repE0EEENS1_30default_config_static_selectorELNS0_4arch9wavefront6targetE0EEEvT1_.kd
    .uniform_work_group_size: 1
    .uses_dynamic_stack: false
    .vgpr_count:     0
    .vgpr_spill_count: 0
    .wavefront_size: 32
    .workgroup_processor_mode: 1
  - .args:
      - .offset:         0
        .size:           112
        .value_kind:     by_value
    .group_segment_fixed_size: 12680
    .kernarg_segment_align: 8
    .kernarg_segment_size: 112
    .language:       OpenCL C
    .language_version:
      - 2
      - 0
    .max_flat_workgroup_size: 384
    .name:           _ZN7rocprim17ROCPRIM_400000_NS6detail17trampoline_kernelINS0_14default_configENS1_25partition_config_selectorILNS1_17partition_subalgoE9EjjbEEZZNS1_14partition_implILS5_9ELb0ES3_jN6thrust23THRUST_200600_302600_NS6detail15normal_iteratorINS9_10device_ptrIjEEEESE_PNS0_10empty_typeENS0_5tupleIJSE_SF_EEENSH_IJSE_SG_EEENS0_18inequality_wrapperINS9_8equal_toIjEEEEPmJSF_EEE10hipError_tPvRmT3_T4_T5_T6_T7_T9_mT8_P12ihipStream_tbDpT10_ENKUlT_T0_E_clISt17integral_constantIbLb0EES18_EEDaS13_S14_EUlS13_E_NS1_11comp_targetILNS1_3genE9ELNS1_11target_archE1100ELNS1_3gpuE3ELNS1_3repE0EEENS1_30default_config_static_selectorELNS0_4arch9wavefront6targetE0EEEvT1_
    .private_segment_fixed_size: 0
    .sgpr_count:     27
    .sgpr_spill_count: 0
    .symbol:         _ZN7rocprim17ROCPRIM_400000_NS6detail17trampoline_kernelINS0_14default_configENS1_25partition_config_selectorILNS1_17partition_subalgoE9EjjbEEZZNS1_14partition_implILS5_9ELb0ES3_jN6thrust23THRUST_200600_302600_NS6detail15normal_iteratorINS9_10device_ptrIjEEEESE_PNS0_10empty_typeENS0_5tupleIJSE_SF_EEENSH_IJSE_SG_EEENS0_18inequality_wrapperINS9_8equal_toIjEEEEPmJSF_EEE10hipError_tPvRmT3_T4_T5_T6_T7_T9_mT8_P12ihipStream_tbDpT10_ENKUlT_T0_E_clISt17integral_constantIbLb0EES18_EEDaS13_S14_EUlS13_E_NS1_11comp_targetILNS1_3genE9ELNS1_11target_archE1100ELNS1_3gpuE3ELNS1_3repE0EEENS1_30default_config_static_selectorELNS0_4arch9wavefront6targetE0EEEvT1_.kd
    .uniform_work_group_size: 1
    .uses_dynamic_stack: false
    .vgpr_count:     51
    .vgpr_spill_count: 0
    .wavefront_size: 32
    .workgroup_processor_mode: 1
  - .args:
      - .offset:         0
        .size:           112
        .value_kind:     by_value
    .group_segment_fixed_size: 0
    .kernarg_segment_align: 8
    .kernarg_segment_size: 112
    .language:       OpenCL C
    .language_version:
      - 2
      - 0
    .max_flat_workgroup_size: 512
    .name:           _ZN7rocprim17ROCPRIM_400000_NS6detail17trampoline_kernelINS0_14default_configENS1_25partition_config_selectorILNS1_17partition_subalgoE9EjjbEEZZNS1_14partition_implILS5_9ELb0ES3_jN6thrust23THRUST_200600_302600_NS6detail15normal_iteratorINS9_10device_ptrIjEEEESE_PNS0_10empty_typeENS0_5tupleIJSE_SF_EEENSH_IJSE_SG_EEENS0_18inequality_wrapperINS9_8equal_toIjEEEEPmJSF_EEE10hipError_tPvRmT3_T4_T5_T6_T7_T9_mT8_P12ihipStream_tbDpT10_ENKUlT_T0_E_clISt17integral_constantIbLb0EES18_EEDaS13_S14_EUlS13_E_NS1_11comp_targetILNS1_3genE8ELNS1_11target_archE1030ELNS1_3gpuE2ELNS1_3repE0EEENS1_30default_config_static_selectorELNS0_4arch9wavefront6targetE0EEEvT1_
    .private_segment_fixed_size: 0
    .sgpr_count:     0
    .sgpr_spill_count: 0
    .symbol:         _ZN7rocprim17ROCPRIM_400000_NS6detail17trampoline_kernelINS0_14default_configENS1_25partition_config_selectorILNS1_17partition_subalgoE9EjjbEEZZNS1_14partition_implILS5_9ELb0ES3_jN6thrust23THRUST_200600_302600_NS6detail15normal_iteratorINS9_10device_ptrIjEEEESE_PNS0_10empty_typeENS0_5tupleIJSE_SF_EEENSH_IJSE_SG_EEENS0_18inequality_wrapperINS9_8equal_toIjEEEEPmJSF_EEE10hipError_tPvRmT3_T4_T5_T6_T7_T9_mT8_P12ihipStream_tbDpT10_ENKUlT_T0_E_clISt17integral_constantIbLb0EES18_EEDaS13_S14_EUlS13_E_NS1_11comp_targetILNS1_3genE8ELNS1_11target_archE1030ELNS1_3gpuE2ELNS1_3repE0EEENS1_30default_config_static_selectorELNS0_4arch9wavefront6targetE0EEEvT1_.kd
    .uniform_work_group_size: 1
    .uses_dynamic_stack: false
    .vgpr_count:     0
    .vgpr_spill_count: 0
    .wavefront_size: 32
    .workgroup_processor_mode: 1
  - .args:
      - .offset:         0
        .size:           128
        .value_kind:     by_value
    .group_segment_fixed_size: 0
    .kernarg_segment_align: 8
    .kernarg_segment_size: 128
    .language:       OpenCL C
    .language_version:
      - 2
      - 0
    .max_flat_workgroup_size: 256
    .name:           _ZN7rocprim17ROCPRIM_400000_NS6detail17trampoline_kernelINS0_14default_configENS1_25partition_config_selectorILNS1_17partition_subalgoE9EjjbEEZZNS1_14partition_implILS5_9ELb0ES3_jN6thrust23THRUST_200600_302600_NS6detail15normal_iteratorINS9_10device_ptrIjEEEESE_PNS0_10empty_typeENS0_5tupleIJSE_SF_EEENSH_IJSE_SG_EEENS0_18inequality_wrapperINS9_8equal_toIjEEEEPmJSF_EEE10hipError_tPvRmT3_T4_T5_T6_T7_T9_mT8_P12ihipStream_tbDpT10_ENKUlT_T0_E_clISt17integral_constantIbLb1EES18_EEDaS13_S14_EUlS13_E_NS1_11comp_targetILNS1_3genE0ELNS1_11target_archE4294967295ELNS1_3gpuE0ELNS1_3repE0EEENS1_30default_config_static_selectorELNS0_4arch9wavefront6targetE0EEEvT1_
    .private_segment_fixed_size: 0
    .sgpr_count:     0
    .sgpr_spill_count: 0
    .symbol:         _ZN7rocprim17ROCPRIM_400000_NS6detail17trampoline_kernelINS0_14default_configENS1_25partition_config_selectorILNS1_17partition_subalgoE9EjjbEEZZNS1_14partition_implILS5_9ELb0ES3_jN6thrust23THRUST_200600_302600_NS6detail15normal_iteratorINS9_10device_ptrIjEEEESE_PNS0_10empty_typeENS0_5tupleIJSE_SF_EEENSH_IJSE_SG_EEENS0_18inequality_wrapperINS9_8equal_toIjEEEEPmJSF_EEE10hipError_tPvRmT3_T4_T5_T6_T7_T9_mT8_P12ihipStream_tbDpT10_ENKUlT_T0_E_clISt17integral_constantIbLb1EES18_EEDaS13_S14_EUlS13_E_NS1_11comp_targetILNS1_3genE0ELNS1_11target_archE4294967295ELNS1_3gpuE0ELNS1_3repE0EEENS1_30default_config_static_selectorELNS0_4arch9wavefront6targetE0EEEvT1_.kd
    .uniform_work_group_size: 1
    .uses_dynamic_stack: false
    .vgpr_count:     0
    .vgpr_spill_count: 0
    .wavefront_size: 32
    .workgroup_processor_mode: 1
  - .args:
      - .offset:         0
        .size:           128
        .value_kind:     by_value
    .group_segment_fixed_size: 0
    .kernarg_segment_align: 8
    .kernarg_segment_size: 128
    .language:       OpenCL C
    .language_version:
      - 2
      - 0
    .max_flat_workgroup_size: 512
    .name:           _ZN7rocprim17ROCPRIM_400000_NS6detail17trampoline_kernelINS0_14default_configENS1_25partition_config_selectorILNS1_17partition_subalgoE9EjjbEEZZNS1_14partition_implILS5_9ELb0ES3_jN6thrust23THRUST_200600_302600_NS6detail15normal_iteratorINS9_10device_ptrIjEEEESE_PNS0_10empty_typeENS0_5tupleIJSE_SF_EEENSH_IJSE_SG_EEENS0_18inequality_wrapperINS9_8equal_toIjEEEEPmJSF_EEE10hipError_tPvRmT3_T4_T5_T6_T7_T9_mT8_P12ihipStream_tbDpT10_ENKUlT_T0_E_clISt17integral_constantIbLb1EES18_EEDaS13_S14_EUlS13_E_NS1_11comp_targetILNS1_3genE5ELNS1_11target_archE942ELNS1_3gpuE9ELNS1_3repE0EEENS1_30default_config_static_selectorELNS0_4arch9wavefront6targetE0EEEvT1_
    .private_segment_fixed_size: 0
    .sgpr_count:     0
    .sgpr_spill_count: 0
    .symbol:         _ZN7rocprim17ROCPRIM_400000_NS6detail17trampoline_kernelINS0_14default_configENS1_25partition_config_selectorILNS1_17partition_subalgoE9EjjbEEZZNS1_14partition_implILS5_9ELb0ES3_jN6thrust23THRUST_200600_302600_NS6detail15normal_iteratorINS9_10device_ptrIjEEEESE_PNS0_10empty_typeENS0_5tupleIJSE_SF_EEENSH_IJSE_SG_EEENS0_18inequality_wrapperINS9_8equal_toIjEEEEPmJSF_EEE10hipError_tPvRmT3_T4_T5_T6_T7_T9_mT8_P12ihipStream_tbDpT10_ENKUlT_T0_E_clISt17integral_constantIbLb1EES18_EEDaS13_S14_EUlS13_E_NS1_11comp_targetILNS1_3genE5ELNS1_11target_archE942ELNS1_3gpuE9ELNS1_3repE0EEENS1_30default_config_static_selectorELNS0_4arch9wavefront6targetE0EEEvT1_.kd
    .uniform_work_group_size: 1
    .uses_dynamic_stack: false
    .vgpr_count:     0
    .vgpr_spill_count: 0
    .wavefront_size: 32
    .workgroup_processor_mode: 1
  - .args:
      - .offset:         0
        .size:           128
        .value_kind:     by_value
    .group_segment_fixed_size: 0
    .kernarg_segment_align: 8
    .kernarg_segment_size: 128
    .language:       OpenCL C
    .language_version:
      - 2
      - 0
    .max_flat_workgroup_size: 192
    .name:           _ZN7rocprim17ROCPRIM_400000_NS6detail17trampoline_kernelINS0_14default_configENS1_25partition_config_selectorILNS1_17partition_subalgoE9EjjbEEZZNS1_14partition_implILS5_9ELb0ES3_jN6thrust23THRUST_200600_302600_NS6detail15normal_iteratorINS9_10device_ptrIjEEEESE_PNS0_10empty_typeENS0_5tupleIJSE_SF_EEENSH_IJSE_SG_EEENS0_18inequality_wrapperINS9_8equal_toIjEEEEPmJSF_EEE10hipError_tPvRmT3_T4_T5_T6_T7_T9_mT8_P12ihipStream_tbDpT10_ENKUlT_T0_E_clISt17integral_constantIbLb1EES18_EEDaS13_S14_EUlS13_E_NS1_11comp_targetILNS1_3genE4ELNS1_11target_archE910ELNS1_3gpuE8ELNS1_3repE0EEENS1_30default_config_static_selectorELNS0_4arch9wavefront6targetE0EEEvT1_
    .private_segment_fixed_size: 0
    .sgpr_count:     0
    .sgpr_spill_count: 0
    .symbol:         _ZN7rocprim17ROCPRIM_400000_NS6detail17trampoline_kernelINS0_14default_configENS1_25partition_config_selectorILNS1_17partition_subalgoE9EjjbEEZZNS1_14partition_implILS5_9ELb0ES3_jN6thrust23THRUST_200600_302600_NS6detail15normal_iteratorINS9_10device_ptrIjEEEESE_PNS0_10empty_typeENS0_5tupleIJSE_SF_EEENSH_IJSE_SG_EEENS0_18inequality_wrapperINS9_8equal_toIjEEEEPmJSF_EEE10hipError_tPvRmT3_T4_T5_T6_T7_T9_mT8_P12ihipStream_tbDpT10_ENKUlT_T0_E_clISt17integral_constantIbLb1EES18_EEDaS13_S14_EUlS13_E_NS1_11comp_targetILNS1_3genE4ELNS1_11target_archE910ELNS1_3gpuE8ELNS1_3repE0EEENS1_30default_config_static_selectorELNS0_4arch9wavefront6targetE0EEEvT1_.kd
    .uniform_work_group_size: 1
    .uses_dynamic_stack: false
    .vgpr_count:     0
    .vgpr_spill_count: 0
    .wavefront_size: 32
    .workgroup_processor_mode: 1
  - .args:
      - .offset:         0
        .size:           128
        .value_kind:     by_value
    .group_segment_fixed_size: 0
    .kernarg_segment_align: 8
    .kernarg_segment_size: 128
    .language:       OpenCL C
    .language_version:
      - 2
      - 0
    .max_flat_workgroup_size: 256
    .name:           _ZN7rocprim17ROCPRIM_400000_NS6detail17trampoline_kernelINS0_14default_configENS1_25partition_config_selectorILNS1_17partition_subalgoE9EjjbEEZZNS1_14partition_implILS5_9ELb0ES3_jN6thrust23THRUST_200600_302600_NS6detail15normal_iteratorINS9_10device_ptrIjEEEESE_PNS0_10empty_typeENS0_5tupleIJSE_SF_EEENSH_IJSE_SG_EEENS0_18inequality_wrapperINS9_8equal_toIjEEEEPmJSF_EEE10hipError_tPvRmT3_T4_T5_T6_T7_T9_mT8_P12ihipStream_tbDpT10_ENKUlT_T0_E_clISt17integral_constantIbLb1EES18_EEDaS13_S14_EUlS13_E_NS1_11comp_targetILNS1_3genE3ELNS1_11target_archE908ELNS1_3gpuE7ELNS1_3repE0EEENS1_30default_config_static_selectorELNS0_4arch9wavefront6targetE0EEEvT1_
    .private_segment_fixed_size: 0
    .sgpr_count:     0
    .sgpr_spill_count: 0
    .symbol:         _ZN7rocprim17ROCPRIM_400000_NS6detail17trampoline_kernelINS0_14default_configENS1_25partition_config_selectorILNS1_17partition_subalgoE9EjjbEEZZNS1_14partition_implILS5_9ELb0ES3_jN6thrust23THRUST_200600_302600_NS6detail15normal_iteratorINS9_10device_ptrIjEEEESE_PNS0_10empty_typeENS0_5tupleIJSE_SF_EEENSH_IJSE_SG_EEENS0_18inequality_wrapperINS9_8equal_toIjEEEEPmJSF_EEE10hipError_tPvRmT3_T4_T5_T6_T7_T9_mT8_P12ihipStream_tbDpT10_ENKUlT_T0_E_clISt17integral_constantIbLb1EES18_EEDaS13_S14_EUlS13_E_NS1_11comp_targetILNS1_3genE3ELNS1_11target_archE908ELNS1_3gpuE7ELNS1_3repE0EEENS1_30default_config_static_selectorELNS0_4arch9wavefront6targetE0EEEvT1_.kd
    .uniform_work_group_size: 1
    .uses_dynamic_stack: false
    .vgpr_count:     0
    .vgpr_spill_count: 0
    .wavefront_size: 32
    .workgroup_processor_mode: 1
  - .args:
      - .offset:         0
        .size:           128
        .value_kind:     by_value
    .group_segment_fixed_size: 0
    .kernarg_segment_align: 8
    .kernarg_segment_size: 128
    .language:       OpenCL C
    .language_version:
      - 2
      - 0
    .max_flat_workgroup_size: 256
    .name:           _ZN7rocprim17ROCPRIM_400000_NS6detail17trampoline_kernelINS0_14default_configENS1_25partition_config_selectorILNS1_17partition_subalgoE9EjjbEEZZNS1_14partition_implILS5_9ELb0ES3_jN6thrust23THRUST_200600_302600_NS6detail15normal_iteratorINS9_10device_ptrIjEEEESE_PNS0_10empty_typeENS0_5tupleIJSE_SF_EEENSH_IJSE_SG_EEENS0_18inequality_wrapperINS9_8equal_toIjEEEEPmJSF_EEE10hipError_tPvRmT3_T4_T5_T6_T7_T9_mT8_P12ihipStream_tbDpT10_ENKUlT_T0_E_clISt17integral_constantIbLb1EES18_EEDaS13_S14_EUlS13_E_NS1_11comp_targetILNS1_3genE2ELNS1_11target_archE906ELNS1_3gpuE6ELNS1_3repE0EEENS1_30default_config_static_selectorELNS0_4arch9wavefront6targetE0EEEvT1_
    .private_segment_fixed_size: 0
    .sgpr_count:     0
    .sgpr_spill_count: 0
    .symbol:         _ZN7rocprim17ROCPRIM_400000_NS6detail17trampoline_kernelINS0_14default_configENS1_25partition_config_selectorILNS1_17partition_subalgoE9EjjbEEZZNS1_14partition_implILS5_9ELb0ES3_jN6thrust23THRUST_200600_302600_NS6detail15normal_iteratorINS9_10device_ptrIjEEEESE_PNS0_10empty_typeENS0_5tupleIJSE_SF_EEENSH_IJSE_SG_EEENS0_18inequality_wrapperINS9_8equal_toIjEEEEPmJSF_EEE10hipError_tPvRmT3_T4_T5_T6_T7_T9_mT8_P12ihipStream_tbDpT10_ENKUlT_T0_E_clISt17integral_constantIbLb1EES18_EEDaS13_S14_EUlS13_E_NS1_11comp_targetILNS1_3genE2ELNS1_11target_archE906ELNS1_3gpuE6ELNS1_3repE0EEENS1_30default_config_static_selectorELNS0_4arch9wavefront6targetE0EEEvT1_.kd
    .uniform_work_group_size: 1
    .uses_dynamic_stack: false
    .vgpr_count:     0
    .vgpr_spill_count: 0
    .wavefront_size: 32
    .workgroup_processor_mode: 1
  - .args:
      - .offset:         0
        .size:           128
        .value_kind:     by_value
    .group_segment_fixed_size: 0
    .kernarg_segment_align: 8
    .kernarg_segment_size: 128
    .language:       OpenCL C
    .language_version:
      - 2
      - 0
    .max_flat_workgroup_size: 384
    .name:           _ZN7rocprim17ROCPRIM_400000_NS6detail17trampoline_kernelINS0_14default_configENS1_25partition_config_selectorILNS1_17partition_subalgoE9EjjbEEZZNS1_14partition_implILS5_9ELb0ES3_jN6thrust23THRUST_200600_302600_NS6detail15normal_iteratorINS9_10device_ptrIjEEEESE_PNS0_10empty_typeENS0_5tupleIJSE_SF_EEENSH_IJSE_SG_EEENS0_18inequality_wrapperINS9_8equal_toIjEEEEPmJSF_EEE10hipError_tPvRmT3_T4_T5_T6_T7_T9_mT8_P12ihipStream_tbDpT10_ENKUlT_T0_E_clISt17integral_constantIbLb1EES18_EEDaS13_S14_EUlS13_E_NS1_11comp_targetILNS1_3genE10ELNS1_11target_archE1200ELNS1_3gpuE4ELNS1_3repE0EEENS1_30default_config_static_selectorELNS0_4arch9wavefront6targetE0EEEvT1_
    .private_segment_fixed_size: 0
    .sgpr_count:     0
    .sgpr_spill_count: 0
    .symbol:         _ZN7rocprim17ROCPRIM_400000_NS6detail17trampoline_kernelINS0_14default_configENS1_25partition_config_selectorILNS1_17partition_subalgoE9EjjbEEZZNS1_14partition_implILS5_9ELb0ES3_jN6thrust23THRUST_200600_302600_NS6detail15normal_iteratorINS9_10device_ptrIjEEEESE_PNS0_10empty_typeENS0_5tupleIJSE_SF_EEENSH_IJSE_SG_EEENS0_18inequality_wrapperINS9_8equal_toIjEEEEPmJSF_EEE10hipError_tPvRmT3_T4_T5_T6_T7_T9_mT8_P12ihipStream_tbDpT10_ENKUlT_T0_E_clISt17integral_constantIbLb1EES18_EEDaS13_S14_EUlS13_E_NS1_11comp_targetILNS1_3genE10ELNS1_11target_archE1200ELNS1_3gpuE4ELNS1_3repE0EEENS1_30default_config_static_selectorELNS0_4arch9wavefront6targetE0EEEvT1_.kd
    .uniform_work_group_size: 1
    .uses_dynamic_stack: false
    .vgpr_count:     0
    .vgpr_spill_count: 0
    .wavefront_size: 32
    .workgroup_processor_mode: 1
  - .args:
      - .offset:         0
        .size:           128
        .value_kind:     by_value
    .group_segment_fixed_size: 12680
    .kernarg_segment_align: 8
    .kernarg_segment_size: 128
    .language:       OpenCL C
    .language_version:
      - 2
      - 0
    .max_flat_workgroup_size: 384
    .name:           _ZN7rocprim17ROCPRIM_400000_NS6detail17trampoline_kernelINS0_14default_configENS1_25partition_config_selectorILNS1_17partition_subalgoE9EjjbEEZZNS1_14partition_implILS5_9ELb0ES3_jN6thrust23THRUST_200600_302600_NS6detail15normal_iteratorINS9_10device_ptrIjEEEESE_PNS0_10empty_typeENS0_5tupleIJSE_SF_EEENSH_IJSE_SG_EEENS0_18inequality_wrapperINS9_8equal_toIjEEEEPmJSF_EEE10hipError_tPvRmT3_T4_T5_T6_T7_T9_mT8_P12ihipStream_tbDpT10_ENKUlT_T0_E_clISt17integral_constantIbLb1EES18_EEDaS13_S14_EUlS13_E_NS1_11comp_targetILNS1_3genE9ELNS1_11target_archE1100ELNS1_3gpuE3ELNS1_3repE0EEENS1_30default_config_static_selectorELNS0_4arch9wavefront6targetE0EEEvT1_
    .private_segment_fixed_size: 0
    .sgpr_count:     31
    .sgpr_spill_count: 0
    .symbol:         _ZN7rocprim17ROCPRIM_400000_NS6detail17trampoline_kernelINS0_14default_configENS1_25partition_config_selectorILNS1_17partition_subalgoE9EjjbEEZZNS1_14partition_implILS5_9ELb0ES3_jN6thrust23THRUST_200600_302600_NS6detail15normal_iteratorINS9_10device_ptrIjEEEESE_PNS0_10empty_typeENS0_5tupleIJSE_SF_EEENSH_IJSE_SG_EEENS0_18inequality_wrapperINS9_8equal_toIjEEEEPmJSF_EEE10hipError_tPvRmT3_T4_T5_T6_T7_T9_mT8_P12ihipStream_tbDpT10_ENKUlT_T0_E_clISt17integral_constantIbLb1EES18_EEDaS13_S14_EUlS13_E_NS1_11comp_targetILNS1_3genE9ELNS1_11target_archE1100ELNS1_3gpuE3ELNS1_3repE0EEENS1_30default_config_static_selectorELNS0_4arch9wavefront6targetE0EEEvT1_.kd
    .uniform_work_group_size: 1
    .uses_dynamic_stack: false
    .vgpr_count:     51
    .vgpr_spill_count: 0
    .wavefront_size: 32
    .workgroup_processor_mode: 1
  - .args:
      - .offset:         0
        .size:           128
        .value_kind:     by_value
    .group_segment_fixed_size: 0
    .kernarg_segment_align: 8
    .kernarg_segment_size: 128
    .language:       OpenCL C
    .language_version:
      - 2
      - 0
    .max_flat_workgroup_size: 512
    .name:           _ZN7rocprim17ROCPRIM_400000_NS6detail17trampoline_kernelINS0_14default_configENS1_25partition_config_selectorILNS1_17partition_subalgoE9EjjbEEZZNS1_14partition_implILS5_9ELb0ES3_jN6thrust23THRUST_200600_302600_NS6detail15normal_iteratorINS9_10device_ptrIjEEEESE_PNS0_10empty_typeENS0_5tupleIJSE_SF_EEENSH_IJSE_SG_EEENS0_18inequality_wrapperINS9_8equal_toIjEEEEPmJSF_EEE10hipError_tPvRmT3_T4_T5_T6_T7_T9_mT8_P12ihipStream_tbDpT10_ENKUlT_T0_E_clISt17integral_constantIbLb1EES18_EEDaS13_S14_EUlS13_E_NS1_11comp_targetILNS1_3genE8ELNS1_11target_archE1030ELNS1_3gpuE2ELNS1_3repE0EEENS1_30default_config_static_selectorELNS0_4arch9wavefront6targetE0EEEvT1_
    .private_segment_fixed_size: 0
    .sgpr_count:     0
    .sgpr_spill_count: 0
    .symbol:         _ZN7rocprim17ROCPRIM_400000_NS6detail17trampoline_kernelINS0_14default_configENS1_25partition_config_selectorILNS1_17partition_subalgoE9EjjbEEZZNS1_14partition_implILS5_9ELb0ES3_jN6thrust23THRUST_200600_302600_NS6detail15normal_iteratorINS9_10device_ptrIjEEEESE_PNS0_10empty_typeENS0_5tupleIJSE_SF_EEENSH_IJSE_SG_EEENS0_18inequality_wrapperINS9_8equal_toIjEEEEPmJSF_EEE10hipError_tPvRmT3_T4_T5_T6_T7_T9_mT8_P12ihipStream_tbDpT10_ENKUlT_T0_E_clISt17integral_constantIbLb1EES18_EEDaS13_S14_EUlS13_E_NS1_11comp_targetILNS1_3genE8ELNS1_11target_archE1030ELNS1_3gpuE2ELNS1_3repE0EEENS1_30default_config_static_selectorELNS0_4arch9wavefront6targetE0EEEvT1_.kd
    .uniform_work_group_size: 1
    .uses_dynamic_stack: false
    .vgpr_count:     0
    .vgpr_spill_count: 0
    .wavefront_size: 32
    .workgroup_processor_mode: 1
  - .args:
      - .offset:         0
        .size:           112
        .value_kind:     by_value
    .group_segment_fixed_size: 0
    .kernarg_segment_align: 8
    .kernarg_segment_size: 112
    .language:       OpenCL C
    .language_version:
      - 2
      - 0
    .max_flat_workgroup_size: 256
    .name:           _ZN7rocprim17ROCPRIM_400000_NS6detail17trampoline_kernelINS0_14default_configENS1_25partition_config_selectorILNS1_17partition_subalgoE9EjjbEEZZNS1_14partition_implILS5_9ELb0ES3_jN6thrust23THRUST_200600_302600_NS6detail15normal_iteratorINS9_10device_ptrIjEEEESE_PNS0_10empty_typeENS0_5tupleIJSE_SF_EEENSH_IJSE_SG_EEENS0_18inequality_wrapperINS9_8equal_toIjEEEEPmJSF_EEE10hipError_tPvRmT3_T4_T5_T6_T7_T9_mT8_P12ihipStream_tbDpT10_ENKUlT_T0_E_clISt17integral_constantIbLb1EES17_IbLb0EEEEDaS13_S14_EUlS13_E_NS1_11comp_targetILNS1_3genE0ELNS1_11target_archE4294967295ELNS1_3gpuE0ELNS1_3repE0EEENS1_30default_config_static_selectorELNS0_4arch9wavefront6targetE0EEEvT1_
    .private_segment_fixed_size: 0
    .sgpr_count:     0
    .sgpr_spill_count: 0
    .symbol:         _ZN7rocprim17ROCPRIM_400000_NS6detail17trampoline_kernelINS0_14default_configENS1_25partition_config_selectorILNS1_17partition_subalgoE9EjjbEEZZNS1_14partition_implILS5_9ELb0ES3_jN6thrust23THRUST_200600_302600_NS6detail15normal_iteratorINS9_10device_ptrIjEEEESE_PNS0_10empty_typeENS0_5tupleIJSE_SF_EEENSH_IJSE_SG_EEENS0_18inequality_wrapperINS9_8equal_toIjEEEEPmJSF_EEE10hipError_tPvRmT3_T4_T5_T6_T7_T9_mT8_P12ihipStream_tbDpT10_ENKUlT_T0_E_clISt17integral_constantIbLb1EES17_IbLb0EEEEDaS13_S14_EUlS13_E_NS1_11comp_targetILNS1_3genE0ELNS1_11target_archE4294967295ELNS1_3gpuE0ELNS1_3repE0EEENS1_30default_config_static_selectorELNS0_4arch9wavefront6targetE0EEEvT1_.kd
    .uniform_work_group_size: 1
    .uses_dynamic_stack: false
    .vgpr_count:     0
    .vgpr_spill_count: 0
    .wavefront_size: 32
    .workgroup_processor_mode: 1
  - .args:
      - .offset:         0
        .size:           112
        .value_kind:     by_value
    .group_segment_fixed_size: 0
    .kernarg_segment_align: 8
    .kernarg_segment_size: 112
    .language:       OpenCL C
    .language_version:
      - 2
      - 0
    .max_flat_workgroup_size: 512
    .name:           _ZN7rocprim17ROCPRIM_400000_NS6detail17trampoline_kernelINS0_14default_configENS1_25partition_config_selectorILNS1_17partition_subalgoE9EjjbEEZZNS1_14partition_implILS5_9ELb0ES3_jN6thrust23THRUST_200600_302600_NS6detail15normal_iteratorINS9_10device_ptrIjEEEESE_PNS0_10empty_typeENS0_5tupleIJSE_SF_EEENSH_IJSE_SG_EEENS0_18inequality_wrapperINS9_8equal_toIjEEEEPmJSF_EEE10hipError_tPvRmT3_T4_T5_T6_T7_T9_mT8_P12ihipStream_tbDpT10_ENKUlT_T0_E_clISt17integral_constantIbLb1EES17_IbLb0EEEEDaS13_S14_EUlS13_E_NS1_11comp_targetILNS1_3genE5ELNS1_11target_archE942ELNS1_3gpuE9ELNS1_3repE0EEENS1_30default_config_static_selectorELNS0_4arch9wavefront6targetE0EEEvT1_
    .private_segment_fixed_size: 0
    .sgpr_count:     0
    .sgpr_spill_count: 0
    .symbol:         _ZN7rocprim17ROCPRIM_400000_NS6detail17trampoline_kernelINS0_14default_configENS1_25partition_config_selectorILNS1_17partition_subalgoE9EjjbEEZZNS1_14partition_implILS5_9ELb0ES3_jN6thrust23THRUST_200600_302600_NS6detail15normal_iteratorINS9_10device_ptrIjEEEESE_PNS0_10empty_typeENS0_5tupleIJSE_SF_EEENSH_IJSE_SG_EEENS0_18inequality_wrapperINS9_8equal_toIjEEEEPmJSF_EEE10hipError_tPvRmT3_T4_T5_T6_T7_T9_mT8_P12ihipStream_tbDpT10_ENKUlT_T0_E_clISt17integral_constantIbLb1EES17_IbLb0EEEEDaS13_S14_EUlS13_E_NS1_11comp_targetILNS1_3genE5ELNS1_11target_archE942ELNS1_3gpuE9ELNS1_3repE0EEENS1_30default_config_static_selectorELNS0_4arch9wavefront6targetE0EEEvT1_.kd
    .uniform_work_group_size: 1
    .uses_dynamic_stack: false
    .vgpr_count:     0
    .vgpr_spill_count: 0
    .wavefront_size: 32
    .workgroup_processor_mode: 1
  - .args:
      - .offset:         0
        .size:           112
        .value_kind:     by_value
    .group_segment_fixed_size: 0
    .kernarg_segment_align: 8
    .kernarg_segment_size: 112
    .language:       OpenCL C
    .language_version:
      - 2
      - 0
    .max_flat_workgroup_size: 192
    .name:           _ZN7rocprim17ROCPRIM_400000_NS6detail17trampoline_kernelINS0_14default_configENS1_25partition_config_selectorILNS1_17partition_subalgoE9EjjbEEZZNS1_14partition_implILS5_9ELb0ES3_jN6thrust23THRUST_200600_302600_NS6detail15normal_iteratorINS9_10device_ptrIjEEEESE_PNS0_10empty_typeENS0_5tupleIJSE_SF_EEENSH_IJSE_SG_EEENS0_18inequality_wrapperINS9_8equal_toIjEEEEPmJSF_EEE10hipError_tPvRmT3_T4_T5_T6_T7_T9_mT8_P12ihipStream_tbDpT10_ENKUlT_T0_E_clISt17integral_constantIbLb1EES17_IbLb0EEEEDaS13_S14_EUlS13_E_NS1_11comp_targetILNS1_3genE4ELNS1_11target_archE910ELNS1_3gpuE8ELNS1_3repE0EEENS1_30default_config_static_selectorELNS0_4arch9wavefront6targetE0EEEvT1_
    .private_segment_fixed_size: 0
    .sgpr_count:     0
    .sgpr_spill_count: 0
    .symbol:         _ZN7rocprim17ROCPRIM_400000_NS6detail17trampoline_kernelINS0_14default_configENS1_25partition_config_selectorILNS1_17partition_subalgoE9EjjbEEZZNS1_14partition_implILS5_9ELb0ES3_jN6thrust23THRUST_200600_302600_NS6detail15normal_iteratorINS9_10device_ptrIjEEEESE_PNS0_10empty_typeENS0_5tupleIJSE_SF_EEENSH_IJSE_SG_EEENS0_18inequality_wrapperINS9_8equal_toIjEEEEPmJSF_EEE10hipError_tPvRmT3_T4_T5_T6_T7_T9_mT8_P12ihipStream_tbDpT10_ENKUlT_T0_E_clISt17integral_constantIbLb1EES17_IbLb0EEEEDaS13_S14_EUlS13_E_NS1_11comp_targetILNS1_3genE4ELNS1_11target_archE910ELNS1_3gpuE8ELNS1_3repE0EEENS1_30default_config_static_selectorELNS0_4arch9wavefront6targetE0EEEvT1_.kd
    .uniform_work_group_size: 1
    .uses_dynamic_stack: false
    .vgpr_count:     0
    .vgpr_spill_count: 0
    .wavefront_size: 32
    .workgroup_processor_mode: 1
  - .args:
      - .offset:         0
        .size:           112
        .value_kind:     by_value
    .group_segment_fixed_size: 0
    .kernarg_segment_align: 8
    .kernarg_segment_size: 112
    .language:       OpenCL C
    .language_version:
      - 2
      - 0
    .max_flat_workgroup_size: 256
    .name:           _ZN7rocprim17ROCPRIM_400000_NS6detail17trampoline_kernelINS0_14default_configENS1_25partition_config_selectorILNS1_17partition_subalgoE9EjjbEEZZNS1_14partition_implILS5_9ELb0ES3_jN6thrust23THRUST_200600_302600_NS6detail15normal_iteratorINS9_10device_ptrIjEEEESE_PNS0_10empty_typeENS0_5tupleIJSE_SF_EEENSH_IJSE_SG_EEENS0_18inequality_wrapperINS9_8equal_toIjEEEEPmJSF_EEE10hipError_tPvRmT3_T4_T5_T6_T7_T9_mT8_P12ihipStream_tbDpT10_ENKUlT_T0_E_clISt17integral_constantIbLb1EES17_IbLb0EEEEDaS13_S14_EUlS13_E_NS1_11comp_targetILNS1_3genE3ELNS1_11target_archE908ELNS1_3gpuE7ELNS1_3repE0EEENS1_30default_config_static_selectorELNS0_4arch9wavefront6targetE0EEEvT1_
    .private_segment_fixed_size: 0
    .sgpr_count:     0
    .sgpr_spill_count: 0
    .symbol:         _ZN7rocprim17ROCPRIM_400000_NS6detail17trampoline_kernelINS0_14default_configENS1_25partition_config_selectorILNS1_17partition_subalgoE9EjjbEEZZNS1_14partition_implILS5_9ELb0ES3_jN6thrust23THRUST_200600_302600_NS6detail15normal_iteratorINS9_10device_ptrIjEEEESE_PNS0_10empty_typeENS0_5tupleIJSE_SF_EEENSH_IJSE_SG_EEENS0_18inequality_wrapperINS9_8equal_toIjEEEEPmJSF_EEE10hipError_tPvRmT3_T4_T5_T6_T7_T9_mT8_P12ihipStream_tbDpT10_ENKUlT_T0_E_clISt17integral_constantIbLb1EES17_IbLb0EEEEDaS13_S14_EUlS13_E_NS1_11comp_targetILNS1_3genE3ELNS1_11target_archE908ELNS1_3gpuE7ELNS1_3repE0EEENS1_30default_config_static_selectorELNS0_4arch9wavefront6targetE0EEEvT1_.kd
    .uniform_work_group_size: 1
    .uses_dynamic_stack: false
    .vgpr_count:     0
    .vgpr_spill_count: 0
    .wavefront_size: 32
    .workgroup_processor_mode: 1
  - .args:
      - .offset:         0
        .size:           112
        .value_kind:     by_value
    .group_segment_fixed_size: 0
    .kernarg_segment_align: 8
    .kernarg_segment_size: 112
    .language:       OpenCL C
    .language_version:
      - 2
      - 0
    .max_flat_workgroup_size: 256
    .name:           _ZN7rocprim17ROCPRIM_400000_NS6detail17trampoline_kernelINS0_14default_configENS1_25partition_config_selectorILNS1_17partition_subalgoE9EjjbEEZZNS1_14partition_implILS5_9ELb0ES3_jN6thrust23THRUST_200600_302600_NS6detail15normal_iteratorINS9_10device_ptrIjEEEESE_PNS0_10empty_typeENS0_5tupleIJSE_SF_EEENSH_IJSE_SG_EEENS0_18inequality_wrapperINS9_8equal_toIjEEEEPmJSF_EEE10hipError_tPvRmT3_T4_T5_T6_T7_T9_mT8_P12ihipStream_tbDpT10_ENKUlT_T0_E_clISt17integral_constantIbLb1EES17_IbLb0EEEEDaS13_S14_EUlS13_E_NS1_11comp_targetILNS1_3genE2ELNS1_11target_archE906ELNS1_3gpuE6ELNS1_3repE0EEENS1_30default_config_static_selectorELNS0_4arch9wavefront6targetE0EEEvT1_
    .private_segment_fixed_size: 0
    .sgpr_count:     0
    .sgpr_spill_count: 0
    .symbol:         _ZN7rocprim17ROCPRIM_400000_NS6detail17trampoline_kernelINS0_14default_configENS1_25partition_config_selectorILNS1_17partition_subalgoE9EjjbEEZZNS1_14partition_implILS5_9ELb0ES3_jN6thrust23THRUST_200600_302600_NS6detail15normal_iteratorINS9_10device_ptrIjEEEESE_PNS0_10empty_typeENS0_5tupleIJSE_SF_EEENSH_IJSE_SG_EEENS0_18inequality_wrapperINS9_8equal_toIjEEEEPmJSF_EEE10hipError_tPvRmT3_T4_T5_T6_T7_T9_mT8_P12ihipStream_tbDpT10_ENKUlT_T0_E_clISt17integral_constantIbLb1EES17_IbLb0EEEEDaS13_S14_EUlS13_E_NS1_11comp_targetILNS1_3genE2ELNS1_11target_archE906ELNS1_3gpuE6ELNS1_3repE0EEENS1_30default_config_static_selectorELNS0_4arch9wavefront6targetE0EEEvT1_.kd
    .uniform_work_group_size: 1
    .uses_dynamic_stack: false
    .vgpr_count:     0
    .vgpr_spill_count: 0
    .wavefront_size: 32
    .workgroup_processor_mode: 1
  - .args:
      - .offset:         0
        .size:           112
        .value_kind:     by_value
    .group_segment_fixed_size: 0
    .kernarg_segment_align: 8
    .kernarg_segment_size: 112
    .language:       OpenCL C
    .language_version:
      - 2
      - 0
    .max_flat_workgroup_size: 384
    .name:           _ZN7rocprim17ROCPRIM_400000_NS6detail17trampoline_kernelINS0_14default_configENS1_25partition_config_selectorILNS1_17partition_subalgoE9EjjbEEZZNS1_14partition_implILS5_9ELb0ES3_jN6thrust23THRUST_200600_302600_NS6detail15normal_iteratorINS9_10device_ptrIjEEEESE_PNS0_10empty_typeENS0_5tupleIJSE_SF_EEENSH_IJSE_SG_EEENS0_18inequality_wrapperINS9_8equal_toIjEEEEPmJSF_EEE10hipError_tPvRmT3_T4_T5_T6_T7_T9_mT8_P12ihipStream_tbDpT10_ENKUlT_T0_E_clISt17integral_constantIbLb1EES17_IbLb0EEEEDaS13_S14_EUlS13_E_NS1_11comp_targetILNS1_3genE10ELNS1_11target_archE1200ELNS1_3gpuE4ELNS1_3repE0EEENS1_30default_config_static_selectorELNS0_4arch9wavefront6targetE0EEEvT1_
    .private_segment_fixed_size: 0
    .sgpr_count:     0
    .sgpr_spill_count: 0
    .symbol:         _ZN7rocprim17ROCPRIM_400000_NS6detail17trampoline_kernelINS0_14default_configENS1_25partition_config_selectorILNS1_17partition_subalgoE9EjjbEEZZNS1_14partition_implILS5_9ELb0ES3_jN6thrust23THRUST_200600_302600_NS6detail15normal_iteratorINS9_10device_ptrIjEEEESE_PNS0_10empty_typeENS0_5tupleIJSE_SF_EEENSH_IJSE_SG_EEENS0_18inequality_wrapperINS9_8equal_toIjEEEEPmJSF_EEE10hipError_tPvRmT3_T4_T5_T6_T7_T9_mT8_P12ihipStream_tbDpT10_ENKUlT_T0_E_clISt17integral_constantIbLb1EES17_IbLb0EEEEDaS13_S14_EUlS13_E_NS1_11comp_targetILNS1_3genE10ELNS1_11target_archE1200ELNS1_3gpuE4ELNS1_3repE0EEENS1_30default_config_static_selectorELNS0_4arch9wavefront6targetE0EEEvT1_.kd
    .uniform_work_group_size: 1
    .uses_dynamic_stack: false
    .vgpr_count:     0
    .vgpr_spill_count: 0
    .wavefront_size: 32
    .workgroup_processor_mode: 1
  - .args:
      - .offset:         0
        .size:           112
        .value_kind:     by_value
    .group_segment_fixed_size: 12680
    .kernarg_segment_align: 8
    .kernarg_segment_size: 112
    .language:       OpenCL C
    .language_version:
      - 2
      - 0
    .max_flat_workgroup_size: 384
    .name:           _ZN7rocprim17ROCPRIM_400000_NS6detail17trampoline_kernelINS0_14default_configENS1_25partition_config_selectorILNS1_17partition_subalgoE9EjjbEEZZNS1_14partition_implILS5_9ELb0ES3_jN6thrust23THRUST_200600_302600_NS6detail15normal_iteratorINS9_10device_ptrIjEEEESE_PNS0_10empty_typeENS0_5tupleIJSE_SF_EEENSH_IJSE_SG_EEENS0_18inequality_wrapperINS9_8equal_toIjEEEEPmJSF_EEE10hipError_tPvRmT3_T4_T5_T6_T7_T9_mT8_P12ihipStream_tbDpT10_ENKUlT_T0_E_clISt17integral_constantIbLb1EES17_IbLb0EEEEDaS13_S14_EUlS13_E_NS1_11comp_targetILNS1_3genE9ELNS1_11target_archE1100ELNS1_3gpuE3ELNS1_3repE0EEENS1_30default_config_static_selectorELNS0_4arch9wavefront6targetE0EEEvT1_
    .private_segment_fixed_size: 0
    .sgpr_count:     27
    .sgpr_spill_count: 0
    .symbol:         _ZN7rocprim17ROCPRIM_400000_NS6detail17trampoline_kernelINS0_14default_configENS1_25partition_config_selectorILNS1_17partition_subalgoE9EjjbEEZZNS1_14partition_implILS5_9ELb0ES3_jN6thrust23THRUST_200600_302600_NS6detail15normal_iteratorINS9_10device_ptrIjEEEESE_PNS0_10empty_typeENS0_5tupleIJSE_SF_EEENSH_IJSE_SG_EEENS0_18inequality_wrapperINS9_8equal_toIjEEEEPmJSF_EEE10hipError_tPvRmT3_T4_T5_T6_T7_T9_mT8_P12ihipStream_tbDpT10_ENKUlT_T0_E_clISt17integral_constantIbLb1EES17_IbLb0EEEEDaS13_S14_EUlS13_E_NS1_11comp_targetILNS1_3genE9ELNS1_11target_archE1100ELNS1_3gpuE3ELNS1_3repE0EEENS1_30default_config_static_selectorELNS0_4arch9wavefront6targetE0EEEvT1_.kd
    .uniform_work_group_size: 1
    .uses_dynamic_stack: false
    .vgpr_count:     51
    .vgpr_spill_count: 0
    .wavefront_size: 32
    .workgroup_processor_mode: 1
  - .args:
      - .offset:         0
        .size:           112
        .value_kind:     by_value
    .group_segment_fixed_size: 0
    .kernarg_segment_align: 8
    .kernarg_segment_size: 112
    .language:       OpenCL C
    .language_version:
      - 2
      - 0
    .max_flat_workgroup_size: 512
    .name:           _ZN7rocprim17ROCPRIM_400000_NS6detail17trampoline_kernelINS0_14default_configENS1_25partition_config_selectorILNS1_17partition_subalgoE9EjjbEEZZNS1_14partition_implILS5_9ELb0ES3_jN6thrust23THRUST_200600_302600_NS6detail15normal_iteratorINS9_10device_ptrIjEEEESE_PNS0_10empty_typeENS0_5tupleIJSE_SF_EEENSH_IJSE_SG_EEENS0_18inequality_wrapperINS9_8equal_toIjEEEEPmJSF_EEE10hipError_tPvRmT3_T4_T5_T6_T7_T9_mT8_P12ihipStream_tbDpT10_ENKUlT_T0_E_clISt17integral_constantIbLb1EES17_IbLb0EEEEDaS13_S14_EUlS13_E_NS1_11comp_targetILNS1_3genE8ELNS1_11target_archE1030ELNS1_3gpuE2ELNS1_3repE0EEENS1_30default_config_static_selectorELNS0_4arch9wavefront6targetE0EEEvT1_
    .private_segment_fixed_size: 0
    .sgpr_count:     0
    .sgpr_spill_count: 0
    .symbol:         _ZN7rocprim17ROCPRIM_400000_NS6detail17trampoline_kernelINS0_14default_configENS1_25partition_config_selectorILNS1_17partition_subalgoE9EjjbEEZZNS1_14partition_implILS5_9ELb0ES3_jN6thrust23THRUST_200600_302600_NS6detail15normal_iteratorINS9_10device_ptrIjEEEESE_PNS0_10empty_typeENS0_5tupleIJSE_SF_EEENSH_IJSE_SG_EEENS0_18inequality_wrapperINS9_8equal_toIjEEEEPmJSF_EEE10hipError_tPvRmT3_T4_T5_T6_T7_T9_mT8_P12ihipStream_tbDpT10_ENKUlT_T0_E_clISt17integral_constantIbLb1EES17_IbLb0EEEEDaS13_S14_EUlS13_E_NS1_11comp_targetILNS1_3genE8ELNS1_11target_archE1030ELNS1_3gpuE2ELNS1_3repE0EEENS1_30default_config_static_selectorELNS0_4arch9wavefront6targetE0EEEvT1_.kd
    .uniform_work_group_size: 1
    .uses_dynamic_stack: false
    .vgpr_count:     0
    .vgpr_spill_count: 0
    .wavefront_size: 32
    .workgroup_processor_mode: 1
  - .args:
      - .offset:         0
        .size:           128
        .value_kind:     by_value
    .group_segment_fixed_size: 0
    .kernarg_segment_align: 8
    .kernarg_segment_size: 128
    .language:       OpenCL C
    .language_version:
      - 2
      - 0
    .max_flat_workgroup_size: 256
    .name:           _ZN7rocprim17ROCPRIM_400000_NS6detail17trampoline_kernelINS0_14default_configENS1_25partition_config_selectorILNS1_17partition_subalgoE9EjjbEEZZNS1_14partition_implILS5_9ELb0ES3_jN6thrust23THRUST_200600_302600_NS6detail15normal_iteratorINS9_10device_ptrIjEEEESE_PNS0_10empty_typeENS0_5tupleIJSE_SF_EEENSH_IJSE_SG_EEENS0_18inequality_wrapperINS9_8equal_toIjEEEEPmJSF_EEE10hipError_tPvRmT3_T4_T5_T6_T7_T9_mT8_P12ihipStream_tbDpT10_ENKUlT_T0_E_clISt17integral_constantIbLb0EES17_IbLb1EEEEDaS13_S14_EUlS13_E_NS1_11comp_targetILNS1_3genE0ELNS1_11target_archE4294967295ELNS1_3gpuE0ELNS1_3repE0EEENS1_30default_config_static_selectorELNS0_4arch9wavefront6targetE0EEEvT1_
    .private_segment_fixed_size: 0
    .sgpr_count:     0
    .sgpr_spill_count: 0
    .symbol:         _ZN7rocprim17ROCPRIM_400000_NS6detail17trampoline_kernelINS0_14default_configENS1_25partition_config_selectorILNS1_17partition_subalgoE9EjjbEEZZNS1_14partition_implILS5_9ELb0ES3_jN6thrust23THRUST_200600_302600_NS6detail15normal_iteratorINS9_10device_ptrIjEEEESE_PNS0_10empty_typeENS0_5tupleIJSE_SF_EEENSH_IJSE_SG_EEENS0_18inequality_wrapperINS9_8equal_toIjEEEEPmJSF_EEE10hipError_tPvRmT3_T4_T5_T6_T7_T9_mT8_P12ihipStream_tbDpT10_ENKUlT_T0_E_clISt17integral_constantIbLb0EES17_IbLb1EEEEDaS13_S14_EUlS13_E_NS1_11comp_targetILNS1_3genE0ELNS1_11target_archE4294967295ELNS1_3gpuE0ELNS1_3repE0EEENS1_30default_config_static_selectorELNS0_4arch9wavefront6targetE0EEEvT1_.kd
    .uniform_work_group_size: 1
    .uses_dynamic_stack: false
    .vgpr_count:     0
    .vgpr_spill_count: 0
    .wavefront_size: 32
    .workgroup_processor_mode: 1
  - .args:
      - .offset:         0
        .size:           128
        .value_kind:     by_value
    .group_segment_fixed_size: 0
    .kernarg_segment_align: 8
    .kernarg_segment_size: 128
    .language:       OpenCL C
    .language_version:
      - 2
      - 0
    .max_flat_workgroup_size: 512
    .name:           _ZN7rocprim17ROCPRIM_400000_NS6detail17trampoline_kernelINS0_14default_configENS1_25partition_config_selectorILNS1_17partition_subalgoE9EjjbEEZZNS1_14partition_implILS5_9ELb0ES3_jN6thrust23THRUST_200600_302600_NS6detail15normal_iteratorINS9_10device_ptrIjEEEESE_PNS0_10empty_typeENS0_5tupleIJSE_SF_EEENSH_IJSE_SG_EEENS0_18inequality_wrapperINS9_8equal_toIjEEEEPmJSF_EEE10hipError_tPvRmT3_T4_T5_T6_T7_T9_mT8_P12ihipStream_tbDpT10_ENKUlT_T0_E_clISt17integral_constantIbLb0EES17_IbLb1EEEEDaS13_S14_EUlS13_E_NS1_11comp_targetILNS1_3genE5ELNS1_11target_archE942ELNS1_3gpuE9ELNS1_3repE0EEENS1_30default_config_static_selectorELNS0_4arch9wavefront6targetE0EEEvT1_
    .private_segment_fixed_size: 0
    .sgpr_count:     0
    .sgpr_spill_count: 0
    .symbol:         _ZN7rocprim17ROCPRIM_400000_NS6detail17trampoline_kernelINS0_14default_configENS1_25partition_config_selectorILNS1_17partition_subalgoE9EjjbEEZZNS1_14partition_implILS5_9ELb0ES3_jN6thrust23THRUST_200600_302600_NS6detail15normal_iteratorINS9_10device_ptrIjEEEESE_PNS0_10empty_typeENS0_5tupleIJSE_SF_EEENSH_IJSE_SG_EEENS0_18inequality_wrapperINS9_8equal_toIjEEEEPmJSF_EEE10hipError_tPvRmT3_T4_T5_T6_T7_T9_mT8_P12ihipStream_tbDpT10_ENKUlT_T0_E_clISt17integral_constantIbLb0EES17_IbLb1EEEEDaS13_S14_EUlS13_E_NS1_11comp_targetILNS1_3genE5ELNS1_11target_archE942ELNS1_3gpuE9ELNS1_3repE0EEENS1_30default_config_static_selectorELNS0_4arch9wavefront6targetE0EEEvT1_.kd
    .uniform_work_group_size: 1
    .uses_dynamic_stack: false
    .vgpr_count:     0
    .vgpr_spill_count: 0
    .wavefront_size: 32
    .workgroup_processor_mode: 1
  - .args:
      - .offset:         0
        .size:           128
        .value_kind:     by_value
    .group_segment_fixed_size: 0
    .kernarg_segment_align: 8
    .kernarg_segment_size: 128
    .language:       OpenCL C
    .language_version:
      - 2
      - 0
    .max_flat_workgroup_size: 192
    .name:           _ZN7rocprim17ROCPRIM_400000_NS6detail17trampoline_kernelINS0_14default_configENS1_25partition_config_selectorILNS1_17partition_subalgoE9EjjbEEZZNS1_14partition_implILS5_9ELb0ES3_jN6thrust23THRUST_200600_302600_NS6detail15normal_iteratorINS9_10device_ptrIjEEEESE_PNS0_10empty_typeENS0_5tupleIJSE_SF_EEENSH_IJSE_SG_EEENS0_18inequality_wrapperINS9_8equal_toIjEEEEPmJSF_EEE10hipError_tPvRmT3_T4_T5_T6_T7_T9_mT8_P12ihipStream_tbDpT10_ENKUlT_T0_E_clISt17integral_constantIbLb0EES17_IbLb1EEEEDaS13_S14_EUlS13_E_NS1_11comp_targetILNS1_3genE4ELNS1_11target_archE910ELNS1_3gpuE8ELNS1_3repE0EEENS1_30default_config_static_selectorELNS0_4arch9wavefront6targetE0EEEvT1_
    .private_segment_fixed_size: 0
    .sgpr_count:     0
    .sgpr_spill_count: 0
    .symbol:         _ZN7rocprim17ROCPRIM_400000_NS6detail17trampoline_kernelINS0_14default_configENS1_25partition_config_selectorILNS1_17partition_subalgoE9EjjbEEZZNS1_14partition_implILS5_9ELb0ES3_jN6thrust23THRUST_200600_302600_NS6detail15normal_iteratorINS9_10device_ptrIjEEEESE_PNS0_10empty_typeENS0_5tupleIJSE_SF_EEENSH_IJSE_SG_EEENS0_18inequality_wrapperINS9_8equal_toIjEEEEPmJSF_EEE10hipError_tPvRmT3_T4_T5_T6_T7_T9_mT8_P12ihipStream_tbDpT10_ENKUlT_T0_E_clISt17integral_constantIbLb0EES17_IbLb1EEEEDaS13_S14_EUlS13_E_NS1_11comp_targetILNS1_3genE4ELNS1_11target_archE910ELNS1_3gpuE8ELNS1_3repE0EEENS1_30default_config_static_selectorELNS0_4arch9wavefront6targetE0EEEvT1_.kd
    .uniform_work_group_size: 1
    .uses_dynamic_stack: false
    .vgpr_count:     0
    .vgpr_spill_count: 0
    .wavefront_size: 32
    .workgroup_processor_mode: 1
  - .args:
      - .offset:         0
        .size:           128
        .value_kind:     by_value
    .group_segment_fixed_size: 0
    .kernarg_segment_align: 8
    .kernarg_segment_size: 128
    .language:       OpenCL C
    .language_version:
      - 2
      - 0
    .max_flat_workgroup_size: 256
    .name:           _ZN7rocprim17ROCPRIM_400000_NS6detail17trampoline_kernelINS0_14default_configENS1_25partition_config_selectorILNS1_17partition_subalgoE9EjjbEEZZNS1_14partition_implILS5_9ELb0ES3_jN6thrust23THRUST_200600_302600_NS6detail15normal_iteratorINS9_10device_ptrIjEEEESE_PNS0_10empty_typeENS0_5tupleIJSE_SF_EEENSH_IJSE_SG_EEENS0_18inequality_wrapperINS9_8equal_toIjEEEEPmJSF_EEE10hipError_tPvRmT3_T4_T5_T6_T7_T9_mT8_P12ihipStream_tbDpT10_ENKUlT_T0_E_clISt17integral_constantIbLb0EES17_IbLb1EEEEDaS13_S14_EUlS13_E_NS1_11comp_targetILNS1_3genE3ELNS1_11target_archE908ELNS1_3gpuE7ELNS1_3repE0EEENS1_30default_config_static_selectorELNS0_4arch9wavefront6targetE0EEEvT1_
    .private_segment_fixed_size: 0
    .sgpr_count:     0
    .sgpr_spill_count: 0
    .symbol:         _ZN7rocprim17ROCPRIM_400000_NS6detail17trampoline_kernelINS0_14default_configENS1_25partition_config_selectorILNS1_17partition_subalgoE9EjjbEEZZNS1_14partition_implILS5_9ELb0ES3_jN6thrust23THRUST_200600_302600_NS6detail15normal_iteratorINS9_10device_ptrIjEEEESE_PNS0_10empty_typeENS0_5tupleIJSE_SF_EEENSH_IJSE_SG_EEENS0_18inequality_wrapperINS9_8equal_toIjEEEEPmJSF_EEE10hipError_tPvRmT3_T4_T5_T6_T7_T9_mT8_P12ihipStream_tbDpT10_ENKUlT_T0_E_clISt17integral_constantIbLb0EES17_IbLb1EEEEDaS13_S14_EUlS13_E_NS1_11comp_targetILNS1_3genE3ELNS1_11target_archE908ELNS1_3gpuE7ELNS1_3repE0EEENS1_30default_config_static_selectorELNS0_4arch9wavefront6targetE0EEEvT1_.kd
    .uniform_work_group_size: 1
    .uses_dynamic_stack: false
    .vgpr_count:     0
    .vgpr_spill_count: 0
    .wavefront_size: 32
    .workgroup_processor_mode: 1
  - .args:
      - .offset:         0
        .size:           128
        .value_kind:     by_value
    .group_segment_fixed_size: 0
    .kernarg_segment_align: 8
    .kernarg_segment_size: 128
    .language:       OpenCL C
    .language_version:
      - 2
      - 0
    .max_flat_workgroup_size: 256
    .name:           _ZN7rocprim17ROCPRIM_400000_NS6detail17trampoline_kernelINS0_14default_configENS1_25partition_config_selectorILNS1_17partition_subalgoE9EjjbEEZZNS1_14partition_implILS5_9ELb0ES3_jN6thrust23THRUST_200600_302600_NS6detail15normal_iteratorINS9_10device_ptrIjEEEESE_PNS0_10empty_typeENS0_5tupleIJSE_SF_EEENSH_IJSE_SG_EEENS0_18inequality_wrapperINS9_8equal_toIjEEEEPmJSF_EEE10hipError_tPvRmT3_T4_T5_T6_T7_T9_mT8_P12ihipStream_tbDpT10_ENKUlT_T0_E_clISt17integral_constantIbLb0EES17_IbLb1EEEEDaS13_S14_EUlS13_E_NS1_11comp_targetILNS1_3genE2ELNS1_11target_archE906ELNS1_3gpuE6ELNS1_3repE0EEENS1_30default_config_static_selectorELNS0_4arch9wavefront6targetE0EEEvT1_
    .private_segment_fixed_size: 0
    .sgpr_count:     0
    .sgpr_spill_count: 0
    .symbol:         _ZN7rocprim17ROCPRIM_400000_NS6detail17trampoline_kernelINS0_14default_configENS1_25partition_config_selectorILNS1_17partition_subalgoE9EjjbEEZZNS1_14partition_implILS5_9ELb0ES3_jN6thrust23THRUST_200600_302600_NS6detail15normal_iteratorINS9_10device_ptrIjEEEESE_PNS0_10empty_typeENS0_5tupleIJSE_SF_EEENSH_IJSE_SG_EEENS0_18inequality_wrapperINS9_8equal_toIjEEEEPmJSF_EEE10hipError_tPvRmT3_T4_T5_T6_T7_T9_mT8_P12ihipStream_tbDpT10_ENKUlT_T0_E_clISt17integral_constantIbLb0EES17_IbLb1EEEEDaS13_S14_EUlS13_E_NS1_11comp_targetILNS1_3genE2ELNS1_11target_archE906ELNS1_3gpuE6ELNS1_3repE0EEENS1_30default_config_static_selectorELNS0_4arch9wavefront6targetE0EEEvT1_.kd
    .uniform_work_group_size: 1
    .uses_dynamic_stack: false
    .vgpr_count:     0
    .vgpr_spill_count: 0
    .wavefront_size: 32
    .workgroup_processor_mode: 1
  - .args:
      - .offset:         0
        .size:           128
        .value_kind:     by_value
    .group_segment_fixed_size: 0
    .kernarg_segment_align: 8
    .kernarg_segment_size: 128
    .language:       OpenCL C
    .language_version:
      - 2
      - 0
    .max_flat_workgroup_size: 384
    .name:           _ZN7rocprim17ROCPRIM_400000_NS6detail17trampoline_kernelINS0_14default_configENS1_25partition_config_selectorILNS1_17partition_subalgoE9EjjbEEZZNS1_14partition_implILS5_9ELb0ES3_jN6thrust23THRUST_200600_302600_NS6detail15normal_iteratorINS9_10device_ptrIjEEEESE_PNS0_10empty_typeENS0_5tupleIJSE_SF_EEENSH_IJSE_SG_EEENS0_18inequality_wrapperINS9_8equal_toIjEEEEPmJSF_EEE10hipError_tPvRmT3_T4_T5_T6_T7_T9_mT8_P12ihipStream_tbDpT10_ENKUlT_T0_E_clISt17integral_constantIbLb0EES17_IbLb1EEEEDaS13_S14_EUlS13_E_NS1_11comp_targetILNS1_3genE10ELNS1_11target_archE1200ELNS1_3gpuE4ELNS1_3repE0EEENS1_30default_config_static_selectorELNS0_4arch9wavefront6targetE0EEEvT1_
    .private_segment_fixed_size: 0
    .sgpr_count:     0
    .sgpr_spill_count: 0
    .symbol:         _ZN7rocprim17ROCPRIM_400000_NS6detail17trampoline_kernelINS0_14default_configENS1_25partition_config_selectorILNS1_17partition_subalgoE9EjjbEEZZNS1_14partition_implILS5_9ELb0ES3_jN6thrust23THRUST_200600_302600_NS6detail15normal_iteratorINS9_10device_ptrIjEEEESE_PNS0_10empty_typeENS0_5tupleIJSE_SF_EEENSH_IJSE_SG_EEENS0_18inequality_wrapperINS9_8equal_toIjEEEEPmJSF_EEE10hipError_tPvRmT3_T4_T5_T6_T7_T9_mT8_P12ihipStream_tbDpT10_ENKUlT_T0_E_clISt17integral_constantIbLb0EES17_IbLb1EEEEDaS13_S14_EUlS13_E_NS1_11comp_targetILNS1_3genE10ELNS1_11target_archE1200ELNS1_3gpuE4ELNS1_3repE0EEENS1_30default_config_static_selectorELNS0_4arch9wavefront6targetE0EEEvT1_.kd
    .uniform_work_group_size: 1
    .uses_dynamic_stack: false
    .vgpr_count:     0
    .vgpr_spill_count: 0
    .wavefront_size: 32
    .workgroup_processor_mode: 1
  - .args:
      - .offset:         0
        .size:           128
        .value_kind:     by_value
    .group_segment_fixed_size: 12680
    .kernarg_segment_align: 8
    .kernarg_segment_size: 128
    .language:       OpenCL C
    .language_version:
      - 2
      - 0
    .max_flat_workgroup_size: 384
    .name:           _ZN7rocprim17ROCPRIM_400000_NS6detail17trampoline_kernelINS0_14default_configENS1_25partition_config_selectorILNS1_17partition_subalgoE9EjjbEEZZNS1_14partition_implILS5_9ELb0ES3_jN6thrust23THRUST_200600_302600_NS6detail15normal_iteratorINS9_10device_ptrIjEEEESE_PNS0_10empty_typeENS0_5tupleIJSE_SF_EEENSH_IJSE_SG_EEENS0_18inequality_wrapperINS9_8equal_toIjEEEEPmJSF_EEE10hipError_tPvRmT3_T4_T5_T6_T7_T9_mT8_P12ihipStream_tbDpT10_ENKUlT_T0_E_clISt17integral_constantIbLb0EES17_IbLb1EEEEDaS13_S14_EUlS13_E_NS1_11comp_targetILNS1_3genE9ELNS1_11target_archE1100ELNS1_3gpuE3ELNS1_3repE0EEENS1_30default_config_static_selectorELNS0_4arch9wavefront6targetE0EEEvT1_
    .private_segment_fixed_size: 0
    .sgpr_count:     31
    .sgpr_spill_count: 0
    .symbol:         _ZN7rocprim17ROCPRIM_400000_NS6detail17trampoline_kernelINS0_14default_configENS1_25partition_config_selectorILNS1_17partition_subalgoE9EjjbEEZZNS1_14partition_implILS5_9ELb0ES3_jN6thrust23THRUST_200600_302600_NS6detail15normal_iteratorINS9_10device_ptrIjEEEESE_PNS0_10empty_typeENS0_5tupleIJSE_SF_EEENSH_IJSE_SG_EEENS0_18inequality_wrapperINS9_8equal_toIjEEEEPmJSF_EEE10hipError_tPvRmT3_T4_T5_T6_T7_T9_mT8_P12ihipStream_tbDpT10_ENKUlT_T0_E_clISt17integral_constantIbLb0EES17_IbLb1EEEEDaS13_S14_EUlS13_E_NS1_11comp_targetILNS1_3genE9ELNS1_11target_archE1100ELNS1_3gpuE3ELNS1_3repE0EEENS1_30default_config_static_selectorELNS0_4arch9wavefront6targetE0EEEvT1_.kd
    .uniform_work_group_size: 1
    .uses_dynamic_stack: false
    .vgpr_count:     51
    .vgpr_spill_count: 0
    .wavefront_size: 32
    .workgroup_processor_mode: 1
  - .args:
      - .offset:         0
        .size:           128
        .value_kind:     by_value
    .group_segment_fixed_size: 0
    .kernarg_segment_align: 8
    .kernarg_segment_size: 128
    .language:       OpenCL C
    .language_version:
      - 2
      - 0
    .max_flat_workgroup_size: 512
    .name:           _ZN7rocprim17ROCPRIM_400000_NS6detail17trampoline_kernelINS0_14default_configENS1_25partition_config_selectorILNS1_17partition_subalgoE9EjjbEEZZNS1_14partition_implILS5_9ELb0ES3_jN6thrust23THRUST_200600_302600_NS6detail15normal_iteratorINS9_10device_ptrIjEEEESE_PNS0_10empty_typeENS0_5tupleIJSE_SF_EEENSH_IJSE_SG_EEENS0_18inequality_wrapperINS9_8equal_toIjEEEEPmJSF_EEE10hipError_tPvRmT3_T4_T5_T6_T7_T9_mT8_P12ihipStream_tbDpT10_ENKUlT_T0_E_clISt17integral_constantIbLb0EES17_IbLb1EEEEDaS13_S14_EUlS13_E_NS1_11comp_targetILNS1_3genE8ELNS1_11target_archE1030ELNS1_3gpuE2ELNS1_3repE0EEENS1_30default_config_static_selectorELNS0_4arch9wavefront6targetE0EEEvT1_
    .private_segment_fixed_size: 0
    .sgpr_count:     0
    .sgpr_spill_count: 0
    .symbol:         _ZN7rocprim17ROCPRIM_400000_NS6detail17trampoline_kernelINS0_14default_configENS1_25partition_config_selectorILNS1_17partition_subalgoE9EjjbEEZZNS1_14partition_implILS5_9ELb0ES3_jN6thrust23THRUST_200600_302600_NS6detail15normal_iteratorINS9_10device_ptrIjEEEESE_PNS0_10empty_typeENS0_5tupleIJSE_SF_EEENSH_IJSE_SG_EEENS0_18inequality_wrapperINS9_8equal_toIjEEEEPmJSF_EEE10hipError_tPvRmT3_T4_T5_T6_T7_T9_mT8_P12ihipStream_tbDpT10_ENKUlT_T0_E_clISt17integral_constantIbLb0EES17_IbLb1EEEEDaS13_S14_EUlS13_E_NS1_11comp_targetILNS1_3genE8ELNS1_11target_archE1030ELNS1_3gpuE2ELNS1_3repE0EEENS1_30default_config_static_selectorELNS0_4arch9wavefront6targetE0EEEvT1_.kd
    .uniform_work_group_size: 1
    .uses_dynamic_stack: false
    .vgpr_count:     0
    .vgpr_spill_count: 0
    .wavefront_size: 32
    .workgroup_processor_mode: 1
  - .args:
      - .offset:         0
        .size:           112
        .value_kind:     by_value
    .group_segment_fixed_size: 0
    .kernarg_segment_align: 8
    .kernarg_segment_size: 112
    .language:       OpenCL C
    .language_version:
      - 2
      - 0
    .max_flat_workgroup_size: 256
    .name:           _ZN7rocprim17ROCPRIM_400000_NS6detail17trampoline_kernelINS0_14default_configENS1_25partition_config_selectorILNS1_17partition_subalgoE9EjjbEEZZNS1_14partition_implILS5_9ELb0ES3_jN6thrust23THRUST_200600_302600_NS6detail15normal_iteratorINS9_10device_ptrIjEEEESE_PNS0_10empty_typeENS0_5tupleIJSE_SF_EEENSH_IJSE_SG_EEENS0_18inequality_wrapperI22is_equal_div_10_uniqueIjEEEPmJSF_EEE10hipError_tPvRmT3_T4_T5_T6_T7_T9_mT8_P12ihipStream_tbDpT10_ENKUlT_T0_E_clISt17integral_constantIbLb0EES18_EEDaS13_S14_EUlS13_E_NS1_11comp_targetILNS1_3genE0ELNS1_11target_archE4294967295ELNS1_3gpuE0ELNS1_3repE0EEENS1_30default_config_static_selectorELNS0_4arch9wavefront6targetE0EEEvT1_
    .private_segment_fixed_size: 0
    .sgpr_count:     0
    .sgpr_spill_count: 0
    .symbol:         _ZN7rocprim17ROCPRIM_400000_NS6detail17trampoline_kernelINS0_14default_configENS1_25partition_config_selectorILNS1_17partition_subalgoE9EjjbEEZZNS1_14partition_implILS5_9ELb0ES3_jN6thrust23THRUST_200600_302600_NS6detail15normal_iteratorINS9_10device_ptrIjEEEESE_PNS0_10empty_typeENS0_5tupleIJSE_SF_EEENSH_IJSE_SG_EEENS0_18inequality_wrapperI22is_equal_div_10_uniqueIjEEEPmJSF_EEE10hipError_tPvRmT3_T4_T5_T6_T7_T9_mT8_P12ihipStream_tbDpT10_ENKUlT_T0_E_clISt17integral_constantIbLb0EES18_EEDaS13_S14_EUlS13_E_NS1_11comp_targetILNS1_3genE0ELNS1_11target_archE4294967295ELNS1_3gpuE0ELNS1_3repE0EEENS1_30default_config_static_selectorELNS0_4arch9wavefront6targetE0EEEvT1_.kd
    .uniform_work_group_size: 1
    .uses_dynamic_stack: false
    .vgpr_count:     0
    .vgpr_spill_count: 0
    .wavefront_size: 32
    .workgroup_processor_mode: 1
  - .args:
      - .offset:         0
        .size:           112
        .value_kind:     by_value
    .group_segment_fixed_size: 0
    .kernarg_segment_align: 8
    .kernarg_segment_size: 112
    .language:       OpenCL C
    .language_version:
      - 2
      - 0
    .max_flat_workgroup_size: 512
    .name:           _ZN7rocprim17ROCPRIM_400000_NS6detail17trampoline_kernelINS0_14default_configENS1_25partition_config_selectorILNS1_17partition_subalgoE9EjjbEEZZNS1_14partition_implILS5_9ELb0ES3_jN6thrust23THRUST_200600_302600_NS6detail15normal_iteratorINS9_10device_ptrIjEEEESE_PNS0_10empty_typeENS0_5tupleIJSE_SF_EEENSH_IJSE_SG_EEENS0_18inequality_wrapperI22is_equal_div_10_uniqueIjEEEPmJSF_EEE10hipError_tPvRmT3_T4_T5_T6_T7_T9_mT8_P12ihipStream_tbDpT10_ENKUlT_T0_E_clISt17integral_constantIbLb0EES18_EEDaS13_S14_EUlS13_E_NS1_11comp_targetILNS1_3genE5ELNS1_11target_archE942ELNS1_3gpuE9ELNS1_3repE0EEENS1_30default_config_static_selectorELNS0_4arch9wavefront6targetE0EEEvT1_
    .private_segment_fixed_size: 0
    .sgpr_count:     0
    .sgpr_spill_count: 0
    .symbol:         _ZN7rocprim17ROCPRIM_400000_NS6detail17trampoline_kernelINS0_14default_configENS1_25partition_config_selectorILNS1_17partition_subalgoE9EjjbEEZZNS1_14partition_implILS5_9ELb0ES3_jN6thrust23THRUST_200600_302600_NS6detail15normal_iteratorINS9_10device_ptrIjEEEESE_PNS0_10empty_typeENS0_5tupleIJSE_SF_EEENSH_IJSE_SG_EEENS0_18inequality_wrapperI22is_equal_div_10_uniqueIjEEEPmJSF_EEE10hipError_tPvRmT3_T4_T5_T6_T7_T9_mT8_P12ihipStream_tbDpT10_ENKUlT_T0_E_clISt17integral_constantIbLb0EES18_EEDaS13_S14_EUlS13_E_NS1_11comp_targetILNS1_3genE5ELNS1_11target_archE942ELNS1_3gpuE9ELNS1_3repE0EEENS1_30default_config_static_selectorELNS0_4arch9wavefront6targetE0EEEvT1_.kd
    .uniform_work_group_size: 1
    .uses_dynamic_stack: false
    .vgpr_count:     0
    .vgpr_spill_count: 0
    .wavefront_size: 32
    .workgroup_processor_mode: 1
  - .args:
      - .offset:         0
        .size:           112
        .value_kind:     by_value
    .group_segment_fixed_size: 0
    .kernarg_segment_align: 8
    .kernarg_segment_size: 112
    .language:       OpenCL C
    .language_version:
      - 2
      - 0
    .max_flat_workgroup_size: 192
    .name:           _ZN7rocprim17ROCPRIM_400000_NS6detail17trampoline_kernelINS0_14default_configENS1_25partition_config_selectorILNS1_17partition_subalgoE9EjjbEEZZNS1_14partition_implILS5_9ELb0ES3_jN6thrust23THRUST_200600_302600_NS6detail15normal_iteratorINS9_10device_ptrIjEEEESE_PNS0_10empty_typeENS0_5tupleIJSE_SF_EEENSH_IJSE_SG_EEENS0_18inequality_wrapperI22is_equal_div_10_uniqueIjEEEPmJSF_EEE10hipError_tPvRmT3_T4_T5_T6_T7_T9_mT8_P12ihipStream_tbDpT10_ENKUlT_T0_E_clISt17integral_constantIbLb0EES18_EEDaS13_S14_EUlS13_E_NS1_11comp_targetILNS1_3genE4ELNS1_11target_archE910ELNS1_3gpuE8ELNS1_3repE0EEENS1_30default_config_static_selectorELNS0_4arch9wavefront6targetE0EEEvT1_
    .private_segment_fixed_size: 0
    .sgpr_count:     0
    .sgpr_spill_count: 0
    .symbol:         _ZN7rocprim17ROCPRIM_400000_NS6detail17trampoline_kernelINS0_14default_configENS1_25partition_config_selectorILNS1_17partition_subalgoE9EjjbEEZZNS1_14partition_implILS5_9ELb0ES3_jN6thrust23THRUST_200600_302600_NS6detail15normal_iteratorINS9_10device_ptrIjEEEESE_PNS0_10empty_typeENS0_5tupleIJSE_SF_EEENSH_IJSE_SG_EEENS0_18inequality_wrapperI22is_equal_div_10_uniqueIjEEEPmJSF_EEE10hipError_tPvRmT3_T4_T5_T6_T7_T9_mT8_P12ihipStream_tbDpT10_ENKUlT_T0_E_clISt17integral_constantIbLb0EES18_EEDaS13_S14_EUlS13_E_NS1_11comp_targetILNS1_3genE4ELNS1_11target_archE910ELNS1_3gpuE8ELNS1_3repE0EEENS1_30default_config_static_selectorELNS0_4arch9wavefront6targetE0EEEvT1_.kd
    .uniform_work_group_size: 1
    .uses_dynamic_stack: false
    .vgpr_count:     0
    .vgpr_spill_count: 0
    .wavefront_size: 32
    .workgroup_processor_mode: 1
  - .args:
      - .offset:         0
        .size:           112
        .value_kind:     by_value
    .group_segment_fixed_size: 0
    .kernarg_segment_align: 8
    .kernarg_segment_size: 112
    .language:       OpenCL C
    .language_version:
      - 2
      - 0
    .max_flat_workgroup_size: 256
    .name:           _ZN7rocprim17ROCPRIM_400000_NS6detail17trampoline_kernelINS0_14default_configENS1_25partition_config_selectorILNS1_17partition_subalgoE9EjjbEEZZNS1_14partition_implILS5_9ELb0ES3_jN6thrust23THRUST_200600_302600_NS6detail15normal_iteratorINS9_10device_ptrIjEEEESE_PNS0_10empty_typeENS0_5tupleIJSE_SF_EEENSH_IJSE_SG_EEENS0_18inequality_wrapperI22is_equal_div_10_uniqueIjEEEPmJSF_EEE10hipError_tPvRmT3_T4_T5_T6_T7_T9_mT8_P12ihipStream_tbDpT10_ENKUlT_T0_E_clISt17integral_constantIbLb0EES18_EEDaS13_S14_EUlS13_E_NS1_11comp_targetILNS1_3genE3ELNS1_11target_archE908ELNS1_3gpuE7ELNS1_3repE0EEENS1_30default_config_static_selectorELNS0_4arch9wavefront6targetE0EEEvT1_
    .private_segment_fixed_size: 0
    .sgpr_count:     0
    .sgpr_spill_count: 0
    .symbol:         _ZN7rocprim17ROCPRIM_400000_NS6detail17trampoline_kernelINS0_14default_configENS1_25partition_config_selectorILNS1_17partition_subalgoE9EjjbEEZZNS1_14partition_implILS5_9ELb0ES3_jN6thrust23THRUST_200600_302600_NS6detail15normal_iteratorINS9_10device_ptrIjEEEESE_PNS0_10empty_typeENS0_5tupleIJSE_SF_EEENSH_IJSE_SG_EEENS0_18inequality_wrapperI22is_equal_div_10_uniqueIjEEEPmJSF_EEE10hipError_tPvRmT3_T4_T5_T6_T7_T9_mT8_P12ihipStream_tbDpT10_ENKUlT_T0_E_clISt17integral_constantIbLb0EES18_EEDaS13_S14_EUlS13_E_NS1_11comp_targetILNS1_3genE3ELNS1_11target_archE908ELNS1_3gpuE7ELNS1_3repE0EEENS1_30default_config_static_selectorELNS0_4arch9wavefront6targetE0EEEvT1_.kd
    .uniform_work_group_size: 1
    .uses_dynamic_stack: false
    .vgpr_count:     0
    .vgpr_spill_count: 0
    .wavefront_size: 32
    .workgroup_processor_mode: 1
  - .args:
      - .offset:         0
        .size:           112
        .value_kind:     by_value
    .group_segment_fixed_size: 0
    .kernarg_segment_align: 8
    .kernarg_segment_size: 112
    .language:       OpenCL C
    .language_version:
      - 2
      - 0
    .max_flat_workgroup_size: 256
    .name:           _ZN7rocprim17ROCPRIM_400000_NS6detail17trampoline_kernelINS0_14default_configENS1_25partition_config_selectorILNS1_17partition_subalgoE9EjjbEEZZNS1_14partition_implILS5_9ELb0ES3_jN6thrust23THRUST_200600_302600_NS6detail15normal_iteratorINS9_10device_ptrIjEEEESE_PNS0_10empty_typeENS0_5tupleIJSE_SF_EEENSH_IJSE_SG_EEENS0_18inequality_wrapperI22is_equal_div_10_uniqueIjEEEPmJSF_EEE10hipError_tPvRmT3_T4_T5_T6_T7_T9_mT8_P12ihipStream_tbDpT10_ENKUlT_T0_E_clISt17integral_constantIbLb0EES18_EEDaS13_S14_EUlS13_E_NS1_11comp_targetILNS1_3genE2ELNS1_11target_archE906ELNS1_3gpuE6ELNS1_3repE0EEENS1_30default_config_static_selectorELNS0_4arch9wavefront6targetE0EEEvT1_
    .private_segment_fixed_size: 0
    .sgpr_count:     0
    .sgpr_spill_count: 0
    .symbol:         _ZN7rocprim17ROCPRIM_400000_NS6detail17trampoline_kernelINS0_14default_configENS1_25partition_config_selectorILNS1_17partition_subalgoE9EjjbEEZZNS1_14partition_implILS5_9ELb0ES3_jN6thrust23THRUST_200600_302600_NS6detail15normal_iteratorINS9_10device_ptrIjEEEESE_PNS0_10empty_typeENS0_5tupleIJSE_SF_EEENSH_IJSE_SG_EEENS0_18inequality_wrapperI22is_equal_div_10_uniqueIjEEEPmJSF_EEE10hipError_tPvRmT3_T4_T5_T6_T7_T9_mT8_P12ihipStream_tbDpT10_ENKUlT_T0_E_clISt17integral_constantIbLb0EES18_EEDaS13_S14_EUlS13_E_NS1_11comp_targetILNS1_3genE2ELNS1_11target_archE906ELNS1_3gpuE6ELNS1_3repE0EEENS1_30default_config_static_selectorELNS0_4arch9wavefront6targetE0EEEvT1_.kd
    .uniform_work_group_size: 1
    .uses_dynamic_stack: false
    .vgpr_count:     0
    .vgpr_spill_count: 0
    .wavefront_size: 32
    .workgroup_processor_mode: 1
  - .args:
      - .offset:         0
        .size:           112
        .value_kind:     by_value
    .group_segment_fixed_size: 0
    .kernarg_segment_align: 8
    .kernarg_segment_size: 112
    .language:       OpenCL C
    .language_version:
      - 2
      - 0
    .max_flat_workgroup_size: 384
    .name:           _ZN7rocprim17ROCPRIM_400000_NS6detail17trampoline_kernelINS0_14default_configENS1_25partition_config_selectorILNS1_17partition_subalgoE9EjjbEEZZNS1_14partition_implILS5_9ELb0ES3_jN6thrust23THRUST_200600_302600_NS6detail15normal_iteratorINS9_10device_ptrIjEEEESE_PNS0_10empty_typeENS0_5tupleIJSE_SF_EEENSH_IJSE_SG_EEENS0_18inequality_wrapperI22is_equal_div_10_uniqueIjEEEPmJSF_EEE10hipError_tPvRmT3_T4_T5_T6_T7_T9_mT8_P12ihipStream_tbDpT10_ENKUlT_T0_E_clISt17integral_constantIbLb0EES18_EEDaS13_S14_EUlS13_E_NS1_11comp_targetILNS1_3genE10ELNS1_11target_archE1200ELNS1_3gpuE4ELNS1_3repE0EEENS1_30default_config_static_selectorELNS0_4arch9wavefront6targetE0EEEvT1_
    .private_segment_fixed_size: 0
    .sgpr_count:     0
    .sgpr_spill_count: 0
    .symbol:         _ZN7rocprim17ROCPRIM_400000_NS6detail17trampoline_kernelINS0_14default_configENS1_25partition_config_selectorILNS1_17partition_subalgoE9EjjbEEZZNS1_14partition_implILS5_9ELb0ES3_jN6thrust23THRUST_200600_302600_NS6detail15normal_iteratorINS9_10device_ptrIjEEEESE_PNS0_10empty_typeENS0_5tupleIJSE_SF_EEENSH_IJSE_SG_EEENS0_18inequality_wrapperI22is_equal_div_10_uniqueIjEEEPmJSF_EEE10hipError_tPvRmT3_T4_T5_T6_T7_T9_mT8_P12ihipStream_tbDpT10_ENKUlT_T0_E_clISt17integral_constantIbLb0EES18_EEDaS13_S14_EUlS13_E_NS1_11comp_targetILNS1_3genE10ELNS1_11target_archE1200ELNS1_3gpuE4ELNS1_3repE0EEENS1_30default_config_static_selectorELNS0_4arch9wavefront6targetE0EEEvT1_.kd
    .uniform_work_group_size: 1
    .uses_dynamic_stack: false
    .vgpr_count:     0
    .vgpr_spill_count: 0
    .wavefront_size: 32
    .workgroup_processor_mode: 1
  - .args:
      - .offset:         0
        .size:           112
        .value_kind:     by_value
    .group_segment_fixed_size: 12680
    .kernarg_segment_align: 8
    .kernarg_segment_size: 112
    .language:       OpenCL C
    .language_version:
      - 2
      - 0
    .max_flat_workgroup_size: 384
    .name:           _ZN7rocprim17ROCPRIM_400000_NS6detail17trampoline_kernelINS0_14default_configENS1_25partition_config_selectorILNS1_17partition_subalgoE9EjjbEEZZNS1_14partition_implILS5_9ELb0ES3_jN6thrust23THRUST_200600_302600_NS6detail15normal_iteratorINS9_10device_ptrIjEEEESE_PNS0_10empty_typeENS0_5tupleIJSE_SF_EEENSH_IJSE_SG_EEENS0_18inequality_wrapperI22is_equal_div_10_uniqueIjEEEPmJSF_EEE10hipError_tPvRmT3_T4_T5_T6_T7_T9_mT8_P12ihipStream_tbDpT10_ENKUlT_T0_E_clISt17integral_constantIbLb0EES18_EEDaS13_S14_EUlS13_E_NS1_11comp_targetILNS1_3genE9ELNS1_11target_archE1100ELNS1_3gpuE3ELNS1_3repE0EEENS1_30default_config_static_selectorELNS0_4arch9wavefront6targetE0EEEvT1_
    .private_segment_fixed_size: 0
    .sgpr_count:     27
    .sgpr_spill_count: 0
    .symbol:         _ZN7rocprim17ROCPRIM_400000_NS6detail17trampoline_kernelINS0_14default_configENS1_25partition_config_selectorILNS1_17partition_subalgoE9EjjbEEZZNS1_14partition_implILS5_9ELb0ES3_jN6thrust23THRUST_200600_302600_NS6detail15normal_iteratorINS9_10device_ptrIjEEEESE_PNS0_10empty_typeENS0_5tupleIJSE_SF_EEENSH_IJSE_SG_EEENS0_18inequality_wrapperI22is_equal_div_10_uniqueIjEEEPmJSF_EEE10hipError_tPvRmT3_T4_T5_T6_T7_T9_mT8_P12ihipStream_tbDpT10_ENKUlT_T0_E_clISt17integral_constantIbLb0EES18_EEDaS13_S14_EUlS13_E_NS1_11comp_targetILNS1_3genE9ELNS1_11target_archE1100ELNS1_3gpuE3ELNS1_3repE0EEENS1_30default_config_static_selectorELNS0_4arch9wavefront6targetE0EEEvT1_.kd
    .uniform_work_group_size: 1
    .uses_dynamic_stack: false
    .vgpr_count:     51
    .vgpr_spill_count: 0
    .wavefront_size: 32
    .workgroup_processor_mode: 1
  - .args:
      - .offset:         0
        .size:           112
        .value_kind:     by_value
    .group_segment_fixed_size: 0
    .kernarg_segment_align: 8
    .kernarg_segment_size: 112
    .language:       OpenCL C
    .language_version:
      - 2
      - 0
    .max_flat_workgroup_size: 512
    .name:           _ZN7rocprim17ROCPRIM_400000_NS6detail17trampoline_kernelINS0_14default_configENS1_25partition_config_selectorILNS1_17partition_subalgoE9EjjbEEZZNS1_14partition_implILS5_9ELb0ES3_jN6thrust23THRUST_200600_302600_NS6detail15normal_iteratorINS9_10device_ptrIjEEEESE_PNS0_10empty_typeENS0_5tupleIJSE_SF_EEENSH_IJSE_SG_EEENS0_18inequality_wrapperI22is_equal_div_10_uniqueIjEEEPmJSF_EEE10hipError_tPvRmT3_T4_T5_T6_T7_T9_mT8_P12ihipStream_tbDpT10_ENKUlT_T0_E_clISt17integral_constantIbLb0EES18_EEDaS13_S14_EUlS13_E_NS1_11comp_targetILNS1_3genE8ELNS1_11target_archE1030ELNS1_3gpuE2ELNS1_3repE0EEENS1_30default_config_static_selectorELNS0_4arch9wavefront6targetE0EEEvT1_
    .private_segment_fixed_size: 0
    .sgpr_count:     0
    .sgpr_spill_count: 0
    .symbol:         _ZN7rocprim17ROCPRIM_400000_NS6detail17trampoline_kernelINS0_14default_configENS1_25partition_config_selectorILNS1_17partition_subalgoE9EjjbEEZZNS1_14partition_implILS5_9ELb0ES3_jN6thrust23THRUST_200600_302600_NS6detail15normal_iteratorINS9_10device_ptrIjEEEESE_PNS0_10empty_typeENS0_5tupleIJSE_SF_EEENSH_IJSE_SG_EEENS0_18inequality_wrapperI22is_equal_div_10_uniqueIjEEEPmJSF_EEE10hipError_tPvRmT3_T4_T5_T6_T7_T9_mT8_P12ihipStream_tbDpT10_ENKUlT_T0_E_clISt17integral_constantIbLb0EES18_EEDaS13_S14_EUlS13_E_NS1_11comp_targetILNS1_3genE8ELNS1_11target_archE1030ELNS1_3gpuE2ELNS1_3repE0EEENS1_30default_config_static_selectorELNS0_4arch9wavefront6targetE0EEEvT1_.kd
    .uniform_work_group_size: 1
    .uses_dynamic_stack: false
    .vgpr_count:     0
    .vgpr_spill_count: 0
    .wavefront_size: 32
    .workgroup_processor_mode: 1
  - .args:
      - .offset:         0
        .size:           128
        .value_kind:     by_value
    .group_segment_fixed_size: 0
    .kernarg_segment_align: 8
    .kernarg_segment_size: 128
    .language:       OpenCL C
    .language_version:
      - 2
      - 0
    .max_flat_workgroup_size: 256
    .name:           _ZN7rocprim17ROCPRIM_400000_NS6detail17trampoline_kernelINS0_14default_configENS1_25partition_config_selectorILNS1_17partition_subalgoE9EjjbEEZZNS1_14partition_implILS5_9ELb0ES3_jN6thrust23THRUST_200600_302600_NS6detail15normal_iteratorINS9_10device_ptrIjEEEESE_PNS0_10empty_typeENS0_5tupleIJSE_SF_EEENSH_IJSE_SG_EEENS0_18inequality_wrapperI22is_equal_div_10_uniqueIjEEEPmJSF_EEE10hipError_tPvRmT3_T4_T5_T6_T7_T9_mT8_P12ihipStream_tbDpT10_ENKUlT_T0_E_clISt17integral_constantIbLb1EES18_EEDaS13_S14_EUlS13_E_NS1_11comp_targetILNS1_3genE0ELNS1_11target_archE4294967295ELNS1_3gpuE0ELNS1_3repE0EEENS1_30default_config_static_selectorELNS0_4arch9wavefront6targetE0EEEvT1_
    .private_segment_fixed_size: 0
    .sgpr_count:     0
    .sgpr_spill_count: 0
    .symbol:         _ZN7rocprim17ROCPRIM_400000_NS6detail17trampoline_kernelINS0_14default_configENS1_25partition_config_selectorILNS1_17partition_subalgoE9EjjbEEZZNS1_14partition_implILS5_9ELb0ES3_jN6thrust23THRUST_200600_302600_NS6detail15normal_iteratorINS9_10device_ptrIjEEEESE_PNS0_10empty_typeENS0_5tupleIJSE_SF_EEENSH_IJSE_SG_EEENS0_18inequality_wrapperI22is_equal_div_10_uniqueIjEEEPmJSF_EEE10hipError_tPvRmT3_T4_T5_T6_T7_T9_mT8_P12ihipStream_tbDpT10_ENKUlT_T0_E_clISt17integral_constantIbLb1EES18_EEDaS13_S14_EUlS13_E_NS1_11comp_targetILNS1_3genE0ELNS1_11target_archE4294967295ELNS1_3gpuE0ELNS1_3repE0EEENS1_30default_config_static_selectorELNS0_4arch9wavefront6targetE0EEEvT1_.kd
    .uniform_work_group_size: 1
    .uses_dynamic_stack: false
    .vgpr_count:     0
    .vgpr_spill_count: 0
    .wavefront_size: 32
    .workgroup_processor_mode: 1
  - .args:
      - .offset:         0
        .size:           128
        .value_kind:     by_value
    .group_segment_fixed_size: 0
    .kernarg_segment_align: 8
    .kernarg_segment_size: 128
    .language:       OpenCL C
    .language_version:
      - 2
      - 0
    .max_flat_workgroup_size: 512
    .name:           _ZN7rocprim17ROCPRIM_400000_NS6detail17trampoline_kernelINS0_14default_configENS1_25partition_config_selectorILNS1_17partition_subalgoE9EjjbEEZZNS1_14partition_implILS5_9ELb0ES3_jN6thrust23THRUST_200600_302600_NS6detail15normal_iteratorINS9_10device_ptrIjEEEESE_PNS0_10empty_typeENS0_5tupleIJSE_SF_EEENSH_IJSE_SG_EEENS0_18inequality_wrapperI22is_equal_div_10_uniqueIjEEEPmJSF_EEE10hipError_tPvRmT3_T4_T5_T6_T7_T9_mT8_P12ihipStream_tbDpT10_ENKUlT_T0_E_clISt17integral_constantIbLb1EES18_EEDaS13_S14_EUlS13_E_NS1_11comp_targetILNS1_3genE5ELNS1_11target_archE942ELNS1_3gpuE9ELNS1_3repE0EEENS1_30default_config_static_selectorELNS0_4arch9wavefront6targetE0EEEvT1_
    .private_segment_fixed_size: 0
    .sgpr_count:     0
    .sgpr_spill_count: 0
    .symbol:         _ZN7rocprim17ROCPRIM_400000_NS6detail17trampoline_kernelINS0_14default_configENS1_25partition_config_selectorILNS1_17partition_subalgoE9EjjbEEZZNS1_14partition_implILS5_9ELb0ES3_jN6thrust23THRUST_200600_302600_NS6detail15normal_iteratorINS9_10device_ptrIjEEEESE_PNS0_10empty_typeENS0_5tupleIJSE_SF_EEENSH_IJSE_SG_EEENS0_18inequality_wrapperI22is_equal_div_10_uniqueIjEEEPmJSF_EEE10hipError_tPvRmT3_T4_T5_T6_T7_T9_mT8_P12ihipStream_tbDpT10_ENKUlT_T0_E_clISt17integral_constantIbLb1EES18_EEDaS13_S14_EUlS13_E_NS1_11comp_targetILNS1_3genE5ELNS1_11target_archE942ELNS1_3gpuE9ELNS1_3repE0EEENS1_30default_config_static_selectorELNS0_4arch9wavefront6targetE0EEEvT1_.kd
    .uniform_work_group_size: 1
    .uses_dynamic_stack: false
    .vgpr_count:     0
    .vgpr_spill_count: 0
    .wavefront_size: 32
    .workgroup_processor_mode: 1
  - .args:
      - .offset:         0
        .size:           128
        .value_kind:     by_value
    .group_segment_fixed_size: 0
    .kernarg_segment_align: 8
    .kernarg_segment_size: 128
    .language:       OpenCL C
    .language_version:
      - 2
      - 0
    .max_flat_workgroup_size: 192
    .name:           _ZN7rocprim17ROCPRIM_400000_NS6detail17trampoline_kernelINS0_14default_configENS1_25partition_config_selectorILNS1_17partition_subalgoE9EjjbEEZZNS1_14partition_implILS5_9ELb0ES3_jN6thrust23THRUST_200600_302600_NS6detail15normal_iteratorINS9_10device_ptrIjEEEESE_PNS0_10empty_typeENS0_5tupleIJSE_SF_EEENSH_IJSE_SG_EEENS0_18inequality_wrapperI22is_equal_div_10_uniqueIjEEEPmJSF_EEE10hipError_tPvRmT3_T4_T5_T6_T7_T9_mT8_P12ihipStream_tbDpT10_ENKUlT_T0_E_clISt17integral_constantIbLb1EES18_EEDaS13_S14_EUlS13_E_NS1_11comp_targetILNS1_3genE4ELNS1_11target_archE910ELNS1_3gpuE8ELNS1_3repE0EEENS1_30default_config_static_selectorELNS0_4arch9wavefront6targetE0EEEvT1_
    .private_segment_fixed_size: 0
    .sgpr_count:     0
    .sgpr_spill_count: 0
    .symbol:         _ZN7rocprim17ROCPRIM_400000_NS6detail17trampoline_kernelINS0_14default_configENS1_25partition_config_selectorILNS1_17partition_subalgoE9EjjbEEZZNS1_14partition_implILS5_9ELb0ES3_jN6thrust23THRUST_200600_302600_NS6detail15normal_iteratorINS9_10device_ptrIjEEEESE_PNS0_10empty_typeENS0_5tupleIJSE_SF_EEENSH_IJSE_SG_EEENS0_18inequality_wrapperI22is_equal_div_10_uniqueIjEEEPmJSF_EEE10hipError_tPvRmT3_T4_T5_T6_T7_T9_mT8_P12ihipStream_tbDpT10_ENKUlT_T0_E_clISt17integral_constantIbLb1EES18_EEDaS13_S14_EUlS13_E_NS1_11comp_targetILNS1_3genE4ELNS1_11target_archE910ELNS1_3gpuE8ELNS1_3repE0EEENS1_30default_config_static_selectorELNS0_4arch9wavefront6targetE0EEEvT1_.kd
    .uniform_work_group_size: 1
    .uses_dynamic_stack: false
    .vgpr_count:     0
    .vgpr_spill_count: 0
    .wavefront_size: 32
    .workgroup_processor_mode: 1
  - .args:
      - .offset:         0
        .size:           128
        .value_kind:     by_value
    .group_segment_fixed_size: 0
    .kernarg_segment_align: 8
    .kernarg_segment_size: 128
    .language:       OpenCL C
    .language_version:
      - 2
      - 0
    .max_flat_workgroup_size: 256
    .name:           _ZN7rocprim17ROCPRIM_400000_NS6detail17trampoline_kernelINS0_14default_configENS1_25partition_config_selectorILNS1_17partition_subalgoE9EjjbEEZZNS1_14partition_implILS5_9ELb0ES3_jN6thrust23THRUST_200600_302600_NS6detail15normal_iteratorINS9_10device_ptrIjEEEESE_PNS0_10empty_typeENS0_5tupleIJSE_SF_EEENSH_IJSE_SG_EEENS0_18inequality_wrapperI22is_equal_div_10_uniqueIjEEEPmJSF_EEE10hipError_tPvRmT3_T4_T5_T6_T7_T9_mT8_P12ihipStream_tbDpT10_ENKUlT_T0_E_clISt17integral_constantIbLb1EES18_EEDaS13_S14_EUlS13_E_NS1_11comp_targetILNS1_3genE3ELNS1_11target_archE908ELNS1_3gpuE7ELNS1_3repE0EEENS1_30default_config_static_selectorELNS0_4arch9wavefront6targetE0EEEvT1_
    .private_segment_fixed_size: 0
    .sgpr_count:     0
    .sgpr_spill_count: 0
    .symbol:         _ZN7rocprim17ROCPRIM_400000_NS6detail17trampoline_kernelINS0_14default_configENS1_25partition_config_selectorILNS1_17partition_subalgoE9EjjbEEZZNS1_14partition_implILS5_9ELb0ES3_jN6thrust23THRUST_200600_302600_NS6detail15normal_iteratorINS9_10device_ptrIjEEEESE_PNS0_10empty_typeENS0_5tupleIJSE_SF_EEENSH_IJSE_SG_EEENS0_18inequality_wrapperI22is_equal_div_10_uniqueIjEEEPmJSF_EEE10hipError_tPvRmT3_T4_T5_T6_T7_T9_mT8_P12ihipStream_tbDpT10_ENKUlT_T0_E_clISt17integral_constantIbLb1EES18_EEDaS13_S14_EUlS13_E_NS1_11comp_targetILNS1_3genE3ELNS1_11target_archE908ELNS1_3gpuE7ELNS1_3repE0EEENS1_30default_config_static_selectorELNS0_4arch9wavefront6targetE0EEEvT1_.kd
    .uniform_work_group_size: 1
    .uses_dynamic_stack: false
    .vgpr_count:     0
    .vgpr_spill_count: 0
    .wavefront_size: 32
    .workgroup_processor_mode: 1
  - .args:
      - .offset:         0
        .size:           128
        .value_kind:     by_value
    .group_segment_fixed_size: 0
    .kernarg_segment_align: 8
    .kernarg_segment_size: 128
    .language:       OpenCL C
    .language_version:
      - 2
      - 0
    .max_flat_workgroup_size: 256
    .name:           _ZN7rocprim17ROCPRIM_400000_NS6detail17trampoline_kernelINS0_14default_configENS1_25partition_config_selectorILNS1_17partition_subalgoE9EjjbEEZZNS1_14partition_implILS5_9ELb0ES3_jN6thrust23THRUST_200600_302600_NS6detail15normal_iteratorINS9_10device_ptrIjEEEESE_PNS0_10empty_typeENS0_5tupleIJSE_SF_EEENSH_IJSE_SG_EEENS0_18inequality_wrapperI22is_equal_div_10_uniqueIjEEEPmJSF_EEE10hipError_tPvRmT3_T4_T5_T6_T7_T9_mT8_P12ihipStream_tbDpT10_ENKUlT_T0_E_clISt17integral_constantIbLb1EES18_EEDaS13_S14_EUlS13_E_NS1_11comp_targetILNS1_3genE2ELNS1_11target_archE906ELNS1_3gpuE6ELNS1_3repE0EEENS1_30default_config_static_selectorELNS0_4arch9wavefront6targetE0EEEvT1_
    .private_segment_fixed_size: 0
    .sgpr_count:     0
    .sgpr_spill_count: 0
    .symbol:         _ZN7rocprim17ROCPRIM_400000_NS6detail17trampoline_kernelINS0_14default_configENS1_25partition_config_selectorILNS1_17partition_subalgoE9EjjbEEZZNS1_14partition_implILS5_9ELb0ES3_jN6thrust23THRUST_200600_302600_NS6detail15normal_iteratorINS9_10device_ptrIjEEEESE_PNS0_10empty_typeENS0_5tupleIJSE_SF_EEENSH_IJSE_SG_EEENS0_18inequality_wrapperI22is_equal_div_10_uniqueIjEEEPmJSF_EEE10hipError_tPvRmT3_T4_T5_T6_T7_T9_mT8_P12ihipStream_tbDpT10_ENKUlT_T0_E_clISt17integral_constantIbLb1EES18_EEDaS13_S14_EUlS13_E_NS1_11comp_targetILNS1_3genE2ELNS1_11target_archE906ELNS1_3gpuE6ELNS1_3repE0EEENS1_30default_config_static_selectorELNS0_4arch9wavefront6targetE0EEEvT1_.kd
    .uniform_work_group_size: 1
    .uses_dynamic_stack: false
    .vgpr_count:     0
    .vgpr_spill_count: 0
    .wavefront_size: 32
    .workgroup_processor_mode: 1
  - .args:
      - .offset:         0
        .size:           128
        .value_kind:     by_value
    .group_segment_fixed_size: 0
    .kernarg_segment_align: 8
    .kernarg_segment_size: 128
    .language:       OpenCL C
    .language_version:
      - 2
      - 0
    .max_flat_workgroup_size: 384
    .name:           _ZN7rocprim17ROCPRIM_400000_NS6detail17trampoline_kernelINS0_14default_configENS1_25partition_config_selectorILNS1_17partition_subalgoE9EjjbEEZZNS1_14partition_implILS5_9ELb0ES3_jN6thrust23THRUST_200600_302600_NS6detail15normal_iteratorINS9_10device_ptrIjEEEESE_PNS0_10empty_typeENS0_5tupleIJSE_SF_EEENSH_IJSE_SG_EEENS0_18inequality_wrapperI22is_equal_div_10_uniqueIjEEEPmJSF_EEE10hipError_tPvRmT3_T4_T5_T6_T7_T9_mT8_P12ihipStream_tbDpT10_ENKUlT_T0_E_clISt17integral_constantIbLb1EES18_EEDaS13_S14_EUlS13_E_NS1_11comp_targetILNS1_3genE10ELNS1_11target_archE1200ELNS1_3gpuE4ELNS1_3repE0EEENS1_30default_config_static_selectorELNS0_4arch9wavefront6targetE0EEEvT1_
    .private_segment_fixed_size: 0
    .sgpr_count:     0
    .sgpr_spill_count: 0
    .symbol:         _ZN7rocprim17ROCPRIM_400000_NS6detail17trampoline_kernelINS0_14default_configENS1_25partition_config_selectorILNS1_17partition_subalgoE9EjjbEEZZNS1_14partition_implILS5_9ELb0ES3_jN6thrust23THRUST_200600_302600_NS6detail15normal_iteratorINS9_10device_ptrIjEEEESE_PNS0_10empty_typeENS0_5tupleIJSE_SF_EEENSH_IJSE_SG_EEENS0_18inequality_wrapperI22is_equal_div_10_uniqueIjEEEPmJSF_EEE10hipError_tPvRmT3_T4_T5_T6_T7_T9_mT8_P12ihipStream_tbDpT10_ENKUlT_T0_E_clISt17integral_constantIbLb1EES18_EEDaS13_S14_EUlS13_E_NS1_11comp_targetILNS1_3genE10ELNS1_11target_archE1200ELNS1_3gpuE4ELNS1_3repE0EEENS1_30default_config_static_selectorELNS0_4arch9wavefront6targetE0EEEvT1_.kd
    .uniform_work_group_size: 1
    .uses_dynamic_stack: false
    .vgpr_count:     0
    .vgpr_spill_count: 0
    .wavefront_size: 32
    .workgroup_processor_mode: 1
  - .args:
      - .offset:         0
        .size:           128
        .value_kind:     by_value
    .group_segment_fixed_size: 12680
    .kernarg_segment_align: 8
    .kernarg_segment_size: 128
    .language:       OpenCL C
    .language_version:
      - 2
      - 0
    .max_flat_workgroup_size: 384
    .name:           _ZN7rocprim17ROCPRIM_400000_NS6detail17trampoline_kernelINS0_14default_configENS1_25partition_config_selectorILNS1_17partition_subalgoE9EjjbEEZZNS1_14partition_implILS5_9ELb0ES3_jN6thrust23THRUST_200600_302600_NS6detail15normal_iteratorINS9_10device_ptrIjEEEESE_PNS0_10empty_typeENS0_5tupleIJSE_SF_EEENSH_IJSE_SG_EEENS0_18inequality_wrapperI22is_equal_div_10_uniqueIjEEEPmJSF_EEE10hipError_tPvRmT3_T4_T5_T6_T7_T9_mT8_P12ihipStream_tbDpT10_ENKUlT_T0_E_clISt17integral_constantIbLb1EES18_EEDaS13_S14_EUlS13_E_NS1_11comp_targetILNS1_3genE9ELNS1_11target_archE1100ELNS1_3gpuE3ELNS1_3repE0EEENS1_30default_config_static_selectorELNS0_4arch9wavefront6targetE0EEEvT1_
    .private_segment_fixed_size: 0
    .sgpr_count:     31
    .sgpr_spill_count: 0
    .symbol:         _ZN7rocprim17ROCPRIM_400000_NS6detail17trampoline_kernelINS0_14default_configENS1_25partition_config_selectorILNS1_17partition_subalgoE9EjjbEEZZNS1_14partition_implILS5_9ELb0ES3_jN6thrust23THRUST_200600_302600_NS6detail15normal_iteratorINS9_10device_ptrIjEEEESE_PNS0_10empty_typeENS0_5tupleIJSE_SF_EEENSH_IJSE_SG_EEENS0_18inequality_wrapperI22is_equal_div_10_uniqueIjEEEPmJSF_EEE10hipError_tPvRmT3_T4_T5_T6_T7_T9_mT8_P12ihipStream_tbDpT10_ENKUlT_T0_E_clISt17integral_constantIbLb1EES18_EEDaS13_S14_EUlS13_E_NS1_11comp_targetILNS1_3genE9ELNS1_11target_archE1100ELNS1_3gpuE3ELNS1_3repE0EEENS1_30default_config_static_selectorELNS0_4arch9wavefront6targetE0EEEvT1_.kd
    .uniform_work_group_size: 1
    .uses_dynamic_stack: false
    .vgpr_count:     51
    .vgpr_spill_count: 0
    .wavefront_size: 32
    .workgroup_processor_mode: 1
  - .args:
      - .offset:         0
        .size:           128
        .value_kind:     by_value
    .group_segment_fixed_size: 0
    .kernarg_segment_align: 8
    .kernarg_segment_size: 128
    .language:       OpenCL C
    .language_version:
      - 2
      - 0
    .max_flat_workgroup_size: 512
    .name:           _ZN7rocprim17ROCPRIM_400000_NS6detail17trampoline_kernelINS0_14default_configENS1_25partition_config_selectorILNS1_17partition_subalgoE9EjjbEEZZNS1_14partition_implILS5_9ELb0ES3_jN6thrust23THRUST_200600_302600_NS6detail15normal_iteratorINS9_10device_ptrIjEEEESE_PNS0_10empty_typeENS0_5tupleIJSE_SF_EEENSH_IJSE_SG_EEENS0_18inequality_wrapperI22is_equal_div_10_uniqueIjEEEPmJSF_EEE10hipError_tPvRmT3_T4_T5_T6_T7_T9_mT8_P12ihipStream_tbDpT10_ENKUlT_T0_E_clISt17integral_constantIbLb1EES18_EEDaS13_S14_EUlS13_E_NS1_11comp_targetILNS1_3genE8ELNS1_11target_archE1030ELNS1_3gpuE2ELNS1_3repE0EEENS1_30default_config_static_selectorELNS0_4arch9wavefront6targetE0EEEvT1_
    .private_segment_fixed_size: 0
    .sgpr_count:     0
    .sgpr_spill_count: 0
    .symbol:         _ZN7rocprim17ROCPRIM_400000_NS6detail17trampoline_kernelINS0_14default_configENS1_25partition_config_selectorILNS1_17partition_subalgoE9EjjbEEZZNS1_14partition_implILS5_9ELb0ES3_jN6thrust23THRUST_200600_302600_NS6detail15normal_iteratorINS9_10device_ptrIjEEEESE_PNS0_10empty_typeENS0_5tupleIJSE_SF_EEENSH_IJSE_SG_EEENS0_18inequality_wrapperI22is_equal_div_10_uniqueIjEEEPmJSF_EEE10hipError_tPvRmT3_T4_T5_T6_T7_T9_mT8_P12ihipStream_tbDpT10_ENKUlT_T0_E_clISt17integral_constantIbLb1EES18_EEDaS13_S14_EUlS13_E_NS1_11comp_targetILNS1_3genE8ELNS1_11target_archE1030ELNS1_3gpuE2ELNS1_3repE0EEENS1_30default_config_static_selectorELNS0_4arch9wavefront6targetE0EEEvT1_.kd
    .uniform_work_group_size: 1
    .uses_dynamic_stack: false
    .vgpr_count:     0
    .vgpr_spill_count: 0
    .wavefront_size: 32
    .workgroup_processor_mode: 1
  - .args:
      - .offset:         0
        .size:           112
        .value_kind:     by_value
    .group_segment_fixed_size: 0
    .kernarg_segment_align: 8
    .kernarg_segment_size: 112
    .language:       OpenCL C
    .language_version:
      - 2
      - 0
    .max_flat_workgroup_size: 256
    .name:           _ZN7rocprim17ROCPRIM_400000_NS6detail17trampoline_kernelINS0_14default_configENS1_25partition_config_selectorILNS1_17partition_subalgoE9EjjbEEZZNS1_14partition_implILS5_9ELb0ES3_jN6thrust23THRUST_200600_302600_NS6detail15normal_iteratorINS9_10device_ptrIjEEEESE_PNS0_10empty_typeENS0_5tupleIJSE_SF_EEENSH_IJSE_SG_EEENS0_18inequality_wrapperI22is_equal_div_10_uniqueIjEEEPmJSF_EEE10hipError_tPvRmT3_T4_T5_T6_T7_T9_mT8_P12ihipStream_tbDpT10_ENKUlT_T0_E_clISt17integral_constantIbLb1EES17_IbLb0EEEEDaS13_S14_EUlS13_E_NS1_11comp_targetILNS1_3genE0ELNS1_11target_archE4294967295ELNS1_3gpuE0ELNS1_3repE0EEENS1_30default_config_static_selectorELNS0_4arch9wavefront6targetE0EEEvT1_
    .private_segment_fixed_size: 0
    .sgpr_count:     0
    .sgpr_spill_count: 0
    .symbol:         _ZN7rocprim17ROCPRIM_400000_NS6detail17trampoline_kernelINS0_14default_configENS1_25partition_config_selectorILNS1_17partition_subalgoE9EjjbEEZZNS1_14partition_implILS5_9ELb0ES3_jN6thrust23THRUST_200600_302600_NS6detail15normal_iteratorINS9_10device_ptrIjEEEESE_PNS0_10empty_typeENS0_5tupleIJSE_SF_EEENSH_IJSE_SG_EEENS0_18inequality_wrapperI22is_equal_div_10_uniqueIjEEEPmJSF_EEE10hipError_tPvRmT3_T4_T5_T6_T7_T9_mT8_P12ihipStream_tbDpT10_ENKUlT_T0_E_clISt17integral_constantIbLb1EES17_IbLb0EEEEDaS13_S14_EUlS13_E_NS1_11comp_targetILNS1_3genE0ELNS1_11target_archE4294967295ELNS1_3gpuE0ELNS1_3repE0EEENS1_30default_config_static_selectorELNS0_4arch9wavefront6targetE0EEEvT1_.kd
    .uniform_work_group_size: 1
    .uses_dynamic_stack: false
    .vgpr_count:     0
    .vgpr_spill_count: 0
    .wavefront_size: 32
    .workgroup_processor_mode: 1
  - .args:
      - .offset:         0
        .size:           112
        .value_kind:     by_value
    .group_segment_fixed_size: 0
    .kernarg_segment_align: 8
    .kernarg_segment_size: 112
    .language:       OpenCL C
    .language_version:
      - 2
      - 0
    .max_flat_workgroup_size: 512
    .name:           _ZN7rocprim17ROCPRIM_400000_NS6detail17trampoline_kernelINS0_14default_configENS1_25partition_config_selectorILNS1_17partition_subalgoE9EjjbEEZZNS1_14partition_implILS5_9ELb0ES3_jN6thrust23THRUST_200600_302600_NS6detail15normal_iteratorINS9_10device_ptrIjEEEESE_PNS0_10empty_typeENS0_5tupleIJSE_SF_EEENSH_IJSE_SG_EEENS0_18inequality_wrapperI22is_equal_div_10_uniqueIjEEEPmJSF_EEE10hipError_tPvRmT3_T4_T5_T6_T7_T9_mT8_P12ihipStream_tbDpT10_ENKUlT_T0_E_clISt17integral_constantIbLb1EES17_IbLb0EEEEDaS13_S14_EUlS13_E_NS1_11comp_targetILNS1_3genE5ELNS1_11target_archE942ELNS1_3gpuE9ELNS1_3repE0EEENS1_30default_config_static_selectorELNS0_4arch9wavefront6targetE0EEEvT1_
    .private_segment_fixed_size: 0
    .sgpr_count:     0
    .sgpr_spill_count: 0
    .symbol:         _ZN7rocprim17ROCPRIM_400000_NS6detail17trampoline_kernelINS0_14default_configENS1_25partition_config_selectorILNS1_17partition_subalgoE9EjjbEEZZNS1_14partition_implILS5_9ELb0ES3_jN6thrust23THRUST_200600_302600_NS6detail15normal_iteratorINS9_10device_ptrIjEEEESE_PNS0_10empty_typeENS0_5tupleIJSE_SF_EEENSH_IJSE_SG_EEENS0_18inequality_wrapperI22is_equal_div_10_uniqueIjEEEPmJSF_EEE10hipError_tPvRmT3_T4_T5_T6_T7_T9_mT8_P12ihipStream_tbDpT10_ENKUlT_T0_E_clISt17integral_constantIbLb1EES17_IbLb0EEEEDaS13_S14_EUlS13_E_NS1_11comp_targetILNS1_3genE5ELNS1_11target_archE942ELNS1_3gpuE9ELNS1_3repE0EEENS1_30default_config_static_selectorELNS0_4arch9wavefront6targetE0EEEvT1_.kd
    .uniform_work_group_size: 1
    .uses_dynamic_stack: false
    .vgpr_count:     0
    .vgpr_spill_count: 0
    .wavefront_size: 32
    .workgroup_processor_mode: 1
  - .args:
      - .offset:         0
        .size:           112
        .value_kind:     by_value
    .group_segment_fixed_size: 0
    .kernarg_segment_align: 8
    .kernarg_segment_size: 112
    .language:       OpenCL C
    .language_version:
      - 2
      - 0
    .max_flat_workgroup_size: 192
    .name:           _ZN7rocprim17ROCPRIM_400000_NS6detail17trampoline_kernelINS0_14default_configENS1_25partition_config_selectorILNS1_17partition_subalgoE9EjjbEEZZNS1_14partition_implILS5_9ELb0ES3_jN6thrust23THRUST_200600_302600_NS6detail15normal_iteratorINS9_10device_ptrIjEEEESE_PNS0_10empty_typeENS0_5tupleIJSE_SF_EEENSH_IJSE_SG_EEENS0_18inequality_wrapperI22is_equal_div_10_uniqueIjEEEPmJSF_EEE10hipError_tPvRmT3_T4_T5_T6_T7_T9_mT8_P12ihipStream_tbDpT10_ENKUlT_T0_E_clISt17integral_constantIbLb1EES17_IbLb0EEEEDaS13_S14_EUlS13_E_NS1_11comp_targetILNS1_3genE4ELNS1_11target_archE910ELNS1_3gpuE8ELNS1_3repE0EEENS1_30default_config_static_selectorELNS0_4arch9wavefront6targetE0EEEvT1_
    .private_segment_fixed_size: 0
    .sgpr_count:     0
    .sgpr_spill_count: 0
    .symbol:         _ZN7rocprim17ROCPRIM_400000_NS6detail17trampoline_kernelINS0_14default_configENS1_25partition_config_selectorILNS1_17partition_subalgoE9EjjbEEZZNS1_14partition_implILS5_9ELb0ES3_jN6thrust23THRUST_200600_302600_NS6detail15normal_iteratorINS9_10device_ptrIjEEEESE_PNS0_10empty_typeENS0_5tupleIJSE_SF_EEENSH_IJSE_SG_EEENS0_18inequality_wrapperI22is_equal_div_10_uniqueIjEEEPmJSF_EEE10hipError_tPvRmT3_T4_T5_T6_T7_T9_mT8_P12ihipStream_tbDpT10_ENKUlT_T0_E_clISt17integral_constantIbLb1EES17_IbLb0EEEEDaS13_S14_EUlS13_E_NS1_11comp_targetILNS1_3genE4ELNS1_11target_archE910ELNS1_3gpuE8ELNS1_3repE0EEENS1_30default_config_static_selectorELNS0_4arch9wavefront6targetE0EEEvT1_.kd
    .uniform_work_group_size: 1
    .uses_dynamic_stack: false
    .vgpr_count:     0
    .vgpr_spill_count: 0
    .wavefront_size: 32
    .workgroup_processor_mode: 1
  - .args:
      - .offset:         0
        .size:           112
        .value_kind:     by_value
    .group_segment_fixed_size: 0
    .kernarg_segment_align: 8
    .kernarg_segment_size: 112
    .language:       OpenCL C
    .language_version:
      - 2
      - 0
    .max_flat_workgroup_size: 256
    .name:           _ZN7rocprim17ROCPRIM_400000_NS6detail17trampoline_kernelINS0_14default_configENS1_25partition_config_selectorILNS1_17partition_subalgoE9EjjbEEZZNS1_14partition_implILS5_9ELb0ES3_jN6thrust23THRUST_200600_302600_NS6detail15normal_iteratorINS9_10device_ptrIjEEEESE_PNS0_10empty_typeENS0_5tupleIJSE_SF_EEENSH_IJSE_SG_EEENS0_18inequality_wrapperI22is_equal_div_10_uniqueIjEEEPmJSF_EEE10hipError_tPvRmT3_T4_T5_T6_T7_T9_mT8_P12ihipStream_tbDpT10_ENKUlT_T0_E_clISt17integral_constantIbLb1EES17_IbLb0EEEEDaS13_S14_EUlS13_E_NS1_11comp_targetILNS1_3genE3ELNS1_11target_archE908ELNS1_3gpuE7ELNS1_3repE0EEENS1_30default_config_static_selectorELNS0_4arch9wavefront6targetE0EEEvT1_
    .private_segment_fixed_size: 0
    .sgpr_count:     0
    .sgpr_spill_count: 0
    .symbol:         _ZN7rocprim17ROCPRIM_400000_NS6detail17trampoline_kernelINS0_14default_configENS1_25partition_config_selectorILNS1_17partition_subalgoE9EjjbEEZZNS1_14partition_implILS5_9ELb0ES3_jN6thrust23THRUST_200600_302600_NS6detail15normal_iteratorINS9_10device_ptrIjEEEESE_PNS0_10empty_typeENS0_5tupleIJSE_SF_EEENSH_IJSE_SG_EEENS0_18inequality_wrapperI22is_equal_div_10_uniqueIjEEEPmJSF_EEE10hipError_tPvRmT3_T4_T5_T6_T7_T9_mT8_P12ihipStream_tbDpT10_ENKUlT_T0_E_clISt17integral_constantIbLb1EES17_IbLb0EEEEDaS13_S14_EUlS13_E_NS1_11comp_targetILNS1_3genE3ELNS1_11target_archE908ELNS1_3gpuE7ELNS1_3repE0EEENS1_30default_config_static_selectorELNS0_4arch9wavefront6targetE0EEEvT1_.kd
    .uniform_work_group_size: 1
    .uses_dynamic_stack: false
    .vgpr_count:     0
    .vgpr_spill_count: 0
    .wavefront_size: 32
    .workgroup_processor_mode: 1
  - .args:
      - .offset:         0
        .size:           112
        .value_kind:     by_value
    .group_segment_fixed_size: 0
    .kernarg_segment_align: 8
    .kernarg_segment_size: 112
    .language:       OpenCL C
    .language_version:
      - 2
      - 0
    .max_flat_workgroup_size: 256
    .name:           _ZN7rocprim17ROCPRIM_400000_NS6detail17trampoline_kernelINS0_14default_configENS1_25partition_config_selectorILNS1_17partition_subalgoE9EjjbEEZZNS1_14partition_implILS5_9ELb0ES3_jN6thrust23THRUST_200600_302600_NS6detail15normal_iteratorINS9_10device_ptrIjEEEESE_PNS0_10empty_typeENS0_5tupleIJSE_SF_EEENSH_IJSE_SG_EEENS0_18inequality_wrapperI22is_equal_div_10_uniqueIjEEEPmJSF_EEE10hipError_tPvRmT3_T4_T5_T6_T7_T9_mT8_P12ihipStream_tbDpT10_ENKUlT_T0_E_clISt17integral_constantIbLb1EES17_IbLb0EEEEDaS13_S14_EUlS13_E_NS1_11comp_targetILNS1_3genE2ELNS1_11target_archE906ELNS1_3gpuE6ELNS1_3repE0EEENS1_30default_config_static_selectorELNS0_4arch9wavefront6targetE0EEEvT1_
    .private_segment_fixed_size: 0
    .sgpr_count:     0
    .sgpr_spill_count: 0
    .symbol:         _ZN7rocprim17ROCPRIM_400000_NS6detail17trampoline_kernelINS0_14default_configENS1_25partition_config_selectorILNS1_17partition_subalgoE9EjjbEEZZNS1_14partition_implILS5_9ELb0ES3_jN6thrust23THRUST_200600_302600_NS6detail15normal_iteratorINS9_10device_ptrIjEEEESE_PNS0_10empty_typeENS0_5tupleIJSE_SF_EEENSH_IJSE_SG_EEENS0_18inequality_wrapperI22is_equal_div_10_uniqueIjEEEPmJSF_EEE10hipError_tPvRmT3_T4_T5_T6_T7_T9_mT8_P12ihipStream_tbDpT10_ENKUlT_T0_E_clISt17integral_constantIbLb1EES17_IbLb0EEEEDaS13_S14_EUlS13_E_NS1_11comp_targetILNS1_3genE2ELNS1_11target_archE906ELNS1_3gpuE6ELNS1_3repE0EEENS1_30default_config_static_selectorELNS0_4arch9wavefront6targetE0EEEvT1_.kd
    .uniform_work_group_size: 1
    .uses_dynamic_stack: false
    .vgpr_count:     0
    .vgpr_spill_count: 0
    .wavefront_size: 32
    .workgroup_processor_mode: 1
  - .args:
      - .offset:         0
        .size:           112
        .value_kind:     by_value
    .group_segment_fixed_size: 0
    .kernarg_segment_align: 8
    .kernarg_segment_size: 112
    .language:       OpenCL C
    .language_version:
      - 2
      - 0
    .max_flat_workgroup_size: 384
    .name:           _ZN7rocprim17ROCPRIM_400000_NS6detail17trampoline_kernelINS0_14default_configENS1_25partition_config_selectorILNS1_17partition_subalgoE9EjjbEEZZNS1_14partition_implILS5_9ELb0ES3_jN6thrust23THRUST_200600_302600_NS6detail15normal_iteratorINS9_10device_ptrIjEEEESE_PNS0_10empty_typeENS0_5tupleIJSE_SF_EEENSH_IJSE_SG_EEENS0_18inequality_wrapperI22is_equal_div_10_uniqueIjEEEPmJSF_EEE10hipError_tPvRmT3_T4_T5_T6_T7_T9_mT8_P12ihipStream_tbDpT10_ENKUlT_T0_E_clISt17integral_constantIbLb1EES17_IbLb0EEEEDaS13_S14_EUlS13_E_NS1_11comp_targetILNS1_3genE10ELNS1_11target_archE1200ELNS1_3gpuE4ELNS1_3repE0EEENS1_30default_config_static_selectorELNS0_4arch9wavefront6targetE0EEEvT1_
    .private_segment_fixed_size: 0
    .sgpr_count:     0
    .sgpr_spill_count: 0
    .symbol:         _ZN7rocprim17ROCPRIM_400000_NS6detail17trampoline_kernelINS0_14default_configENS1_25partition_config_selectorILNS1_17partition_subalgoE9EjjbEEZZNS1_14partition_implILS5_9ELb0ES3_jN6thrust23THRUST_200600_302600_NS6detail15normal_iteratorINS9_10device_ptrIjEEEESE_PNS0_10empty_typeENS0_5tupleIJSE_SF_EEENSH_IJSE_SG_EEENS0_18inequality_wrapperI22is_equal_div_10_uniqueIjEEEPmJSF_EEE10hipError_tPvRmT3_T4_T5_T6_T7_T9_mT8_P12ihipStream_tbDpT10_ENKUlT_T0_E_clISt17integral_constantIbLb1EES17_IbLb0EEEEDaS13_S14_EUlS13_E_NS1_11comp_targetILNS1_3genE10ELNS1_11target_archE1200ELNS1_3gpuE4ELNS1_3repE0EEENS1_30default_config_static_selectorELNS0_4arch9wavefront6targetE0EEEvT1_.kd
    .uniform_work_group_size: 1
    .uses_dynamic_stack: false
    .vgpr_count:     0
    .vgpr_spill_count: 0
    .wavefront_size: 32
    .workgroup_processor_mode: 1
  - .args:
      - .offset:         0
        .size:           112
        .value_kind:     by_value
    .group_segment_fixed_size: 12680
    .kernarg_segment_align: 8
    .kernarg_segment_size: 112
    .language:       OpenCL C
    .language_version:
      - 2
      - 0
    .max_flat_workgroup_size: 384
    .name:           _ZN7rocprim17ROCPRIM_400000_NS6detail17trampoline_kernelINS0_14default_configENS1_25partition_config_selectorILNS1_17partition_subalgoE9EjjbEEZZNS1_14partition_implILS5_9ELb0ES3_jN6thrust23THRUST_200600_302600_NS6detail15normal_iteratorINS9_10device_ptrIjEEEESE_PNS0_10empty_typeENS0_5tupleIJSE_SF_EEENSH_IJSE_SG_EEENS0_18inequality_wrapperI22is_equal_div_10_uniqueIjEEEPmJSF_EEE10hipError_tPvRmT3_T4_T5_T6_T7_T9_mT8_P12ihipStream_tbDpT10_ENKUlT_T0_E_clISt17integral_constantIbLb1EES17_IbLb0EEEEDaS13_S14_EUlS13_E_NS1_11comp_targetILNS1_3genE9ELNS1_11target_archE1100ELNS1_3gpuE3ELNS1_3repE0EEENS1_30default_config_static_selectorELNS0_4arch9wavefront6targetE0EEEvT1_
    .private_segment_fixed_size: 0
    .sgpr_count:     27
    .sgpr_spill_count: 0
    .symbol:         _ZN7rocprim17ROCPRIM_400000_NS6detail17trampoline_kernelINS0_14default_configENS1_25partition_config_selectorILNS1_17partition_subalgoE9EjjbEEZZNS1_14partition_implILS5_9ELb0ES3_jN6thrust23THRUST_200600_302600_NS6detail15normal_iteratorINS9_10device_ptrIjEEEESE_PNS0_10empty_typeENS0_5tupleIJSE_SF_EEENSH_IJSE_SG_EEENS0_18inequality_wrapperI22is_equal_div_10_uniqueIjEEEPmJSF_EEE10hipError_tPvRmT3_T4_T5_T6_T7_T9_mT8_P12ihipStream_tbDpT10_ENKUlT_T0_E_clISt17integral_constantIbLb1EES17_IbLb0EEEEDaS13_S14_EUlS13_E_NS1_11comp_targetILNS1_3genE9ELNS1_11target_archE1100ELNS1_3gpuE3ELNS1_3repE0EEENS1_30default_config_static_selectorELNS0_4arch9wavefront6targetE0EEEvT1_.kd
    .uniform_work_group_size: 1
    .uses_dynamic_stack: false
    .vgpr_count:     51
    .vgpr_spill_count: 0
    .wavefront_size: 32
    .workgroup_processor_mode: 1
  - .args:
      - .offset:         0
        .size:           112
        .value_kind:     by_value
    .group_segment_fixed_size: 0
    .kernarg_segment_align: 8
    .kernarg_segment_size: 112
    .language:       OpenCL C
    .language_version:
      - 2
      - 0
    .max_flat_workgroup_size: 512
    .name:           _ZN7rocprim17ROCPRIM_400000_NS6detail17trampoline_kernelINS0_14default_configENS1_25partition_config_selectorILNS1_17partition_subalgoE9EjjbEEZZNS1_14partition_implILS5_9ELb0ES3_jN6thrust23THRUST_200600_302600_NS6detail15normal_iteratorINS9_10device_ptrIjEEEESE_PNS0_10empty_typeENS0_5tupleIJSE_SF_EEENSH_IJSE_SG_EEENS0_18inequality_wrapperI22is_equal_div_10_uniqueIjEEEPmJSF_EEE10hipError_tPvRmT3_T4_T5_T6_T7_T9_mT8_P12ihipStream_tbDpT10_ENKUlT_T0_E_clISt17integral_constantIbLb1EES17_IbLb0EEEEDaS13_S14_EUlS13_E_NS1_11comp_targetILNS1_3genE8ELNS1_11target_archE1030ELNS1_3gpuE2ELNS1_3repE0EEENS1_30default_config_static_selectorELNS0_4arch9wavefront6targetE0EEEvT1_
    .private_segment_fixed_size: 0
    .sgpr_count:     0
    .sgpr_spill_count: 0
    .symbol:         _ZN7rocprim17ROCPRIM_400000_NS6detail17trampoline_kernelINS0_14default_configENS1_25partition_config_selectorILNS1_17partition_subalgoE9EjjbEEZZNS1_14partition_implILS5_9ELb0ES3_jN6thrust23THRUST_200600_302600_NS6detail15normal_iteratorINS9_10device_ptrIjEEEESE_PNS0_10empty_typeENS0_5tupleIJSE_SF_EEENSH_IJSE_SG_EEENS0_18inequality_wrapperI22is_equal_div_10_uniqueIjEEEPmJSF_EEE10hipError_tPvRmT3_T4_T5_T6_T7_T9_mT8_P12ihipStream_tbDpT10_ENKUlT_T0_E_clISt17integral_constantIbLb1EES17_IbLb0EEEEDaS13_S14_EUlS13_E_NS1_11comp_targetILNS1_3genE8ELNS1_11target_archE1030ELNS1_3gpuE2ELNS1_3repE0EEENS1_30default_config_static_selectorELNS0_4arch9wavefront6targetE0EEEvT1_.kd
    .uniform_work_group_size: 1
    .uses_dynamic_stack: false
    .vgpr_count:     0
    .vgpr_spill_count: 0
    .wavefront_size: 32
    .workgroup_processor_mode: 1
  - .args:
      - .offset:         0
        .size:           128
        .value_kind:     by_value
    .group_segment_fixed_size: 0
    .kernarg_segment_align: 8
    .kernarg_segment_size: 128
    .language:       OpenCL C
    .language_version:
      - 2
      - 0
    .max_flat_workgroup_size: 256
    .name:           _ZN7rocprim17ROCPRIM_400000_NS6detail17trampoline_kernelINS0_14default_configENS1_25partition_config_selectorILNS1_17partition_subalgoE9EjjbEEZZNS1_14partition_implILS5_9ELb0ES3_jN6thrust23THRUST_200600_302600_NS6detail15normal_iteratorINS9_10device_ptrIjEEEESE_PNS0_10empty_typeENS0_5tupleIJSE_SF_EEENSH_IJSE_SG_EEENS0_18inequality_wrapperI22is_equal_div_10_uniqueIjEEEPmJSF_EEE10hipError_tPvRmT3_T4_T5_T6_T7_T9_mT8_P12ihipStream_tbDpT10_ENKUlT_T0_E_clISt17integral_constantIbLb0EES17_IbLb1EEEEDaS13_S14_EUlS13_E_NS1_11comp_targetILNS1_3genE0ELNS1_11target_archE4294967295ELNS1_3gpuE0ELNS1_3repE0EEENS1_30default_config_static_selectorELNS0_4arch9wavefront6targetE0EEEvT1_
    .private_segment_fixed_size: 0
    .sgpr_count:     0
    .sgpr_spill_count: 0
    .symbol:         _ZN7rocprim17ROCPRIM_400000_NS6detail17trampoline_kernelINS0_14default_configENS1_25partition_config_selectorILNS1_17partition_subalgoE9EjjbEEZZNS1_14partition_implILS5_9ELb0ES3_jN6thrust23THRUST_200600_302600_NS6detail15normal_iteratorINS9_10device_ptrIjEEEESE_PNS0_10empty_typeENS0_5tupleIJSE_SF_EEENSH_IJSE_SG_EEENS0_18inequality_wrapperI22is_equal_div_10_uniqueIjEEEPmJSF_EEE10hipError_tPvRmT3_T4_T5_T6_T7_T9_mT8_P12ihipStream_tbDpT10_ENKUlT_T0_E_clISt17integral_constantIbLb0EES17_IbLb1EEEEDaS13_S14_EUlS13_E_NS1_11comp_targetILNS1_3genE0ELNS1_11target_archE4294967295ELNS1_3gpuE0ELNS1_3repE0EEENS1_30default_config_static_selectorELNS0_4arch9wavefront6targetE0EEEvT1_.kd
    .uniform_work_group_size: 1
    .uses_dynamic_stack: false
    .vgpr_count:     0
    .vgpr_spill_count: 0
    .wavefront_size: 32
    .workgroup_processor_mode: 1
  - .args:
      - .offset:         0
        .size:           128
        .value_kind:     by_value
    .group_segment_fixed_size: 0
    .kernarg_segment_align: 8
    .kernarg_segment_size: 128
    .language:       OpenCL C
    .language_version:
      - 2
      - 0
    .max_flat_workgroup_size: 512
    .name:           _ZN7rocprim17ROCPRIM_400000_NS6detail17trampoline_kernelINS0_14default_configENS1_25partition_config_selectorILNS1_17partition_subalgoE9EjjbEEZZNS1_14partition_implILS5_9ELb0ES3_jN6thrust23THRUST_200600_302600_NS6detail15normal_iteratorINS9_10device_ptrIjEEEESE_PNS0_10empty_typeENS0_5tupleIJSE_SF_EEENSH_IJSE_SG_EEENS0_18inequality_wrapperI22is_equal_div_10_uniqueIjEEEPmJSF_EEE10hipError_tPvRmT3_T4_T5_T6_T7_T9_mT8_P12ihipStream_tbDpT10_ENKUlT_T0_E_clISt17integral_constantIbLb0EES17_IbLb1EEEEDaS13_S14_EUlS13_E_NS1_11comp_targetILNS1_3genE5ELNS1_11target_archE942ELNS1_3gpuE9ELNS1_3repE0EEENS1_30default_config_static_selectorELNS0_4arch9wavefront6targetE0EEEvT1_
    .private_segment_fixed_size: 0
    .sgpr_count:     0
    .sgpr_spill_count: 0
    .symbol:         _ZN7rocprim17ROCPRIM_400000_NS6detail17trampoline_kernelINS0_14default_configENS1_25partition_config_selectorILNS1_17partition_subalgoE9EjjbEEZZNS1_14partition_implILS5_9ELb0ES3_jN6thrust23THRUST_200600_302600_NS6detail15normal_iteratorINS9_10device_ptrIjEEEESE_PNS0_10empty_typeENS0_5tupleIJSE_SF_EEENSH_IJSE_SG_EEENS0_18inequality_wrapperI22is_equal_div_10_uniqueIjEEEPmJSF_EEE10hipError_tPvRmT3_T4_T5_T6_T7_T9_mT8_P12ihipStream_tbDpT10_ENKUlT_T0_E_clISt17integral_constantIbLb0EES17_IbLb1EEEEDaS13_S14_EUlS13_E_NS1_11comp_targetILNS1_3genE5ELNS1_11target_archE942ELNS1_3gpuE9ELNS1_3repE0EEENS1_30default_config_static_selectorELNS0_4arch9wavefront6targetE0EEEvT1_.kd
    .uniform_work_group_size: 1
    .uses_dynamic_stack: false
    .vgpr_count:     0
    .vgpr_spill_count: 0
    .wavefront_size: 32
    .workgroup_processor_mode: 1
  - .args:
      - .offset:         0
        .size:           128
        .value_kind:     by_value
    .group_segment_fixed_size: 0
    .kernarg_segment_align: 8
    .kernarg_segment_size: 128
    .language:       OpenCL C
    .language_version:
      - 2
      - 0
    .max_flat_workgroup_size: 192
    .name:           _ZN7rocprim17ROCPRIM_400000_NS6detail17trampoline_kernelINS0_14default_configENS1_25partition_config_selectorILNS1_17partition_subalgoE9EjjbEEZZNS1_14partition_implILS5_9ELb0ES3_jN6thrust23THRUST_200600_302600_NS6detail15normal_iteratorINS9_10device_ptrIjEEEESE_PNS0_10empty_typeENS0_5tupleIJSE_SF_EEENSH_IJSE_SG_EEENS0_18inequality_wrapperI22is_equal_div_10_uniqueIjEEEPmJSF_EEE10hipError_tPvRmT3_T4_T5_T6_T7_T9_mT8_P12ihipStream_tbDpT10_ENKUlT_T0_E_clISt17integral_constantIbLb0EES17_IbLb1EEEEDaS13_S14_EUlS13_E_NS1_11comp_targetILNS1_3genE4ELNS1_11target_archE910ELNS1_3gpuE8ELNS1_3repE0EEENS1_30default_config_static_selectorELNS0_4arch9wavefront6targetE0EEEvT1_
    .private_segment_fixed_size: 0
    .sgpr_count:     0
    .sgpr_spill_count: 0
    .symbol:         _ZN7rocprim17ROCPRIM_400000_NS6detail17trampoline_kernelINS0_14default_configENS1_25partition_config_selectorILNS1_17partition_subalgoE9EjjbEEZZNS1_14partition_implILS5_9ELb0ES3_jN6thrust23THRUST_200600_302600_NS6detail15normal_iteratorINS9_10device_ptrIjEEEESE_PNS0_10empty_typeENS0_5tupleIJSE_SF_EEENSH_IJSE_SG_EEENS0_18inequality_wrapperI22is_equal_div_10_uniqueIjEEEPmJSF_EEE10hipError_tPvRmT3_T4_T5_T6_T7_T9_mT8_P12ihipStream_tbDpT10_ENKUlT_T0_E_clISt17integral_constantIbLb0EES17_IbLb1EEEEDaS13_S14_EUlS13_E_NS1_11comp_targetILNS1_3genE4ELNS1_11target_archE910ELNS1_3gpuE8ELNS1_3repE0EEENS1_30default_config_static_selectorELNS0_4arch9wavefront6targetE0EEEvT1_.kd
    .uniform_work_group_size: 1
    .uses_dynamic_stack: false
    .vgpr_count:     0
    .vgpr_spill_count: 0
    .wavefront_size: 32
    .workgroup_processor_mode: 1
  - .args:
      - .offset:         0
        .size:           128
        .value_kind:     by_value
    .group_segment_fixed_size: 0
    .kernarg_segment_align: 8
    .kernarg_segment_size: 128
    .language:       OpenCL C
    .language_version:
      - 2
      - 0
    .max_flat_workgroup_size: 256
    .name:           _ZN7rocprim17ROCPRIM_400000_NS6detail17trampoline_kernelINS0_14default_configENS1_25partition_config_selectorILNS1_17partition_subalgoE9EjjbEEZZNS1_14partition_implILS5_9ELb0ES3_jN6thrust23THRUST_200600_302600_NS6detail15normal_iteratorINS9_10device_ptrIjEEEESE_PNS0_10empty_typeENS0_5tupleIJSE_SF_EEENSH_IJSE_SG_EEENS0_18inequality_wrapperI22is_equal_div_10_uniqueIjEEEPmJSF_EEE10hipError_tPvRmT3_T4_T5_T6_T7_T9_mT8_P12ihipStream_tbDpT10_ENKUlT_T0_E_clISt17integral_constantIbLb0EES17_IbLb1EEEEDaS13_S14_EUlS13_E_NS1_11comp_targetILNS1_3genE3ELNS1_11target_archE908ELNS1_3gpuE7ELNS1_3repE0EEENS1_30default_config_static_selectorELNS0_4arch9wavefront6targetE0EEEvT1_
    .private_segment_fixed_size: 0
    .sgpr_count:     0
    .sgpr_spill_count: 0
    .symbol:         _ZN7rocprim17ROCPRIM_400000_NS6detail17trampoline_kernelINS0_14default_configENS1_25partition_config_selectorILNS1_17partition_subalgoE9EjjbEEZZNS1_14partition_implILS5_9ELb0ES3_jN6thrust23THRUST_200600_302600_NS6detail15normal_iteratorINS9_10device_ptrIjEEEESE_PNS0_10empty_typeENS0_5tupleIJSE_SF_EEENSH_IJSE_SG_EEENS0_18inequality_wrapperI22is_equal_div_10_uniqueIjEEEPmJSF_EEE10hipError_tPvRmT3_T4_T5_T6_T7_T9_mT8_P12ihipStream_tbDpT10_ENKUlT_T0_E_clISt17integral_constantIbLb0EES17_IbLb1EEEEDaS13_S14_EUlS13_E_NS1_11comp_targetILNS1_3genE3ELNS1_11target_archE908ELNS1_3gpuE7ELNS1_3repE0EEENS1_30default_config_static_selectorELNS0_4arch9wavefront6targetE0EEEvT1_.kd
    .uniform_work_group_size: 1
    .uses_dynamic_stack: false
    .vgpr_count:     0
    .vgpr_spill_count: 0
    .wavefront_size: 32
    .workgroup_processor_mode: 1
  - .args:
      - .offset:         0
        .size:           128
        .value_kind:     by_value
    .group_segment_fixed_size: 0
    .kernarg_segment_align: 8
    .kernarg_segment_size: 128
    .language:       OpenCL C
    .language_version:
      - 2
      - 0
    .max_flat_workgroup_size: 256
    .name:           _ZN7rocprim17ROCPRIM_400000_NS6detail17trampoline_kernelINS0_14default_configENS1_25partition_config_selectorILNS1_17partition_subalgoE9EjjbEEZZNS1_14partition_implILS5_9ELb0ES3_jN6thrust23THRUST_200600_302600_NS6detail15normal_iteratorINS9_10device_ptrIjEEEESE_PNS0_10empty_typeENS0_5tupleIJSE_SF_EEENSH_IJSE_SG_EEENS0_18inequality_wrapperI22is_equal_div_10_uniqueIjEEEPmJSF_EEE10hipError_tPvRmT3_T4_T5_T6_T7_T9_mT8_P12ihipStream_tbDpT10_ENKUlT_T0_E_clISt17integral_constantIbLb0EES17_IbLb1EEEEDaS13_S14_EUlS13_E_NS1_11comp_targetILNS1_3genE2ELNS1_11target_archE906ELNS1_3gpuE6ELNS1_3repE0EEENS1_30default_config_static_selectorELNS0_4arch9wavefront6targetE0EEEvT1_
    .private_segment_fixed_size: 0
    .sgpr_count:     0
    .sgpr_spill_count: 0
    .symbol:         _ZN7rocprim17ROCPRIM_400000_NS6detail17trampoline_kernelINS0_14default_configENS1_25partition_config_selectorILNS1_17partition_subalgoE9EjjbEEZZNS1_14partition_implILS5_9ELb0ES3_jN6thrust23THRUST_200600_302600_NS6detail15normal_iteratorINS9_10device_ptrIjEEEESE_PNS0_10empty_typeENS0_5tupleIJSE_SF_EEENSH_IJSE_SG_EEENS0_18inequality_wrapperI22is_equal_div_10_uniqueIjEEEPmJSF_EEE10hipError_tPvRmT3_T4_T5_T6_T7_T9_mT8_P12ihipStream_tbDpT10_ENKUlT_T0_E_clISt17integral_constantIbLb0EES17_IbLb1EEEEDaS13_S14_EUlS13_E_NS1_11comp_targetILNS1_3genE2ELNS1_11target_archE906ELNS1_3gpuE6ELNS1_3repE0EEENS1_30default_config_static_selectorELNS0_4arch9wavefront6targetE0EEEvT1_.kd
    .uniform_work_group_size: 1
    .uses_dynamic_stack: false
    .vgpr_count:     0
    .vgpr_spill_count: 0
    .wavefront_size: 32
    .workgroup_processor_mode: 1
  - .args:
      - .offset:         0
        .size:           128
        .value_kind:     by_value
    .group_segment_fixed_size: 0
    .kernarg_segment_align: 8
    .kernarg_segment_size: 128
    .language:       OpenCL C
    .language_version:
      - 2
      - 0
    .max_flat_workgroup_size: 384
    .name:           _ZN7rocprim17ROCPRIM_400000_NS6detail17trampoline_kernelINS0_14default_configENS1_25partition_config_selectorILNS1_17partition_subalgoE9EjjbEEZZNS1_14partition_implILS5_9ELb0ES3_jN6thrust23THRUST_200600_302600_NS6detail15normal_iteratorINS9_10device_ptrIjEEEESE_PNS0_10empty_typeENS0_5tupleIJSE_SF_EEENSH_IJSE_SG_EEENS0_18inequality_wrapperI22is_equal_div_10_uniqueIjEEEPmJSF_EEE10hipError_tPvRmT3_T4_T5_T6_T7_T9_mT8_P12ihipStream_tbDpT10_ENKUlT_T0_E_clISt17integral_constantIbLb0EES17_IbLb1EEEEDaS13_S14_EUlS13_E_NS1_11comp_targetILNS1_3genE10ELNS1_11target_archE1200ELNS1_3gpuE4ELNS1_3repE0EEENS1_30default_config_static_selectorELNS0_4arch9wavefront6targetE0EEEvT1_
    .private_segment_fixed_size: 0
    .sgpr_count:     0
    .sgpr_spill_count: 0
    .symbol:         _ZN7rocprim17ROCPRIM_400000_NS6detail17trampoline_kernelINS0_14default_configENS1_25partition_config_selectorILNS1_17partition_subalgoE9EjjbEEZZNS1_14partition_implILS5_9ELb0ES3_jN6thrust23THRUST_200600_302600_NS6detail15normal_iteratorINS9_10device_ptrIjEEEESE_PNS0_10empty_typeENS0_5tupleIJSE_SF_EEENSH_IJSE_SG_EEENS0_18inequality_wrapperI22is_equal_div_10_uniqueIjEEEPmJSF_EEE10hipError_tPvRmT3_T4_T5_T6_T7_T9_mT8_P12ihipStream_tbDpT10_ENKUlT_T0_E_clISt17integral_constantIbLb0EES17_IbLb1EEEEDaS13_S14_EUlS13_E_NS1_11comp_targetILNS1_3genE10ELNS1_11target_archE1200ELNS1_3gpuE4ELNS1_3repE0EEENS1_30default_config_static_selectorELNS0_4arch9wavefront6targetE0EEEvT1_.kd
    .uniform_work_group_size: 1
    .uses_dynamic_stack: false
    .vgpr_count:     0
    .vgpr_spill_count: 0
    .wavefront_size: 32
    .workgroup_processor_mode: 1
  - .args:
      - .offset:         0
        .size:           128
        .value_kind:     by_value
    .group_segment_fixed_size: 12680
    .kernarg_segment_align: 8
    .kernarg_segment_size: 128
    .language:       OpenCL C
    .language_version:
      - 2
      - 0
    .max_flat_workgroup_size: 384
    .name:           _ZN7rocprim17ROCPRIM_400000_NS6detail17trampoline_kernelINS0_14default_configENS1_25partition_config_selectorILNS1_17partition_subalgoE9EjjbEEZZNS1_14partition_implILS5_9ELb0ES3_jN6thrust23THRUST_200600_302600_NS6detail15normal_iteratorINS9_10device_ptrIjEEEESE_PNS0_10empty_typeENS0_5tupleIJSE_SF_EEENSH_IJSE_SG_EEENS0_18inequality_wrapperI22is_equal_div_10_uniqueIjEEEPmJSF_EEE10hipError_tPvRmT3_T4_T5_T6_T7_T9_mT8_P12ihipStream_tbDpT10_ENKUlT_T0_E_clISt17integral_constantIbLb0EES17_IbLb1EEEEDaS13_S14_EUlS13_E_NS1_11comp_targetILNS1_3genE9ELNS1_11target_archE1100ELNS1_3gpuE3ELNS1_3repE0EEENS1_30default_config_static_selectorELNS0_4arch9wavefront6targetE0EEEvT1_
    .private_segment_fixed_size: 0
    .sgpr_count:     31
    .sgpr_spill_count: 0
    .symbol:         _ZN7rocprim17ROCPRIM_400000_NS6detail17trampoline_kernelINS0_14default_configENS1_25partition_config_selectorILNS1_17partition_subalgoE9EjjbEEZZNS1_14partition_implILS5_9ELb0ES3_jN6thrust23THRUST_200600_302600_NS6detail15normal_iteratorINS9_10device_ptrIjEEEESE_PNS0_10empty_typeENS0_5tupleIJSE_SF_EEENSH_IJSE_SG_EEENS0_18inequality_wrapperI22is_equal_div_10_uniqueIjEEEPmJSF_EEE10hipError_tPvRmT3_T4_T5_T6_T7_T9_mT8_P12ihipStream_tbDpT10_ENKUlT_T0_E_clISt17integral_constantIbLb0EES17_IbLb1EEEEDaS13_S14_EUlS13_E_NS1_11comp_targetILNS1_3genE9ELNS1_11target_archE1100ELNS1_3gpuE3ELNS1_3repE0EEENS1_30default_config_static_selectorELNS0_4arch9wavefront6targetE0EEEvT1_.kd
    .uniform_work_group_size: 1
    .uses_dynamic_stack: false
    .vgpr_count:     51
    .vgpr_spill_count: 0
    .wavefront_size: 32
    .workgroup_processor_mode: 1
  - .args:
      - .offset:         0
        .size:           128
        .value_kind:     by_value
    .group_segment_fixed_size: 0
    .kernarg_segment_align: 8
    .kernarg_segment_size: 128
    .language:       OpenCL C
    .language_version:
      - 2
      - 0
    .max_flat_workgroup_size: 512
    .name:           _ZN7rocprim17ROCPRIM_400000_NS6detail17trampoline_kernelINS0_14default_configENS1_25partition_config_selectorILNS1_17partition_subalgoE9EjjbEEZZNS1_14partition_implILS5_9ELb0ES3_jN6thrust23THRUST_200600_302600_NS6detail15normal_iteratorINS9_10device_ptrIjEEEESE_PNS0_10empty_typeENS0_5tupleIJSE_SF_EEENSH_IJSE_SG_EEENS0_18inequality_wrapperI22is_equal_div_10_uniqueIjEEEPmJSF_EEE10hipError_tPvRmT3_T4_T5_T6_T7_T9_mT8_P12ihipStream_tbDpT10_ENKUlT_T0_E_clISt17integral_constantIbLb0EES17_IbLb1EEEEDaS13_S14_EUlS13_E_NS1_11comp_targetILNS1_3genE8ELNS1_11target_archE1030ELNS1_3gpuE2ELNS1_3repE0EEENS1_30default_config_static_selectorELNS0_4arch9wavefront6targetE0EEEvT1_
    .private_segment_fixed_size: 0
    .sgpr_count:     0
    .sgpr_spill_count: 0
    .symbol:         _ZN7rocprim17ROCPRIM_400000_NS6detail17trampoline_kernelINS0_14default_configENS1_25partition_config_selectorILNS1_17partition_subalgoE9EjjbEEZZNS1_14partition_implILS5_9ELb0ES3_jN6thrust23THRUST_200600_302600_NS6detail15normal_iteratorINS9_10device_ptrIjEEEESE_PNS0_10empty_typeENS0_5tupleIJSE_SF_EEENSH_IJSE_SG_EEENS0_18inequality_wrapperI22is_equal_div_10_uniqueIjEEEPmJSF_EEE10hipError_tPvRmT3_T4_T5_T6_T7_T9_mT8_P12ihipStream_tbDpT10_ENKUlT_T0_E_clISt17integral_constantIbLb0EES17_IbLb1EEEEDaS13_S14_EUlS13_E_NS1_11comp_targetILNS1_3genE8ELNS1_11target_archE1030ELNS1_3gpuE2ELNS1_3repE0EEENS1_30default_config_static_selectorELNS0_4arch9wavefront6targetE0EEEvT1_.kd
    .uniform_work_group_size: 1
    .uses_dynamic_stack: false
    .vgpr_count:     0
    .vgpr_spill_count: 0
    .wavefront_size: 32
    .workgroup_processor_mode: 1
  - .args:
      - .offset:         0
        .size:           16
        .value_kind:     by_value
      - .offset:         16
        .size:           8
        .value_kind:     by_value
      - .offset:         24
        .size:           8
        .value_kind:     by_value
    .group_segment_fixed_size: 0
    .kernarg_segment_align: 8
    .kernarg_segment_size: 32
    .language:       OpenCL C
    .language_version:
      - 2
      - 0
    .max_flat_workgroup_size: 256
    .name:           _ZN6thrust23THRUST_200600_302600_NS11hip_rocprim14__parallel_for6kernelILj256ENS1_20__uninitialized_fill7functorINS0_10device_ptrItEEtEEmLj1EEEvT0_T1_SA_
    .private_segment_fixed_size: 0
    .sgpr_count:     18
    .sgpr_spill_count: 0
    .symbol:         _ZN6thrust23THRUST_200600_302600_NS11hip_rocprim14__parallel_for6kernelILj256ENS1_20__uninitialized_fill7functorINS0_10device_ptrItEEtEEmLj1EEEvT0_T1_SA_.kd
    .uniform_work_group_size: 1
    .uses_dynamic_stack: false
    .vgpr_count:     3
    .vgpr_spill_count: 0
    .wavefront_size: 32
    .workgroup_processor_mode: 1
  - .args:
      - .offset:         0
        .size:           112
        .value_kind:     by_value
    .group_segment_fixed_size: 0
    .kernarg_segment_align: 8
    .kernarg_segment_size: 112
    .language:       OpenCL C
    .language_version:
      - 2
      - 0
    .max_flat_workgroup_size: 256
    .name:           _ZN7rocprim17ROCPRIM_400000_NS6detail17trampoline_kernelINS0_14default_configENS1_25partition_config_selectorILNS1_17partition_subalgoE9EttbEEZZNS1_14partition_implILS5_9ELb0ES3_jN6thrust23THRUST_200600_302600_NS6detail15normal_iteratorINS9_10device_ptrItEEEESE_PNS0_10empty_typeENS0_5tupleIJSE_SF_EEENSH_IJSE_SG_EEENS0_18inequality_wrapperINS9_8equal_toItEEEEPmJSF_EEE10hipError_tPvRmT3_T4_T5_T6_T7_T9_mT8_P12ihipStream_tbDpT10_ENKUlT_T0_E_clISt17integral_constantIbLb0EES18_EEDaS13_S14_EUlS13_E_NS1_11comp_targetILNS1_3genE0ELNS1_11target_archE4294967295ELNS1_3gpuE0ELNS1_3repE0EEENS1_30default_config_static_selectorELNS0_4arch9wavefront6targetE0EEEvT1_
    .private_segment_fixed_size: 0
    .sgpr_count:     0
    .sgpr_spill_count: 0
    .symbol:         _ZN7rocprim17ROCPRIM_400000_NS6detail17trampoline_kernelINS0_14default_configENS1_25partition_config_selectorILNS1_17partition_subalgoE9EttbEEZZNS1_14partition_implILS5_9ELb0ES3_jN6thrust23THRUST_200600_302600_NS6detail15normal_iteratorINS9_10device_ptrItEEEESE_PNS0_10empty_typeENS0_5tupleIJSE_SF_EEENSH_IJSE_SG_EEENS0_18inequality_wrapperINS9_8equal_toItEEEEPmJSF_EEE10hipError_tPvRmT3_T4_T5_T6_T7_T9_mT8_P12ihipStream_tbDpT10_ENKUlT_T0_E_clISt17integral_constantIbLb0EES18_EEDaS13_S14_EUlS13_E_NS1_11comp_targetILNS1_3genE0ELNS1_11target_archE4294967295ELNS1_3gpuE0ELNS1_3repE0EEENS1_30default_config_static_selectorELNS0_4arch9wavefront6targetE0EEEvT1_.kd
    .uniform_work_group_size: 1
    .uses_dynamic_stack: false
    .vgpr_count:     0
    .vgpr_spill_count: 0
    .wavefront_size: 32
    .workgroup_processor_mode: 1
  - .args:
      - .offset:         0
        .size:           112
        .value_kind:     by_value
    .group_segment_fixed_size: 0
    .kernarg_segment_align: 8
    .kernarg_segment_size: 112
    .language:       OpenCL C
    .language_version:
      - 2
      - 0
    .max_flat_workgroup_size: 512
    .name:           _ZN7rocprim17ROCPRIM_400000_NS6detail17trampoline_kernelINS0_14default_configENS1_25partition_config_selectorILNS1_17partition_subalgoE9EttbEEZZNS1_14partition_implILS5_9ELb0ES3_jN6thrust23THRUST_200600_302600_NS6detail15normal_iteratorINS9_10device_ptrItEEEESE_PNS0_10empty_typeENS0_5tupleIJSE_SF_EEENSH_IJSE_SG_EEENS0_18inequality_wrapperINS9_8equal_toItEEEEPmJSF_EEE10hipError_tPvRmT3_T4_T5_T6_T7_T9_mT8_P12ihipStream_tbDpT10_ENKUlT_T0_E_clISt17integral_constantIbLb0EES18_EEDaS13_S14_EUlS13_E_NS1_11comp_targetILNS1_3genE5ELNS1_11target_archE942ELNS1_3gpuE9ELNS1_3repE0EEENS1_30default_config_static_selectorELNS0_4arch9wavefront6targetE0EEEvT1_
    .private_segment_fixed_size: 0
    .sgpr_count:     0
    .sgpr_spill_count: 0
    .symbol:         _ZN7rocprim17ROCPRIM_400000_NS6detail17trampoline_kernelINS0_14default_configENS1_25partition_config_selectorILNS1_17partition_subalgoE9EttbEEZZNS1_14partition_implILS5_9ELb0ES3_jN6thrust23THRUST_200600_302600_NS6detail15normal_iteratorINS9_10device_ptrItEEEESE_PNS0_10empty_typeENS0_5tupleIJSE_SF_EEENSH_IJSE_SG_EEENS0_18inequality_wrapperINS9_8equal_toItEEEEPmJSF_EEE10hipError_tPvRmT3_T4_T5_T6_T7_T9_mT8_P12ihipStream_tbDpT10_ENKUlT_T0_E_clISt17integral_constantIbLb0EES18_EEDaS13_S14_EUlS13_E_NS1_11comp_targetILNS1_3genE5ELNS1_11target_archE942ELNS1_3gpuE9ELNS1_3repE0EEENS1_30default_config_static_selectorELNS0_4arch9wavefront6targetE0EEEvT1_.kd
    .uniform_work_group_size: 1
    .uses_dynamic_stack: false
    .vgpr_count:     0
    .vgpr_spill_count: 0
    .wavefront_size: 32
    .workgroup_processor_mode: 1
  - .args:
      - .offset:         0
        .size:           112
        .value_kind:     by_value
    .group_segment_fixed_size: 0
    .kernarg_segment_align: 8
    .kernarg_segment_size: 112
    .language:       OpenCL C
    .language_version:
      - 2
      - 0
    .max_flat_workgroup_size: 256
    .name:           _ZN7rocprim17ROCPRIM_400000_NS6detail17trampoline_kernelINS0_14default_configENS1_25partition_config_selectorILNS1_17partition_subalgoE9EttbEEZZNS1_14partition_implILS5_9ELb0ES3_jN6thrust23THRUST_200600_302600_NS6detail15normal_iteratorINS9_10device_ptrItEEEESE_PNS0_10empty_typeENS0_5tupleIJSE_SF_EEENSH_IJSE_SG_EEENS0_18inequality_wrapperINS9_8equal_toItEEEEPmJSF_EEE10hipError_tPvRmT3_T4_T5_T6_T7_T9_mT8_P12ihipStream_tbDpT10_ENKUlT_T0_E_clISt17integral_constantIbLb0EES18_EEDaS13_S14_EUlS13_E_NS1_11comp_targetILNS1_3genE4ELNS1_11target_archE910ELNS1_3gpuE8ELNS1_3repE0EEENS1_30default_config_static_selectorELNS0_4arch9wavefront6targetE0EEEvT1_
    .private_segment_fixed_size: 0
    .sgpr_count:     0
    .sgpr_spill_count: 0
    .symbol:         _ZN7rocprim17ROCPRIM_400000_NS6detail17trampoline_kernelINS0_14default_configENS1_25partition_config_selectorILNS1_17partition_subalgoE9EttbEEZZNS1_14partition_implILS5_9ELb0ES3_jN6thrust23THRUST_200600_302600_NS6detail15normal_iteratorINS9_10device_ptrItEEEESE_PNS0_10empty_typeENS0_5tupleIJSE_SF_EEENSH_IJSE_SG_EEENS0_18inequality_wrapperINS9_8equal_toItEEEEPmJSF_EEE10hipError_tPvRmT3_T4_T5_T6_T7_T9_mT8_P12ihipStream_tbDpT10_ENKUlT_T0_E_clISt17integral_constantIbLb0EES18_EEDaS13_S14_EUlS13_E_NS1_11comp_targetILNS1_3genE4ELNS1_11target_archE910ELNS1_3gpuE8ELNS1_3repE0EEENS1_30default_config_static_selectorELNS0_4arch9wavefront6targetE0EEEvT1_.kd
    .uniform_work_group_size: 1
    .uses_dynamic_stack: false
    .vgpr_count:     0
    .vgpr_spill_count: 0
    .wavefront_size: 32
    .workgroup_processor_mode: 1
  - .args:
      - .offset:         0
        .size:           112
        .value_kind:     by_value
    .group_segment_fixed_size: 0
    .kernarg_segment_align: 8
    .kernarg_segment_size: 112
    .language:       OpenCL C
    .language_version:
      - 2
      - 0
    .max_flat_workgroup_size: 256
    .name:           _ZN7rocprim17ROCPRIM_400000_NS6detail17trampoline_kernelINS0_14default_configENS1_25partition_config_selectorILNS1_17partition_subalgoE9EttbEEZZNS1_14partition_implILS5_9ELb0ES3_jN6thrust23THRUST_200600_302600_NS6detail15normal_iteratorINS9_10device_ptrItEEEESE_PNS0_10empty_typeENS0_5tupleIJSE_SF_EEENSH_IJSE_SG_EEENS0_18inequality_wrapperINS9_8equal_toItEEEEPmJSF_EEE10hipError_tPvRmT3_T4_T5_T6_T7_T9_mT8_P12ihipStream_tbDpT10_ENKUlT_T0_E_clISt17integral_constantIbLb0EES18_EEDaS13_S14_EUlS13_E_NS1_11comp_targetILNS1_3genE3ELNS1_11target_archE908ELNS1_3gpuE7ELNS1_3repE0EEENS1_30default_config_static_selectorELNS0_4arch9wavefront6targetE0EEEvT1_
    .private_segment_fixed_size: 0
    .sgpr_count:     0
    .sgpr_spill_count: 0
    .symbol:         _ZN7rocprim17ROCPRIM_400000_NS6detail17trampoline_kernelINS0_14default_configENS1_25partition_config_selectorILNS1_17partition_subalgoE9EttbEEZZNS1_14partition_implILS5_9ELb0ES3_jN6thrust23THRUST_200600_302600_NS6detail15normal_iteratorINS9_10device_ptrItEEEESE_PNS0_10empty_typeENS0_5tupleIJSE_SF_EEENSH_IJSE_SG_EEENS0_18inequality_wrapperINS9_8equal_toItEEEEPmJSF_EEE10hipError_tPvRmT3_T4_T5_T6_T7_T9_mT8_P12ihipStream_tbDpT10_ENKUlT_T0_E_clISt17integral_constantIbLb0EES18_EEDaS13_S14_EUlS13_E_NS1_11comp_targetILNS1_3genE3ELNS1_11target_archE908ELNS1_3gpuE7ELNS1_3repE0EEENS1_30default_config_static_selectorELNS0_4arch9wavefront6targetE0EEEvT1_.kd
    .uniform_work_group_size: 1
    .uses_dynamic_stack: false
    .vgpr_count:     0
    .vgpr_spill_count: 0
    .wavefront_size: 32
    .workgroup_processor_mode: 1
  - .args:
      - .offset:         0
        .size:           112
        .value_kind:     by_value
    .group_segment_fixed_size: 0
    .kernarg_segment_align: 8
    .kernarg_segment_size: 112
    .language:       OpenCL C
    .language_version:
      - 2
      - 0
    .max_flat_workgroup_size: 256
    .name:           _ZN7rocprim17ROCPRIM_400000_NS6detail17trampoline_kernelINS0_14default_configENS1_25partition_config_selectorILNS1_17partition_subalgoE9EttbEEZZNS1_14partition_implILS5_9ELb0ES3_jN6thrust23THRUST_200600_302600_NS6detail15normal_iteratorINS9_10device_ptrItEEEESE_PNS0_10empty_typeENS0_5tupleIJSE_SF_EEENSH_IJSE_SG_EEENS0_18inequality_wrapperINS9_8equal_toItEEEEPmJSF_EEE10hipError_tPvRmT3_T4_T5_T6_T7_T9_mT8_P12ihipStream_tbDpT10_ENKUlT_T0_E_clISt17integral_constantIbLb0EES18_EEDaS13_S14_EUlS13_E_NS1_11comp_targetILNS1_3genE2ELNS1_11target_archE906ELNS1_3gpuE6ELNS1_3repE0EEENS1_30default_config_static_selectorELNS0_4arch9wavefront6targetE0EEEvT1_
    .private_segment_fixed_size: 0
    .sgpr_count:     0
    .sgpr_spill_count: 0
    .symbol:         _ZN7rocprim17ROCPRIM_400000_NS6detail17trampoline_kernelINS0_14default_configENS1_25partition_config_selectorILNS1_17partition_subalgoE9EttbEEZZNS1_14partition_implILS5_9ELb0ES3_jN6thrust23THRUST_200600_302600_NS6detail15normal_iteratorINS9_10device_ptrItEEEESE_PNS0_10empty_typeENS0_5tupleIJSE_SF_EEENSH_IJSE_SG_EEENS0_18inequality_wrapperINS9_8equal_toItEEEEPmJSF_EEE10hipError_tPvRmT3_T4_T5_T6_T7_T9_mT8_P12ihipStream_tbDpT10_ENKUlT_T0_E_clISt17integral_constantIbLb0EES18_EEDaS13_S14_EUlS13_E_NS1_11comp_targetILNS1_3genE2ELNS1_11target_archE906ELNS1_3gpuE6ELNS1_3repE0EEENS1_30default_config_static_selectorELNS0_4arch9wavefront6targetE0EEEvT1_.kd
    .uniform_work_group_size: 1
    .uses_dynamic_stack: false
    .vgpr_count:     0
    .vgpr_spill_count: 0
    .wavefront_size: 32
    .workgroup_processor_mode: 1
  - .args:
      - .offset:         0
        .size:           112
        .value_kind:     by_value
    .group_segment_fixed_size: 0
    .kernarg_segment_align: 8
    .kernarg_segment_size: 112
    .language:       OpenCL C
    .language_version:
      - 2
      - 0
    .max_flat_workgroup_size: 512
    .name:           _ZN7rocprim17ROCPRIM_400000_NS6detail17trampoline_kernelINS0_14default_configENS1_25partition_config_selectorILNS1_17partition_subalgoE9EttbEEZZNS1_14partition_implILS5_9ELb0ES3_jN6thrust23THRUST_200600_302600_NS6detail15normal_iteratorINS9_10device_ptrItEEEESE_PNS0_10empty_typeENS0_5tupleIJSE_SF_EEENSH_IJSE_SG_EEENS0_18inequality_wrapperINS9_8equal_toItEEEEPmJSF_EEE10hipError_tPvRmT3_T4_T5_T6_T7_T9_mT8_P12ihipStream_tbDpT10_ENKUlT_T0_E_clISt17integral_constantIbLb0EES18_EEDaS13_S14_EUlS13_E_NS1_11comp_targetILNS1_3genE10ELNS1_11target_archE1200ELNS1_3gpuE4ELNS1_3repE0EEENS1_30default_config_static_selectorELNS0_4arch9wavefront6targetE0EEEvT1_
    .private_segment_fixed_size: 0
    .sgpr_count:     0
    .sgpr_spill_count: 0
    .symbol:         _ZN7rocprim17ROCPRIM_400000_NS6detail17trampoline_kernelINS0_14default_configENS1_25partition_config_selectorILNS1_17partition_subalgoE9EttbEEZZNS1_14partition_implILS5_9ELb0ES3_jN6thrust23THRUST_200600_302600_NS6detail15normal_iteratorINS9_10device_ptrItEEEESE_PNS0_10empty_typeENS0_5tupleIJSE_SF_EEENSH_IJSE_SG_EEENS0_18inequality_wrapperINS9_8equal_toItEEEEPmJSF_EEE10hipError_tPvRmT3_T4_T5_T6_T7_T9_mT8_P12ihipStream_tbDpT10_ENKUlT_T0_E_clISt17integral_constantIbLb0EES18_EEDaS13_S14_EUlS13_E_NS1_11comp_targetILNS1_3genE10ELNS1_11target_archE1200ELNS1_3gpuE4ELNS1_3repE0EEENS1_30default_config_static_selectorELNS0_4arch9wavefront6targetE0EEEvT1_.kd
    .uniform_work_group_size: 1
    .uses_dynamic_stack: false
    .vgpr_count:     0
    .vgpr_spill_count: 0
    .wavefront_size: 32
    .workgroup_processor_mode: 1
  - .args:
      - .offset:         0
        .size:           112
        .value_kind:     by_value
    .group_segment_fixed_size: 3080
    .kernarg_segment_align: 8
    .kernarg_segment_size: 112
    .language:       OpenCL C
    .language_version:
      - 2
      - 0
    .max_flat_workgroup_size: 128
    .name:           _ZN7rocprim17ROCPRIM_400000_NS6detail17trampoline_kernelINS0_14default_configENS1_25partition_config_selectorILNS1_17partition_subalgoE9EttbEEZZNS1_14partition_implILS5_9ELb0ES3_jN6thrust23THRUST_200600_302600_NS6detail15normal_iteratorINS9_10device_ptrItEEEESE_PNS0_10empty_typeENS0_5tupleIJSE_SF_EEENSH_IJSE_SG_EEENS0_18inequality_wrapperINS9_8equal_toItEEEEPmJSF_EEE10hipError_tPvRmT3_T4_T5_T6_T7_T9_mT8_P12ihipStream_tbDpT10_ENKUlT_T0_E_clISt17integral_constantIbLb0EES18_EEDaS13_S14_EUlS13_E_NS1_11comp_targetILNS1_3genE9ELNS1_11target_archE1100ELNS1_3gpuE3ELNS1_3repE0EEENS1_30default_config_static_selectorELNS0_4arch9wavefront6targetE0EEEvT1_
    .private_segment_fixed_size: 0
    .sgpr_count:     26
    .sgpr_spill_count: 0
    .symbol:         _ZN7rocprim17ROCPRIM_400000_NS6detail17trampoline_kernelINS0_14default_configENS1_25partition_config_selectorILNS1_17partition_subalgoE9EttbEEZZNS1_14partition_implILS5_9ELb0ES3_jN6thrust23THRUST_200600_302600_NS6detail15normal_iteratorINS9_10device_ptrItEEEESE_PNS0_10empty_typeENS0_5tupleIJSE_SF_EEENSH_IJSE_SG_EEENS0_18inequality_wrapperINS9_8equal_toItEEEEPmJSF_EEE10hipError_tPvRmT3_T4_T5_T6_T7_T9_mT8_P12ihipStream_tbDpT10_ENKUlT_T0_E_clISt17integral_constantIbLb0EES18_EEDaS13_S14_EUlS13_E_NS1_11comp_targetILNS1_3genE9ELNS1_11target_archE1100ELNS1_3gpuE3ELNS1_3repE0EEENS1_30default_config_static_selectorELNS0_4arch9wavefront6targetE0EEEvT1_.kd
    .uniform_work_group_size: 1
    .uses_dynamic_stack: false
    .vgpr_count:     81
    .vgpr_spill_count: 0
    .wavefront_size: 32
    .workgroup_processor_mode: 1
  - .args:
      - .offset:         0
        .size:           112
        .value_kind:     by_value
    .group_segment_fixed_size: 0
    .kernarg_segment_align: 8
    .kernarg_segment_size: 112
    .language:       OpenCL C
    .language_version:
      - 2
      - 0
    .max_flat_workgroup_size: 384
    .name:           _ZN7rocprim17ROCPRIM_400000_NS6detail17trampoline_kernelINS0_14default_configENS1_25partition_config_selectorILNS1_17partition_subalgoE9EttbEEZZNS1_14partition_implILS5_9ELb0ES3_jN6thrust23THRUST_200600_302600_NS6detail15normal_iteratorINS9_10device_ptrItEEEESE_PNS0_10empty_typeENS0_5tupleIJSE_SF_EEENSH_IJSE_SG_EEENS0_18inequality_wrapperINS9_8equal_toItEEEEPmJSF_EEE10hipError_tPvRmT3_T4_T5_T6_T7_T9_mT8_P12ihipStream_tbDpT10_ENKUlT_T0_E_clISt17integral_constantIbLb0EES18_EEDaS13_S14_EUlS13_E_NS1_11comp_targetILNS1_3genE8ELNS1_11target_archE1030ELNS1_3gpuE2ELNS1_3repE0EEENS1_30default_config_static_selectorELNS0_4arch9wavefront6targetE0EEEvT1_
    .private_segment_fixed_size: 0
    .sgpr_count:     0
    .sgpr_spill_count: 0
    .symbol:         _ZN7rocprim17ROCPRIM_400000_NS6detail17trampoline_kernelINS0_14default_configENS1_25partition_config_selectorILNS1_17partition_subalgoE9EttbEEZZNS1_14partition_implILS5_9ELb0ES3_jN6thrust23THRUST_200600_302600_NS6detail15normal_iteratorINS9_10device_ptrItEEEESE_PNS0_10empty_typeENS0_5tupleIJSE_SF_EEENSH_IJSE_SG_EEENS0_18inequality_wrapperINS9_8equal_toItEEEEPmJSF_EEE10hipError_tPvRmT3_T4_T5_T6_T7_T9_mT8_P12ihipStream_tbDpT10_ENKUlT_T0_E_clISt17integral_constantIbLb0EES18_EEDaS13_S14_EUlS13_E_NS1_11comp_targetILNS1_3genE8ELNS1_11target_archE1030ELNS1_3gpuE2ELNS1_3repE0EEENS1_30default_config_static_selectorELNS0_4arch9wavefront6targetE0EEEvT1_.kd
    .uniform_work_group_size: 1
    .uses_dynamic_stack: false
    .vgpr_count:     0
    .vgpr_spill_count: 0
    .wavefront_size: 32
    .workgroup_processor_mode: 1
  - .args:
      - .offset:         0
        .size:           128
        .value_kind:     by_value
    .group_segment_fixed_size: 0
    .kernarg_segment_align: 8
    .kernarg_segment_size: 128
    .language:       OpenCL C
    .language_version:
      - 2
      - 0
    .max_flat_workgroup_size: 256
    .name:           _ZN7rocprim17ROCPRIM_400000_NS6detail17trampoline_kernelINS0_14default_configENS1_25partition_config_selectorILNS1_17partition_subalgoE9EttbEEZZNS1_14partition_implILS5_9ELb0ES3_jN6thrust23THRUST_200600_302600_NS6detail15normal_iteratorINS9_10device_ptrItEEEESE_PNS0_10empty_typeENS0_5tupleIJSE_SF_EEENSH_IJSE_SG_EEENS0_18inequality_wrapperINS9_8equal_toItEEEEPmJSF_EEE10hipError_tPvRmT3_T4_T5_T6_T7_T9_mT8_P12ihipStream_tbDpT10_ENKUlT_T0_E_clISt17integral_constantIbLb1EES18_EEDaS13_S14_EUlS13_E_NS1_11comp_targetILNS1_3genE0ELNS1_11target_archE4294967295ELNS1_3gpuE0ELNS1_3repE0EEENS1_30default_config_static_selectorELNS0_4arch9wavefront6targetE0EEEvT1_
    .private_segment_fixed_size: 0
    .sgpr_count:     0
    .sgpr_spill_count: 0
    .symbol:         _ZN7rocprim17ROCPRIM_400000_NS6detail17trampoline_kernelINS0_14default_configENS1_25partition_config_selectorILNS1_17partition_subalgoE9EttbEEZZNS1_14partition_implILS5_9ELb0ES3_jN6thrust23THRUST_200600_302600_NS6detail15normal_iteratorINS9_10device_ptrItEEEESE_PNS0_10empty_typeENS0_5tupleIJSE_SF_EEENSH_IJSE_SG_EEENS0_18inequality_wrapperINS9_8equal_toItEEEEPmJSF_EEE10hipError_tPvRmT3_T4_T5_T6_T7_T9_mT8_P12ihipStream_tbDpT10_ENKUlT_T0_E_clISt17integral_constantIbLb1EES18_EEDaS13_S14_EUlS13_E_NS1_11comp_targetILNS1_3genE0ELNS1_11target_archE4294967295ELNS1_3gpuE0ELNS1_3repE0EEENS1_30default_config_static_selectorELNS0_4arch9wavefront6targetE0EEEvT1_.kd
    .uniform_work_group_size: 1
    .uses_dynamic_stack: false
    .vgpr_count:     0
    .vgpr_spill_count: 0
    .wavefront_size: 32
    .workgroup_processor_mode: 1
  - .args:
      - .offset:         0
        .size:           128
        .value_kind:     by_value
    .group_segment_fixed_size: 0
    .kernarg_segment_align: 8
    .kernarg_segment_size: 128
    .language:       OpenCL C
    .language_version:
      - 2
      - 0
    .max_flat_workgroup_size: 512
    .name:           _ZN7rocprim17ROCPRIM_400000_NS6detail17trampoline_kernelINS0_14default_configENS1_25partition_config_selectorILNS1_17partition_subalgoE9EttbEEZZNS1_14partition_implILS5_9ELb0ES3_jN6thrust23THRUST_200600_302600_NS6detail15normal_iteratorINS9_10device_ptrItEEEESE_PNS0_10empty_typeENS0_5tupleIJSE_SF_EEENSH_IJSE_SG_EEENS0_18inequality_wrapperINS9_8equal_toItEEEEPmJSF_EEE10hipError_tPvRmT3_T4_T5_T6_T7_T9_mT8_P12ihipStream_tbDpT10_ENKUlT_T0_E_clISt17integral_constantIbLb1EES18_EEDaS13_S14_EUlS13_E_NS1_11comp_targetILNS1_3genE5ELNS1_11target_archE942ELNS1_3gpuE9ELNS1_3repE0EEENS1_30default_config_static_selectorELNS0_4arch9wavefront6targetE0EEEvT1_
    .private_segment_fixed_size: 0
    .sgpr_count:     0
    .sgpr_spill_count: 0
    .symbol:         _ZN7rocprim17ROCPRIM_400000_NS6detail17trampoline_kernelINS0_14default_configENS1_25partition_config_selectorILNS1_17partition_subalgoE9EttbEEZZNS1_14partition_implILS5_9ELb0ES3_jN6thrust23THRUST_200600_302600_NS6detail15normal_iteratorINS9_10device_ptrItEEEESE_PNS0_10empty_typeENS0_5tupleIJSE_SF_EEENSH_IJSE_SG_EEENS0_18inequality_wrapperINS9_8equal_toItEEEEPmJSF_EEE10hipError_tPvRmT3_T4_T5_T6_T7_T9_mT8_P12ihipStream_tbDpT10_ENKUlT_T0_E_clISt17integral_constantIbLb1EES18_EEDaS13_S14_EUlS13_E_NS1_11comp_targetILNS1_3genE5ELNS1_11target_archE942ELNS1_3gpuE9ELNS1_3repE0EEENS1_30default_config_static_selectorELNS0_4arch9wavefront6targetE0EEEvT1_.kd
    .uniform_work_group_size: 1
    .uses_dynamic_stack: false
    .vgpr_count:     0
    .vgpr_spill_count: 0
    .wavefront_size: 32
    .workgroup_processor_mode: 1
  - .args:
      - .offset:         0
        .size:           128
        .value_kind:     by_value
    .group_segment_fixed_size: 0
    .kernarg_segment_align: 8
    .kernarg_segment_size: 128
    .language:       OpenCL C
    .language_version:
      - 2
      - 0
    .max_flat_workgroup_size: 256
    .name:           _ZN7rocprim17ROCPRIM_400000_NS6detail17trampoline_kernelINS0_14default_configENS1_25partition_config_selectorILNS1_17partition_subalgoE9EttbEEZZNS1_14partition_implILS5_9ELb0ES3_jN6thrust23THRUST_200600_302600_NS6detail15normal_iteratorINS9_10device_ptrItEEEESE_PNS0_10empty_typeENS0_5tupleIJSE_SF_EEENSH_IJSE_SG_EEENS0_18inequality_wrapperINS9_8equal_toItEEEEPmJSF_EEE10hipError_tPvRmT3_T4_T5_T6_T7_T9_mT8_P12ihipStream_tbDpT10_ENKUlT_T0_E_clISt17integral_constantIbLb1EES18_EEDaS13_S14_EUlS13_E_NS1_11comp_targetILNS1_3genE4ELNS1_11target_archE910ELNS1_3gpuE8ELNS1_3repE0EEENS1_30default_config_static_selectorELNS0_4arch9wavefront6targetE0EEEvT1_
    .private_segment_fixed_size: 0
    .sgpr_count:     0
    .sgpr_spill_count: 0
    .symbol:         _ZN7rocprim17ROCPRIM_400000_NS6detail17trampoline_kernelINS0_14default_configENS1_25partition_config_selectorILNS1_17partition_subalgoE9EttbEEZZNS1_14partition_implILS5_9ELb0ES3_jN6thrust23THRUST_200600_302600_NS6detail15normal_iteratorINS9_10device_ptrItEEEESE_PNS0_10empty_typeENS0_5tupleIJSE_SF_EEENSH_IJSE_SG_EEENS0_18inequality_wrapperINS9_8equal_toItEEEEPmJSF_EEE10hipError_tPvRmT3_T4_T5_T6_T7_T9_mT8_P12ihipStream_tbDpT10_ENKUlT_T0_E_clISt17integral_constantIbLb1EES18_EEDaS13_S14_EUlS13_E_NS1_11comp_targetILNS1_3genE4ELNS1_11target_archE910ELNS1_3gpuE8ELNS1_3repE0EEENS1_30default_config_static_selectorELNS0_4arch9wavefront6targetE0EEEvT1_.kd
    .uniform_work_group_size: 1
    .uses_dynamic_stack: false
    .vgpr_count:     0
    .vgpr_spill_count: 0
    .wavefront_size: 32
    .workgroup_processor_mode: 1
  - .args:
      - .offset:         0
        .size:           128
        .value_kind:     by_value
    .group_segment_fixed_size: 0
    .kernarg_segment_align: 8
    .kernarg_segment_size: 128
    .language:       OpenCL C
    .language_version:
      - 2
      - 0
    .max_flat_workgroup_size: 256
    .name:           _ZN7rocprim17ROCPRIM_400000_NS6detail17trampoline_kernelINS0_14default_configENS1_25partition_config_selectorILNS1_17partition_subalgoE9EttbEEZZNS1_14partition_implILS5_9ELb0ES3_jN6thrust23THRUST_200600_302600_NS6detail15normal_iteratorINS9_10device_ptrItEEEESE_PNS0_10empty_typeENS0_5tupleIJSE_SF_EEENSH_IJSE_SG_EEENS0_18inequality_wrapperINS9_8equal_toItEEEEPmJSF_EEE10hipError_tPvRmT3_T4_T5_T6_T7_T9_mT8_P12ihipStream_tbDpT10_ENKUlT_T0_E_clISt17integral_constantIbLb1EES18_EEDaS13_S14_EUlS13_E_NS1_11comp_targetILNS1_3genE3ELNS1_11target_archE908ELNS1_3gpuE7ELNS1_3repE0EEENS1_30default_config_static_selectorELNS0_4arch9wavefront6targetE0EEEvT1_
    .private_segment_fixed_size: 0
    .sgpr_count:     0
    .sgpr_spill_count: 0
    .symbol:         _ZN7rocprim17ROCPRIM_400000_NS6detail17trampoline_kernelINS0_14default_configENS1_25partition_config_selectorILNS1_17partition_subalgoE9EttbEEZZNS1_14partition_implILS5_9ELb0ES3_jN6thrust23THRUST_200600_302600_NS6detail15normal_iteratorINS9_10device_ptrItEEEESE_PNS0_10empty_typeENS0_5tupleIJSE_SF_EEENSH_IJSE_SG_EEENS0_18inequality_wrapperINS9_8equal_toItEEEEPmJSF_EEE10hipError_tPvRmT3_T4_T5_T6_T7_T9_mT8_P12ihipStream_tbDpT10_ENKUlT_T0_E_clISt17integral_constantIbLb1EES18_EEDaS13_S14_EUlS13_E_NS1_11comp_targetILNS1_3genE3ELNS1_11target_archE908ELNS1_3gpuE7ELNS1_3repE0EEENS1_30default_config_static_selectorELNS0_4arch9wavefront6targetE0EEEvT1_.kd
    .uniform_work_group_size: 1
    .uses_dynamic_stack: false
    .vgpr_count:     0
    .vgpr_spill_count: 0
    .wavefront_size: 32
    .workgroup_processor_mode: 1
  - .args:
      - .offset:         0
        .size:           128
        .value_kind:     by_value
    .group_segment_fixed_size: 0
    .kernarg_segment_align: 8
    .kernarg_segment_size: 128
    .language:       OpenCL C
    .language_version:
      - 2
      - 0
    .max_flat_workgroup_size: 256
    .name:           _ZN7rocprim17ROCPRIM_400000_NS6detail17trampoline_kernelINS0_14default_configENS1_25partition_config_selectorILNS1_17partition_subalgoE9EttbEEZZNS1_14partition_implILS5_9ELb0ES3_jN6thrust23THRUST_200600_302600_NS6detail15normal_iteratorINS9_10device_ptrItEEEESE_PNS0_10empty_typeENS0_5tupleIJSE_SF_EEENSH_IJSE_SG_EEENS0_18inequality_wrapperINS9_8equal_toItEEEEPmJSF_EEE10hipError_tPvRmT3_T4_T5_T6_T7_T9_mT8_P12ihipStream_tbDpT10_ENKUlT_T0_E_clISt17integral_constantIbLb1EES18_EEDaS13_S14_EUlS13_E_NS1_11comp_targetILNS1_3genE2ELNS1_11target_archE906ELNS1_3gpuE6ELNS1_3repE0EEENS1_30default_config_static_selectorELNS0_4arch9wavefront6targetE0EEEvT1_
    .private_segment_fixed_size: 0
    .sgpr_count:     0
    .sgpr_spill_count: 0
    .symbol:         _ZN7rocprim17ROCPRIM_400000_NS6detail17trampoline_kernelINS0_14default_configENS1_25partition_config_selectorILNS1_17partition_subalgoE9EttbEEZZNS1_14partition_implILS5_9ELb0ES3_jN6thrust23THRUST_200600_302600_NS6detail15normal_iteratorINS9_10device_ptrItEEEESE_PNS0_10empty_typeENS0_5tupleIJSE_SF_EEENSH_IJSE_SG_EEENS0_18inequality_wrapperINS9_8equal_toItEEEEPmJSF_EEE10hipError_tPvRmT3_T4_T5_T6_T7_T9_mT8_P12ihipStream_tbDpT10_ENKUlT_T0_E_clISt17integral_constantIbLb1EES18_EEDaS13_S14_EUlS13_E_NS1_11comp_targetILNS1_3genE2ELNS1_11target_archE906ELNS1_3gpuE6ELNS1_3repE0EEENS1_30default_config_static_selectorELNS0_4arch9wavefront6targetE0EEEvT1_.kd
    .uniform_work_group_size: 1
    .uses_dynamic_stack: false
    .vgpr_count:     0
    .vgpr_spill_count: 0
    .wavefront_size: 32
    .workgroup_processor_mode: 1
  - .args:
      - .offset:         0
        .size:           128
        .value_kind:     by_value
    .group_segment_fixed_size: 0
    .kernarg_segment_align: 8
    .kernarg_segment_size: 128
    .language:       OpenCL C
    .language_version:
      - 2
      - 0
    .max_flat_workgroup_size: 512
    .name:           _ZN7rocprim17ROCPRIM_400000_NS6detail17trampoline_kernelINS0_14default_configENS1_25partition_config_selectorILNS1_17partition_subalgoE9EttbEEZZNS1_14partition_implILS5_9ELb0ES3_jN6thrust23THRUST_200600_302600_NS6detail15normal_iteratorINS9_10device_ptrItEEEESE_PNS0_10empty_typeENS0_5tupleIJSE_SF_EEENSH_IJSE_SG_EEENS0_18inequality_wrapperINS9_8equal_toItEEEEPmJSF_EEE10hipError_tPvRmT3_T4_T5_T6_T7_T9_mT8_P12ihipStream_tbDpT10_ENKUlT_T0_E_clISt17integral_constantIbLb1EES18_EEDaS13_S14_EUlS13_E_NS1_11comp_targetILNS1_3genE10ELNS1_11target_archE1200ELNS1_3gpuE4ELNS1_3repE0EEENS1_30default_config_static_selectorELNS0_4arch9wavefront6targetE0EEEvT1_
    .private_segment_fixed_size: 0
    .sgpr_count:     0
    .sgpr_spill_count: 0
    .symbol:         _ZN7rocprim17ROCPRIM_400000_NS6detail17trampoline_kernelINS0_14default_configENS1_25partition_config_selectorILNS1_17partition_subalgoE9EttbEEZZNS1_14partition_implILS5_9ELb0ES3_jN6thrust23THRUST_200600_302600_NS6detail15normal_iteratorINS9_10device_ptrItEEEESE_PNS0_10empty_typeENS0_5tupleIJSE_SF_EEENSH_IJSE_SG_EEENS0_18inequality_wrapperINS9_8equal_toItEEEEPmJSF_EEE10hipError_tPvRmT3_T4_T5_T6_T7_T9_mT8_P12ihipStream_tbDpT10_ENKUlT_T0_E_clISt17integral_constantIbLb1EES18_EEDaS13_S14_EUlS13_E_NS1_11comp_targetILNS1_3genE10ELNS1_11target_archE1200ELNS1_3gpuE4ELNS1_3repE0EEENS1_30default_config_static_selectorELNS0_4arch9wavefront6targetE0EEEvT1_.kd
    .uniform_work_group_size: 1
    .uses_dynamic_stack: false
    .vgpr_count:     0
    .vgpr_spill_count: 0
    .wavefront_size: 32
    .workgroup_processor_mode: 1
  - .args:
      - .offset:         0
        .size:           128
        .value_kind:     by_value
    .group_segment_fixed_size: 3080
    .kernarg_segment_align: 8
    .kernarg_segment_size: 128
    .language:       OpenCL C
    .language_version:
      - 2
      - 0
    .max_flat_workgroup_size: 128
    .name:           _ZN7rocprim17ROCPRIM_400000_NS6detail17trampoline_kernelINS0_14default_configENS1_25partition_config_selectorILNS1_17partition_subalgoE9EttbEEZZNS1_14partition_implILS5_9ELb0ES3_jN6thrust23THRUST_200600_302600_NS6detail15normal_iteratorINS9_10device_ptrItEEEESE_PNS0_10empty_typeENS0_5tupleIJSE_SF_EEENSH_IJSE_SG_EEENS0_18inequality_wrapperINS9_8equal_toItEEEEPmJSF_EEE10hipError_tPvRmT3_T4_T5_T6_T7_T9_mT8_P12ihipStream_tbDpT10_ENKUlT_T0_E_clISt17integral_constantIbLb1EES18_EEDaS13_S14_EUlS13_E_NS1_11comp_targetILNS1_3genE9ELNS1_11target_archE1100ELNS1_3gpuE3ELNS1_3repE0EEENS1_30default_config_static_selectorELNS0_4arch9wavefront6targetE0EEEvT1_
    .private_segment_fixed_size: 0
    .sgpr_count:     32
    .sgpr_spill_count: 0
    .symbol:         _ZN7rocprim17ROCPRIM_400000_NS6detail17trampoline_kernelINS0_14default_configENS1_25partition_config_selectorILNS1_17partition_subalgoE9EttbEEZZNS1_14partition_implILS5_9ELb0ES3_jN6thrust23THRUST_200600_302600_NS6detail15normal_iteratorINS9_10device_ptrItEEEESE_PNS0_10empty_typeENS0_5tupleIJSE_SF_EEENSH_IJSE_SG_EEENS0_18inequality_wrapperINS9_8equal_toItEEEEPmJSF_EEE10hipError_tPvRmT3_T4_T5_T6_T7_T9_mT8_P12ihipStream_tbDpT10_ENKUlT_T0_E_clISt17integral_constantIbLb1EES18_EEDaS13_S14_EUlS13_E_NS1_11comp_targetILNS1_3genE9ELNS1_11target_archE1100ELNS1_3gpuE3ELNS1_3repE0EEENS1_30default_config_static_selectorELNS0_4arch9wavefront6targetE0EEEvT1_.kd
    .uniform_work_group_size: 1
    .uses_dynamic_stack: false
    .vgpr_count:     81
    .vgpr_spill_count: 0
    .wavefront_size: 32
    .workgroup_processor_mode: 1
  - .args:
      - .offset:         0
        .size:           128
        .value_kind:     by_value
    .group_segment_fixed_size: 0
    .kernarg_segment_align: 8
    .kernarg_segment_size: 128
    .language:       OpenCL C
    .language_version:
      - 2
      - 0
    .max_flat_workgroup_size: 384
    .name:           _ZN7rocprim17ROCPRIM_400000_NS6detail17trampoline_kernelINS0_14default_configENS1_25partition_config_selectorILNS1_17partition_subalgoE9EttbEEZZNS1_14partition_implILS5_9ELb0ES3_jN6thrust23THRUST_200600_302600_NS6detail15normal_iteratorINS9_10device_ptrItEEEESE_PNS0_10empty_typeENS0_5tupleIJSE_SF_EEENSH_IJSE_SG_EEENS0_18inequality_wrapperINS9_8equal_toItEEEEPmJSF_EEE10hipError_tPvRmT3_T4_T5_T6_T7_T9_mT8_P12ihipStream_tbDpT10_ENKUlT_T0_E_clISt17integral_constantIbLb1EES18_EEDaS13_S14_EUlS13_E_NS1_11comp_targetILNS1_3genE8ELNS1_11target_archE1030ELNS1_3gpuE2ELNS1_3repE0EEENS1_30default_config_static_selectorELNS0_4arch9wavefront6targetE0EEEvT1_
    .private_segment_fixed_size: 0
    .sgpr_count:     0
    .sgpr_spill_count: 0
    .symbol:         _ZN7rocprim17ROCPRIM_400000_NS6detail17trampoline_kernelINS0_14default_configENS1_25partition_config_selectorILNS1_17partition_subalgoE9EttbEEZZNS1_14partition_implILS5_9ELb0ES3_jN6thrust23THRUST_200600_302600_NS6detail15normal_iteratorINS9_10device_ptrItEEEESE_PNS0_10empty_typeENS0_5tupleIJSE_SF_EEENSH_IJSE_SG_EEENS0_18inequality_wrapperINS9_8equal_toItEEEEPmJSF_EEE10hipError_tPvRmT3_T4_T5_T6_T7_T9_mT8_P12ihipStream_tbDpT10_ENKUlT_T0_E_clISt17integral_constantIbLb1EES18_EEDaS13_S14_EUlS13_E_NS1_11comp_targetILNS1_3genE8ELNS1_11target_archE1030ELNS1_3gpuE2ELNS1_3repE0EEENS1_30default_config_static_selectorELNS0_4arch9wavefront6targetE0EEEvT1_.kd
    .uniform_work_group_size: 1
    .uses_dynamic_stack: false
    .vgpr_count:     0
    .vgpr_spill_count: 0
    .wavefront_size: 32
    .workgroup_processor_mode: 1
  - .args:
      - .offset:         0
        .size:           112
        .value_kind:     by_value
    .group_segment_fixed_size: 0
    .kernarg_segment_align: 8
    .kernarg_segment_size: 112
    .language:       OpenCL C
    .language_version:
      - 2
      - 0
    .max_flat_workgroup_size: 256
    .name:           _ZN7rocprim17ROCPRIM_400000_NS6detail17trampoline_kernelINS0_14default_configENS1_25partition_config_selectorILNS1_17partition_subalgoE9EttbEEZZNS1_14partition_implILS5_9ELb0ES3_jN6thrust23THRUST_200600_302600_NS6detail15normal_iteratorINS9_10device_ptrItEEEESE_PNS0_10empty_typeENS0_5tupleIJSE_SF_EEENSH_IJSE_SG_EEENS0_18inequality_wrapperINS9_8equal_toItEEEEPmJSF_EEE10hipError_tPvRmT3_T4_T5_T6_T7_T9_mT8_P12ihipStream_tbDpT10_ENKUlT_T0_E_clISt17integral_constantIbLb1EES17_IbLb0EEEEDaS13_S14_EUlS13_E_NS1_11comp_targetILNS1_3genE0ELNS1_11target_archE4294967295ELNS1_3gpuE0ELNS1_3repE0EEENS1_30default_config_static_selectorELNS0_4arch9wavefront6targetE0EEEvT1_
    .private_segment_fixed_size: 0
    .sgpr_count:     0
    .sgpr_spill_count: 0
    .symbol:         _ZN7rocprim17ROCPRIM_400000_NS6detail17trampoline_kernelINS0_14default_configENS1_25partition_config_selectorILNS1_17partition_subalgoE9EttbEEZZNS1_14partition_implILS5_9ELb0ES3_jN6thrust23THRUST_200600_302600_NS6detail15normal_iteratorINS9_10device_ptrItEEEESE_PNS0_10empty_typeENS0_5tupleIJSE_SF_EEENSH_IJSE_SG_EEENS0_18inequality_wrapperINS9_8equal_toItEEEEPmJSF_EEE10hipError_tPvRmT3_T4_T5_T6_T7_T9_mT8_P12ihipStream_tbDpT10_ENKUlT_T0_E_clISt17integral_constantIbLb1EES17_IbLb0EEEEDaS13_S14_EUlS13_E_NS1_11comp_targetILNS1_3genE0ELNS1_11target_archE4294967295ELNS1_3gpuE0ELNS1_3repE0EEENS1_30default_config_static_selectorELNS0_4arch9wavefront6targetE0EEEvT1_.kd
    .uniform_work_group_size: 1
    .uses_dynamic_stack: false
    .vgpr_count:     0
    .vgpr_spill_count: 0
    .wavefront_size: 32
    .workgroup_processor_mode: 1
  - .args:
      - .offset:         0
        .size:           112
        .value_kind:     by_value
    .group_segment_fixed_size: 0
    .kernarg_segment_align: 8
    .kernarg_segment_size: 112
    .language:       OpenCL C
    .language_version:
      - 2
      - 0
    .max_flat_workgroup_size: 512
    .name:           _ZN7rocprim17ROCPRIM_400000_NS6detail17trampoline_kernelINS0_14default_configENS1_25partition_config_selectorILNS1_17partition_subalgoE9EttbEEZZNS1_14partition_implILS5_9ELb0ES3_jN6thrust23THRUST_200600_302600_NS6detail15normal_iteratorINS9_10device_ptrItEEEESE_PNS0_10empty_typeENS0_5tupleIJSE_SF_EEENSH_IJSE_SG_EEENS0_18inequality_wrapperINS9_8equal_toItEEEEPmJSF_EEE10hipError_tPvRmT3_T4_T5_T6_T7_T9_mT8_P12ihipStream_tbDpT10_ENKUlT_T0_E_clISt17integral_constantIbLb1EES17_IbLb0EEEEDaS13_S14_EUlS13_E_NS1_11comp_targetILNS1_3genE5ELNS1_11target_archE942ELNS1_3gpuE9ELNS1_3repE0EEENS1_30default_config_static_selectorELNS0_4arch9wavefront6targetE0EEEvT1_
    .private_segment_fixed_size: 0
    .sgpr_count:     0
    .sgpr_spill_count: 0
    .symbol:         _ZN7rocprim17ROCPRIM_400000_NS6detail17trampoline_kernelINS0_14default_configENS1_25partition_config_selectorILNS1_17partition_subalgoE9EttbEEZZNS1_14partition_implILS5_9ELb0ES3_jN6thrust23THRUST_200600_302600_NS6detail15normal_iteratorINS9_10device_ptrItEEEESE_PNS0_10empty_typeENS0_5tupleIJSE_SF_EEENSH_IJSE_SG_EEENS0_18inequality_wrapperINS9_8equal_toItEEEEPmJSF_EEE10hipError_tPvRmT3_T4_T5_T6_T7_T9_mT8_P12ihipStream_tbDpT10_ENKUlT_T0_E_clISt17integral_constantIbLb1EES17_IbLb0EEEEDaS13_S14_EUlS13_E_NS1_11comp_targetILNS1_3genE5ELNS1_11target_archE942ELNS1_3gpuE9ELNS1_3repE0EEENS1_30default_config_static_selectorELNS0_4arch9wavefront6targetE0EEEvT1_.kd
    .uniform_work_group_size: 1
    .uses_dynamic_stack: false
    .vgpr_count:     0
    .vgpr_spill_count: 0
    .wavefront_size: 32
    .workgroup_processor_mode: 1
  - .args:
      - .offset:         0
        .size:           112
        .value_kind:     by_value
    .group_segment_fixed_size: 0
    .kernarg_segment_align: 8
    .kernarg_segment_size: 112
    .language:       OpenCL C
    .language_version:
      - 2
      - 0
    .max_flat_workgroup_size: 256
    .name:           _ZN7rocprim17ROCPRIM_400000_NS6detail17trampoline_kernelINS0_14default_configENS1_25partition_config_selectorILNS1_17partition_subalgoE9EttbEEZZNS1_14partition_implILS5_9ELb0ES3_jN6thrust23THRUST_200600_302600_NS6detail15normal_iteratorINS9_10device_ptrItEEEESE_PNS0_10empty_typeENS0_5tupleIJSE_SF_EEENSH_IJSE_SG_EEENS0_18inequality_wrapperINS9_8equal_toItEEEEPmJSF_EEE10hipError_tPvRmT3_T4_T5_T6_T7_T9_mT8_P12ihipStream_tbDpT10_ENKUlT_T0_E_clISt17integral_constantIbLb1EES17_IbLb0EEEEDaS13_S14_EUlS13_E_NS1_11comp_targetILNS1_3genE4ELNS1_11target_archE910ELNS1_3gpuE8ELNS1_3repE0EEENS1_30default_config_static_selectorELNS0_4arch9wavefront6targetE0EEEvT1_
    .private_segment_fixed_size: 0
    .sgpr_count:     0
    .sgpr_spill_count: 0
    .symbol:         _ZN7rocprim17ROCPRIM_400000_NS6detail17trampoline_kernelINS0_14default_configENS1_25partition_config_selectorILNS1_17partition_subalgoE9EttbEEZZNS1_14partition_implILS5_9ELb0ES3_jN6thrust23THRUST_200600_302600_NS6detail15normal_iteratorINS9_10device_ptrItEEEESE_PNS0_10empty_typeENS0_5tupleIJSE_SF_EEENSH_IJSE_SG_EEENS0_18inequality_wrapperINS9_8equal_toItEEEEPmJSF_EEE10hipError_tPvRmT3_T4_T5_T6_T7_T9_mT8_P12ihipStream_tbDpT10_ENKUlT_T0_E_clISt17integral_constantIbLb1EES17_IbLb0EEEEDaS13_S14_EUlS13_E_NS1_11comp_targetILNS1_3genE4ELNS1_11target_archE910ELNS1_3gpuE8ELNS1_3repE0EEENS1_30default_config_static_selectorELNS0_4arch9wavefront6targetE0EEEvT1_.kd
    .uniform_work_group_size: 1
    .uses_dynamic_stack: false
    .vgpr_count:     0
    .vgpr_spill_count: 0
    .wavefront_size: 32
    .workgroup_processor_mode: 1
  - .args:
      - .offset:         0
        .size:           112
        .value_kind:     by_value
    .group_segment_fixed_size: 0
    .kernarg_segment_align: 8
    .kernarg_segment_size: 112
    .language:       OpenCL C
    .language_version:
      - 2
      - 0
    .max_flat_workgroup_size: 256
    .name:           _ZN7rocprim17ROCPRIM_400000_NS6detail17trampoline_kernelINS0_14default_configENS1_25partition_config_selectorILNS1_17partition_subalgoE9EttbEEZZNS1_14partition_implILS5_9ELb0ES3_jN6thrust23THRUST_200600_302600_NS6detail15normal_iteratorINS9_10device_ptrItEEEESE_PNS0_10empty_typeENS0_5tupleIJSE_SF_EEENSH_IJSE_SG_EEENS0_18inequality_wrapperINS9_8equal_toItEEEEPmJSF_EEE10hipError_tPvRmT3_T4_T5_T6_T7_T9_mT8_P12ihipStream_tbDpT10_ENKUlT_T0_E_clISt17integral_constantIbLb1EES17_IbLb0EEEEDaS13_S14_EUlS13_E_NS1_11comp_targetILNS1_3genE3ELNS1_11target_archE908ELNS1_3gpuE7ELNS1_3repE0EEENS1_30default_config_static_selectorELNS0_4arch9wavefront6targetE0EEEvT1_
    .private_segment_fixed_size: 0
    .sgpr_count:     0
    .sgpr_spill_count: 0
    .symbol:         _ZN7rocprim17ROCPRIM_400000_NS6detail17trampoline_kernelINS0_14default_configENS1_25partition_config_selectorILNS1_17partition_subalgoE9EttbEEZZNS1_14partition_implILS5_9ELb0ES3_jN6thrust23THRUST_200600_302600_NS6detail15normal_iteratorINS9_10device_ptrItEEEESE_PNS0_10empty_typeENS0_5tupleIJSE_SF_EEENSH_IJSE_SG_EEENS0_18inequality_wrapperINS9_8equal_toItEEEEPmJSF_EEE10hipError_tPvRmT3_T4_T5_T6_T7_T9_mT8_P12ihipStream_tbDpT10_ENKUlT_T0_E_clISt17integral_constantIbLb1EES17_IbLb0EEEEDaS13_S14_EUlS13_E_NS1_11comp_targetILNS1_3genE3ELNS1_11target_archE908ELNS1_3gpuE7ELNS1_3repE0EEENS1_30default_config_static_selectorELNS0_4arch9wavefront6targetE0EEEvT1_.kd
    .uniform_work_group_size: 1
    .uses_dynamic_stack: false
    .vgpr_count:     0
    .vgpr_spill_count: 0
    .wavefront_size: 32
    .workgroup_processor_mode: 1
  - .args:
      - .offset:         0
        .size:           112
        .value_kind:     by_value
    .group_segment_fixed_size: 0
    .kernarg_segment_align: 8
    .kernarg_segment_size: 112
    .language:       OpenCL C
    .language_version:
      - 2
      - 0
    .max_flat_workgroup_size: 256
    .name:           _ZN7rocprim17ROCPRIM_400000_NS6detail17trampoline_kernelINS0_14default_configENS1_25partition_config_selectorILNS1_17partition_subalgoE9EttbEEZZNS1_14partition_implILS5_9ELb0ES3_jN6thrust23THRUST_200600_302600_NS6detail15normal_iteratorINS9_10device_ptrItEEEESE_PNS0_10empty_typeENS0_5tupleIJSE_SF_EEENSH_IJSE_SG_EEENS0_18inequality_wrapperINS9_8equal_toItEEEEPmJSF_EEE10hipError_tPvRmT3_T4_T5_T6_T7_T9_mT8_P12ihipStream_tbDpT10_ENKUlT_T0_E_clISt17integral_constantIbLb1EES17_IbLb0EEEEDaS13_S14_EUlS13_E_NS1_11comp_targetILNS1_3genE2ELNS1_11target_archE906ELNS1_3gpuE6ELNS1_3repE0EEENS1_30default_config_static_selectorELNS0_4arch9wavefront6targetE0EEEvT1_
    .private_segment_fixed_size: 0
    .sgpr_count:     0
    .sgpr_spill_count: 0
    .symbol:         _ZN7rocprim17ROCPRIM_400000_NS6detail17trampoline_kernelINS0_14default_configENS1_25partition_config_selectorILNS1_17partition_subalgoE9EttbEEZZNS1_14partition_implILS5_9ELb0ES3_jN6thrust23THRUST_200600_302600_NS6detail15normal_iteratorINS9_10device_ptrItEEEESE_PNS0_10empty_typeENS0_5tupleIJSE_SF_EEENSH_IJSE_SG_EEENS0_18inequality_wrapperINS9_8equal_toItEEEEPmJSF_EEE10hipError_tPvRmT3_T4_T5_T6_T7_T9_mT8_P12ihipStream_tbDpT10_ENKUlT_T0_E_clISt17integral_constantIbLb1EES17_IbLb0EEEEDaS13_S14_EUlS13_E_NS1_11comp_targetILNS1_3genE2ELNS1_11target_archE906ELNS1_3gpuE6ELNS1_3repE0EEENS1_30default_config_static_selectorELNS0_4arch9wavefront6targetE0EEEvT1_.kd
    .uniform_work_group_size: 1
    .uses_dynamic_stack: false
    .vgpr_count:     0
    .vgpr_spill_count: 0
    .wavefront_size: 32
    .workgroup_processor_mode: 1
  - .args:
      - .offset:         0
        .size:           112
        .value_kind:     by_value
    .group_segment_fixed_size: 0
    .kernarg_segment_align: 8
    .kernarg_segment_size: 112
    .language:       OpenCL C
    .language_version:
      - 2
      - 0
    .max_flat_workgroup_size: 512
    .name:           _ZN7rocprim17ROCPRIM_400000_NS6detail17trampoline_kernelINS0_14default_configENS1_25partition_config_selectorILNS1_17partition_subalgoE9EttbEEZZNS1_14partition_implILS5_9ELb0ES3_jN6thrust23THRUST_200600_302600_NS6detail15normal_iteratorINS9_10device_ptrItEEEESE_PNS0_10empty_typeENS0_5tupleIJSE_SF_EEENSH_IJSE_SG_EEENS0_18inequality_wrapperINS9_8equal_toItEEEEPmJSF_EEE10hipError_tPvRmT3_T4_T5_T6_T7_T9_mT8_P12ihipStream_tbDpT10_ENKUlT_T0_E_clISt17integral_constantIbLb1EES17_IbLb0EEEEDaS13_S14_EUlS13_E_NS1_11comp_targetILNS1_3genE10ELNS1_11target_archE1200ELNS1_3gpuE4ELNS1_3repE0EEENS1_30default_config_static_selectorELNS0_4arch9wavefront6targetE0EEEvT1_
    .private_segment_fixed_size: 0
    .sgpr_count:     0
    .sgpr_spill_count: 0
    .symbol:         _ZN7rocprim17ROCPRIM_400000_NS6detail17trampoline_kernelINS0_14default_configENS1_25partition_config_selectorILNS1_17partition_subalgoE9EttbEEZZNS1_14partition_implILS5_9ELb0ES3_jN6thrust23THRUST_200600_302600_NS6detail15normal_iteratorINS9_10device_ptrItEEEESE_PNS0_10empty_typeENS0_5tupleIJSE_SF_EEENSH_IJSE_SG_EEENS0_18inequality_wrapperINS9_8equal_toItEEEEPmJSF_EEE10hipError_tPvRmT3_T4_T5_T6_T7_T9_mT8_P12ihipStream_tbDpT10_ENKUlT_T0_E_clISt17integral_constantIbLb1EES17_IbLb0EEEEDaS13_S14_EUlS13_E_NS1_11comp_targetILNS1_3genE10ELNS1_11target_archE1200ELNS1_3gpuE4ELNS1_3repE0EEENS1_30default_config_static_selectorELNS0_4arch9wavefront6targetE0EEEvT1_.kd
    .uniform_work_group_size: 1
    .uses_dynamic_stack: false
    .vgpr_count:     0
    .vgpr_spill_count: 0
    .wavefront_size: 32
    .workgroup_processor_mode: 1
  - .args:
      - .offset:         0
        .size:           112
        .value_kind:     by_value
    .group_segment_fixed_size: 3080
    .kernarg_segment_align: 8
    .kernarg_segment_size: 112
    .language:       OpenCL C
    .language_version:
      - 2
      - 0
    .max_flat_workgroup_size: 128
    .name:           _ZN7rocprim17ROCPRIM_400000_NS6detail17trampoline_kernelINS0_14default_configENS1_25partition_config_selectorILNS1_17partition_subalgoE9EttbEEZZNS1_14partition_implILS5_9ELb0ES3_jN6thrust23THRUST_200600_302600_NS6detail15normal_iteratorINS9_10device_ptrItEEEESE_PNS0_10empty_typeENS0_5tupleIJSE_SF_EEENSH_IJSE_SG_EEENS0_18inequality_wrapperINS9_8equal_toItEEEEPmJSF_EEE10hipError_tPvRmT3_T4_T5_T6_T7_T9_mT8_P12ihipStream_tbDpT10_ENKUlT_T0_E_clISt17integral_constantIbLb1EES17_IbLb0EEEEDaS13_S14_EUlS13_E_NS1_11comp_targetILNS1_3genE9ELNS1_11target_archE1100ELNS1_3gpuE3ELNS1_3repE0EEENS1_30default_config_static_selectorELNS0_4arch9wavefront6targetE0EEEvT1_
    .private_segment_fixed_size: 0
    .sgpr_count:     26
    .sgpr_spill_count: 0
    .symbol:         _ZN7rocprim17ROCPRIM_400000_NS6detail17trampoline_kernelINS0_14default_configENS1_25partition_config_selectorILNS1_17partition_subalgoE9EttbEEZZNS1_14partition_implILS5_9ELb0ES3_jN6thrust23THRUST_200600_302600_NS6detail15normal_iteratorINS9_10device_ptrItEEEESE_PNS0_10empty_typeENS0_5tupleIJSE_SF_EEENSH_IJSE_SG_EEENS0_18inequality_wrapperINS9_8equal_toItEEEEPmJSF_EEE10hipError_tPvRmT3_T4_T5_T6_T7_T9_mT8_P12ihipStream_tbDpT10_ENKUlT_T0_E_clISt17integral_constantIbLb1EES17_IbLb0EEEEDaS13_S14_EUlS13_E_NS1_11comp_targetILNS1_3genE9ELNS1_11target_archE1100ELNS1_3gpuE3ELNS1_3repE0EEENS1_30default_config_static_selectorELNS0_4arch9wavefront6targetE0EEEvT1_.kd
    .uniform_work_group_size: 1
    .uses_dynamic_stack: false
    .vgpr_count:     81
    .vgpr_spill_count: 0
    .wavefront_size: 32
    .workgroup_processor_mode: 1
  - .args:
      - .offset:         0
        .size:           112
        .value_kind:     by_value
    .group_segment_fixed_size: 0
    .kernarg_segment_align: 8
    .kernarg_segment_size: 112
    .language:       OpenCL C
    .language_version:
      - 2
      - 0
    .max_flat_workgroup_size: 384
    .name:           _ZN7rocprim17ROCPRIM_400000_NS6detail17trampoline_kernelINS0_14default_configENS1_25partition_config_selectorILNS1_17partition_subalgoE9EttbEEZZNS1_14partition_implILS5_9ELb0ES3_jN6thrust23THRUST_200600_302600_NS6detail15normal_iteratorINS9_10device_ptrItEEEESE_PNS0_10empty_typeENS0_5tupleIJSE_SF_EEENSH_IJSE_SG_EEENS0_18inequality_wrapperINS9_8equal_toItEEEEPmJSF_EEE10hipError_tPvRmT3_T4_T5_T6_T7_T9_mT8_P12ihipStream_tbDpT10_ENKUlT_T0_E_clISt17integral_constantIbLb1EES17_IbLb0EEEEDaS13_S14_EUlS13_E_NS1_11comp_targetILNS1_3genE8ELNS1_11target_archE1030ELNS1_3gpuE2ELNS1_3repE0EEENS1_30default_config_static_selectorELNS0_4arch9wavefront6targetE0EEEvT1_
    .private_segment_fixed_size: 0
    .sgpr_count:     0
    .sgpr_spill_count: 0
    .symbol:         _ZN7rocprim17ROCPRIM_400000_NS6detail17trampoline_kernelINS0_14default_configENS1_25partition_config_selectorILNS1_17partition_subalgoE9EttbEEZZNS1_14partition_implILS5_9ELb0ES3_jN6thrust23THRUST_200600_302600_NS6detail15normal_iteratorINS9_10device_ptrItEEEESE_PNS0_10empty_typeENS0_5tupleIJSE_SF_EEENSH_IJSE_SG_EEENS0_18inequality_wrapperINS9_8equal_toItEEEEPmJSF_EEE10hipError_tPvRmT3_T4_T5_T6_T7_T9_mT8_P12ihipStream_tbDpT10_ENKUlT_T0_E_clISt17integral_constantIbLb1EES17_IbLb0EEEEDaS13_S14_EUlS13_E_NS1_11comp_targetILNS1_3genE8ELNS1_11target_archE1030ELNS1_3gpuE2ELNS1_3repE0EEENS1_30default_config_static_selectorELNS0_4arch9wavefront6targetE0EEEvT1_.kd
    .uniform_work_group_size: 1
    .uses_dynamic_stack: false
    .vgpr_count:     0
    .vgpr_spill_count: 0
    .wavefront_size: 32
    .workgroup_processor_mode: 1
  - .args:
      - .offset:         0
        .size:           128
        .value_kind:     by_value
    .group_segment_fixed_size: 0
    .kernarg_segment_align: 8
    .kernarg_segment_size: 128
    .language:       OpenCL C
    .language_version:
      - 2
      - 0
    .max_flat_workgroup_size: 256
    .name:           _ZN7rocprim17ROCPRIM_400000_NS6detail17trampoline_kernelINS0_14default_configENS1_25partition_config_selectorILNS1_17partition_subalgoE9EttbEEZZNS1_14partition_implILS5_9ELb0ES3_jN6thrust23THRUST_200600_302600_NS6detail15normal_iteratorINS9_10device_ptrItEEEESE_PNS0_10empty_typeENS0_5tupleIJSE_SF_EEENSH_IJSE_SG_EEENS0_18inequality_wrapperINS9_8equal_toItEEEEPmJSF_EEE10hipError_tPvRmT3_T4_T5_T6_T7_T9_mT8_P12ihipStream_tbDpT10_ENKUlT_T0_E_clISt17integral_constantIbLb0EES17_IbLb1EEEEDaS13_S14_EUlS13_E_NS1_11comp_targetILNS1_3genE0ELNS1_11target_archE4294967295ELNS1_3gpuE0ELNS1_3repE0EEENS1_30default_config_static_selectorELNS0_4arch9wavefront6targetE0EEEvT1_
    .private_segment_fixed_size: 0
    .sgpr_count:     0
    .sgpr_spill_count: 0
    .symbol:         _ZN7rocprim17ROCPRIM_400000_NS6detail17trampoline_kernelINS0_14default_configENS1_25partition_config_selectorILNS1_17partition_subalgoE9EttbEEZZNS1_14partition_implILS5_9ELb0ES3_jN6thrust23THRUST_200600_302600_NS6detail15normal_iteratorINS9_10device_ptrItEEEESE_PNS0_10empty_typeENS0_5tupleIJSE_SF_EEENSH_IJSE_SG_EEENS0_18inequality_wrapperINS9_8equal_toItEEEEPmJSF_EEE10hipError_tPvRmT3_T4_T5_T6_T7_T9_mT8_P12ihipStream_tbDpT10_ENKUlT_T0_E_clISt17integral_constantIbLb0EES17_IbLb1EEEEDaS13_S14_EUlS13_E_NS1_11comp_targetILNS1_3genE0ELNS1_11target_archE4294967295ELNS1_3gpuE0ELNS1_3repE0EEENS1_30default_config_static_selectorELNS0_4arch9wavefront6targetE0EEEvT1_.kd
    .uniform_work_group_size: 1
    .uses_dynamic_stack: false
    .vgpr_count:     0
    .vgpr_spill_count: 0
    .wavefront_size: 32
    .workgroup_processor_mode: 1
  - .args:
      - .offset:         0
        .size:           128
        .value_kind:     by_value
    .group_segment_fixed_size: 0
    .kernarg_segment_align: 8
    .kernarg_segment_size: 128
    .language:       OpenCL C
    .language_version:
      - 2
      - 0
    .max_flat_workgroup_size: 512
    .name:           _ZN7rocprim17ROCPRIM_400000_NS6detail17trampoline_kernelINS0_14default_configENS1_25partition_config_selectorILNS1_17partition_subalgoE9EttbEEZZNS1_14partition_implILS5_9ELb0ES3_jN6thrust23THRUST_200600_302600_NS6detail15normal_iteratorINS9_10device_ptrItEEEESE_PNS0_10empty_typeENS0_5tupleIJSE_SF_EEENSH_IJSE_SG_EEENS0_18inequality_wrapperINS9_8equal_toItEEEEPmJSF_EEE10hipError_tPvRmT3_T4_T5_T6_T7_T9_mT8_P12ihipStream_tbDpT10_ENKUlT_T0_E_clISt17integral_constantIbLb0EES17_IbLb1EEEEDaS13_S14_EUlS13_E_NS1_11comp_targetILNS1_3genE5ELNS1_11target_archE942ELNS1_3gpuE9ELNS1_3repE0EEENS1_30default_config_static_selectorELNS0_4arch9wavefront6targetE0EEEvT1_
    .private_segment_fixed_size: 0
    .sgpr_count:     0
    .sgpr_spill_count: 0
    .symbol:         _ZN7rocprim17ROCPRIM_400000_NS6detail17trampoline_kernelINS0_14default_configENS1_25partition_config_selectorILNS1_17partition_subalgoE9EttbEEZZNS1_14partition_implILS5_9ELb0ES3_jN6thrust23THRUST_200600_302600_NS6detail15normal_iteratorINS9_10device_ptrItEEEESE_PNS0_10empty_typeENS0_5tupleIJSE_SF_EEENSH_IJSE_SG_EEENS0_18inequality_wrapperINS9_8equal_toItEEEEPmJSF_EEE10hipError_tPvRmT3_T4_T5_T6_T7_T9_mT8_P12ihipStream_tbDpT10_ENKUlT_T0_E_clISt17integral_constantIbLb0EES17_IbLb1EEEEDaS13_S14_EUlS13_E_NS1_11comp_targetILNS1_3genE5ELNS1_11target_archE942ELNS1_3gpuE9ELNS1_3repE0EEENS1_30default_config_static_selectorELNS0_4arch9wavefront6targetE0EEEvT1_.kd
    .uniform_work_group_size: 1
    .uses_dynamic_stack: false
    .vgpr_count:     0
    .vgpr_spill_count: 0
    .wavefront_size: 32
    .workgroup_processor_mode: 1
  - .args:
      - .offset:         0
        .size:           128
        .value_kind:     by_value
    .group_segment_fixed_size: 0
    .kernarg_segment_align: 8
    .kernarg_segment_size: 128
    .language:       OpenCL C
    .language_version:
      - 2
      - 0
    .max_flat_workgroup_size: 256
    .name:           _ZN7rocprim17ROCPRIM_400000_NS6detail17trampoline_kernelINS0_14default_configENS1_25partition_config_selectorILNS1_17partition_subalgoE9EttbEEZZNS1_14partition_implILS5_9ELb0ES3_jN6thrust23THRUST_200600_302600_NS6detail15normal_iteratorINS9_10device_ptrItEEEESE_PNS0_10empty_typeENS0_5tupleIJSE_SF_EEENSH_IJSE_SG_EEENS0_18inequality_wrapperINS9_8equal_toItEEEEPmJSF_EEE10hipError_tPvRmT3_T4_T5_T6_T7_T9_mT8_P12ihipStream_tbDpT10_ENKUlT_T0_E_clISt17integral_constantIbLb0EES17_IbLb1EEEEDaS13_S14_EUlS13_E_NS1_11comp_targetILNS1_3genE4ELNS1_11target_archE910ELNS1_3gpuE8ELNS1_3repE0EEENS1_30default_config_static_selectorELNS0_4arch9wavefront6targetE0EEEvT1_
    .private_segment_fixed_size: 0
    .sgpr_count:     0
    .sgpr_spill_count: 0
    .symbol:         _ZN7rocprim17ROCPRIM_400000_NS6detail17trampoline_kernelINS0_14default_configENS1_25partition_config_selectorILNS1_17partition_subalgoE9EttbEEZZNS1_14partition_implILS5_9ELb0ES3_jN6thrust23THRUST_200600_302600_NS6detail15normal_iteratorINS9_10device_ptrItEEEESE_PNS0_10empty_typeENS0_5tupleIJSE_SF_EEENSH_IJSE_SG_EEENS0_18inequality_wrapperINS9_8equal_toItEEEEPmJSF_EEE10hipError_tPvRmT3_T4_T5_T6_T7_T9_mT8_P12ihipStream_tbDpT10_ENKUlT_T0_E_clISt17integral_constantIbLb0EES17_IbLb1EEEEDaS13_S14_EUlS13_E_NS1_11comp_targetILNS1_3genE4ELNS1_11target_archE910ELNS1_3gpuE8ELNS1_3repE0EEENS1_30default_config_static_selectorELNS0_4arch9wavefront6targetE0EEEvT1_.kd
    .uniform_work_group_size: 1
    .uses_dynamic_stack: false
    .vgpr_count:     0
    .vgpr_spill_count: 0
    .wavefront_size: 32
    .workgroup_processor_mode: 1
  - .args:
      - .offset:         0
        .size:           128
        .value_kind:     by_value
    .group_segment_fixed_size: 0
    .kernarg_segment_align: 8
    .kernarg_segment_size: 128
    .language:       OpenCL C
    .language_version:
      - 2
      - 0
    .max_flat_workgroup_size: 256
    .name:           _ZN7rocprim17ROCPRIM_400000_NS6detail17trampoline_kernelINS0_14default_configENS1_25partition_config_selectorILNS1_17partition_subalgoE9EttbEEZZNS1_14partition_implILS5_9ELb0ES3_jN6thrust23THRUST_200600_302600_NS6detail15normal_iteratorINS9_10device_ptrItEEEESE_PNS0_10empty_typeENS0_5tupleIJSE_SF_EEENSH_IJSE_SG_EEENS0_18inequality_wrapperINS9_8equal_toItEEEEPmJSF_EEE10hipError_tPvRmT3_T4_T5_T6_T7_T9_mT8_P12ihipStream_tbDpT10_ENKUlT_T0_E_clISt17integral_constantIbLb0EES17_IbLb1EEEEDaS13_S14_EUlS13_E_NS1_11comp_targetILNS1_3genE3ELNS1_11target_archE908ELNS1_3gpuE7ELNS1_3repE0EEENS1_30default_config_static_selectorELNS0_4arch9wavefront6targetE0EEEvT1_
    .private_segment_fixed_size: 0
    .sgpr_count:     0
    .sgpr_spill_count: 0
    .symbol:         _ZN7rocprim17ROCPRIM_400000_NS6detail17trampoline_kernelINS0_14default_configENS1_25partition_config_selectorILNS1_17partition_subalgoE9EttbEEZZNS1_14partition_implILS5_9ELb0ES3_jN6thrust23THRUST_200600_302600_NS6detail15normal_iteratorINS9_10device_ptrItEEEESE_PNS0_10empty_typeENS0_5tupleIJSE_SF_EEENSH_IJSE_SG_EEENS0_18inequality_wrapperINS9_8equal_toItEEEEPmJSF_EEE10hipError_tPvRmT3_T4_T5_T6_T7_T9_mT8_P12ihipStream_tbDpT10_ENKUlT_T0_E_clISt17integral_constantIbLb0EES17_IbLb1EEEEDaS13_S14_EUlS13_E_NS1_11comp_targetILNS1_3genE3ELNS1_11target_archE908ELNS1_3gpuE7ELNS1_3repE0EEENS1_30default_config_static_selectorELNS0_4arch9wavefront6targetE0EEEvT1_.kd
    .uniform_work_group_size: 1
    .uses_dynamic_stack: false
    .vgpr_count:     0
    .vgpr_spill_count: 0
    .wavefront_size: 32
    .workgroup_processor_mode: 1
  - .args:
      - .offset:         0
        .size:           128
        .value_kind:     by_value
    .group_segment_fixed_size: 0
    .kernarg_segment_align: 8
    .kernarg_segment_size: 128
    .language:       OpenCL C
    .language_version:
      - 2
      - 0
    .max_flat_workgroup_size: 256
    .name:           _ZN7rocprim17ROCPRIM_400000_NS6detail17trampoline_kernelINS0_14default_configENS1_25partition_config_selectorILNS1_17partition_subalgoE9EttbEEZZNS1_14partition_implILS5_9ELb0ES3_jN6thrust23THRUST_200600_302600_NS6detail15normal_iteratorINS9_10device_ptrItEEEESE_PNS0_10empty_typeENS0_5tupleIJSE_SF_EEENSH_IJSE_SG_EEENS0_18inequality_wrapperINS9_8equal_toItEEEEPmJSF_EEE10hipError_tPvRmT3_T4_T5_T6_T7_T9_mT8_P12ihipStream_tbDpT10_ENKUlT_T0_E_clISt17integral_constantIbLb0EES17_IbLb1EEEEDaS13_S14_EUlS13_E_NS1_11comp_targetILNS1_3genE2ELNS1_11target_archE906ELNS1_3gpuE6ELNS1_3repE0EEENS1_30default_config_static_selectorELNS0_4arch9wavefront6targetE0EEEvT1_
    .private_segment_fixed_size: 0
    .sgpr_count:     0
    .sgpr_spill_count: 0
    .symbol:         _ZN7rocprim17ROCPRIM_400000_NS6detail17trampoline_kernelINS0_14default_configENS1_25partition_config_selectorILNS1_17partition_subalgoE9EttbEEZZNS1_14partition_implILS5_9ELb0ES3_jN6thrust23THRUST_200600_302600_NS6detail15normal_iteratorINS9_10device_ptrItEEEESE_PNS0_10empty_typeENS0_5tupleIJSE_SF_EEENSH_IJSE_SG_EEENS0_18inequality_wrapperINS9_8equal_toItEEEEPmJSF_EEE10hipError_tPvRmT3_T4_T5_T6_T7_T9_mT8_P12ihipStream_tbDpT10_ENKUlT_T0_E_clISt17integral_constantIbLb0EES17_IbLb1EEEEDaS13_S14_EUlS13_E_NS1_11comp_targetILNS1_3genE2ELNS1_11target_archE906ELNS1_3gpuE6ELNS1_3repE0EEENS1_30default_config_static_selectorELNS0_4arch9wavefront6targetE0EEEvT1_.kd
    .uniform_work_group_size: 1
    .uses_dynamic_stack: false
    .vgpr_count:     0
    .vgpr_spill_count: 0
    .wavefront_size: 32
    .workgroup_processor_mode: 1
  - .args:
      - .offset:         0
        .size:           128
        .value_kind:     by_value
    .group_segment_fixed_size: 0
    .kernarg_segment_align: 8
    .kernarg_segment_size: 128
    .language:       OpenCL C
    .language_version:
      - 2
      - 0
    .max_flat_workgroup_size: 512
    .name:           _ZN7rocprim17ROCPRIM_400000_NS6detail17trampoline_kernelINS0_14default_configENS1_25partition_config_selectorILNS1_17partition_subalgoE9EttbEEZZNS1_14partition_implILS5_9ELb0ES3_jN6thrust23THRUST_200600_302600_NS6detail15normal_iteratorINS9_10device_ptrItEEEESE_PNS0_10empty_typeENS0_5tupleIJSE_SF_EEENSH_IJSE_SG_EEENS0_18inequality_wrapperINS9_8equal_toItEEEEPmJSF_EEE10hipError_tPvRmT3_T4_T5_T6_T7_T9_mT8_P12ihipStream_tbDpT10_ENKUlT_T0_E_clISt17integral_constantIbLb0EES17_IbLb1EEEEDaS13_S14_EUlS13_E_NS1_11comp_targetILNS1_3genE10ELNS1_11target_archE1200ELNS1_3gpuE4ELNS1_3repE0EEENS1_30default_config_static_selectorELNS0_4arch9wavefront6targetE0EEEvT1_
    .private_segment_fixed_size: 0
    .sgpr_count:     0
    .sgpr_spill_count: 0
    .symbol:         _ZN7rocprim17ROCPRIM_400000_NS6detail17trampoline_kernelINS0_14default_configENS1_25partition_config_selectorILNS1_17partition_subalgoE9EttbEEZZNS1_14partition_implILS5_9ELb0ES3_jN6thrust23THRUST_200600_302600_NS6detail15normal_iteratorINS9_10device_ptrItEEEESE_PNS0_10empty_typeENS0_5tupleIJSE_SF_EEENSH_IJSE_SG_EEENS0_18inequality_wrapperINS9_8equal_toItEEEEPmJSF_EEE10hipError_tPvRmT3_T4_T5_T6_T7_T9_mT8_P12ihipStream_tbDpT10_ENKUlT_T0_E_clISt17integral_constantIbLb0EES17_IbLb1EEEEDaS13_S14_EUlS13_E_NS1_11comp_targetILNS1_3genE10ELNS1_11target_archE1200ELNS1_3gpuE4ELNS1_3repE0EEENS1_30default_config_static_selectorELNS0_4arch9wavefront6targetE0EEEvT1_.kd
    .uniform_work_group_size: 1
    .uses_dynamic_stack: false
    .vgpr_count:     0
    .vgpr_spill_count: 0
    .wavefront_size: 32
    .workgroup_processor_mode: 1
  - .args:
      - .offset:         0
        .size:           128
        .value_kind:     by_value
    .group_segment_fixed_size: 3080
    .kernarg_segment_align: 8
    .kernarg_segment_size: 128
    .language:       OpenCL C
    .language_version:
      - 2
      - 0
    .max_flat_workgroup_size: 128
    .name:           _ZN7rocprim17ROCPRIM_400000_NS6detail17trampoline_kernelINS0_14default_configENS1_25partition_config_selectorILNS1_17partition_subalgoE9EttbEEZZNS1_14partition_implILS5_9ELb0ES3_jN6thrust23THRUST_200600_302600_NS6detail15normal_iteratorINS9_10device_ptrItEEEESE_PNS0_10empty_typeENS0_5tupleIJSE_SF_EEENSH_IJSE_SG_EEENS0_18inequality_wrapperINS9_8equal_toItEEEEPmJSF_EEE10hipError_tPvRmT3_T4_T5_T6_T7_T9_mT8_P12ihipStream_tbDpT10_ENKUlT_T0_E_clISt17integral_constantIbLb0EES17_IbLb1EEEEDaS13_S14_EUlS13_E_NS1_11comp_targetILNS1_3genE9ELNS1_11target_archE1100ELNS1_3gpuE3ELNS1_3repE0EEENS1_30default_config_static_selectorELNS0_4arch9wavefront6targetE0EEEvT1_
    .private_segment_fixed_size: 0
    .sgpr_count:     32
    .sgpr_spill_count: 0
    .symbol:         _ZN7rocprim17ROCPRIM_400000_NS6detail17trampoline_kernelINS0_14default_configENS1_25partition_config_selectorILNS1_17partition_subalgoE9EttbEEZZNS1_14partition_implILS5_9ELb0ES3_jN6thrust23THRUST_200600_302600_NS6detail15normal_iteratorINS9_10device_ptrItEEEESE_PNS0_10empty_typeENS0_5tupleIJSE_SF_EEENSH_IJSE_SG_EEENS0_18inequality_wrapperINS9_8equal_toItEEEEPmJSF_EEE10hipError_tPvRmT3_T4_T5_T6_T7_T9_mT8_P12ihipStream_tbDpT10_ENKUlT_T0_E_clISt17integral_constantIbLb0EES17_IbLb1EEEEDaS13_S14_EUlS13_E_NS1_11comp_targetILNS1_3genE9ELNS1_11target_archE1100ELNS1_3gpuE3ELNS1_3repE0EEENS1_30default_config_static_selectorELNS0_4arch9wavefront6targetE0EEEvT1_.kd
    .uniform_work_group_size: 1
    .uses_dynamic_stack: false
    .vgpr_count:     81
    .vgpr_spill_count: 0
    .wavefront_size: 32
    .workgroup_processor_mode: 1
  - .args:
      - .offset:         0
        .size:           128
        .value_kind:     by_value
    .group_segment_fixed_size: 0
    .kernarg_segment_align: 8
    .kernarg_segment_size: 128
    .language:       OpenCL C
    .language_version:
      - 2
      - 0
    .max_flat_workgroup_size: 384
    .name:           _ZN7rocprim17ROCPRIM_400000_NS6detail17trampoline_kernelINS0_14default_configENS1_25partition_config_selectorILNS1_17partition_subalgoE9EttbEEZZNS1_14partition_implILS5_9ELb0ES3_jN6thrust23THRUST_200600_302600_NS6detail15normal_iteratorINS9_10device_ptrItEEEESE_PNS0_10empty_typeENS0_5tupleIJSE_SF_EEENSH_IJSE_SG_EEENS0_18inequality_wrapperINS9_8equal_toItEEEEPmJSF_EEE10hipError_tPvRmT3_T4_T5_T6_T7_T9_mT8_P12ihipStream_tbDpT10_ENKUlT_T0_E_clISt17integral_constantIbLb0EES17_IbLb1EEEEDaS13_S14_EUlS13_E_NS1_11comp_targetILNS1_3genE8ELNS1_11target_archE1030ELNS1_3gpuE2ELNS1_3repE0EEENS1_30default_config_static_selectorELNS0_4arch9wavefront6targetE0EEEvT1_
    .private_segment_fixed_size: 0
    .sgpr_count:     0
    .sgpr_spill_count: 0
    .symbol:         _ZN7rocprim17ROCPRIM_400000_NS6detail17trampoline_kernelINS0_14default_configENS1_25partition_config_selectorILNS1_17partition_subalgoE9EttbEEZZNS1_14partition_implILS5_9ELb0ES3_jN6thrust23THRUST_200600_302600_NS6detail15normal_iteratorINS9_10device_ptrItEEEESE_PNS0_10empty_typeENS0_5tupleIJSE_SF_EEENSH_IJSE_SG_EEENS0_18inequality_wrapperINS9_8equal_toItEEEEPmJSF_EEE10hipError_tPvRmT3_T4_T5_T6_T7_T9_mT8_P12ihipStream_tbDpT10_ENKUlT_T0_E_clISt17integral_constantIbLb0EES17_IbLb1EEEEDaS13_S14_EUlS13_E_NS1_11comp_targetILNS1_3genE8ELNS1_11target_archE1030ELNS1_3gpuE2ELNS1_3repE0EEENS1_30default_config_static_selectorELNS0_4arch9wavefront6targetE0EEEvT1_.kd
    .uniform_work_group_size: 1
    .uses_dynamic_stack: false
    .vgpr_count:     0
    .vgpr_spill_count: 0
    .wavefront_size: 32
    .workgroup_processor_mode: 1
  - .args:
      - .offset:         0
        .size:           112
        .value_kind:     by_value
    .group_segment_fixed_size: 0
    .kernarg_segment_align: 8
    .kernarg_segment_size: 112
    .language:       OpenCL C
    .language_version:
      - 2
      - 0
    .max_flat_workgroup_size: 256
    .name:           _ZN7rocprim17ROCPRIM_400000_NS6detail17trampoline_kernelINS0_14default_configENS1_25partition_config_selectorILNS1_17partition_subalgoE9EttbEEZZNS1_14partition_implILS5_9ELb0ES3_jN6thrust23THRUST_200600_302600_NS6detail15normal_iteratorINS9_10device_ptrItEEEESE_PNS0_10empty_typeENS0_5tupleIJSE_SF_EEENSH_IJSE_SG_EEENS0_18inequality_wrapperI22is_equal_div_10_uniqueItEEEPmJSF_EEE10hipError_tPvRmT3_T4_T5_T6_T7_T9_mT8_P12ihipStream_tbDpT10_ENKUlT_T0_E_clISt17integral_constantIbLb0EES18_EEDaS13_S14_EUlS13_E_NS1_11comp_targetILNS1_3genE0ELNS1_11target_archE4294967295ELNS1_3gpuE0ELNS1_3repE0EEENS1_30default_config_static_selectorELNS0_4arch9wavefront6targetE0EEEvT1_
    .private_segment_fixed_size: 0
    .sgpr_count:     0
    .sgpr_spill_count: 0
    .symbol:         _ZN7rocprim17ROCPRIM_400000_NS6detail17trampoline_kernelINS0_14default_configENS1_25partition_config_selectorILNS1_17partition_subalgoE9EttbEEZZNS1_14partition_implILS5_9ELb0ES3_jN6thrust23THRUST_200600_302600_NS6detail15normal_iteratorINS9_10device_ptrItEEEESE_PNS0_10empty_typeENS0_5tupleIJSE_SF_EEENSH_IJSE_SG_EEENS0_18inequality_wrapperI22is_equal_div_10_uniqueItEEEPmJSF_EEE10hipError_tPvRmT3_T4_T5_T6_T7_T9_mT8_P12ihipStream_tbDpT10_ENKUlT_T0_E_clISt17integral_constantIbLb0EES18_EEDaS13_S14_EUlS13_E_NS1_11comp_targetILNS1_3genE0ELNS1_11target_archE4294967295ELNS1_3gpuE0ELNS1_3repE0EEENS1_30default_config_static_selectorELNS0_4arch9wavefront6targetE0EEEvT1_.kd
    .uniform_work_group_size: 1
    .uses_dynamic_stack: false
    .vgpr_count:     0
    .vgpr_spill_count: 0
    .wavefront_size: 32
    .workgroup_processor_mode: 1
  - .args:
      - .offset:         0
        .size:           112
        .value_kind:     by_value
    .group_segment_fixed_size: 0
    .kernarg_segment_align: 8
    .kernarg_segment_size: 112
    .language:       OpenCL C
    .language_version:
      - 2
      - 0
    .max_flat_workgroup_size: 512
    .name:           _ZN7rocprim17ROCPRIM_400000_NS6detail17trampoline_kernelINS0_14default_configENS1_25partition_config_selectorILNS1_17partition_subalgoE9EttbEEZZNS1_14partition_implILS5_9ELb0ES3_jN6thrust23THRUST_200600_302600_NS6detail15normal_iteratorINS9_10device_ptrItEEEESE_PNS0_10empty_typeENS0_5tupleIJSE_SF_EEENSH_IJSE_SG_EEENS0_18inequality_wrapperI22is_equal_div_10_uniqueItEEEPmJSF_EEE10hipError_tPvRmT3_T4_T5_T6_T7_T9_mT8_P12ihipStream_tbDpT10_ENKUlT_T0_E_clISt17integral_constantIbLb0EES18_EEDaS13_S14_EUlS13_E_NS1_11comp_targetILNS1_3genE5ELNS1_11target_archE942ELNS1_3gpuE9ELNS1_3repE0EEENS1_30default_config_static_selectorELNS0_4arch9wavefront6targetE0EEEvT1_
    .private_segment_fixed_size: 0
    .sgpr_count:     0
    .sgpr_spill_count: 0
    .symbol:         _ZN7rocprim17ROCPRIM_400000_NS6detail17trampoline_kernelINS0_14default_configENS1_25partition_config_selectorILNS1_17partition_subalgoE9EttbEEZZNS1_14partition_implILS5_9ELb0ES3_jN6thrust23THRUST_200600_302600_NS6detail15normal_iteratorINS9_10device_ptrItEEEESE_PNS0_10empty_typeENS0_5tupleIJSE_SF_EEENSH_IJSE_SG_EEENS0_18inequality_wrapperI22is_equal_div_10_uniqueItEEEPmJSF_EEE10hipError_tPvRmT3_T4_T5_T6_T7_T9_mT8_P12ihipStream_tbDpT10_ENKUlT_T0_E_clISt17integral_constantIbLb0EES18_EEDaS13_S14_EUlS13_E_NS1_11comp_targetILNS1_3genE5ELNS1_11target_archE942ELNS1_3gpuE9ELNS1_3repE0EEENS1_30default_config_static_selectorELNS0_4arch9wavefront6targetE0EEEvT1_.kd
    .uniform_work_group_size: 1
    .uses_dynamic_stack: false
    .vgpr_count:     0
    .vgpr_spill_count: 0
    .wavefront_size: 32
    .workgroup_processor_mode: 1
  - .args:
      - .offset:         0
        .size:           112
        .value_kind:     by_value
    .group_segment_fixed_size: 0
    .kernarg_segment_align: 8
    .kernarg_segment_size: 112
    .language:       OpenCL C
    .language_version:
      - 2
      - 0
    .max_flat_workgroup_size: 256
    .name:           _ZN7rocprim17ROCPRIM_400000_NS6detail17trampoline_kernelINS0_14default_configENS1_25partition_config_selectorILNS1_17partition_subalgoE9EttbEEZZNS1_14partition_implILS5_9ELb0ES3_jN6thrust23THRUST_200600_302600_NS6detail15normal_iteratorINS9_10device_ptrItEEEESE_PNS0_10empty_typeENS0_5tupleIJSE_SF_EEENSH_IJSE_SG_EEENS0_18inequality_wrapperI22is_equal_div_10_uniqueItEEEPmJSF_EEE10hipError_tPvRmT3_T4_T5_T6_T7_T9_mT8_P12ihipStream_tbDpT10_ENKUlT_T0_E_clISt17integral_constantIbLb0EES18_EEDaS13_S14_EUlS13_E_NS1_11comp_targetILNS1_3genE4ELNS1_11target_archE910ELNS1_3gpuE8ELNS1_3repE0EEENS1_30default_config_static_selectorELNS0_4arch9wavefront6targetE0EEEvT1_
    .private_segment_fixed_size: 0
    .sgpr_count:     0
    .sgpr_spill_count: 0
    .symbol:         _ZN7rocprim17ROCPRIM_400000_NS6detail17trampoline_kernelINS0_14default_configENS1_25partition_config_selectorILNS1_17partition_subalgoE9EttbEEZZNS1_14partition_implILS5_9ELb0ES3_jN6thrust23THRUST_200600_302600_NS6detail15normal_iteratorINS9_10device_ptrItEEEESE_PNS0_10empty_typeENS0_5tupleIJSE_SF_EEENSH_IJSE_SG_EEENS0_18inequality_wrapperI22is_equal_div_10_uniqueItEEEPmJSF_EEE10hipError_tPvRmT3_T4_T5_T6_T7_T9_mT8_P12ihipStream_tbDpT10_ENKUlT_T0_E_clISt17integral_constantIbLb0EES18_EEDaS13_S14_EUlS13_E_NS1_11comp_targetILNS1_3genE4ELNS1_11target_archE910ELNS1_3gpuE8ELNS1_3repE0EEENS1_30default_config_static_selectorELNS0_4arch9wavefront6targetE0EEEvT1_.kd
    .uniform_work_group_size: 1
    .uses_dynamic_stack: false
    .vgpr_count:     0
    .vgpr_spill_count: 0
    .wavefront_size: 32
    .workgroup_processor_mode: 1
  - .args:
      - .offset:         0
        .size:           112
        .value_kind:     by_value
    .group_segment_fixed_size: 0
    .kernarg_segment_align: 8
    .kernarg_segment_size: 112
    .language:       OpenCL C
    .language_version:
      - 2
      - 0
    .max_flat_workgroup_size: 256
    .name:           _ZN7rocprim17ROCPRIM_400000_NS6detail17trampoline_kernelINS0_14default_configENS1_25partition_config_selectorILNS1_17partition_subalgoE9EttbEEZZNS1_14partition_implILS5_9ELb0ES3_jN6thrust23THRUST_200600_302600_NS6detail15normal_iteratorINS9_10device_ptrItEEEESE_PNS0_10empty_typeENS0_5tupleIJSE_SF_EEENSH_IJSE_SG_EEENS0_18inequality_wrapperI22is_equal_div_10_uniqueItEEEPmJSF_EEE10hipError_tPvRmT3_T4_T5_T6_T7_T9_mT8_P12ihipStream_tbDpT10_ENKUlT_T0_E_clISt17integral_constantIbLb0EES18_EEDaS13_S14_EUlS13_E_NS1_11comp_targetILNS1_3genE3ELNS1_11target_archE908ELNS1_3gpuE7ELNS1_3repE0EEENS1_30default_config_static_selectorELNS0_4arch9wavefront6targetE0EEEvT1_
    .private_segment_fixed_size: 0
    .sgpr_count:     0
    .sgpr_spill_count: 0
    .symbol:         _ZN7rocprim17ROCPRIM_400000_NS6detail17trampoline_kernelINS0_14default_configENS1_25partition_config_selectorILNS1_17partition_subalgoE9EttbEEZZNS1_14partition_implILS5_9ELb0ES3_jN6thrust23THRUST_200600_302600_NS6detail15normal_iteratorINS9_10device_ptrItEEEESE_PNS0_10empty_typeENS0_5tupleIJSE_SF_EEENSH_IJSE_SG_EEENS0_18inequality_wrapperI22is_equal_div_10_uniqueItEEEPmJSF_EEE10hipError_tPvRmT3_T4_T5_T6_T7_T9_mT8_P12ihipStream_tbDpT10_ENKUlT_T0_E_clISt17integral_constantIbLb0EES18_EEDaS13_S14_EUlS13_E_NS1_11comp_targetILNS1_3genE3ELNS1_11target_archE908ELNS1_3gpuE7ELNS1_3repE0EEENS1_30default_config_static_selectorELNS0_4arch9wavefront6targetE0EEEvT1_.kd
    .uniform_work_group_size: 1
    .uses_dynamic_stack: false
    .vgpr_count:     0
    .vgpr_spill_count: 0
    .wavefront_size: 32
    .workgroup_processor_mode: 1
  - .args:
      - .offset:         0
        .size:           112
        .value_kind:     by_value
    .group_segment_fixed_size: 0
    .kernarg_segment_align: 8
    .kernarg_segment_size: 112
    .language:       OpenCL C
    .language_version:
      - 2
      - 0
    .max_flat_workgroup_size: 256
    .name:           _ZN7rocprim17ROCPRIM_400000_NS6detail17trampoline_kernelINS0_14default_configENS1_25partition_config_selectorILNS1_17partition_subalgoE9EttbEEZZNS1_14partition_implILS5_9ELb0ES3_jN6thrust23THRUST_200600_302600_NS6detail15normal_iteratorINS9_10device_ptrItEEEESE_PNS0_10empty_typeENS0_5tupleIJSE_SF_EEENSH_IJSE_SG_EEENS0_18inequality_wrapperI22is_equal_div_10_uniqueItEEEPmJSF_EEE10hipError_tPvRmT3_T4_T5_T6_T7_T9_mT8_P12ihipStream_tbDpT10_ENKUlT_T0_E_clISt17integral_constantIbLb0EES18_EEDaS13_S14_EUlS13_E_NS1_11comp_targetILNS1_3genE2ELNS1_11target_archE906ELNS1_3gpuE6ELNS1_3repE0EEENS1_30default_config_static_selectorELNS0_4arch9wavefront6targetE0EEEvT1_
    .private_segment_fixed_size: 0
    .sgpr_count:     0
    .sgpr_spill_count: 0
    .symbol:         _ZN7rocprim17ROCPRIM_400000_NS6detail17trampoline_kernelINS0_14default_configENS1_25partition_config_selectorILNS1_17partition_subalgoE9EttbEEZZNS1_14partition_implILS5_9ELb0ES3_jN6thrust23THRUST_200600_302600_NS6detail15normal_iteratorINS9_10device_ptrItEEEESE_PNS0_10empty_typeENS0_5tupleIJSE_SF_EEENSH_IJSE_SG_EEENS0_18inequality_wrapperI22is_equal_div_10_uniqueItEEEPmJSF_EEE10hipError_tPvRmT3_T4_T5_T6_T7_T9_mT8_P12ihipStream_tbDpT10_ENKUlT_T0_E_clISt17integral_constantIbLb0EES18_EEDaS13_S14_EUlS13_E_NS1_11comp_targetILNS1_3genE2ELNS1_11target_archE906ELNS1_3gpuE6ELNS1_3repE0EEENS1_30default_config_static_selectorELNS0_4arch9wavefront6targetE0EEEvT1_.kd
    .uniform_work_group_size: 1
    .uses_dynamic_stack: false
    .vgpr_count:     0
    .vgpr_spill_count: 0
    .wavefront_size: 32
    .workgroup_processor_mode: 1
  - .args:
      - .offset:         0
        .size:           112
        .value_kind:     by_value
    .group_segment_fixed_size: 0
    .kernarg_segment_align: 8
    .kernarg_segment_size: 112
    .language:       OpenCL C
    .language_version:
      - 2
      - 0
    .max_flat_workgroup_size: 512
    .name:           _ZN7rocprim17ROCPRIM_400000_NS6detail17trampoline_kernelINS0_14default_configENS1_25partition_config_selectorILNS1_17partition_subalgoE9EttbEEZZNS1_14partition_implILS5_9ELb0ES3_jN6thrust23THRUST_200600_302600_NS6detail15normal_iteratorINS9_10device_ptrItEEEESE_PNS0_10empty_typeENS0_5tupleIJSE_SF_EEENSH_IJSE_SG_EEENS0_18inequality_wrapperI22is_equal_div_10_uniqueItEEEPmJSF_EEE10hipError_tPvRmT3_T4_T5_T6_T7_T9_mT8_P12ihipStream_tbDpT10_ENKUlT_T0_E_clISt17integral_constantIbLb0EES18_EEDaS13_S14_EUlS13_E_NS1_11comp_targetILNS1_3genE10ELNS1_11target_archE1200ELNS1_3gpuE4ELNS1_3repE0EEENS1_30default_config_static_selectorELNS0_4arch9wavefront6targetE0EEEvT1_
    .private_segment_fixed_size: 0
    .sgpr_count:     0
    .sgpr_spill_count: 0
    .symbol:         _ZN7rocprim17ROCPRIM_400000_NS6detail17trampoline_kernelINS0_14default_configENS1_25partition_config_selectorILNS1_17partition_subalgoE9EttbEEZZNS1_14partition_implILS5_9ELb0ES3_jN6thrust23THRUST_200600_302600_NS6detail15normal_iteratorINS9_10device_ptrItEEEESE_PNS0_10empty_typeENS0_5tupleIJSE_SF_EEENSH_IJSE_SG_EEENS0_18inequality_wrapperI22is_equal_div_10_uniqueItEEEPmJSF_EEE10hipError_tPvRmT3_T4_T5_T6_T7_T9_mT8_P12ihipStream_tbDpT10_ENKUlT_T0_E_clISt17integral_constantIbLb0EES18_EEDaS13_S14_EUlS13_E_NS1_11comp_targetILNS1_3genE10ELNS1_11target_archE1200ELNS1_3gpuE4ELNS1_3repE0EEENS1_30default_config_static_selectorELNS0_4arch9wavefront6targetE0EEEvT1_.kd
    .uniform_work_group_size: 1
    .uses_dynamic_stack: false
    .vgpr_count:     0
    .vgpr_spill_count: 0
    .wavefront_size: 32
    .workgroup_processor_mode: 1
  - .args:
      - .offset:         0
        .size:           112
        .value_kind:     by_value
    .group_segment_fixed_size: 3080
    .kernarg_segment_align: 8
    .kernarg_segment_size: 112
    .language:       OpenCL C
    .language_version:
      - 2
      - 0
    .max_flat_workgroup_size: 128
    .name:           _ZN7rocprim17ROCPRIM_400000_NS6detail17trampoline_kernelINS0_14default_configENS1_25partition_config_selectorILNS1_17partition_subalgoE9EttbEEZZNS1_14partition_implILS5_9ELb0ES3_jN6thrust23THRUST_200600_302600_NS6detail15normal_iteratorINS9_10device_ptrItEEEESE_PNS0_10empty_typeENS0_5tupleIJSE_SF_EEENSH_IJSE_SG_EEENS0_18inequality_wrapperI22is_equal_div_10_uniqueItEEEPmJSF_EEE10hipError_tPvRmT3_T4_T5_T6_T7_T9_mT8_P12ihipStream_tbDpT10_ENKUlT_T0_E_clISt17integral_constantIbLb0EES18_EEDaS13_S14_EUlS13_E_NS1_11comp_targetILNS1_3genE9ELNS1_11target_archE1100ELNS1_3gpuE3ELNS1_3repE0EEENS1_30default_config_static_selectorELNS0_4arch9wavefront6targetE0EEEvT1_
    .private_segment_fixed_size: 0
    .sgpr_count:     27
    .sgpr_spill_count: 0
    .symbol:         _ZN7rocprim17ROCPRIM_400000_NS6detail17trampoline_kernelINS0_14default_configENS1_25partition_config_selectorILNS1_17partition_subalgoE9EttbEEZZNS1_14partition_implILS5_9ELb0ES3_jN6thrust23THRUST_200600_302600_NS6detail15normal_iteratorINS9_10device_ptrItEEEESE_PNS0_10empty_typeENS0_5tupleIJSE_SF_EEENSH_IJSE_SG_EEENS0_18inequality_wrapperI22is_equal_div_10_uniqueItEEEPmJSF_EEE10hipError_tPvRmT3_T4_T5_T6_T7_T9_mT8_P12ihipStream_tbDpT10_ENKUlT_T0_E_clISt17integral_constantIbLb0EES18_EEDaS13_S14_EUlS13_E_NS1_11comp_targetILNS1_3genE9ELNS1_11target_archE1100ELNS1_3gpuE3ELNS1_3repE0EEENS1_30default_config_static_selectorELNS0_4arch9wavefront6targetE0EEEvT1_.kd
    .uniform_work_group_size: 1
    .uses_dynamic_stack: false
    .vgpr_count:     81
    .vgpr_spill_count: 0
    .wavefront_size: 32
    .workgroup_processor_mode: 1
  - .args:
      - .offset:         0
        .size:           112
        .value_kind:     by_value
    .group_segment_fixed_size: 0
    .kernarg_segment_align: 8
    .kernarg_segment_size: 112
    .language:       OpenCL C
    .language_version:
      - 2
      - 0
    .max_flat_workgroup_size: 384
    .name:           _ZN7rocprim17ROCPRIM_400000_NS6detail17trampoline_kernelINS0_14default_configENS1_25partition_config_selectorILNS1_17partition_subalgoE9EttbEEZZNS1_14partition_implILS5_9ELb0ES3_jN6thrust23THRUST_200600_302600_NS6detail15normal_iteratorINS9_10device_ptrItEEEESE_PNS0_10empty_typeENS0_5tupleIJSE_SF_EEENSH_IJSE_SG_EEENS0_18inequality_wrapperI22is_equal_div_10_uniqueItEEEPmJSF_EEE10hipError_tPvRmT3_T4_T5_T6_T7_T9_mT8_P12ihipStream_tbDpT10_ENKUlT_T0_E_clISt17integral_constantIbLb0EES18_EEDaS13_S14_EUlS13_E_NS1_11comp_targetILNS1_3genE8ELNS1_11target_archE1030ELNS1_3gpuE2ELNS1_3repE0EEENS1_30default_config_static_selectorELNS0_4arch9wavefront6targetE0EEEvT1_
    .private_segment_fixed_size: 0
    .sgpr_count:     0
    .sgpr_spill_count: 0
    .symbol:         _ZN7rocprim17ROCPRIM_400000_NS6detail17trampoline_kernelINS0_14default_configENS1_25partition_config_selectorILNS1_17partition_subalgoE9EttbEEZZNS1_14partition_implILS5_9ELb0ES3_jN6thrust23THRUST_200600_302600_NS6detail15normal_iteratorINS9_10device_ptrItEEEESE_PNS0_10empty_typeENS0_5tupleIJSE_SF_EEENSH_IJSE_SG_EEENS0_18inequality_wrapperI22is_equal_div_10_uniqueItEEEPmJSF_EEE10hipError_tPvRmT3_T4_T5_T6_T7_T9_mT8_P12ihipStream_tbDpT10_ENKUlT_T0_E_clISt17integral_constantIbLb0EES18_EEDaS13_S14_EUlS13_E_NS1_11comp_targetILNS1_3genE8ELNS1_11target_archE1030ELNS1_3gpuE2ELNS1_3repE0EEENS1_30default_config_static_selectorELNS0_4arch9wavefront6targetE0EEEvT1_.kd
    .uniform_work_group_size: 1
    .uses_dynamic_stack: false
    .vgpr_count:     0
    .vgpr_spill_count: 0
    .wavefront_size: 32
    .workgroup_processor_mode: 1
  - .args:
      - .offset:         0
        .size:           128
        .value_kind:     by_value
    .group_segment_fixed_size: 0
    .kernarg_segment_align: 8
    .kernarg_segment_size: 128
    .language:       OpenCL C
    .language_version:
      - 2
      - 0
    .max_flat_workgroup_size: 256
    .name:           _ZN7rocprim17ROCPRIM_400000_NS6detail17trampoline_kernelINS0_14default_configENS1_25partition_config_selectorILNS1_17partition_subalgoE9EttbEEZZNS1_14partition_implILS5_9ELb0ES3_jN6thrust23THRUST_200600_302600_NS6detail15normal_iteratorINS9_10device_ptrItEEEESE_PNS0_10empty_typeENS0_5tupleIJSE_SF_EEENSH_IJSE_SG_EEENS0_18inequality_wrapperI22is_equal_div_10_uniqueItEEEPmJSF_EEE10hipError_tPvRmT3_T4_T5_T6_T7_T9_mT8_P12ihipStream_tbDpT10_ENKUlT_T0_E_clISt17integral_constantIbLb1EES18_EEDaS13_S14_EUlS13_E_NS1_11comp_targetILNS1_3genE0ELNS1_11target_archE4294967295ELNS1_3gpuE0ELNS1_3repE0EEENS1_30default_config_static_selectorELNS0_4arch9wavefront6targetE0EEEvT1_
    .private_segment_fixed_size: 0
    .sgpr_count:     0
    .sgpr_spill_count: 0
    .symbol:         _ZN7rocprim17ROCPRIM_400000_NS6detail17trampoline_kernelINS0_14default_configENS1_25partition_config_selectorILNS1_17partition_subalgoE9EttbEEZZNS1_14partition_implILS5_9ELb0ES3_jN6thrust23THRUST_200600_302600_NS6detail15normal_iteratorINS9_10device_ptrItEEEESE_PNS0_10empty_typeENS0_5tupleIJSE_SF_EEENSH_IJSE_SG_EEENS0_18inequality_wrapperI22is_equal_div_10_uniqueItEEEPmJSF_EEE10hipError_tPvRmT3_T4_T5_T6_T7_T9_mT8_P12ihipStream_tbDpT10_ENKUlT_T0_E_clISt17integral_constantIbLb1EES18_EEDaS13_S14_EUlS13_E_NS1_11comp_targetILNS1_3genE0ELNS1_11target_archE4294967295ELNS1_3gpuE0ELNS1_3repE0EEENS1_30default_config_static_selectorELNS0_4arch9wavefront6targetE0EEEvT1_.kd
    .uniform_work_group_size: 1
    .uses_dynamic_stack: false
    .vgpr_count:     0
    .vgpr_spill_count: 0
    .wavefront_size: 32
    .workgroup_processor_mode: 1
  - .args:
      - .offset:         0
        .size:           128
        .value_kind:     by_value
    .group_segment_fixed_size: 0
    .kernarg_segment_align: 8
    .kernarg_segment_size: 128
    .language:       OpenCL C
    .language_version:
      - 2
      - 0
    .max_flat_workgroup_size: 512
    .name:           _ZN7rocprim17ROCPRIM_400000_NS6detail17trampoline_kernelINS0_14default_configENS1_25partition_config_selectorILNS1_17partition_subalgoE9EttbEEZZNS1_14partition_implILS5_9ELb0ES3_jN6thrust23THRUST_200600_302600_NS6detail15normal_iteratorINS9_10device_ptrItEEEESE_PNS0_10empty_typeENS0_5tupleIJSE_SF_EEENSH_IJSE_SG_EEENS0_18inequality_wrapperI22is_equal_div_10_uniqueItEEEPmJSF_EEE10hipError_tPvRmT3_T4_T5_T6_T7_T9_mT8_P12ihipStream_tbDpT10_ENKUlT_T0_E_clISt17integral_constantIbLb1EES18_EEDaS13_S14_EUlS13_E_NS1_11comp_targetILNS1_3genE5ELNS1_11target_archE942ELNS1_3gpuE9ELNS1_3repE0EEENS1_30default_config_static_selectorELNS0_4arch9wavefront6targetE0EEEvT1_
    .private_segment_fixed_size: 0
    .sgpr_count:     0
    .sgpr_spill_count: 0
    .symbol:         _ZN7rocprim17ROCPRIM_400000_NS6detail17trampoline_kernelINS0_14default_configENS1_25partition_config_selectorILNS1_17partition_subalgoE9EttbEEZZNS1_14partition_implILS5_9ELb0ES3_jN6thrust23THRUST_200600_302600_NS6detail15normal_iteratorINS9_10device_ptrItEEEESE_PNS0_10empty_typeENS0_5tupleIJSE_SF_EEENSH_IJSE_SG_EEENS0_18inequality_wrapperI22is_equal_div_10_uniqueItEEEPmJSF_EEE10hipError_tPvRmT3_T4_T5_T6_T7_T9_mT8_P12ihipStream_tbDpT10_ENKUlT_T0_E_clISt17integral_constantIbLb1EES18_EEDaS13_S14_EUlS13_E_NS1_11comp_targetILNS1_3genE5ELNS1_11target_archE942ELNS1_3gpuE9ELNS1_3repE0EEENS1_30default_config_static_selectorELNS0_4arch9wavefront6targetE0EEEvT1_.kd
    .uniform_work_group_size: 1
    .uses_dynamic_stack: false
    .vgpr_count:     0
    .vgpr_spill_count: 0
    .wavefront_size: 32
    .workgroup_processor_mode: 1
  - .args:
      - .offset:         0
        .size:           128
        .value_kind:     by_value
    .group_segment_fixed_size: 0
    .kernarg_segment_align: 8
    .kernarg_segment_size: 128
    .language:       OpenCL C
    .language_version:
      - 2
      - 0
    .max_flat_workgroup_size: 256
    .name:           _ZN7rocprim17ROCPRIM_400000_NS6detail17trampoline_kernelINS0_14default_configENS1_25partition_config_selectorILNS1_17partition_subalgoE9EttbEEZZNS1_14partition_implILS5_9ELb0ES3_jN6thrust23THRUST_200600_302600_NS6detail15normal_iteratorINS9_10device_ptrItEEEESE_PNS0_10empty_typeENS0_5tupleIJSE_SF_EEENSH_IJSE_SG_EEENS0_18inequality_wrapperI22is_equal_div_10_uniqueItEEEPmJSF_EEE10hipError_tPvRmT3_T4_T5_T6_T7_T9_mT8_P12ihipStream_tbDpT10_ENKUlT_T0_E_clISt17integral_constantIbLb1EES18_EEDaS13_S14_EUlS13_E_NS1_11comp_targetILNS1_3genE4ELNS1_11target_archE910ELNS1_3gpuE8ELNS1_3repE0EEENS1_30default_config_static_selectorELNS0_4arch9wavefront6targetE0EEEvT1_
    .private_segment_fixed_size: 0
    .sgpr_count:     0
    .sgpr_spill_count: 0
    .symbol:         _ZN7rocprim17ROCPRIM_400000_NS6detail17trampoline_kernelINS0_14default_configENS1_25partition_config_selectorILNS1_17partition_subalgoE9EttbEEZZNS1_14partition_implILS5_9ELb0ES3_jN6thrust23THRUST_200600_302600_NS6detail15normal_iteratorINS9_10device_ptrItEEEESE_PNS0_10empty_typeENS0_5tupleIJSE_SF_EEENSH_IJSE_SG_EEENS0_18inequality_wrapperI22is_equal_div_10_uniqueItEEEPmJSF_EEE10hipError_tPvRmT3_T4_T5_T6_T7_T9_mT8_P12ihipStream_tbDpT10_ENKUlT_T0_E_clISt17integral_constantIbLb1EES18_EEDaS13_S14_EUlS13_E_NS1_11comp_targetILNS1_3genE4ELNS1_11target_archE910ELNS1_3gpuE8ELNS1_3repE0EEENS1_30default_config_static_selectorELNS0_4arch9wavefront6targetE0EEEvT1_.kd
    .uniform_work_group_size: 1
    .uses_dynamic_stack: false
    .vgpr_count:     0
    .vgpr_spill_count: 0
    .wavefront_size: 32
    .workgroup_processor_mode: 1
  - .args:
      - .offset:         0
        .size:           128
        .value_kind:     by_value
    .group_segment_fixed_size: 0
    .kernarg_segment_align: 8
    .kernarg_segment_size: 128
    .language:       OpenCL C
    .language_version:
      - 2
      - 0
    .max_flat_workgroup_size: 256
    .name:           _ZN7rocprim17ROCPRIM_400000_NS6detail17trampoline_kernelINS0_14default_configENS1_25partition_config_selectorILNS1_17partition_subalgoE9EttbEEZZNS1_14partition_implILS5_9ELb0ES3_jN6thrust23THRUST_200600_302600_NS6detail15normal_iteratorINS9_10device_ptrItEEEESE_PNS0_10empty_typeENS0_5tupleIJSE_SF_EEENSH_IJSE_SG_EEENS0_18inequality_wrapperI22is_equal_div_10_uniqueItEEEPmJSF_EEE10hipError_tPvRmT3_T4_T5_T6_T7_T9_mT8_P12ihipStream_tbDpT10_ENKUlT_T0_E_clISt17integral_constantIbLb1EES18_EEDaS13_S14_EUlS13_E_NS1_11comp_targetILNS1_3genE3ELNS1_11target_archE908ELNS1_3gpuE7ELNS1_3repE0EEENS1_30default_config_static_selectorELNS0_4arch9wavefront6targetE0EEEvT1_
    .private_segment_fixed_size: 0
    .sgpr_count:     0
    .sgpr_spill_count: 0
    .symbol:         _ZN7rocprim17ROCPRIM_400000_NS6detail17trampoline_kernelINS0_14default_configENS1_25partition_config_selectorILNS1_17partition_subalgoE9EttbEEZZNS1_14partition_implILS5_9ELb0ES3_jN6thrust23THRUST_200600_302600_NS6detail15normal_iteratorINS9_10device_ptrItEEEESE_PNS0_10empty_typeENS0_5tupleIJSE_SF_EEENSH_IJSE_SG_EEENS0_18inequality_wrapperI22is_equal_div_10_uniqueItEEEPmJSF_EEE10hipError_tPvRmT3_T4_T5_T6_T7_T9_mT8_P12ihipStream_tbDpT10_ENKUlT_T0_E_clISt17integral_constantIbLb1EES18_EEDaS13_S14_EUlS13_E_NS1_11comp_targetILNS1_3genE3ELNS1_11target_archE908ELNS1_3gpuE7ELNS1_3repE0EEENS1_30default_config_static_selectorELNS0_4arch9wavefront6targetE0EEEvT1_.kd
    .uniform_work_group_size: 1
    .uses_dynamic_stack: false
    .vgpr_count:     0
    .vgpr_spill_count: 0
    .wavefront_size: 32
    .workgroup_processor_mode: 1
  - .args:
      - .offset:         0
        .size:           128
        .value_kind:     by_value
    .group_segment_fixed_size: 0
    .kernarg_segment_align: 8
    .kernarg_segment_size: 128
    .language:       OpenCL C
    .language_version:
      - 2
      - 0
    .max_flat_workgroup_size: 256
    .name:           _ZN7rocprim17ROCPRIM_400000_NS6detail17trampoline_kernelINS0_14default_configENS1_25partition_config_selectorILNS1_17partition_subalgoE9EttbEEZZNS1_14partition_implILS5_9ELb0ES3_jN6thrust23THRUST_200600_302600_NS6detail15normal_iteratorINS9_10device_ptrItEEEESE_PNS0_10empty_typeENS0_5tupleIJSE_SF_EEENSH_IJSE_SG_EEENS0_18inequality_wrapperI22is_equal_div_10_uniqueItEEEPmJSF_EEE10hipError_tPvRmT3_T4_T5_T6_T7_T9_mT8_P12ihipStream_tbDpT10_ENKUlT_T0_E_clISt17integral_constantIbLb1EES18_EEDaS13_S14_EUlS13_E_NS1_11comp_targetILNS1_3genE2ELNS1_11target_archE906ELNS1_3gpuE6ELNS1_3repE0EEENS1_30default_config_static_selectorELNS0_4arch9wavefront6targetE0EEEvT1_
    .private_segment_fixed_size: 0
    .sgpr_count:     0
    .sgpr_spill_count: 0
    .symbol:         _ZN7rocprim17ROCPRIM_400000_NS6detail17trampoline_kernelINS0_14default_configENS1_25partition_config_selectorILNS1_17partition_subalgoE9EttbEEZZNS1_14partition_implILS5_9ELb0ES3_jN6thrust23THRUST_200600_302600_NS6detail15normal_iteratorINS9_10device_ptrItEEEESE_PNS0_10empty_typeENS0_5tupleIJSE_SF_EEENSH_IJSE_SG_EEENS0_18inequality_wrapperI22is_equal_div_10_uniqueItEEEPmJSF_EEE10hipError_tPvRmT3_T4_T5_T6_T7_T9_mT8_P12ihipStream_tbDpT10_ENKUlT_T0_E_clISt17integral_constantIbLb1EES18_EEDaS13_S14_EUlS13_E_NS1_11comp_targetILNS1_3genE2ELNS1_11target_archE906ELNS1_3gpuE6ELNS1_3repE0EEENS1_30default_config_static_selectorELNS0_4arch9wavefront6targetE0EEEvT1_.kd
    .uniform_work_group_size: 1
    .uses_dynamic_stack: false
    .vgpr_count:     0
    .vgpr_spill_count: 0
    .wavefront_size: 32
    .workgroup_processor_mode: 1
  - .args:
      - .offset:         0
        .size:           128
        .value_kind:     by_value
    .group_segment_fixed_size: 0
    .kernarg_segment_align: 8
    .kernarg_segment_size: 128
    .language:       OpenCL C
    .language_version:
      - 2
      - 0
    .max_flat_workgroup_size: 512
    .name:           _ZN7rocprim17ROCPRIM_400000_NS6detail17trampoline_kernelINS0_14default_configENS1_25partition_config_selectorILNS1_17partition_subalgoE9EttbEEZZNS1_14partition_implILS5_9ELb0ES3_jN6thrust23THRUST_200600_302600_NS6detail15normal_iteratorINS9_10device_ptrItEEEESE_PNS0_10empty_typeENS0_5tupleIJSE_SF_EEENSH_IJSE_SG_EEENS0_18inequality_wrapperI22is_equal_div_10_uniqueItEEEPmJSF_EEE10hipError_tPvRmT3_T4_T5_T6_T7_T9_mT8_P12ihipStream_tbDpT10_ENKUlT_T0_E_clISt17integral_constantIbLb1EES18_EEDaS13_S14_EUlS13_E_NS1_11comp_targetILNS1_3genE10ELNS1_11target_archE1200ELNS1_3gpuE4ELNS1_3repE0EEENS1_30default_config_static_selectorELNS0_4arch9wavefront6targetE0EEEvT1_
    .private_segment_fixed_size: 0
    .sgpr_count:     0
    .sgpr_spill_count: 0
    .symbol:         _ZN7rocprim17ROCPRIM_400000_NS6detail17trampoline_kernelINS0_14default_configENS1_25partition_config_selectorILNS1_17partition_subalgoE9EttbEEZZNS1_14partition_implILS5_9ELb0ES3_jN6thrust23THRUST_200600_302600_NS6detail15normal_iteratorINS9_10device_ptrItEEEESE_PNS0_10empty_typeENS0_5tupleIJSE_SF_EEENSH_IJSE_SG_EEENS0_18inequality_wrapperI22is_equal_div_10_uniqueItEEEPmJSF_EEE10hipError_tPvRmT3_T4_T5_T6_T7_T9_mT8_P12ihipStream_tbDpT10_ENKUlT_T0_E_clISt17integral_constantIbLb1EES18_EEDaS13_S14_EUlS13_E_NS1_11comp_targetILNS1_3genE10ELNS1_11target_archE1200ELNS1_3gpuE4ELNS1_3repE0EEENS1_30default_config_static_selectorELNS0_4arch9wavefront6targetE0EEEvT1_.kd
    .uniform_work_group_size: 1
    .uses_dynamic_stack: false
    .vgpr_count:     0
    .vgpr_spill_count: 0
    .wavefront_size: 32
    .workgroup_processor_mode: 1
  - .args:
      - .offset:         0
        .size:           128
        .value_kind:     by_value
    .group_segment_fixed_size: 3080
    .kernarg_segment_align: 8
    .kernarg_segment_size: 128
    .language:       OpenCL C
    .language_version:
      - 2
      - 0
    .max_flat_workgroup_size: 128
    .name:           _ZN7rocprim17ROCPRIM_400000_NS6detail17trampoline_kernelINS0_14default_configENS1_25partition_config_selectorILNS1_17partition_subalgoE9EttbEEZZNS1_14partition_implILS5_9ELb0ES3_jN6thrust23THRUST_200600_302600_NS6detail15normal_iteratorINS9_10device_ptrItEEEESE_PNS0_10empty_typeENS0_5tupleIJSE_SF_EEENSH_IJSE_SG_EEENS0_18inequality_wrapperI22is_equal_div_10_uniqueItEEEPmJSF_EEE10hipError_tPvRmT3_T4_T5_T6_T7_T9_mT8_P12ihipStream_tbDpT10_ENKUlT_T0_E_clISt17integral_constantIbLb1EES18_EEDaS13_S14_EUlS13_E_NS1_11comp_targetILNS1_3genE9ELNS1_11target_archE1100ELNS1_3gpuE3ELNS1_3repE0EEENS1_30default_config_static_selectorELNS0_4arch9wavefront6targetE0EEEvT1_
    .private_segment_fixed_size: 0
    .sgpr_count:     33
    .sgpr_spill_count: 0
    .symbol:         _ZN7rocprim17ROCPRIM_400000_NS6detail17trampoline_kernelINS0_14default_configENS1_25partition_config_selectorILNS1_17partition_subalgoE9EttbEEZZNS1_14partition_implILS5_9ELb0ES3_jN6thrust23THRUST_200600_302600_NS6detail15normal_iteratorINS9_10device_ptrItEEEESE_PNS0_10empty_typeENS0_5tupleIJSE_SF_EEENSH_IJSE_SG_EEENS0_18inequality_wrapperI22is_equal_div_10_uniqueItEEEPmJSF_EEE10hipError_tPvRmT3_T4_T5_T6_T7_T9_mT8_P12ihipStream_tbDpT10_ENKUlT_T0_E_clISt17integral_constantIbLb1EES18_EEDaS13_S14_EUlS13_E_NS1_11comp_targetILNS1_3genE9ELNS1_11target_archE1100ELNS1_3gpuE3ELNS1_3repE0EEENS1_30default_config_static_selectorELNS0_4arch9wavefront6targetE0EEEvT1_.kd
    .uniform_work_group_size: 1
    .uses_dynamic_stack: false
    .vgpr_count:     81
    .vgpr_spill_count: 0
    .wavefront_size: 32
    .workgroup_processor_mode: 1
  - .args:
      - .offset:         0
        .size:           128
        .value_kind:     by_value
    .group_segment_fixed_size: 0
    .kernarg_segment_align: 8
    .kernarg_segment_size: 128
    .language:       OpenCL C
    .language_version:
      - 2
      - 0
    .max_flat_workgroup_size: 384
    .name:           _ZN7rocprim17ROCPRIM_400000_NS6detail17trampoline_kernelINS0_14default_configENS1_25partition_config_selectorILNS1_17partition_subalgoE9EttbEEZZNS1_14partition_implILS5_9ELb0ES3_jN6thrust23THRUST_200600_302600_NS6detail15normal_iteratorINS9_10device_ptrItEEEESE_PNS0_10empty_typeENS0_5tupleIJSE_SF_EEENSH_IJSE_SG_EEENS0_18inequality_wrapperI22is_equal_div_10_uniqueItEEEPmJSF_EEE10hipError_tPvRmT3_T4_T5_T6_T7_T9_mT8_P12ihipStream_tbDpT10_ENKUlT_T0_E_clISt17integral_constantIbLb1EES18_EEDaS13_S14_EUlS13_E_NS1_11comp_targetILNS1_3genE8ELNS1_11target_archE1030ELNS1_3gpuE2ELNS1_3repE0EEENS1_30default_config_static_selectorELNS0_4arch9wavefront6targetE0EEEvT1_
    .private_segment_fixed_size: 0
    .sgpr_count:     0
    .sgpr_spill_count: 0
    .symbol:         _ZN7rocprim17ROCPRIM_400000_NS6detail17trampoline_kernelINS0_14default_configENS1_25partition_config_selectorILNS1_17partition_subalgoE9EttbEEZZNS1_14partition_implILS5_9ELb0ES3_jN6thrust23THRUST_200600_302600_NS6detail15normal_iteratorINS9_10device_ptrItEEEESE_PNS0_10empty_typeENS0_5tupleIJSE_SF_EEENSH_IJSE_SG_EEENS0_18inequality_wrapperI22is_equal_div_10_uniqueItEEEPmJSF_EEE10hipError_tPvRmT3_T4_T5_T6_T7_T9_mT8_P12ihipStream_tbDpT10_ENKUlT_T0_E_clISt17integral_constantIbLb1EES18_EEDaS13_S14_EUlS13_E_NS1_11comp_targetILNS1_3genE8ELNS1_11target_archE1030ELNS1_3gpuE2ELNS1_3repE0EEENS1_30default_config_static_selectorELNS0_4arch9wavefront6targetE0EEEvT1_.kd
    .uniform_work_group_size: 1
    .uses_dynamic_stack: false
    .vgpr_count:     0
    .vgpr_spill_count: 0
    .wavefront_size: 32
    .workgroup_processor_mode: 1
  - .args:
      - .offset:         0
        .size:           112
        .value_kind:     by_value
    .group_segment_fixed_size: 0
    .kernarg_segment_align: 8
    .kernarg_segment_size: 112
    .language:       OpenCL C
    .language_version:
      - 2
      - 0
    .max_flat_workgroup_size: 256
    .name:           _ZN7rocprim17ROCPRIM_400000_NS6detail17trampoline_kernelINS0_14default_configENS1_25partition_config_selectorILNS1_17partition_subalgoE9EttbEEZZNS1_14partition_implILS5_9ELb0ES3_jN6thrust23THRUST_200600_302600_NS6detail15normal_iteratorINS9_10device_ptrItEEEESE_PNS0_10empty_typeENS0_5tupleIJSE_SF_EEENSH_IJSE_SG_EEENS0_18inequality_wrapperI22is_equal_div_10_uniqueItEEEPmJSF_EEE10hipError_tPvRmT3_T4_T5_T6_T7_T9_mT8_P12ihipStream_tbDpT10_ENKUlT_T0_E_clISt17integral_constantIbLb1EES17_IbLb0EEEEDaS13_S14_EUlS13_E_NS1_11comp_targetILNS1_3genE0ELNS1_11target_archE4294967295ELNS1_3gpuE0ELNS1_3repE0EEENS1_30default_config_static_selectorELNS0_4arch9wavefront6targetE0EEEvT1_
    .private_segment_fixed_size: 0
    .sgpr_count:     0
    .sgpr_spill_count: 0
    .symbol:         _ZN7rocprim17ROCPRIM_400000_NS6detail17trampoline_kernelINS0_14default_configENS1_25partition_config_selectorILNS1_17partition_subalgoE9EttbEEZZNS1_14partition_implILS5_9ELb0ES3_jN6thrust23THRUST_200600_302600_NS6detail15normal_iteratorINS9_10device_ptrItEEEESE_PNS0_10empty_typeENS0_5tupleIJSE_SF_EEENSH_IJSE_SG_EEENS0_18inequality_wrapperI22is_equal_div_10_uniqueItEEEPmJSF_EEE10hipError_tPvRmT3_T4_T5_T6_T7_T9_mT8_P12ihipStream_tbDpT10_ENKUlT_T0_E_clISt17integral_constantIbLb1EES17_IbLb0EEEEDaS13_S14_EUlS13_E_NS1_11comp_targetILNS1_3genE0ELNS1_11target_archE4294967295ELNS1_3gpuE0ELNS1_3repE0EEENS1_30default_config_static_selectorELNS0_4arch9wavefront6targetE0EEEvT1_.kd
    .uniform_work_group_size: 1
    .uses_dynamic_stack: false
    .vgpr_count:     0
    .vgpr_spill_count: 0
    .wavefront_size: 32
    .workgroup_processor_mode: 1
  - .args:
      - .offset:         0
        .size:           112
        .value_kind:     by_value
    .group_segment_fixed_size: 0
    .kernarg_segment_align: 8
    .kernarg_segment_size: 112
    .language:       OpenCL C
    .language_version:
      - 2
      - 0
    .max_flat_workgroup_size: 512
    .name:           _ZN7rocprim17ROCPRIM_400000_NS6detail17trampoline_kernelINS0_14default_configENS1_25partition_config_selectorILNS1_17partition_subalgoE9EttbEEZZNS1_14partition_implILS5_9ELb0ES3_jN6thrust23THRUST_200600_302600_NS6detail15normal_iteratorINS9_10device_ptrItEEEESE_PNS0_10empty_typeENS0_5tupleIJSE_SF_EEENSH_IJSE_SG_EEENS0_18inequality_wrapperI22is_equal_div_10_uniqueItEEEPmJSF_EEE10hipError_tPvRmT3_T4_T5_T6_T7_T9_mT8_P12ihipStream_tbDpT10_ENKUlT_T0_E_clISt17integral_constantIbLb1EES17_IbLb0EEEEDaS13_S14_EUlS13_E_NS1_11comp_targetILNS1_3genE5ELNS1_11target_archE942ELNS1_3gpuE9ELNS1_3repE0EEENS1_30default_config_static_selectorELNS0_4arch9wavefront6targetE0EEEvT1_
    .private_segment_fixed_size: 0
    .sgpr_count:     0
    .sgpr_spill_count: 0
    .symbol:         _ZN7rocprim17ROCPRIM_400000_NS6detail17trampoline_kernelINS0_14default_configENS1_25partition_config_selectorILNS1_17partition_subalgoE9EttbEEZZNS1_14partition_implILS5_9ELb0ES3_jN6thrust23THRUST_200600_302600_NS6detail15normal_iteratorINS9_10device_ptrItEEEESE_PNS0_10empty_typeENS0_5tupleIJSE_SF_EEENSH_IJSE_SG_EEENS0_18inequality_wrapperI22is_equal_div_10_uniqueItEEEPmJSF_EEE10hipError_tPvRmT3_T4_T5_T6_T7_T9_mT8_P12ihipStream_tbDpT10_ENKUlT_T0_E_clISt17integral_constantIbLb1EES17_IbLb0EEEEDaS13_S14_EUlS13_E_NS1_11comp_targetILNS1_3genE5ELNS1_11target_archE942ELNS1_3gpuE9ELNS1_3repE0EEENS1_30default_config_static_selectorELNS0_4arch9wavefront6targetE0EEEvT1_.kd
    .uniform_work_group_size: 1
    .uses_dynamic_stack: false
    .vgpr_count:     0
    .vgpr_spill_count: 0
    .wavefront_size: 32
    .workgroup_processor_mode: 1
  - .args:
      - .offset:         0
        .size:           112
        .value_kind:     by_value
    .group_segment_fixed_size: 0
    .kernarg_segment_align: 8
    .kernarg_segment_size: 112
    .language:       OpenCL C
    .language_version:
      - 2
      - 0
    .max_flat_workgroup_size: 256
    .name:           _ZN7rocprim17ROCPRIM_400000_NS6detail17trampoline_kernelINS0_14default_configENS1_25partition_config_selectorILNS1_17partition_subalgoE9EttbEEZZNS1_14partition_implILS5_9ELb0ES3_jN6thrust23THRUST_200600_302600_NS6detail15normal_iteratorINS9_10device_ptrItEEEESE_PNS0_10empty_typeENS0_5tupleIJSE_SF_EEENSH_IJSE_SG_EEENS0_18inequality_wrapperI22is_equal_div_10_uniqueItEEEPmJSF_EEE10hipError_tPvRmT3_T4_T5_T6_T7_T9_mT8_P12ihipStream_tbDpT10_ENKUlT_T0_E_clISt17integral_constantIbLb1EES17_IbLb0EEEEDaS13_S14_EUlS13_E_NS1_11comp_targetILNS1_3genE4ELNS1_11target_archE910ELNS1_3gpuE8ELNS1_3repE0EEENS1_30default_config_static_selectorELNS0_4arch9wavefront6targetE0EEEvT1_
    .private_segment_fixed_size: 0
    .sgpr_count:     0
    .sgpr_spill_count: 0
    .symbol:         _ZN7rocprim17ROCPRIM_400000_NS6detail17trampoline_kernelINS0_14default_configENS1_25partition_config_selectorILNS1_17partition_subalgoE9EttbEEZZNS1_14partition_implILS5_9ELb0ES3_jN6thrust23THRUST_200600_302600_NS6detail15normal_iteratorINS9_10device_ptrItEEEESE_PNS0_10empty_typeENS0_5tupleIJSE_SF_EEENSH_IJSE_SG_EEENS0_18inequality_wrapperI22is_equal_div_10_uniqueItEEEPmJSF_EEE10hipError_tPvRmT3_T4_T5_T6_T7_T9_mT8_P12ihipStream_tbDpT10_ENKUlT_T0_E_clISt17integral_constantIbLb1EES17_IbLb0EEEEDaS13_S14_EUlS13_E_NS1_11comp_targetILNS1_3genE4ELNS1_11target_archE910ELNS1_3gpuE8ELNS1_3repE0EEENS1_30default_config_static_selectorELNS0_4arch9wavefront6targetE0EEEvT1_.kd
    .uniform_work_group_size: 1
    .uses_dynamic_stack: false
    .vgpr_count:     0
    .vgpr_spill_count: 0
    .wavefront_size: 32
    .workgroup_processor_mode: 1
  - .args:
      - .offset:         0
        .size:           112
        .value_kind:     by_value
    .group_segment_fixed_size: 0
    .kernarg_segment_align: 8
    .kernarg_segment_size: 112
    .language:       OpenCL C
    .language_version:
      - 2
      - 0
    .max_flat_workgroup_size: 256
    .name:           _ZN7rocprim17ROCPRIM_400000_NS6detail17trampoline_kernelINS0_14default_configENS1_25partition_config_selectorILNS1_17partition_subalgoE9EttbEEZZNS1_14partition_implILS5_9ELb0ES3_jN6thrust23THRUST_200600_302600_NS6detail15normal_iteratorINS9_10device_ptrItEEEESE_PNS0_10empty_typeENS0_5tupleIJSE_SF_EEENSH_IJSE_SG_EEENS0_18inequality_wrapperI22is_equal_div_10_uniqueItEEEPmJSF_EEE10hipError_tPvRmT3_T4_T5_T6_T7_T9_mT8_P12ihipStream_tbDpT10_ENKUlT_T0_E_clISt17integral_constantIbLb1EES17_IbLb0EEEEDaS13_S14_EUlS13_E_NS1_11comp_targetILNS1_3genE3ELNS1_11target_archE908ELNS1_3gpuE7ELNS1_3repE0EEENS1_30default_config_static_selectorELNS0_4arch9wavefront6targetE0EEEvT1_
    .private_segment_fixed_size: 0
    .sgpr_count:     0
    .sgpr_spill_count: 0
    .symbol:         _ZN7rocprim17ROCPRIM_400000_NS6detail17trampoline_kernelINS0_14default_configENS1_25partition_config_selectorILNS1_17partition_subalgoE9EttbEEZZNS1_14partition_implILS5_9ELb0ES3_jN6thrust23THRUST_200600_302600_NS6detail15normal_iteratorINS9_10device_ptrItEEEESE_PNS0_10empty_typeENS0_5tupleIJSE_SF_EEENSH_IJSE_SG_EEENS0_18inequality_wrapperI22is_equal_div_10_uniqueItEEEPmJSF_EEE10hipError_tPvRmT3_T4_T5_T6_T7_T9_mT8_P12ihipStream_tbDpT10_ENKUlT_T0_E_clISt17integral_constantIbLb1EES17_IbLb0EEEEDaS13_S14_EUlS13_E_NS1_11comp_targetILNS1_3genE3ELNS1_11target_archE908ELNS1_3gpuE7ELNS1_3repE0EEENS1_30default_config_static_selectorELNS0_4arch9wavefront6targetE0EEEvT1_.kd
    .uniform_work_group_size: 1
    .uses_dynamic_stack: false
    .vgpr_count:     0
    .vgpr_spill_count: 0
    .wavefront_size: 32
    .workgroup_processor_mode: 1
  - .args:
      - .offset:         0
        .size:           112
        .value_kind:     by_value
    .group_segment_fixed_size: 0
    .kernarg_segment_align: 8
    .kernarg_segment_size: 112
    .language:       OpenCL C
    .language_version:
      - 2
      - 0
    .max_flat_workgroup_size: 256
    .name:           _ZN7rocprim17ROCPRIM_400000_NS6detail17trampoline_kernelINS0_14default_configENS1_25partition_config_selectorILNS1_17partition_subalgoE9EttbEEZZNS1_14partition_implILS5_9ELb0ES3_jN6thrust23THRUST_200600_302600_NS6detail15normal_iteratorINS9_10device_ptrItEEEESE_PNS0_10empty_typeENS0_5tupleIJSE_SF_EEENSH_IJSE_SG_EEENS0_18inequality_wrapperI22is_equal_div_10_uniqueItEEEPmJSF_EEE10hipError_tPvRmT3_T4_T5_T6_T7_T9_mT8_P12ihipStream_tbDpT10_ENKUlT_T0_E_clISt17integral_constantIbLb1EES17_IbLb0EEEEDaS13_S14_EUlS13_E_NS1_11comp_targetILNS1_3genE2ELNS1_11target_archE906ELNS1_3gpuE6ELNS1_3repE0EEENS1_30default_config_static_selectorELNS0_4arch9wavefront6targetE0EEEvT1_
    .private_segment_fixed_size: 0
    .sgpr_count:     0
    .sgpr_spill_count: 0
    .symbol:         _ZN7rocprim17ROCPRIM_400000_NS6detail17trampoline_kernelINS0_14default_configENS1_25partition_config_selectorILNS1_17partition_subalgoE9EttbEEZZNS1_14partition_implILS5_9ELb0ES3_jN6thrust23THRUST_200600_302600_NS6detail15normal_iteratorINS9_10device_ptrItEEEESE_PNS0_10empty_typeENS0_5tupleIJSE_SF_EEENSH_IJSE_SG_EEENS0_18inequality_wrapperI22is_equal_div_10_uniqueItEEEPmJSF_EEE10hipError_tPvRmT3_T4_T5_T6_T7_T9_mT8_P12ihipStream_tbDpT10_ENKUlT_T0_E_clISt17integral_constantIbLb1EES17_IbLb0EEEEDaS13_S14_EUlS13_E_NS1_11comp_targetILNS1_3genE2ELNS1_11target_archE906ELNS1_3gpuE6ELNS1_3repE0EEENS1_30default_config_static_selectorELNS0_4arch9wavefront6targetE0EEEvT1_.kd
    .uniform_work_group_size: 1
    .uses_dynamic_stack: false
    .vgpr_count:     0
    .vgpr_spill_count: 0
    .wavefront_size: 32
    .workgroup_processor_mode: 1
  - .args:
      - .offset:         0
        .size:           112
        .value_kind:     by_value
    .group_segment_fixed_size: 0
    .kernarg_segment_align: 8
    .kernarg_segment_size: 112
    .language:       OpenCL C
    .language_version:
      - 2
      - 0
    .max_flat_workgroup_size: 512
    .name:           _ZN7rocprim17ROCPRIM_400000_NS6detail17trampoline_kernelINS0_14default_configENS1_25partition_config_selectorILNS1_17partition_subalgoE9EttbEEZZNS1_14partition_implILS5_9ELb0ES3_jN6thrust23THRUST_200600_302600_NS6detail15normal_iteratorINS9_10device_ptrItEEEESE_PNS0_10empty_typeENS0_5tupleIJSE_SF_EEENSH_IJSE_SG_EEENS0_18inequality_wrapperI22is_equal_div_10_uniqueItEEEPmJSF_EEE10hipError_tPvRmT3_T4_T5_T6_T7_T9_mT8_P12ihipStream_tbDpT10_ENKUlT_T0_E_clISt17integral_constantIbLb1EES17_IbLb0EEEEDaS13_S14_EUlS13_E_NS1_11comp_targetILNS1_3genE10ELNS1_11target_archE1200ELNS1_3gpuE4ELNS1_3repE0EEENS1_30default_config_static_selectorELNS0_4arch9wavefront6targetE0EEEvT1_
    .private_segment_fixed_size: 0
    .sgpr_count:     0
    .sgpr_spill_count: 0
    .symbol:         _ZN7rocprim17ROCPRIM_400000_NS6detail17trampoline_kernelINS0_14default_configENS1_25partition_config_selectorILNS1_17partition_subalgoE9EttbEEZZNS1_14partition_implILS5_9ELb0ES3_jN6thrust23THRUST_200600_302600_NS6detail15normal_iteratorINS9_10device_ptrItEEEESE_PNS0_10empty_typeENS0_5tupleIJSE_SF_EEENSH_IJSE_SG_EEENS0_18inequality_wrapperI22is_equal_div_10_uniqueItEEEPmJSF_EEE10hipError_tPvRmT3_T4_T5_T6_T7_T9_mT8_P12ihipStream_tbDpT10_ENKUlT_T0_E_clISt17integral_constantIbLb1EES17_IbLb0EEEEDaS13_S14_EUlS13_E_NS1_11comp_targetILNS1_3genE10ELNS1_11target_archE1200ELNS1_3gpuE4ELNS1_3repE0EEENS1_30default_config_static_selectorELNS0_4arch9wavefront6targetE0EEEvT1_.kd
    .uniform_work_group_size: 1
    .uses_dynamic_stack: false
    .vgpr_count:     0
    .vgpr_spill_count: 0
    .wavefront_size: 32
    .workgroup_processor_mode: 1
  - .args:
      - .offset:         0
        .size:           112
        .value_kind:     by_value
    .group_segment_fixed_size: 3080
    .kernarg_segment_align: 8
    .kernarg_segment_size: 112
    .language:       OpenCL C
    .language_version:
      - 2
      - 0
    .max_flat_workgroup_size: 128
    .name:           _ZN7rocprim17ROCPRIM_400000_NS6detail17trampoline_kernelINS0_14default_configENS1_25partition_config_selectorILNS1_17partition_subalgoE9EttbEEZZNS1_14partition_implILS5_9ELb0ES3_jN6thrust23THRUST_200600_302600_NS6detail15normal_iteratorINS9_10device_ptrItEEEESE_PNS0_10empty_typeENS0_5tupleIJSE_SF_EEENSH_IJSE_SG_EEENS0_18inequality_wrapperI22is_equal_div_10_uniqueItEEEPmJSF_EEE10hipError_tPvRmT3_T4_T5_T6_T7_T9_mT8_P12ihipStream_tbDpT10_ENKUlT_T0_E_clISt17integral_constantIbLb1EES17_IbLb0EEEEDaS13_S14_EUlS13_E_NS1_11comp_targetILNS1_3genE9ELNS1_11target_archE1100ELNS1_3gpuE3ELNS1_3repE0EEENS1_30default_config_static_selectorELNS0_4arch9wavefront6targetE0EEEvT1_
    .private_segment_fixed_size: 0
    .sgpr_count:     27
    .sgpr_spill_count: 0
    .symbol:         _ZN7rocprim17ROCPRIM_400000_NS6detail17trampoline_kernelINS0_14default_configENS1_25partition_config_selectorILNS1_17partition_subalgoE9EttbEEZZNS1_14partition_implILS5_9ELb0ES3_jN6thrust23THRUST_200600_302600_NS6detail15normal_iteratorINS9_10device_ptrItEEEESE_PNS0_10empty_typeENS0_5tupleIJSE_SF_EEENSH_IJSE_SG_EEENS0_18inequality_wrapperI22is_equal_div_10_uniqueItEEEPmJSF_EEE10hipError_tPvRmT3_T4_T5_T6_T7_T9_mT8_P12ihipStream_tbDpT10_ENKUlT_T0_E_clISt17integral_constantIbLb1EES17_IbLb0EEEEDaS13_S14_EUlS13_E_NS1_11comp_targetILNS1_3genE9ELNS1_11target_archE1100ELNS1_3gpuE3ELNS1_3repE0EEENS1_30default_config_static_selectorELNS0_4arch9wavefront6targetE0EEEvT1_.kd
    .uniform_work_group_size: 1
    .uses_dynamic_stack: false
    .vgpr_count:     81
    .vgpr_spill_count: 0
    .wavefront_size: 32
    .workgroup_processor_mode: 1
  - .args:
      - .offset:         0
        .size:           112
        .value_kind:     by_value
    .group_segment_fixed_size: 0
    .kernarg_segment_align: 8
    .kernarg_segment_size: 112
    .language:       OpenCL C
    .language_version:
      - 2
      - 0
    .max_flat_workgroup_size: 384
    .name:           _ZN7rocprim17ROCPRIM_400000_NS6detail17trampoline_kernelINS0_14default_configENS1_25partition_config_selectorILNS1_17partition_subalgoE9EttbEEZZNS1_14partition_implILS5_9ELb0ES3_jN6thrust23THRUST_200600_302600_NS6detail15normal_iteratorINS9_10device_ptrItEEEESE_PNS0_10empty_typeENS0_5tupleIJSE_SF_EEENSH_IJSE_SG_EEENS0_18inequality_wrapperI22is_equal_div_10_uniqueItEEEPmJSF_EEE10hipError_tPvRmT3_T4_T5_T6_T7_T9_mT8_P12ihipStream_tbDpT10_ENKUlT_T0_E_clISt17integral_constantIbLb1EES17_IbLb0EEEEDaS13_S14_EUlS13_E_NS1_11comp_targetILNS1_3genE8ELNS1_11target_archE1030ELNS1_3gpuE2ELNS1_3repE0EEENS1_30default_config_static_selectorELNS0_4arch9wavefront6targetE0EEEvT1_
    .private_segment_fixed_size: 0
    .sgpr_count:     0
    .sgpr_spill_count: 0
    .symbol:         _ZN7rocprim17ROCPRIM_400000_NS6detail17trampoline_kernelINS0_14default_configENS1_25partition_config_selectorILNS1_17partition_subalgoE9EttbEEZZNS1_14partition_implILS5_9ELb0ES3_jN6thrust23THRUST_200600_302600_NS6detail15normal_iteratorINS9_10device_ptrItEEEESE_PNS0_10empty_typeENS0_5tupleIJSE_SF_EEENSH_IJSE_SG_EEENS0_18inequality_wrapperI22is_equal_div_10_uniqueItEEEPmJSF_EEE10hipError_tPvRmT3_T4_T5_T6_T7_T9_mT8_P12ihipStream_tbDpT10_ENKUlT_T0_E_clISt17integral_constantIbLb1EES17_IbLb0EEEEDaS13_S14_EUlS13_E_NS1_11comp_targetILNS1_3genE8ELNS1_11target_archE1030ELNS1_3gpuE2ELNS1_3repE0EEENS1_30default_config_static_selectorELNS0_4arch9wavefront6targetE0EEEvT1_.kd
    .uniform_work_group_size: 1
    .uses_dynamic_stack: false
    .vgpr_count:     0
    .vgpr_spill_count: 0
    .wavefront_size: 32
    .workgroup_processor_mode: 1
  - .args:
      - .offset:         0
        .size:           128
        .value_kind:     by_value
    .group_segment_fixed_size: 0
    .kernarg_segment_align: 8
    .kernarg_segment_size: 128
    .language:       OpenCL C
    .language_version:
      - 2
      - 0
    .max_flat_workgroup_size: 256
    .name:           _ZN7rocprim17ROCPRIM_400000_NS6detail17trampoline_kernelINS0_14default_configENS1_25partition_config_selectorILNS1_17partition_subalgoE9EttbEEZZNS1_14partition_implILS5_9ELb0ES3_jN6thrust23THRUST_200600_302600_NS6detail15normal_iteratorINS9_10device_ptrItEEEESE_PNS0_10empty_typeENS0_5tupleIJSE_SF_EEENSH_IJSE_SG_EEENS0_18inequality_wrapperI22is_equal_div_10_uniqueItEEEPmJSF_EEE10hipError_tPvRmT3_T4_T5_T6_T7_T9_mT8_P12ihipStream_tbDpT10_ENKUlT_T0_E_clISt17integral_constantIbLb0EES17_IbLb1EEEEDaS13_S14_EUlS13_E_NS1_11comp_targetILNS1_3genE0ELNS1_11target_archE4294967295ELNS1_3gpuE0ELNS1_3repE0EEENS1_30default_config_static_selectorELNS0_4arch9wavefront6targetE0EEEvT1_
    .private_segment_fixed_size: 0
    .sgpr_count:     0
    .sgpr_spill_count: 0
    .symbol:         _ZN7rocprim17ROCPRIM_400000_NS6detail17trampoline_kernelINS0_14default_configENS1_25partition_config_selectorILNS1_17partition_subalgoE9EttbEEZZNS1_14partition_implILS5_9ELb0ES3_jN6thrust23THRUST_200600_302600_NS6detail15normal_iteratorINS9_10device_ptrItEEEESE_PNS0_10empty_typeENS0_5tupleIJSE_SF_EEENSH_IJSE_SG_EEENS0_18inequality_wrapperI22is_equal_div_10_uniqueItEEEPmJSF_EEE10hipError_tPvRmT3_T4_T5_T6_T7_T9_mT8_P12ihipStream_tbDpT10_ENKUlT_T0_E_clISt17integral_constantIbLb0EES17_IbLb1EEEEDaS13_S14_EUlS13_E_NS1_11comp_targetILNS1_3genE0ELNS1_11target_archE4294967295ELNS1_3gpuE0ELNS1_3repE0EEENS1_30default_config_static_selectorELNS0_4arch9wavefront6targetE0EEEvT1_.kd
    .uniform_work_group_size: 1
    .uses_dynamic_stack: false
    .vgpr_count:     0
    .vgpr_spill_count: 0
    .wavefront_size: 32
    .workgroup_processor_mode: 1
  - .args:
      - .offset:         0
        .size:           128
        .value_kind:     by_value
    .group_segment_fixed_size: 0
    .kernarg_segment_align: 8
    .kernarg_segment_size: 128
    .language:       OpenCL C
    .language_version:
      - 2
      - 0
    .max_flat_workgroup_size: 512
    .name:           _ZN7rocprim17ROCPRIM_400000_NS6detail17trampoline_kernelINS0_14default_configENS1_25partition_config_selectorILNS1_17partition_subalgoE9EttbEEZZNS1_14partition_implILS5_9ELb0ES3_jN6thrust23THRUST_200600_302600_NS6detail15normal_iteratorINS9_10device_ptrItEEEESE_PNS0_10empty_typeENS0_5tupleIJSE_SF_EEENSH_IJSE_SG_EEENS0_18inequality_wrapperI22is_equal_div_10_uniqueItEEEPmJSF_EEE10hipError_tPvRmT3_T4_T5_T6_T7_T9_mT8_P12ihipStream_tbDpT10_ENKUlT_T0_E_clISt17integral_constantIbLb0EES17_IbLb1EEEEDaS13_S14_EUlS13_E_NS1_11comp_targetILNS1_3genE5ELNS1_11target_archE942ELNS1_3gpuE9ELNS1_3repE0EEENS1_30default_config_static_selectorELNS0_4arch9wavefront6targetE0EEEvT1_
    .private_segment_fixed_size: 0
    .sgpr_count:     0
    .sgpr_spill_count: 0
    .symbol:         _ZN7rocprim17ROCPRIM_400000_NS6detail17trampoline_kernelINS0_14default_configENS1_25partition_config_selectorILNS1_17partition_subalgoE9EttbEEZZNS1_14partition_implILS5_9ELb0ES3_jN6thrust23THRUST_200600_302600_NS6detail15normal_iteratorINS9_10device_ptrItEEEESE_PNS0_10empty_typeENS0_5tupleIJSE_SF_EEENSH_IJSE_SG_EEENS0_18inequality_wrapperI22is_equal_div_10_uniqueItEEEPmJSF_EEE10hipError_tPvRmT3_T4_T5_T6_T7_T9_mT8_P12ihipStream_tbDpT10_ENKUlT_T0_E_clISt17integral_constantIbLb0EES17_IbLb1EEEEDaS13_S14_EUlS13_E_NS1_11comp_targetILNS1_3genE5ELNS1_11target_archE942ELNS1_3gpuE9ELNS1_3repE0EEENS1_30default_config_static_selectorELNS0_4arch9wavefront6targetE0EEEvT1_.kd
    .uniform_work_group_size: 1
    .uses_dynamic_stack: false
    .vgpr_count:     0
    .vgpr_spill_count: 0
    .wavefront_size: 32
    .workgroup_processor_mode: 1
  - .args:
      - .offset:         0
        .size:           128
        .value_kind:     by_value
    .group_segment_fixed_size: 0
    .kernarg_segment_align: 8
    .kernarg_segment_size: 128
    .language:       OpenCL C
    .language_version:
      - 2
      - 0
    .max_flat_workgroup_size: 256
    .name:           _ZN7rocprim17ROCPRIM_400000_NS6detail17trampoline_kernelINS0_14default_configENS1_25partition_config_selectorILNS1_17partition_subalgoE9EttbEEZZNS1_14partition_implILS5_9ELb0ES3_jN6thrust23THRUST_200600_302600_NS6detail15normal_iteratorINS9_10device_ptrItEEEESE_PNS0_10empty_typeENS0_5tupleIJSE_SF_EEENSH_IJSE_SG_EEENS0_18inequality_wrapperI22is_equal_div_10_uniqueItEEEPmJSF_EEE10hipError_tPvRmT3_T4_T5_T6_T7_T9_mT8_P12ihipStream_tbDpT10_ENKUlT_T0_E_clISt17integral_constantIbLb0EES17_IbLb1EEEEDaS13_S14_EUlS13_E_NS1_11comp_targetILNS1_3genE4ELNS1_11target_archE910ELNS1_3gpuE8ELNS1_3repE0EEENS1_30default_config_static_selectorELNS0_4arch9wavefront6targetE0EEEvT1_
    .private_segment_fixed_size: 0
    .sgpr_count:     0
    .sgpr_spill_count: 0
    .symbol:         _ZN7rocprim17ROCPRIM_400000_NS6detail17trampoline_kernelINS0_14default_configENS1_25partition_config_selectorILNS1_17partition_subalgoE9EttbEEZZNS1_14partition_implILS5_9ELb0ES3_jN6thrust23THRUST_200600_302600_NS6detail15normal_iteratorINS9_10device_ptrItEEEESE_PNS0_10empty_typeENS0_5tupleIJSE_SF_EEENSH_IJSE_SG_EEENS0_18inequality_wrapperI22is_equal_div_10_uniqueItEEEPmJSF_EEE10hipError_tPvRmT3_T4_T5_T6_T7_T9_mT8_P12ihipStream_tbDpT10_ENKUlT_T0_E_clISt17integral_constantIbLb0EES17_IbLb1EEEEDaS13_S14_EUlS13_E_NS1_11comp_targetILNS1_3genE4ELNS1_11target_archE910ELNS1_3gpuE8ELNS1_3repE0EEENS1_30default_config_static_selectorELNS0_4arch9wavefront6targetE0EEEvT1_.kd
    .uniform_work_group_size: 1
    .uses_dynamic_stack: false
    .vgpr_count:     0
    .vgpr_spill_count: 0
    .wavefront_size: 32
    .workgroup_processor_mode: 1
  - .args:
      - .offset:         0
        .size:           128
        .value_kind:     by_value
    .group_segment_fixed_size: 0
    .kernarg_segment_align: 8
    .kernarg_segment_size: 128
    .language:       OpenCL C
    .language_version:
      - 2
      - 0
    .max_flat_workgroup_size: 256
    .name:           _ZN7rocprim17ROCPRIM_400000_NS6detail17trampoline_kernelINS0_14default_configENS1_25partition_config_selectorILNS1_17partition_subalgoE9EttbEEZZNS1_14partition_implILS5_9ELb0ES3_jN6thrust23THRUST_200600_302600_NS6detail15normal_iteratorINS9_10device_ptrItEEEESE_PNS0_10empty_typeENS0_5tupleIJSE_SF_EEENSH_IJSE_SG_EEENS0_18inequality_wrapperI22is_equal_div_10_uniqueItEEEPmJSF_EEE10hipError_tPvRmT3_T4_T5_T6_T7_T9_mT8_P12ihipStream_tbDpT10_ENKUlT_T0_E_clISt17integral_constantIbLb0EES17_IbLb1EEEEDaS13_S14_EUlS13_E_NS1_11comp_targetILNS1_3genE3ELNS1_11target_archE908ELNS1_3gpuE7ELNS1_3repE0EEENS1_30default_config_static_selectorELNS0_4arch9wavefront6targetE0EEEvT1_
    .private_segment_fixed_size: 0
    .sgpr_count:     0
    .sgpr_spill_count: 0
    .symbol:         _ZN7rocprim17ROCPRIM_400000_NS6detail17trampoline_kernelINS0_14default_configENS1_25partition_config_selectorILNS1_17partition_subalgoE9EttbEEZZNS1_14partition_implILS5_9ELb0ES3_jN6thrust23THRUST_200600_302600_NS6detail15normal_iteratorINS9_10device_ptrItEEEESE_PNS0_10empty_typeENS0_5tupleIJSE_SF_EEENSH_IJSE_SG_EEENS0_18inequality_wrapperI22is_equal_div_10_uniqueItEEEPmJSF_EEE10hipError_tPvRmT3_T4_T5_T6_T7_T9_mT8_P12ihipStream_tbDpT10_ENKUlT_T0_E_clISt17integral_constantIbLb0EES17_IbLb1EEEEDaS13_S14_EUlS13_E_NS1_11comp_targetILNS1_3genE3ELNS1_11target_archE908ELNS1_3gpuE7ELNS1_3repE0EEENS1_30default_config_static_selectorELNS0_4arch9wavefront6targetE0EEEvT1_.kd
    .uniform_work_group_size: 1
    .uses_dynamic_stack: false
    .vgpr_count:     0
    .vgpr_spill_count: 0
    .wavefront_size: 32
    .workgroup_processor_mode: 1
  - .args:
      - .offset:         0
        .size:           128
        .value_kind:     by_value
    .group_segment_fixed_size: 0
    .kernarg_segment_align: 8
    .kernarg_segment_size: 128
    .language:       OpenCL C
    .language_version:
      - 2
      - 0
    .max_flat_workgroup_size: 256
    .name:           _ZN7rocprim17ROCPRIM_400000_NS6detail17trampoline_kernelINS0_14default_configENS1_25partition_config_selectorILNS1_17partition_subalgoE9EttbEEZZNS1_14partition_implILS5_9ELb0ES3_jN6thrust23THRUST_200600_302600_NS6detail15normal_iteratorINS9_10device_ptrItEEEESE_PNS0_10empty_typeENS0_5tupleIJSE_SF_EEENSH_IJSE_SG_EEENS0_18inequality_wrapperI22is_equal_div_10_uniqueItEEEPmJSF_EEE10hipError_tPvRmT3_T4_T5_T6_T7_T9_mT8_P12ihipStream_tbDpT10_ENKUlT_T0_E_clISt17integral_constantIbLb0EES17_IbLb1EEEEDaS13_S14_EUlS13_E_NS1_11comp_targetILNS1_3genE2ELNS1_11target_archE906ELNS1_3gpuE6ELNS1_3repE0EEENS1_30default_config_static_selectorELNS0_4arch9wavefront6targetE0EEEvT1_
    .private_segment_fixed_size: 0
    .sgpr_count:     0
    .sgpr_spill_count: 0
    .symbol:         _ZN7rocprim17ROCPRIM_400000_NS6detail17trampoline_kernelINS0_14default_configENS1_25partition_config_selectorILNS1_17partition_subalgoE9EttbEEZZNS1_14partition_implILS5_9ELb0ES3_jN6thrust23THRUST_200600_302600_NS6detail15normal_iteratorINS9_10device_ptrItEEEESE_PNS0_10empty_typeENS0_5tupleIJSE_SF_EEENSH_IJSE_SG_EEENS0_18inequality_wrapperI22is_equal_div_10_uniqueItEEEPmJSF_EEE10hipError_tPvRmT3_T4_T5_T6_T7_T9_mT8_P12ihipStream_tbDpT10_ENKUlT_T0_E_clISt17integral_constantIbLb0EES17_IbLb1EEEEDaS13_S14_EUlS13_E_NS1_11comp_targetILNS1_3genE2ELNS1_11target_archE906ELNS1_3gpuE6ELNS1_3repE0EEENS1_30default_config_static_selectorELNS0_4arch9wavefront6targetE0EEEvT1_.kd
    .uniform_work_group_size: 1
    .uses_dynamic_stack: false
    .vgpr_count:     0
    .vgpr_spill_count: 0
    .wavefront_size: 32
    .workgroup_processor_mode: 1
  - .args:
      - .offset:         0
        .size:           128
        .value_kind:     by_value
    .group_segment_fixed_size: 0
    .kernarg_segment_align: 8
    .kernarg_segment_size: 128
    .language:       OpenCL C
    .language_version:
      - 2
      - 0
    .max_flat_workgroup_size: 512
    .name:           _ZN7rocprim17ROCPRIM_400000_NS6detail17trampoline_kernelINS0_14default_configENS1_25partition_config_selectorILNS1_17partition_subalgoE9EttbEEZZNS1_14partition_implILS5_9ELb0ES3_jN6thrust23THRUST_200600_302600_NS6detail15normal_iteratorINS9_10device_ptrItEEEESE_PNS0_10empty_typeENS0_5tupleIJSE_SF_EEENSH_IJSE_SG_EEENS0_18inequality_wrapperI22is_equal_div_10_uniqueItEEEPmJSF_EEE10hipError_tPvRmT3_T4_T5_T6_T7_T9_mT8_P12ihipStream_tbDpT10_ENKUlT_T0_E_clISt17integral_constantIbLb0EES17_IbLb1EEEEDaS13_S14_EUlS13_E_NS1_11comp_targetILNS1_3genE10ELNS1_11target_archE1200ELNS1_3gpuE4ELNS1_3repE0EEENS1_30default_config_static_selectorELNS0_4arch9wavefront6targetE0EEEvT1_
    .private_segment_fixed_size: 0
    .sgpr_count:     0
    .sgpr_spill_count: 0
    .symbol:         _ZN7rocprim17ROCPRIM_400000_NS6detail17trampoline_kernelINS0_14default_configENS1_25partition_config_selectorILNS1_17partition_subalgoE9EttbEEZZNS1_14partition_implILS5_9ELb0ES3_jN6thrust23THRUST_200600_302600_NS6detail15normal_iteratorINS9_10device_ptrItEEEESE_PNS0_10empty_typeENS0_5tupleIJSE_SF_EEENSH_IJSE_SG_EEENS0_18inequality_wrapperI22is_equal_div_10_uniqueItEEEPmJSF_EEE10hipError_tPvRmT3_T4_T5_T6_T7_T9_mT8_P12ihipStream_tbDpT10_ENKUlT_T0_E_clISt17integral_constantIbLb0EES17_IbLb1EEEEDaS13_S14_EUlS13_E_NS1_11comp_targetILNS1_3genE10ELNS1_11target_archE1200ELNS1_3gpuE4ELNS1_3repE0EEENS1_30default_config_static_selectorELNS0_4arch9wavefront6targetE0EEEvT1_.kd
    .uniform_work_group_size: 1
    .uses_dynamic_stack: false
    .vgpr_count:     0
    .vgpr_spill_count: 0
    .wavefront_size: 32
    .workgroup_processor_mode: 1
  - .args:
      - .offset:         0
        .size:           128
        .value_kind:     by_value
    .group_segment_fixed_size: 3080
    .kernarg_segment_align: 8
    .kernarg_segment_size: 128
    .language:       OpenCL C
    .language_version:
      - 2
      - 0
    .max_flat_workgroup_size: 128
    .name:           _ZN7rocprim17ROCPRIM_400000_NS6detail17trampoline_kernelINS0_14default_configENS1_25partition_config_selectorILNS1_17partition_subalgoE9EttbEEZZNS1_14partition_implILS5_9ELb0ES3_jN6thrust23THRUST_200600_302600_NS6detail15normal_iteratorINS9_10device_ptrItEEEESE_PNS0_10empty_typeENS0_5tupleIJSE_SF_EEENSH_IJSE_SG_EEENS0_18inequality_wrapperI22is_equal_div_10_uniqueItEEEPmJSF_EEE10hipError_tPvRmT3_T4_T5_T6_T7_T9_mT8_P12ihipStream_tbDpT10_ENKUlT_T0_E_clISt17integral_constantIbLb0EES17_IbLb1EEEEDaS13_S14_EUlS13_E_NS1_11comp_targetILNS1_3genE9ELNS1_11target_archE1100ELNS1_3gpuE3ELNS1_3repE0EEENS1_30default_config_static_selectorELNS0_4arch9wavefront6targetE0EEEvT1_
    .private_segment_fixed_size: 0
    .sgpr_count:     33
    .sgpr_spill_count: 0
    .symbol:         _ZN7rocprim17ROCPRIM_400000_NS6detail17trampoline_kernelINS0_14default_configENS1_25partition_config_selectorILNS1_17partition_subalgoE9EttbEEZZNS1_14partition_implILS5_9ELb0ES3_jN6thrust23THRUST_200600_302600_NS6detail15normal_iteratorINS9_10device_ptrItEEEESE_PNS0_10empty_typeENS0_5tupleIJSE_SF_EEENSH_IJSE_SG_EEENS0_18inequality_wrapperI22is_equal_div_10_uniqueItEEEPmJSF_EEE10hipError_tPvRmT3_T4_T5_T6_T7_T9_mT8_P12ihipStream_tbDpT10_ENKUlT_T0_E_clISt17integral_constantIbLb0EES17_IbLb1EEEEDaS13_S14_EUlS13_E_NS1_11comp_targetILNS1_3genE9ELNS1_11target_archE1100ELNS1_3gpuE3ELNS1_3repE0EEENS1_30default_config_static_selectorELNS0_4arch9wavefront6targetE0EEEvT1_.kd
    .uniform_work_group_size: 1
    .uses_dynamic_stack: false
    .vgpr_count:     81
    .vgpr_spill_count: 0
    .wavefront_size: 32
    .workgroup_processor_mode: 1
  - .args:
      - .offset:         0
        .size:           128
        .value_kind:     by_value
    .group_segment_fixed_size: 0
    .kernarg_segment_align: 8
    .kernarg_segment_size: 128
    .language:       OpenCL C
    .language_version:
      - 2
      - 0
    .max_flat_workgroup_size: 384
    .name:           _ZN7rocprim17ROCPRIM_400000_NS6detail17trampoline_kernelINS0_14default_configENS1_25partition_config_selectorILNS1_17partition_subalgoE9EttbEEZZNS1_14partition_implILS5_9ELb0ES3_jN6thrust23THRUST_200600_302600_NS6detail15normal_iteratorINS9_10device_ptrItEEEESE_PNS0_10empty_typeENS0_5tupleIJSE_SF_EEENSH_IJSE_SG_EEENS0_18inequality_wrapperI22is_equal_div_10_uniqueItEEEPmJSF_EEE10hipError_tPvRmT3_T4_T5_T6_T7_T9_mT8_P12ihipStream_tbDpT10_ENKUlT_T0_E_clISt17integral_constantIbLb0EES17_IbLb1EEEEDaS13_S14_EUlS13_E_NS1_11comp_targetILNS1_3genE8ELNS1_11target_archE1030ELNS1_3gpuE2ELNS1_3repE0EEENS1_30default_config_static_selectorELNS0_4arch9wavefront6targetE0EEEvT1_
    .private_segment_fixed_size: 0
    .sgpr_count:     0
    .sgpr_spill_count: 0
    .symbol:         _ZN7rocprim17ROCPRIM_400000_NS6detail17trampoline_kernelINS0_14default_configENS1_25partition_config_selectorILNS1_17partition_subalgoE9EttbEEZZNS1_14partition_implILS5_9ELb0ES3_jN6thrust23THRUST_200600_302600_NS6detail15normal_iteratorINS9_10device_ptrItEEEESE_PNS0_10empty_typeENS0_5tupleIJSE_SF_EEENSH_IJSE_SG_EEENS0_18inequality_wrapperI22is_equal_div_10_uniqueItEEEPmJSF_EEE10hipError_tPvRmT3_T4_T5_T6_T7_T9_mT8_P12ihipStream_tbDpT10_ENKUlT_T0_E_clISt17integral_constantIbLb0EES17_IbLb1EEEEDaS13_S14_EUlS13_E_NS1_11comp_targetILNS1_3genE8ELNS1_11target_archE1030ELNS1_3gpuE2ELNS1_3repE0EEENS1_30default_config_static_selectorELNS0_4arch9wavefront6targetE0EEEvT1_.kd
    .uniform_work_group_size: 1
    .uses_dynamic_stack: false
    .vgpr_count:     0
    .vgpr_spill_count: 0
    .wavefront_size: 32
    .workgroup_processor_mode: 1
  - .args:
      - .offset:         0
        .size:           16
        .value_kind:     by_value
      - .offset:         16
        .size:           8
        .value_kind:     by_value
      - .offset:         24
        .size:           8
        .value_kind:     by_value
    .group_segment_fixed_size: 0
    .kernarg_segment_align: 8
    .kernarg_segment_size: 32
    .language:       OpenCL C
    .language_version:
      - 2
      - 0
    .max_flat_workgroup_size: 256
    .name:           _ZN6thrust23THRUST_200600_302600_NS11hip_rocprim14__parallel_for6kernelILj256ENS1_20__uninitialized_fill7functorINS0_10device_ptrIxEExEEmLj1EEEvT0_T1_SA_
    .private_segment_fixed_size: 0
    .sgpr_count:     18
    .sgpr_spill_count: 0
    .symbol:         _ZN6thrust23THRUST_200600_302600_NS11hip_rocprim14__parallel_for6kernelILj256ENS1_20__uninitialized_fill7functorINS0_10device_ptrIxEExEEmLj1EEEvT0_T1_SA_.kd
    .uniform_work_group_size: 1
    .uses_dynamic_stack: false
    .vgpr_count:     4
    .vgpr_spill_count: 0
    .wavefront_size: 32
    .workgroup_processor_mode: 1
  - .args:
      - .offset:         0
        .size:           112
        .value_kind:     by_value
    .group_segment_fixed_size: 0
    .kernarg_segment_align: 8
    .kernarg_segment_size: 112
    .language:       OpenCL C
    .language_version:
      - 2
      - 0
    .max_flat_workgroup_size: 128
    .name:           _ZN7rocprim17ROCPRIM_400000_NS6detail17trampoline_kernelINS0_14default_configENS1_25partition_config_selectorILNS1_17partition_subalgoE9ExxbEEZZNS1_14partition_implILS5_9ELb0ES3_jN6thrust23THRUST_200600_302600_NS6detail15normal_iteratorINS9_10device_ptrIxEEEESE_PNS0_10empty_typeENS0_5tupleIJSE_SF_EEENSH_IJSE_SG_EEENS0_18inequality_wrapperINS9_8equal_toIxEEEEPmJSF_EEE10hipError_tPvRmT3_T4_T5_T6_T7_T9_mT8_P12ihipStream_tbDpT10_ENKUlT_T0_E_clISt17integral_constantIbLb0EES18_EEDaS13_S14_EUlS13_E_NS1_11comp_targetILNS1_3genE0ELNS1_11target_archE4294967295ELNS1_3gpuE0ELNS1_3repE0EEENS1_30default_config_static_selectorELNS0_4arch9wavefront6targetE0EEEvT1_
    .private_segment_fixed_size: 0
    .sgpr_count:     0
    .sgpr_spill_count: 0
    .symbol:         _ZN7rocprim17ROCPRIM_400000_NS6detail17trampoline_kernelINS0_14default_configENS1_25partition_config_selectorILNS1_17partition_subalgoE9ExxbEEZZNS1_14partition_implILS5_9ELb0ES3_jN6thrust23THRUST_200600_302600_NS6detail15normal_iteratorINS9_10device_ptrIxEEEESE_PNS0_10empty_typeENS0_5tupleIJSE_SF_EEENSH_IJSE_SG_EEENS0_18inequality_wrapperINS9_8equal_toIxEEEEPmJSF_EEE10hipError_tPvRmT3_T4_T5_T6_T7_T9_mT8_P12ihipStream_tbDpT10_ENKUlT_T0_E_clISt17integral_constantIbLb0EES18_EEDaS13_S14_EUlS13_E_NS1_11comp_targetILNS1_3genE0ELNS1_11target_archE4294967295ELNS1_3gpuE0ELNS1_3repE0EEENS1_30default_config_static_selectorELNS0_4arch9wavefront6targetE0EEEvT1_.kd
    .uniform_work_group_size: 1
    .uses_dynamic_stack: false
    .vgpr_count:     0
    .vgpr_spill_count: 0
    .wavefront_size: 32
    .workgroup_processor_mode: 1
  - .args:
      - .offset:         0
        .size:           112
        .value_kind:     by_value
    .group_segment_fixed_size: 0
    .kernarg_segment_align: 8
    .kernarg_segment_size: 112
    .language:       OpenCL C
    .language_version:
      - 2
      - 0
    .max_flat_workgroup_size: 512
    .name:           _ZN7rocprim17ROCPRIM_400000_NS6detail17trampoline_kernelINS0_14default_configENS1_25partition_config_selectorILNS1_17partition_subalgoE9ExxbEEZZNS1_14partition_implILS5_9ELb0ES3_jN6thrust23THRUST_200600_302600_NS6detail15normal_iteratorINS9_10device_ptrIxEEEESE_PNS0_10empty_typeENS0_5tupleIJSE_SF_EEENSH_IJSE_SG_EEENS0_18inequality_wrapperINS9_8equal_toIxEEEEPmJSF_EEE10hipError_tPvRmT3_T4_T5_T6_T7_T9_mT8_P12ihipStream_tbDpT10_ENKUlT_T0_E_clISt17integral_constantIbLb0EES18_EEDaS13_S14_EUlS13_E_NS1_11comp_targetILNS1_3genE5ELNS1_11target_archE942ELNS1_3gpuE9ELNS1_3repE0EEENS1_30default_config_static_selectorELNS0_4arch9wavefront6targetE0EEEvT1_
    .private_segment_fixed_size: 0
    .sgpr_count:     0
    .sgpr_spill_count: 0
    .symbol:         _ZN7rocprim17ROCPRIM_400000_NS6detail17trampoline_kernelINS0_14default_configENS1_25partition_config_selectorILNS1_17partition_subalgoE9ExxbEEZZNS1_14partition_implILS5_9ELb0ES3_jN6thrust23THRUST_200600_302600_NS6detail15normal_iteratorINS9_10device_ptrIxEEEESE_PNS0_10empty_typeENS0_5tupleIJSE_SF_EEENSH_IJSE_SG_EEENS0_18inequality_wrapperINS9_8equal_toIxEEEEPmJSF_EEE10hipError_tPvRmT3_T4_T5_T6_T7_T9_mT8_P12ihipStream_tbDpT10_ENKUlT_T0_E_clISt17integral_constantIbLb0EES18_EEDaS13_S14_EUlS13_E_NS1_11comp_targetILNS1_3genE5ELNS1_11target_archE942ELNS1_3gpuE9ELNS1_3repE0EEENS1_30default_config_static_selectorELNS0_4arch9wavefront6targetE0EEEvT1_.kd
    .uniform_work_group_size: 1
    .uses_dynamic_stack: false
    .vgpr_count:     0
    .vgpr_spill_count: 0
    .wavefront_size: 32
    .workgroup_processor_mode: 1
  - .args:
      - .offset:         0
        .size:           112
        .value_kind:     by_value
    .group_segment_fixed_size: 0
    .kernarg_segment_align: 8
    .kernarg_segment_size: 112
    .language:       OpenCL C
    .language_version:
      - 2
      - 0
    .max_flat_workgroup_size: 128
    .name:           _ZN7rocprim17ROCPRIM_400000_NS6detail17trampoline_kernelINS0_14default_configENS1_25partition_config_selectorILNS1_17partition_subalgoE9ExxbEEZZNS1_14partition_implILS5_9ELb0ES3_jN6thrust23THRUST_200600_302600_NS6detail15normal_iteratorINS9_10device_ptrIxEEEESE_PNS0_10empty_typeENS0_5tupleIJSE_SF_EEENSH_IJSE_SG_EEENS0_18inequality_wrapperINS9_8equal_toIxEEEEPmJSF_EEE10hipError_tPvRmT3_T4_T5_T6_T7_T9_mT8_P12ihipStream_tbDpT10_ENKUlT_T0_E_clISt17integral_constantIbLb0EES18_EEDaS13_S14_EUlS13_E_NS1_11comp_targetILNS1_3genE4ELNS1_11target_archE910ELNS1_3gpuE8ELNS1_3repE0EEENS1_30default_config_static_selectorELNS0_4arch9wavefront6targetE0EEEvT1_
    .private_segment_fixed_size: 0
    .sgpr_count:     0
    .sgpr_spill_count: 0
    .symbol:         _ZN7rocprim17ROCPRIM_400000_NS6detail17trampoline_kernelINS0_14default_configENS1_25partition_config_selectorILNS1_17partition_subalgoE9ExxbEEZZNS1_14partition_implILS5_9ELb0ES3_jN6thrust23THRUST_200600_302600_NS6detail15normal_iteratorINS9_10device_ptrIxEEEESE_PNS0_10empty_typeENS0_5tupleIJSE_SF_EEENSH_IJSE_SG_EEENS0_18inequality_wrapperINS9_8equal_toIxEEEEPmJSF_EEE10hipError_tPvRmT3_T4_T5_T6_T7_T9_mT8_P12ihipStream_tbDpT10_ENKUlT_T0_E_clISt17integral_constantIbLb0EES18_EEDaS13_S14_EUlS13_E_NS1_11comp_targetILNS1_3genE4ELNS1_11target_archE910ELNS1_3gpuE8ELNS1_3repE0EEENS1_30default_config_static_selectorELNS0_4arch9wavefront6targetE0EEEvT1_.kd
    .uniform_work_group_size: 1
    .uses_dynamic_stack: false
    .vgpr_count:     0
    .vgpr_spill_count: 0
    .wavefront_size: 32
    .workgroup_processor_mode: 1
  - .args:
      - .offset:         0
        .size:           112
        .value_kind:     by_value
    .group_segment_fixed_size: 0
    .kernarg_segment_align: 8
    .kernarg_segment_size: 112
    .language:       OpenCL C
    .language_version:
      - 2
      - 0
    .max_flat_workgroup_size: 128
    .name:           _ZN7rocprim17ROCPRIM_400000_NS6detail17trampoline_kernelINS0_14default_configENS1_25partition_config_selectorILNS1_17partition_subalgoE9ExxbEEZZNS1_14partition_implILS5_9ELb0ES3_jN6thrust23THRUST_200600_302600_NS6detail15normal_iteratorINS9_10device_ptrIxEEEESE_PNS0_10empty_typeENS0_5tupleIJSE_SF_EEENSH_IJSE_SG_EEENS0_18inequality_wrapperINS9_8equal_toIxEEEEPmJSF_EEE10hipError_tPvRmT3_T4_T5_T6_T7_T9_mT8_P12ihipStream_tbDpT10_ENKUlT_T0_E_clISt17integral_constantIbLb0EES18_EEDaS13_S14_EUlS13_E_NS1_11comp_targetILNS1_3genE3ELNS1_11target_archE908ELNS1_3gpuE7ELNS1_3repE0EEENS1_30default_config_static_selectorELNS0_4arch9wavefront6targetE0EEEvT1_
    .private_segment_fixed_size: 0
    .sgpr_count:     0
    .sgpr_spill_count: 0
    .symbol:         _ZN7rocprim17ROCPRIM_400000_NS6detail17trampoline_kernelINS0_14default_configENS1_25partition_config_selectorILNS1_17partition_subalgoE9ExxbEEZZNS1_14partition_implILS5_9ELb0ES3_jN6thrust23THRUST_200600_302600_NS6detail15normal_iteratorINS9_10device_ptrIxEEEESE_PNS0_10empty_typeENS0_5tupleIJSE_SF_EEENSH_IJSE_SG_EEENS0_18inequality_wrapperINS9_8equal_toIxEEEEPmJSF_EEE10hipError_tPvRmT3_T4_T5_T6_T7_T9_mT8_P12ihipStream_tbDpT10_ENKUlT_T0_E_clISt17integral_constantIbLb0EES18_EEDaS13_S14_EUlS13_E_NS1_11comp_targetILNS1_3genE3ELNS1_11target_archE908ELNS1_3gpuE7ELNS1_3repE0EEENS1_30default_config_static_selectorELNS0_4arch9wavefront6targetE0EEEvT1_.kd
    .uniform_work_group_size: 1
    .uses_dynamic_stack: false
    .vgpr_count:     0
    .vgpr_spill_count: 0
    .wavefront_size: 32
    .workgroup_processor_mode: 1
  - .args:
      - .offset:         0
        .size:           112
        .value_kind:     by_value
    .group_segment_fixed_size: 0
    .kernarg_segment_align: 8
    .kernarg_segment_size: 112
    .language:       OpenCL C
    .language_version:
      - 2
      - 0
    .max_flat_workgroup_size: 192
    .name:           _ZN7rocprim17ROCPRIM_400000_NS6detail17trampoline_kernelINS0_14default_configENS1_25partition_config_selectorILNS1_17partition_subalgoE9ExxbEEZZNS1_14partition_implILS5_9ELb0ES3_jN6thrust23THRUST_200600_302600_NS6detail15normal_iteratorINS9_10device_ptrIxEEEESE_PNS0_10empty_typeENS0_5tupleIJSE_SF_EEENSH_IJSE_SG_EEENS0_18inequality_wrapperINS9_8equal_toIxEEEEPmJSF_EEE10hipError_tPvRmT3_T4_T5_T6_T7_T9_mT8_P12ihipStream_tbDpT10_ENKUlT_T0_E_clISt17integral_constantIbLb0EES18_EEDaS13_S14_EUlS13_E_NS1_11comp_targetILNS1_3genE2ELNS1_11target_archE906ELNS1_3gpuE6ELNS1_3repE0EEENS1_30default_config_static_selectorELNS0_4arch9wavefront6targetE0EEEvT1_
    .private_segment_fixed_size: 0
    .sgpr_count:     0
    .sgpr_spill_count: 0
    .symbol:         _ZN7rocprim17ROCPRIM_400000_NS6detail17trampoline_kernelINS0_14default_configENS1_25partition_config_selectorILNS1_17partition_subalgoE9ExxbEEZZNS1_14partition_implILS5_9ELb0ES3_jN6thrust23THRUST_200600_302600_NS6detail15normal_iteratorINS9_10device_ptrIxEEEESE_PNS0_10empty_typeENS0_5tupleIJSE_SF_EEENSH_IJSE_SG_EEENS0_18inequality_wrapperINS9_8equal_toIxEEEEPmJSF_EEE10hipError_tPvRmT3_T4_T5_T6_T7_T9_mT8_P12ihipStream_tbDpT10_ENKUlT_T0_E_clISt17integral_constantIbLb0EES18_EEDaS13_S14_EUlS13_E_NS1_11comp_targetILNS1_3genE2ELNS1_11target_archE906ELNS1_3gpuE6ELNS1_3repE0EEENS1_30default_config_static_selectorELNS0_4arch9wavefront6targetE0EEEvT1_.kd
    .uniform_work_group_size: 1
    .uses_dynamic_stack: false
    .vgpr_count:     0
    .vgpr_spill_count: 0
    .wavefront_size: 32
    .workgroup_processor_mode: 1
  - .args:
      - .offset:         0
        .size:           112
        .value_kind:     by_value
    .group_segment_fixed_size: 0
    .kernarg_segment_align: 8
    .kernarg_segment_size: 112
    .language:       OpenCL C
    .language_version:
      - 2
      - 0
    .max_flat_workgroup_size: 384
    .name:           _ZN7rocprim17ROCPRIM_400000_NS6detail17trampoline_kernelINS0_14default_configENS1_25partition_config_selectorILNS1_17partition_subalgoE9ExxbEEZZNS1_14partition_implILS5_9ELb0ES3_jN6thrust23THRUST_200600_302600_NS6detail15normal_iteratorINS9_10device_ptrIxEEEESE_PNS0_10empty_typeENS0_5tupleIJSE_SF_EEENSH_IJSE_SG_EEENS0_18inequality_wrapperINS9_8equal_toIxEEEEPmJSF_EEE10hipError_tPvRmT3_T4_T5_T6_T7_T9_mT8_P12ihipStream_tbDpT10_ENKUlT_T0_E_clISt17integral_constantIbLb0EES18_EEDaS13_S14_EUlS13_E_NS1_11comp_targetILNS1_3genE10ELNS1_11target_archE1200ELNS1_3gpuE4ELNS1_3repE0EEENS1_30default_config_static_selectorELNS0_4arch9wavefront6targetE0EEEvT1_
    .private_segment_fixed_size: 0
    .sgpr_count:     0
    .sgpr_spill_count: 0
    .symbol:         _ZN7rocprim17ROCPRIM_400000_NS6detail17trampoline_kernelINS0_14default_configENS1_25partition_config_selectorILNS1_17partition_subalgoE9ExxbEEZZNS1_14partition_implILS5_9ELb0ES3_jN6thrust23THRUST_200600_302600_NS6detail15normal_iteratorINS9_10device_ptrIxEEEESE_PNS0_10empty_typeENS0_5tupleIJSE_SF_EEENSH_IJSE_SG_EEENS0_18inequality_wrapperINS9_8equal_toIxEEEEPmJSF_EEE10hipError_tPvRmT3_T4_T5_T6_T7_T9_mT8_P12ihipStream_tbDpT10_ENKUlT_T0_E_clISt17integral_constantIbLb0EES18_EEDaS13_S14_EUlS13_E_NS1_11comp_targetILNS1_3genE10ELNS1_11target_archE1200ELNS1_3gpuE4ELNS1_3repE0EEENS1_30default_config_static_selectorELNS0_4arch9wavefront6targetE0EEEvT1_.kd
    .uniform_work_group_size: 1
    .uses_dynamic_stack: false
    .vgpr_count:     0
    .vgpr_spill_count: 0
    .wavefront_size: 32
    .workgroup_processor_mode: 1
  - .args:
      - .offset:         0
        .size:           112
        .value_kind:     by_value
    .group_segment_fixed_size: 33800
    .kernarg_segment_align: 8
    .kernarg_segment_size: 112
    .language:       OpenCL C
    .language_version:
      - 2
      - 0
    .max_flat_workgroup_size: 512
    .name:           _ZN7rocprim17ROCPRIM_400000_NS6detail17trampoline_kernelINS0_14default_configENS1_25partition_config_selectorILNS1_17partition_subalgoE9ExxbEEZZNS1_14partition_implILS5_9ELb0ES3_jN6thrust23THRUST_200600_302600_NS6detail15normal_iteratorINS9_10device_ptrIxEEEESE_PNS0_10empty_typeENS0_5tupleIJSE_SF_EEENSH_IJSE_SG_EEENS0_18inequality_wrapperINS9_8equal_toIxEEEEPmJSF_EEE10hipError_tPvRmT3_T4_T5_T6_T7_T9_mT8_P12ihipStream_tbDpT10_ENKUlT_T0_E_clISt17integral_constantIbLb0EES18_EEDaS13_S14_EUlS13_E_NS1_11comp_targetILNS1_3genE9ELNS1_11target_archE1100ELNS1_3gpuE3ELNS1_3repE0EEENS1_30default_config_static_selectorELNS0_4arch9wavefront6targetE0EEEvT1_
    .private_segment_fixed_size: 0
    .sgpr_count:     27
    .sgpr_spill_count: 0
    .symbol:         _ZN7rocprim17ROCPRIM_400000_NS6detail17trampoline_kernelINS0_14default_configENS1_25partition_config_selectorILNS1_17partition_subalgoE9ExxbEEZZNS1_14partition_implILS5_9ELb0ES3_jN6thrust23THRUST_200600_302600_NS6detail15normal_iteratorINS9_10device_ptrIxEEEESE_PNS0_10empty_typeENS0_5tupleIJSE_SF_EEENSH_IJSE_SG_EEENS0_18inequality_wrapperINS9_8equal_toIxEEEEPmJSF_EEE10hipError_tPvRmT3_T4_T5_T6_T7_T9_mT8_P12ihipStream_tbDpT10_ENKUlT_T0_E_clISt17integral_constantIbLb0EES18_EEDaS13_S14_EUlS13_E_NS1_11comp_targetILNS1_3genE9ELNS1_11target_archE1100ELNS1_3gpuE3ELNS1_3repE0EEENS1_30default_config_static_selectorELNS0_4arch9wavefront6targetE0EEEvT1_.kd
    .uniform_work_group_size: 1
    .uses_dynamic_stack: false
    .vgpr_count:     68
    .vgpr_spill_count: 0
    .wavefront_size: 32
    .workgroup_processor_mode: 1
  - .args:
      - .offset:         0
        .size:           112
        .value_kind:     by_value
    .group_segment_fixed_size: 0
    .kernarg_segment_align: 8
    .kernarg_segment_size: 112
    .language:       OpenCL C
    .language_version:
      - 2
      - 0
    .max_flat_workgroup_size: 512
    .name:           _ZN7rocprim17ROCPRIM_400000_NS6detail17trampoline_kernelINS0_14default_configENS1_25partition_config_selectorILNS1_17partition_subalgoE9ExxbEEZZNS1_14partition_implILS5_9ELb0ES3_jN6thrust23THRUST_200600_302600_NS6detail15normal_iteratorINS9_10device_ptrIxEEEESE_PNS0_10empty_typeENS0_5tupleIJSE_SF_EEENSH_IJSE_SG_EEENS0_18inequality_wrapperINS9_8equal_toIxEEEEPmJSF_EEE10hipError_tPvRmT3_T4_T5_T6_T7_T9_mT8_P12ihipStream_tbDpT10_ENKUlT_T0_E_clISt17integral_constantIbLb0EES18_EEDaS13_S14_EUlS13_E_NS1_11comp_targetILNS1_3genE8ELNS1_11target_archE1030ELNS1_3gpuE2ELNS1_3repE0EEENS1_30default_config_static_selectorELNS0_4arch9wavefront6targetE0EEEvT1_
    .private_segment_fixed_size: 0
    .sgpr_count:     0
    .sgpr_spill_count: 0
    .symbol:         _ZN7rocprim17ROCPRIM_400000_NS6detail17trampoline_kernelINS0_14default_configENS1_25partition_config_selectorILNS1_17partition_subalgoE9ExxbEEZZNS1_14partition_implILS5_9ELb0ES3_jN6thrust23THRUST_200600_302600_NS6detail15normal_iteratorINS9_10device_ptrIxEEEESE_PNS0_10empty_typeENS0_5tupleIJSE_SF_EEENSH_IJSE_SG_EEENS0_18inequality_wrapperINS9_8equal_toIxEEEEPmJSF_EEE10hipError_tPvRmT3_T4_T5_T6_T7_T9_mT8_P12ihipStream_tbDpT10_ENKUlT_T0_E_clISt17integral_constantIbLb0EES18_EEDaS13_S14_EUlS13_E_NS1_11comp_targetILNS1_3genE8ELNS1_11target_archE1030ELNS1_3gpuE2ELNS1_3repE0EEENS1_30default_config_static_selectorELNS0_4arch9wavefront6targetE0EEEvT1_.kd
    .uniform_work_group_size: 1
    .uses_dynamic_stack: false
    .vgpr_count:     0
    .vgpr_spill_count: 0
    .wavefront_size: 32
    .workgroup_processor_mode: 1
  - .args:
      - .offset:         0
        .size:           128
        .value_kind:     by_value
    .group_segment_fixed_size: 0
    .kernarg_segment_align: 8
    .kernarg_segment_size: 128
    .language:       OpenCL C
    .language_version:
      - 2
      - 0
    .max_flat_workgroup_size: 128
    .name:           _ZN7rocprim17ROCPRIM_400000_NS6detail17trampoline_kernelINS0_14default_configENS1_25partition_config_selectorILNS1_17partition_subalgoE9ExxbEEZZNS1_14partition_implILS5_9ELb0ES3_jN6thrust23THRUST_200600_302600_NS6detail15normal_iteratorINS9_10device_ptrIxEEEESE_PNS0_10empty_typeENS0_5tupleIJSE_SF_EEENSH_IJSE_SG_EEENS0_18inequality_wrapperINS9_8equal_toIxEEEEPmJSF_EEE10hipError_tPvRmT3_T4_T5_T6_T7_T9_mT8_P12ihipStream_tbDpT10_ENKUlT_T0_E_clISt17integral_constantIbLb1EES18_EEDaS13_S14_EUlS13_E_NS1_11comp_targetILNS1_3genE0ELNS1_11target_archE4294967295ELNS1_3gpuE0ELNS1_3repE0EEENS1_30default_config_static_selectorELNS0_4arch9wavefront6targetE0EEEvT1_
    .private_segment_fixed_size: 0
    .sgpr_count:     0
    .sgpr_spill_count: 0
    .symbol:         _ZN7rocprim17ROCPRIM_400000_NS6detail17trampoline_kernelINS0_14default_configENS1_25partition_config_selectorILNS1_17partition_subalgoE9ExxbEEZZNS1_14partition_implILS5_9ELb0ES3_jN6thrust23THRUST_200600_302600_NS6detail15normal_iteratorINS9_10device_ptrIxEEEESE_PNS0_10empty_typeENS0_5tupleIJSE_SF_EEENSH_IJSE_SG_EEENS0_18inequality_wrapperINS9_8equal_toIxEEEEPmJSF_EEE10hipError_tPvRmT3_T4_T5_T6_T7_T9_mT8_P12ihipStream_tbDpT10_ENKUlT_T0_E_clISt17integral_constantIbLb1EES18_EEDaS13_S14_EUlS13_E_NS1_11comp_targetILNS1_3genE0ELNS1_11target_archE4294967295ELNS1_3gpuE0ELNS1_3repE0EEENS1_30default_config_static_selectorELNS0_4arch9wavefront6targetE0EEEvT1_.kd
    .uniform_work_group_size: 1
    .uses_dynamic_stack: false
    .vgpr_count:     0
    .vgpr_spill_count: 0
    .wavefront_size: 32
    .workgroup_processor_mode: 1
  - .args:
      - .offset:         0
        .size:           128
        .value_kind:     by_value
    .group_segment_fixed_size: 0
    .kernarg_segment_align: 8
    .kernarg_segment_size: 128
    .language:       OpenCL C
    .language_version:
      - 2
      - 0
    .max_flat_workgroup_size: 512
    .name:           _ZN7rocprim17ROCPRIM_400000_NS6detail17trampoline_kernelINS0_14default_configENS1_25partition_config_selectorILNS1_17partition_subalgoE9ExxbEEZZNS1_14partition_implILS5_9ELb0ES3_jN6thrust23THRUST_200600_302600_NS6detail15normal_iteratorINS9_10device_ptrIxEEEESE_PNS0_10empty_typeENS0_5tupleIJSE_SF_EEENSH_IJSE_SG_EEENS0_18inequality_wrapperINS9_8equal_toIxEEEEPmJSF_EEE10hipError_tPvRmT3_T4_T5_T6_T7_T9_mT8_P12ihipStream_tbDpT10_ENKUlT_T0_E_clISt17integral_constantIbLb1EES18_EEDaS13_S14_EUlS13_E_NS1_11comp_targetILNS1_3genE5ELNS1_11target_archE942ELNS1_3gpuE9ELNS1_3repE0EEENS1_30default_config_static_selectorELNS0_4arch9wavefront6targetE0EEEvT1_
    .private_segment_fixed_size: 0
    .sgpr_count:     0
    .sgpr_spill_count: 0
    .symbol:         _ZN7rocprim17ROCPRIM_400000_NS6detail17trampoline_kernelINS0_14default_configENS1_25partition_config_selectorILNS1_17partition_subalgoE9ExxbEEZZNS1_14partition_implILS5_9ELb0ES3_jN6thrust23THRUST_200600_302600_NS6detail15normal_iteratorINS9_10device_ptrIxEEEESE_PNS0_10empty_typeENS0_5tupleIJSE_SF_EEENSH_IJSE_SG_EEENS0_18inequality_wrapperINS9_8equal_toIxEEEEPmJSF_EEE10hipError_tPvRmT3_T4_T5_T6_T7_T9_mT8_P12ihipStream_tbDpT10_ENKUlT_T0_E_clISt17integral_constantIbLb1EES18_EEDaS13_S14_EUlS13_E_NS1_11comp_targetILNS1_3genE5ELNS1_11target_archE942ELNS1_3gpuE9ELNS1_3repE0EEENS1_30default_config_static_selectorELNS0_4arch9wavefront6targetE0EEEvT1_.kd
    .uniform_work_group_size: 1
    .uses_dynamic_stack: false
    .vgpr_count:     0
    .vgpr_spill_count: 0
    .wavefront_size: 32
    .workgroup_processor_mode: 1
  - .args:
      - .offset:         0
        .size:           128
        .value_kind:     by_value
    .group_segment_fixed_size: 0
    .kernarg_segment_align: 8
    .kernarg_segment_size: 128
    .language:       OpenCL C
    .language_version:
      - 2
      - 0
    .max_flat_workgroup_size: 128
    .name:           _ZN7rocprim17ROCPRIM_400000_NS6detail17trampoline_kernelINS0_14default_configENS1_25partition_config_selectorILNS1_17partition_subalgoE9ExxbEEZZNS1_14partition_implILS5_9ELb0ES3_jN6thrust23THRUST_200600_302600_NS6detail15normal_iteratorINS9_10device_ptrIxEEEESE_PNS0_10empty_typeENS0_5tupleIJSE_SF_EEENSH_IJSE_SG_EEENS0_18inequality_wrapperINS9_8equal_toIxEEEEPmJSF_EEE10hipError_tPvRmT3_T4_T5_T6_T7_T9_mT8_P12ihipStream_tbDpT10_ENKUlT_T0_E_clISt17integral_constantIbLb1EES18_EEDaS13_S14_EUlS13_E_NS1_11comp_targetILNS1_3genE4ELNS1_11target_archE910ELNS1_3gpuE8ELNS1_3repE0EEENS1_30default_config_static_selectorELNS0_4arch9wavefront6targetE0EEEvT1_
    .private_segment_fixed_size: 0
    .sgpr_count:     0
    .sgpr_spill_count: 0
    .symbol:         _ZN7rocprim17ROCPRIM_400000_NS6detail17trampoline_kernelINS0_14default_configENS1_25partition_config_selectorILNS1_17partition_subalgoE9ExxbEEZZNS1_14partition_implILS5_9ELb0ES3_jN6thrust23THRUST_200600_302600_NS6detail15normal_iteratorINS9_10device_ptrIxEEEESE_PNS0_10empty_typeENS0_5tupleIJSE_SF_EEENSH_IJSE_SG_EEENS0_18inequality_wrapperINS9_8equal_toIxEEEEPmJSF_EEE10hipError_tPvRmT3_T4_T5_T6_T7_T9_mT8_P12ihipStream_tbDpT10_ENKUlT_T0_E_clISt17integral_constantIbLb1EES18_EEDaS13_S14_EUlS13_E_NS1_11comp_targetILNS1_3genE4ELNS1_11target_archE910ELNS1_3gpuE8ELNS1_3repE0EEENS1_30default_config_static_selectorELNS0_4arch9wavefront6targetE0EEEvT1_.kd
    .uniform_work_group_size: 1
    .uses_dynamic_stack: false
    .vgpr_count:     0
    .vgpr_spill_count: 0
    .wavefront_size: 32
    .workgroup_processor_mode: 1
  - .args:
      - .offset:         0
        .size:           128
        .value_kind:     by_value
    .group_segment_fixed_size: 0
    .kernarg_segment_align: 8
    .kernarg_segment_size: 128
    .language:       OpenCL C
    .language_version:
      - 2
      - 0
    .max_flat_workgroup_size: 128
    .name:           _ZN7rocprim17ROCPRIM_400000_NS6detail17trampoline_kernelINS0_14default_configENS1_25partition_config_selectorILNS1_17partition_subalgoE9ExxbEEZZNS1_14partition_implILS5_9ELb0ES3_jN6thrust23THRUST_200600_302600_NS6detail15normal_iteratorINS9_10device_ptrIxEEEESE_PNS0_10empty_typeENS0_5tupleIJSE_SF_EEENSH_IJSE_SG_EEENS0_18inequality_wrapperINS9_8equal_toIxEEEEPmJSF_EEE10hipError_tPvRmT3_T4_T5_T6_T7_T9_mT8_P12ihipStream_tbDpT10_ENKUlT_T0_E_clISt17integral_constantIbLb1EES18_EEDaS13_S14_EUlS13_E_NS1_11comp_targetILNS1_3genE3ELNS1_11target_archE908ELNS1_3gpuE7ELNS1_3repE0EEENS1_30default_config_static_selectorELNS0_4arch9wavefront6targetE0EEEvT1_
    .private_segment_fixed_size: 0
    .sgpr_count:     0
    .sgpr_spill_count: 0
    .symbol:         _ZN7rocprim17ROCPRIM_400000_NS6detail17trampoline_kernelINS0_14default_configENS1_25partition_config_selectorILNS1_17partition_subalgoE9ExxbEEZZNS1_14partition_implILS5_9ELb0ES3_jN6thrust23THRUST_200600_302600_NS6detail15normal_iteratorINS9_10device_ptrIxEEEESE_PNS0_10empty_typeENS0_5tupleIJSE_SF_EEENSH_IJSE_SG_EEENS0_18inequality_wrapperINS9_8equal_toIxEEEEPmJSF_EEE10hipError_tPvRmT3_T4_T5_T6_T7_T9_mT8_P12ihipStream_tbDpT10_ENKUlT_T0_E_clISt17integral_constantIbLb1EES18_EEDaS13_S14_EUlS13_E_NS1_11comp_targetILNS1_3genE3ELNS1_11target_archE908ELNS1_3gpuE7ELNS1_3repE0EEENS1_30default_config_static_selectorELNS0_4arch9wavefront6targetE0EEEvT1_.kd
    .uniform_work_group_size: 1
    .uses_dynamic_stack: false
    .vgpr_count:     0
    .vgpr_spill_count: 0
    .wavefront_size: 32
    .workgroup_processor_mode: 1
  - .args:
      - .offset:         0
        .size:           128
        .value_kind:     by_value
    .group_segment_fixed_size: 0
    .kernarg_segment_align: 8
    .kernarg_segment_size: 128
    .language:       OpenCL C
    .language_version:
      - 2
      - 0
    .max_flat_workgroup_size: 192
    .name:           _ZN7rocprim17ROCPRIM_400000_NS6detail17trampoline_kernelINS0_14default_configENS1_25partition_config_selectorILNS1_17partition_subalgoE9ExxbEEZZNS1_14partition_implILS5_9ELb0ES3_jN6thrust23THRUST_200600_302600_NS6detail15normal_iteratorINS9_10device_ptrIxEEEESE_PNS0_10empty_typeENS0_5tupleIJSE_SF_EEENSH_IJSE_SG_EEENS0_18inequality_wrapperINS9_8equal_toIxEEEEPmJSF_EEE10hipError_tPvRmT3_T4_T5_T6_T7_T9_mT8_P12ihipStream_tbDpT10_ENKUlT_T0_E_clISt17integral_constantIbLb1EES18_EEDaS13_S14_EUlS13_E_NS1_11comp_targetILNS1_3genE2ELNS1_11target_archE906ELNS1_3gpuE6ELNS1_3repE0EEENS1_30default_config_static_selectorELNS0_4arch9wavefront6targetE0EEEvT1_
    .private_segment_fixed_size: 0
    .sgpr_count:     0
    .sgpr_spill_count: 0
    .symbol:         _ZN7rocprim17ROCPRIM_400000_NS6detail17trampoline_kernelINS0_14default_configENS1_25partition_config_selectorILNS1_17partition_subalgoE9ExxbEEZZNS1_14partition_implILS5_9ELb0ES3_jN6thrust23THRUST_200600_302600_NS6detail15normal_iteratorINS9_10device_ptrIxEEEESE_PNS0_10empty_typeENS0_5tupleIJSE_SF_EEENSH_IJSE_SG_EEENS0_18inequality_wrapperINS9_8equal_toIxEEEEPmJSF_EEE10hipError_tPvRmT3_T4_T5_T6_T7_T9_mT8_P12ihipStream_tbDpT10_ENKUlT_T0_E_clISt17integral_constantIbLb1EES18_EEDaS13_S14_EUlS13_E_NS1_11comp_targetILNS1_3genE2ELNS1_11target_archE906ELNS1_3gpuE6ELNS1_3repE0EEENS1_30default_config_static_selectorELNS0_4arch9wavefront6targetE0EEEvT1_.kd
    .uniform_work_group_size: 1
    .uses_dynamic_stack: false
    .vgpr_count:     0
    .vgpr_spill_count: 0
    .wavefront_size: 32
    .workgroup_processor_mode: 1
  - .args:
      - .offset:         0
        .size:           128
        .value_kind:     by_value
    .group_segment_fixed_size: 0
    .kernarg_segment_align: 8
    .kernarg_segment_size: 128
    .language:       OpenCL C
    .language_version:
      - 2
      - 0
    .max_flat_workgroup_size: 384
    .name:           _ZN7rocprim17ROCPRIM_400000_NS6detail17trampoline_kernelINS0_14default_configENS1_25partition_config_selectorILNS1_17partition_subalgoE9ExxbEEZZNS1_14partition_implILS5_9ELb0ES3_jN6thrust23THRUST_200600_302600_NS6detail15normal_iteratorINS9_10device_ptrIxEEEESE_PNS0_10empty_typeENS0_5tupleIJSE_SF_EEENSH_IJSE_SG_EEENS0_18inequality_wrapperINS9_8equal_toIxEEEEPmJSF_EEE10hipError_tPvRmT3_T4_T5_T6_T7_T9_mT8_P12ihipStream_tbDpT10_ENKUlT_T0_E_clISt17integral_constantIbLb1EES18_EEDaS13_S14_EUlS13_E_NS1_11comp_targetILNS1_3genE10ELNS1_11target_archE1200ELNS1_3gpuE4ELNS1_3repE0EEENS1_30default_config_static_selectorELNS0_4arch9wavefront6targetE0EEEvT1_
    .private_segment_fixed_size: 0
    .sgpr_count:     0
    .sgpr_spill_count: 0
    .symbol:         _ZN7rocprim17ROCPRIM_400000_NS6detail17trampoline_kernelINS0_14default_configENS1_25partition_config_selectorILNS1_17partition_subalgoE9ExxbEEZZNS1_14partition_implILS5_9ELb0ES3_jN6thrust23THRUST_200600_302600_NS6detail15normal_iteratorINS9_10device_ptrIxEEEESE_PNS0_10empty_typeENS0_5tupleIJSE_SF_EEENSH_IJSE_SG_EEENS0_18inequality_wrapperINS9_8equal_toIxEEEEPmJSF_EEE10hipError_tPvRmT3_T4_T5_T6_T7_T9_mT8_P12ihipStream_tbDpT10_ENKUlT_T0_E_clISt17integral_constantIbLb1EES18_EEDaS13_S14_EUlS13_E_NS1_11comp_targetILNS1_3genE10ELNS1_11target_archE1200ELNS1_3gpuE4ELNS1_3repE0EEENS1_30default_config_static_selectorELNS0_4arch9wavefront6targetE0EEEvT1_.kd
    .uniform_work_group_size: 1
    .uses_dynamic_stack: false
    .vgpr_count:     0
    .vgpr_spill_count: 0
    .wavefront_size: 32
    .workgroup_processor_mode: 1
  - .args:
      - .offset:         0
        .size:           128
        .value_kind:     by_value
    .group_segment_fixed_size: 33800
    .kernarg_segment_align: 8
    .kernarg_segment_size: 128
    .language:       OpenCL C
    .language_version:
      - 2
      - 0
    .max_flat_workgroup_size: 512
    .name:           _ZN7rocprim17ROCPRIM_400000_NS6detail17trampoline_kernelINS0_14default_configENS1_25partition_config_selectorILNS1_17partition_subalgoE9ExxbEEZZNS1_14partition_implILS5_9ELb0ES3_jN6thrust23THRUST_200600_302600_NS6detail15normal_iteratorINS9_10device_ptrIxEEEESE_PNS0_10empty_typeENS0_5tupleIJSE_SF_EEENSH_IJSE_SG_EEENS0_18inequality_wrapperINS9_8equal_toIxEEEEPmJSF_EEE10hipError_tPvRmT3_T4_T5_T6_T7_T9_mT8_P12ihipStream_tbDpT10_ENKUlT_T0_E_clISt17integral_constantIbLb1EES18_EEDaS13_S14_EUlS13_E_NS1_11comp_targetILNS1_3genE9ELNS1_11target_archE1100ELNS1_3gpuE3ELNS1_3repE0EEENS1_30default_config_static_selectorELNS0_4arch9wavefront6targetE0EEEvT1_
    .private_segment_fixed_size: 0
    .sgpr_count:     31
    .sgpr_spill_count: 0
    .symbol:         _ZN7rocprim17ROCPRIM_400000_NS6detail17trampoline_kernelINS0_14default_configENS1_25partition_config_selectorILNS1_17partition_subalgoE9ExxbEEZZNS1_14partition_implILS5_9ELb0ES3_jN6thrust23THRUST_200600_302600_NS6detail15normal_iteratorINS9_10device_ptrIxEEEESE_PNS0_10empty_typeENS0_5tupleIJSE_SF_EEENSH_IJSE_SG_EEENS0_18inequality_wrapperINS9_8equal_toIxEEEEPmJSF_EEE10hipError_tPvRmT3_T4_T5_T6_T7_T9_mT8_P12ihipStream_tbDpT10_ENKUlT_T0_E_clISt17integral_constantIbLb1EES18_EEDaS13_S14_EUlS13_E_NS1_11comp_targetILNS1_3genE9ELNS1_11target_archE1100ELNS1_3gpuE3ELNS1_3repE0EEENS1_30default_config_static_selectorELNS0_4arch9wavefront6targetE0EEEvT1_.kd
    .uniform_work_group_size: 1
    .uses_dynamic_stack: false
    .vgpr_count:     68
    .vgpr_spill_count: 0
    .wavefront_size: 32
    .workgroup_processor_mode: 1
  - .args:
      - .offset:         0
        .size:           128
        .value_kind:     by_value
    .group_segment_fixed_size: 0
    .kernarg_segment_align: 8
    .kernarg_segment_size: 128
    .language:       OpenCL C
    .language_version:
      - 2
      - 0
    .max_flat_workgroup_size: 512
    .name:           _ZN7rocprim17ROCPRIM_400000_NS6detail17trampoline_kernelINS0_14default_configENS1_25partition_config_selectorILNS1_17partition_subalgoE9ExxbEEZZNS1_14partition_implILS5_9ELb0ES3_jN6thrust23THRUST_200600_302600_NS6detail15normal_iteratorINS9_10device_ptrIxEEEESE_PNS0_10empty_typeENS0_5tupleIJSE_SF_EEENSH_IJSE_SG_EEENS0_18inequality_wrapperINS9_8equal_toIxEEEEPmJSF_EEE10hipError_tPvRmT3_T4_T5_T6_T7_T9_mT8_P12ihipStream_tbDpT10_ENKUlT_T0_E_clISt17integral_constantIbLb1EES18_EEDaS13_S14_EUlS13_E_NS1_11comp_targetILNS1_3genE8ELNS1_11target_archE1030ELNS1_3gpuE2ELNS1_3repE0EEENS1_30default_config_static_selectorELNS0_4arch9wavefront6targetE0EEEvT1_
    .private_segment_fixed_size: 0
    .sgpr_count:     0
    .sgpr_spill_count: 0
    .symbol:         _ZN7rocprim17ROCPRIM_400000_NS6detail17trampoline_kernelINS0_14default_configENS1_25partition_config_selectorILNS1_17partition_subalgoE9ExxbEEZZNS1_14partition_implILS5_9ELb0ES3_jN6thrust23THRUST_200600_302600_NS6detail15normal_iteratorINS9_10device_ptrIxEEEESE_PNS0_10empty_typeENS0_5tupleIJSE_SF_EEENSH_IJSE_SG_EEENS0_18inequality_wrapperINS9_8equal_toIxEEEEPmJSF_EEE10hipError_tPvRmT3_T4_T5_T6_T7_T9_mT8_P12ihipStream_tbDpT10_ENKUlT_T0_E_clISt17integral_constantIbLb1EES18_EEDaS13_S14_EUlS13_E_NS1_11comp_targetILNS1_3genE8ELNS1_11target_archE1030ELNS1_3gpuE2ELNS1_3repE0EEENS1_30default_config_static_selectorELNS0_4arch9wavefront6targetE0EEEvT1_.kd
    .uniform_work_group_size: 1
    .uses_dynamic_stack: false
    .vgpr_count:     0
    .vgpr_spill_count: 0
    .wavefront_size: 32
    .workgroup_processor_mode: 1
  - .args:
      - .offset:         0
        .size:           112
        .value_kind:     by_value
    .group_segment_fixed_size: 0
    .kernarg_segment_align: 8
    .kernarg_segment_size: 112
    .language:       OpenCL C
    .language_version:
      - 2
      - 0
    .max_flat_workgroup_size: 128
    .name:           _ZN7rocprim17ROCPRIM_400000_NS6detail17trampoline_kernelINS0_14default_configENS1_25partition_config_selectorILNS1_17partition_subalgoE9ExxbEEZZNS1_14partition_implILS5_9ELb0ES3_jN6thrust23THRUST_200600_302600_NS6detail15normal_iteratorINS9_10device_ptrIxEEEESE_PNS0_10empty_typeENS0_5tupleIJSE_SF_EEENSH_IJSE_SG_EEENS0_18inequality_wrapperINS9_8equal_toIxEEEEPmJSF_EEE10hipError_tPvRmT3_T4_T5_T6_T7_T9_mT8_P12ihipStream_tbDpT10_ENKUlT_T0_E_clISt17integral_constantIbLb1EES17_IbLb0EEEEDaS13_S14_EUlS13_E_NS1_11comp_targetILNS1_3genE0ELNS1_11target_archE4294967295ELNS1_3gpuE0ELNS1_3repE0EEENS1_30default_config_static_selectorELNS0_4arch9wavefront6targetE0EEEvT1_
    .private_segment_fixed_size: 0
    .sgpr_count:     0
    .sgpr_spill_count: 0
    .symbol:         _ZN7rocprim17ROCPRIM_400000_NS6detail17trampoline_kernelINS0_14default_configENS1_25partition_config_selectorILNS1_17partition_subalgoE9ExxbEEZZNS1_14partition_implILS5_9ELb0ES3_jN6thrust23THRUST_200600_302600_NS6detail15normal_iteratorINS9_10device_ptrIxEEEESE_PNS0_10empty_typeENS0_5tupleIJSE_SF_EEENSH_IJSE_SG_EEENS0_18inequality_wrapperINS9_8equal_toIxEEEEPmJSF_EEE10hipError_tPvRmT3_T4_T5_T6_T7_T9_mT8_P12ihipStream_tbDpT10_ENKUlT_T0_E_clISt17integral_constantIbLb1EES17_IbLb0EEEEDaS13_S14_EUlS13_E_NS1_11comp_targetILNS1_3genE0ELNS1_11target_archE4294967295ELNS1_3gpuE0ELNS1_3repE0EEENS1_30default_config_static_selectorELNS0_4arch9wavefront6targetE0EEEvT1_.kd
    .uniform_work_group_size: 1
    .uses_dynamic_stack: false
    .vgpr_count:     0
    .vgpr_spill_count: 0
    .wavefront_size: 32
    .workgroup_processor_mode: 1
  - .args:
      - .offset:         0
        .size:           112
        .value_kind:     by_value
    .group_segment_fixed_size: 0
    .kernarg_segment_align: 8
    .kernarg_segment_size: 112
    .language:       OpenCL C
    .language_version:
      - 2
      - 0
    .max_flat_workgroup_size: 512
    .name:           _ZN7rocprim17ROCPRIM_400000_NS6detail17trampoline_kernelINS0_14default_configENS1_25partition_config_selectorILNS1_17partition_subalgoE9ExxbEEZZNS1_14partition_implILS5_9ELb0ES3_jN6thrust23THRUST_200600_302600_NS6detail15normal_iteratorINS9_10device_ptrIxEEEESE_PNS0_10empty_typeENS0_5tupleIJSE_SF_EEENSH_IJSE_SG_EEENS0_18inequality_wrapperINS9_8equal_toIxEEEEPmJSF_EEE10hipError_tPvRmT3_T4_T5_T6_T7_T9_mT8_P12ihipStream_tbDpT10_ENKUlT_T0_E_clISt17integral_constantIbLb1EES17_IbLb0EEEEDaS13_S14_EUlS13_E_NS1_11comp_targetILNS1_3genE5ELNS1_11target_archE942ELNS1_3gpuE9ELNS1_3repE0EEENS1_30default_config_static_selectorELNS0_4arch9wavefront6targetE0EEEvT1_
    .private_segment_fixed_size: 0
    .sgpr_count:     0
    .sgpr_spill_count: 0
    .symbol:         _ZN7rocprim17ROCPRIM_400000_NS6detail17trampoline_kernelINS0_14default_configENS1_25partition_config_selectorILNS1_17partition_subalgoE9ExxbEEZZNS1_14partition_implILS5_9ELb0ES3_jN6thrust23THRUST_200600_302600_NS6detail15normal_iteratorINS9_10device_ptrIxEEEESE_PNS0_10empty_typeENS0_5tupleIJSE_SF_EEENSH_IJSE_SG_EEENS0_18inequality_wrapperINS9_8equal_toIxEEEEPmJSF_EEE10hipError_tPvRmT3_T4_T5_T6_T7_T9_mT8_P12ihipStream_tbDpT10_ENKUlT_T0_E_clISt17integral_constantIbLb1EES17_IbLb0EEEEDaS13_S14_EUlS13_E_NS1_11comp_targetILNS1_3genE5ELNS1_11target_archE942ELNS1_3gpuE9ELNS1_3repE0EEENS1_30default_config_static_selectorELNS0_4arch9wavefront6targetE0EEEvT1_.kd
    .uniform_work_group_size: 1
    .uses_dynamic_stack: false
    .vgpr_count:     0
    .vgpr_spill_count: 0
    .wavefront_size: 32
    .workgroup_processor_mode: 1
  - .args:
      - .offset:         0
        .size:           112
        .value_kind:     by_value
    .group_segment_fixed_size: 0
    .kernarg_segment_align: 8
    .kernarg_segment_size: 112
    .language:       OpenCL C
    .language_version:
      - 2
      - 0
    .max_flat_workgroup_size: 128
    .name:           _ZN7rocprim17ROCPRIM_400000_NS6detail17trampoline_kernelINS0_14default_configENS1_25partition_config_selectorILNS1_17partition_subalgoE9ExxbEEZZNS1_14partition_implILS5_9ELb0ES3_jN6thrust23THRUST_200600_302600_NS6detail15normal_iteratorINS9_10device_ptrIxEEEESE_PNS0_10empty_typeENS0_5tupleIJSE_SF_EEENSH_IJSE_SG_EEENS0_18inequality_wrapperINS9_8equal_toIxEEEEPmJSF_EEE10hipError_tPvRmT3_T4_T5_T6_T7_T9_mT8_P12ihipStream_tbDpT10_ENKUlT_T0_E_clISt17integral_constantIbLb1EES17_IbLb0EEEEDaS13_S14_EUlS13_E_NS1_11comp_targetILNS1_3genE4ELNS1_11target_archE910ELNS1_3gpuE8ELNS1_3repE0EEENS1_30default_config_static_selectorELNS0_4arch9wavefront6targetE0EEEvT1_
    .private_segment_fixed_size: 0
    .sgpr_count:     0
    .sgpr_spill_count: 0
    .symbol:         _ZN7rocprim17ROCPRIM_400000_NS6detail17trampoline_kernelINS0_14default_configENS1_25partition_config_selectorILNS1_17partition_subalgoE9ExxbEEZZNS1_14partition_implILS5_9ELb0ES3_jN6thrust23THRUST_200600_302600_NS6detail15normal_iteratorINS9_10device_ptrIxEEEESE_PNS0_10empty_typeENS0_5tupleIJSE_SF_EEENSH_IJSE_SG_EEENS0_18inequality_wrapperINS9_8equal_toIxEEEEPmJSF_EEE10hipError_tPvRmT3_T4_T5_T6_T7_T9_mT8_P12ihipStream_tbDpT10_ENKUlT_T0_E_clISt17integral_constantIbLb1EES17_IbLb0EEEEDaS13_S14_EUlS13_E_NS1_11comp_targetILNS1_3genE4ELNS1_11target_archE910ELNS1_3gpuE8ELNS1_3repE0EEENS1_30default_config_static_selectorELNS0_4arch9wavefront6targetE0EEEvT1_.kd
    .uniform_work_group_size: 1
    .uses_dynamic_stack: false
    .vgpr_count:     0
    .vgpr_spill_count: 0
    .wavefront_size: 32
    .workgroup_processor_mode: 1
  - .args:
      - .offset:         0
        .size:           112
        .value_kind:     by_value
    .group_segment_fixed_size: 0
    .kernarg_segment_align: 8
    .kernarg_segment_size: 112
    .language:       OpenCL C
    .language_version:
      - 2
      - 0
    .max_flat_workgroup_size: 128
    .name:           _ZN7rocprim17ROCPRIM_400000_NS6detail17trampoline_kernelINS0_14default_configENS1_25partition_config_selectorILNS1_17partition_subalgoE9ExxbEEZZNS1_14partition_implILS5_9ELb0ES3_jN6thrust23THRUST_200600_302600_NS6detail15normal_iteratorINS9_10device_ptrIxEEEESE_PNS0_10empty_typeENS0_5tupleIJSE_SF_EEENSH_IJSE_SG_EEENS0_18inequality_wrapperINS9_8equal_toIxEEEEPmJSF_EEE10hipError_tPvRmT3_T4_T5_T6_T7_T9_mT8_P12ihipStream_tbDpT10_ENKUlT_T0_E_clISt17integral_constantIbLb1EES17_IbLb0EEEEDaS13_S14_EUlS13_E_NS1_11comp_targetILNS1_3genE3ELNS1_11target_archE908ELNS1_3gpuE7ELNS1_3repE0EEENS1_30default_config_static_selectorELNS0_4arch9wavefront6targetE0EEEvT1_
    .private_segment_fixed_size: 0
    .sgpr_count:     0
    .sgpr_spill_count: 0
    .symbol:         _ZN7rocprim17ROCPRIM_400000_NS6detail17trampoline_kernelINS0_14default_configENS1_25partition_config_selectorILNS1_17partition_subalgoE9ExxbEEZZNS1_14partition_implILS5_9ELb0ES3_jN6thrust23THRUST_200600_302600_NS6detail15normal_iteratorINS9_10device_ptrIxEEEESE_PNS0_10empty_typeENS0_5tupleIJSE_SF_EEENSH_IJSE_SG_EEENS0_18inequality_wrapperINS9_8equal_toIxEEEEPmJSF_EEE10hipError_tPvRmT3_T4_T5_T6_T7_T9_mT8_P12ihipStream_tbDpT10_ENKUlT_T0_E_clISt17integral_constantIbLb1EES17_IbLb0EEEEDaS13_S14_EUlS13_E_NS1_11comp_targetILNS1_3genE3ELNS1_11target_archE908ELNS1_3gpuE7ELNS1_3repE0EEENS1_30default_config_static_selectorELNS0_4arch9wavefront6targetE0EEEvT1_.kd
    .uniform_work_group_size: 1
    .uses_dynamic_stack: false
    .vgpr_count:     0
    .vgpr_spill_count: 0
    .wavefront_size: 32
    .workgroup_processor_mode: 1
  - .args:
      - .offset:         0
        .size:           112
        .value_kind:     by_value
    .group_segment_fixed_size: 0
    .kernarg_segment_align: 8
    .kernarg_segment_size: 112
    .language:       OpenCL C
    .language_version:
      - 2
      - 0
    .max_flat_workgroup_size: 192
    .name:           _ZN7rocprim17ROCPRIM_400000_NS6detail17trampoline_kernelINS0_14default_configENS1_25partition_config_selectorILNS1_17partition_subalgoE9ExxbEEZZNS1_14partition_implILS5_9ELb0ES3_jN6thrust23THRUST_200600_302600_NS6detail15normal_iteratorINS9_10device_ptrIxEEEESE_PNS0_10empty_typeENS0_5tupleIJSE_SF_EEENSH_IJSE_SG_EEENS0_18inequality_wrapperINS9_8equal_toIxEEEEPmJSF_EEE10hipError_tPvRmT3_T4_T5_T6_T7_T9_mT8_P12ihipStream_tbDpT10_ENKUlT_T0_E_clISt17integral_constantIbLb1EES17_IbLb0EEEEDaS13_S14_EUlS13_E_NS1_11comp_targetILNS1_3genE2ELNS1_11target_archE906ELNS1_3gpuE6ELNS1_3repE0EEENS1_30default_config_static_selectorELNS0_4arch9wavefront6targetE0EEEvT1_
    .private_segment_fixed_size: 0
    .sgpr_count:     0
    .sgpr_spill_count: 0
    .symbol:         _ZN7rocprim17ROCPRIM_400000_NS6detail17trampoline_kernelINS0_14default_configENS1_25partition_config_selectorILNS1_17partition_subalgoE9ExxbEEZZNS1_14partition_implILS5_9ELb0ES3_jN6thrust23THRUST_200600_302600_NS6detail15normal_iteratorINS9_10device_ptrIxEEEESE_PNS0_10empty_typeENS0_5tupleIJSE_SF_EEENSH_IJSE_SG_EEENS0_18inequality_wrapperINS9_8equal_toIxEEEEPmJSF_EEE10hipError_tPvRmT3_T4_T5_T6_T7_T9_mT8_P12ihipStream_tbDpT10_ENKUlT_T0_E_clISt17integral_constantIbLb1EES17_IbLb0EEEEDaS13_S14_EUlS13_E_NS1_11comp_targetILNS1_3genE2ELNS1_11target_archE906ELNS1_3gpuE6ELNS1_3repE0EEENS1_30default_config_static_selectorELNS0_4arch9wavefront6targetE0EEEvT1_.kd
    .uniform_work_group_size: 1
    .uses_dynamic_stack: false
    .vgpr_count:     0
    .vgpr_spill_count: 0
    .wavefront_size: 32
    .workgroup_processor_mode: 1
  - .args:
      - .offset:         0
        .size:           112
        .value_kind:     by_value
    .group_segment_fixed_size: 0
    .kernarg_segment_align: 8
    .kernarg_segment_size: 112
    .language:       OpenCL C
    .language_version:
      - 2
      - 0
    .max_flat_workgroup_size: 384
    .name:           _ZN7rocprim17ROCPRIM_400000_NS6detail17trampoline_kernelINS0_14default_configENS1_25partition_config_selectorILNS1_17partition_subalgoE9ExxbEEZZNS1_14partition_implILS5_9ELb0ES3_jN6thrust23THRUST_200600_302600_NS6detail15normal_iteratorINS9_10device_ptrIxEEEESE_PNS0_10empty_typeENS0_5tupleIJSE_SF_EEENSH_IJSE_SG_EEENS0_18inequality_wrapperINS9_8equal_toIxEEEEPmJSF_EEE10hipError_tPvRmT3_T4_T5_T6_T7_T9_mT8_P12ihipStream_tbDpT10_ENKUlT_T0_E_clISt17integral_constantIbLb1EES17_IbLb0EEEEDaS13_S14_EUlS13_E_NS1_11comp_targetILNS1_3genE10ELNS1_11target_archE1200ELNS1_3gpuE4ELNS1_3repE0EEENS1_30default_config_static_selectorELNS0_4arch9wavefront6targetE0EEEvT1_
    .private_segment_fixed_size: 0
    .sgpr_count:     0
    .sgpr_spill_count: 0
    .symbol:         _ZN7rocprim17ROCPRIM_400000_NS6detail17trampoline_kernelINS0_14default_configENS1_25partition_config_selectorILNS1_17partition_subalgoE9ExxbEEZZNS1_14partition_implILS5_9ELb0ES3_jN6thrust23THRUST_200600_302600_NS6detail15normal_iteratorINS9_10device_ptrIxEEEESE_PNS0_10empty_typeENS0_5tupleIJSE_SF_EEENSH_IJSE_SG_EEENS0_18inequality_wrapperINS9_8equal_toIxEEEEPmJSF_EEE10hipError_tPvRmT3_T4_T5_T6_T7_T9_mT8_P12ihipStream_tbDpT10_ENKUlT_T0_E_clISt17integral_constantIbLb1EES17_IbLb0EEEEDaS13_S14_EUlS13_E_NS1_11comp_targetILNS1_3genE10ELNS1_11target_archE1200ELNS1_3gpuE4ELNS1_3repE0EEENS1_30default_config_static_selectorELNS0_4arch9wavefront6targetE0EEEvT1_.kd
    .uniform_work_group_size: 1
    .uses_dynamic_stack: false
    .vgpr_count:     0
    .vgpr_spill_count: 0
    .wavefront_size: 32
    .workgroup_processor_mode: 1
  - .args:
      - .offset:         0
        .size:           112
        .value_kind:     by_value
    .group_segment_fixed_size: 33800
    .kernarg_segment_align: 8
    .kernarg_segment_size: 112
    .language:       OpenCL C
    .language_version:
      - 2
      - 0
    .max_flat_workgroup_size: 512
    .name:           _ZN7rocprim17ROCPRIM_400000_NS6detail17trampoline_kernelINS0_14default_configENS1_25partition_config_selectorILNS1_17partition_subalgoE9ExxbEEZZNS1_14partition_implILS5_9ELb0ES3_jN6thrust23THRUST_200600_302600_NS6detail15normal_iteratorINS9_10device_ptrIxEEEESE_PNS0_10empty_typeENS0_5tupleIJSE_SF_EEENSH_IJSE_SG_EEENS0_18inequality_wrapperINS9_8equal_toIxEEEEPmJSF_EEE10hipError_tPvRmT3_T4_T5_T6_T7_T9_mT8_P12ihipStream_tbDpT10_ENKUlT_T0_E_clISt17integral_constantIbLb1EES17_IbLb0EEEEDaS13_S14_EUlS13_E_NS1_11comp_targetILNS1_3genE9ELNS1_11target_archE1100ELNS1_3gpuE3ELNS1_3repE0EEENS1_30default_config_static_selectorELNS0_4arch9wavefront6targetE0EEEvT1_
    .private_segment_fixed_size: 0
    .sgpr_count:     27
    .sgpr_spill_count: 0
    .symbol:         _ZN7rocprim17ROCPRIM_400000_NS6detail17trampoline_kernelINS0_14default_configENS1_25partition_config_selectorILNS1_17partition_subalgoE9ExxbEEZZNS1_14partition_implILS5_9ELb0ES3_jN6thrust23THRUST_200600_302600_NS6detail15normal_iteratorINS9_10device_ptrIxEEEESE_PNS0_10empty_typeENS0_5tupleIJSE_SF_EEENSH_IJSE_SG_EEENS0_18inequality_wrapperINS9_8equal_toIxEEEEPmJSF_EEE10hipError_tPvRmT3_T4_T5_T6_T7_T9_mT8_P12ihipStream_tbDpT10_ENKUlT_T0_E_clISt17integral_constantIbLb1EES17_IbLb0EEEEDaS13_S14_EUlS13_E_NS1_11comp_targetILNS1_3genE9ELNS1_11target_archE1100ELNS1_3gpuE3ELNS1_3repE0EEENS1_30default_config_static_selectorELNS0_4arch9wavefront6targetE0EEEvT1_.kd
    .uniform_work_group_size: 1
    .uses_dynamic_stack: false
    .vgpr_count:     68
    .vgpr_spill_count: 0
    .wavefront_size: 32
    .workgroup_processor_mode: 1
  - .args:
      - .offset:         0
        .size:           112
        .value_kind:     by_value
    .group_segment_fixed_size: 0
    .kernarg_segment_align: 8
    .kernarg_segment_size: 112
    .language:       OpenCL C
    .language_version:
      - 2
      - 0
    .max_flat_workgroup_size: 512
    .name:           _ZN7rocprim17ROCPRIM_400000_NS6detail17trampoline_kernelINS0_14default_configENS1_25partition_config_selectorILNS1_17partition_subalgoE9ExxbEEZZNS1_14partition_implILS5_9ELb0ES3_jN6thrust23THRUST_200600_302600_NS6detail15normal_iteratorINS9_10device_ptrIxEEEESE_PNS0_10empty_typeENS0_5tupleIJSE_SF_EEENSH_IJSE_SG_EEENS0_18inequality_wrapperINS9_8equal_toIxEEEEPmJSF_EEE10hipError_tPvRmT3_T4_T5_T6_T7_T9_mT8_P12ihipStream_tbDpT10_ENKUlT_T0_E_clISt17integral_constantIbLb1EES17_IbLb0EEEEDaS13_S14_EUlS13_E_NS1_11comp_targetILNS1_3genE8ELNS1_11target_archE1030ELNS1_3gpuE2ELNS1_3repE0EEENS1_30default_config_static_selectorELNS0_4arch9wavefront6targetE0EEEvT1_
    .private_segment_fixed_size: 0
    .sgpr_count:     0
    .sgpr_spill_count: 0
    .symbol:         _ZN7rocprim17ROCPRIM_400000_NS6detail17trampoline_kernelINS0_14default_configENS1_25partition_config_selectorILNS1_17partition_subalgoE9ExxbEEZZNS1_14partition_implILS5_9ELb0ES3_jN6thrust23THRUST_200600_302600_NS6detail15normal_iteratorINS9_10device_ptrIxEEEESE_PNS0_10empty_typeENS0_5tupleIJSE_SF_EEENSH_IJSE_SG_EEENS0_18inequality_wrapperINS9_8equal_toIxEEEEPmJSF_EEE10hipError_tPvRmT3_T4_T5_T6_T7_T9_mT8_P12ihipStream_tbDpT10_ENKUlT_T0_E_clISt17integral_constantIbLb1EES17_IbLb0EEEEDaS13_S14_EUlS13_E_NS1_11comp_targetILNS1_3genE8ELNS1_11target_archE1030ELNS1_3gpuE2ELNS1_3repE0EEENS1_30default_config_static_selectorELNS0_4arch9wavefront6targetE0EEEvT1_.kd
    .uniform_work_group_size: 1
    .uses_dynamic_stack: false
    .vgpr_count:     0
    .vgpr_spill_count: 0
    .wavefront_size: 32
    .workgroup_processor_mode: 1
  - .args:
      - .offset:         0
        .size:           128
        .value_kind:     by_value
    .group_segment_fixed_size: 0
    .kernarg_segment_align: 8
    .kernarg_segment_size: 128
    .language:       OpenCL C
    .language_version:
      - 2
      - 0
    .max_flat_workgroup_size: 128
    .name:           _ZN7rocprim17ROCPRIM_400000_NS6detail17trampoline_kernelINS0_14default_configENS1_25partition_config_selectorILNS1_17partition_subalgoE9ExxbEEZZNS1_14partition_implILS5_9ELb0ES3_jN6thrust23THRUST_200600_302600_NS6detail15normal_iteratorINS9_10device_ptrIxEEEESE_PNS0_10empty_typeENS0_5tupleIJSE_SF_EEENSH_IJSE_SG_EEENS0_18inequality_wrapperINS9_8equal_toIxEEEEPmJSF_EEE10hipError_tPvRmT3_T4_T5_T6_T7_T9_mT8_P12ihipStream_tbDpT10_ENKUlT_T0_E_clISt17integral_constantIbLb0EES17_IbLb1EEEEDaS13_S14_EUlS13_E_NS1_11comp_targetILNS1_3genE0ELNS1_11target_archE4294967295ELNS1_3gpuE0ELNS1_3repE0EEENS1_30default_config_static_selectorELNS0_4arch9wavefront6targetE0EEEvT1_
    .private_segment_fixed_size: 0
    .sgpr_count:     0
    .sgpr_spill_count: 0
    .symbol:         _ZN7rocprim17ROCPRIM_400000_NS6detail17trampoline_kernelINS0_14default_configENS1_25partition_config_selectorILNS1_17partition_subalgoE9ExxbEEZZNS1_14partition_implILS5_9ELb0ES3_jN6thrust23THRUST_200600_302600_NS6detail15normal_iteratorINS9_10device_ptrIxEEEESE_PNS0_10empty_typeENS0_5tupleIJSE_SF_EEENSH_IJSE_SG_EEENS0_18inequality_wrapperINS9_8equal_toIxEEEEPmJSF_EEE10hipError_tPvRmT3_T4_T5_T6_T7_T9_mT8_P12ihipStream_tbDpT10_ENKUlT_T0_E_clISt17integral_constantIbLb0EES17_IbLb1EEEEDaS13_S14_EUlS13_E_NS1_11comp_targetILNS1_3genE0ELNS1_11target_archE4294967295ELNS1_3gpuE0ELNS1_3repE0EEENS1_30default_config_static_selectorELNS0_4arch9wavefront6targetE0EEEvT1_.kd
    .uniform_work_group_size: 1
    .uses_dynamic_stack: false
    .vgpr_count:     0
    .vgpr_spill_count: 0
    .wavefront_size: 32
    .workgroup_processor_mode: 1
  - .args:
      - .offset:         0
        .size:           128
        .value_kind:     by_value
    .group_segment_fixed_size: 0
    .kernarg_segment_align: 8
    .kernarg_segment_size: 128
    .language:       OpenCL C
    .language_version:
      - 2
      - 0
    .max_flat_workgroup_size: 512
    .name:           _ZN7rocprim17ROCPRIM_400000_NS6detail17trampoline_kernelINS0_14default_configENS1_25partition_config_selectorILNS1_17partition_subalgoE9ExxbEEZZNS1_14partition_implILS5_9ELb0ES3_jN6thrust23THRUST_200600_302600_NS6detail15normal_iteratorINS9_10device_ptrIxEEEESE_PNS0_10empty_typeENS0_5tupleIJSE_SF_EEENSH_IJSE_SG_EEENS0_18inequality_wrapperINS9_8equal_toIxEEEEPmJSF_EEE10hipError_tPvRmT3_T4_T5_T6_T7_T9_mT8_P12ihipStream_tbDpT10_ENKUlT_T0_E_clISt17integral_constantIbLb0EES17_IbLb1EEEEDaS13_S14_EUlS13_E_NS1_11comp_targetILNS1_3genE5ELNS1_11target_archE942ELNS1_3gpuE9ELNS1_3repE0EEENS1_30default_config_static_selectorELNS0_4arch9wavefront6targetE0EEEvT1_
    .private_segment_fixed_size: 0
    .sgpr_count:     0
    .sgpr_spill_count: 0
    .symbol:         _ZN7rocprim17ROCPRIM_400000_NS6detail17trampoline_kernelINS0_14default_configENS1_25partition_config_selectorILNS1_17partition_subalgoE9ExxbEEZZNS1_14partition_implILS5_9ELb0ES3_jN6thrust23THRUST_200600_302600_NS6detail15normal_iteratorINS9_10device_ptrIxEEEESE_PNS0_10empty_typeENS0_5tupleIJSE_SF_EEENSH_IJSE_SG_EEENS0_18inequality_wrapperINS9_8equal_toIxEEEEPmJSF_EEE10hipError_tPvRmT3_T4_T5_T6_T7_T9_mT8_P12ihipStream_tbDpT10_ENKUlT_T0_E_clISt17integral_constantIbLb0EES17_IbLb1EEEEDaS13_S14_EUlS13_E_NS1_11comp_targetILNS1_3genE5ELNS1_11target_archE942ELNS1_3gpuE9ELNS1_3repE0EEENS1_30default_config_static_selectorELNS0_4arch9wavefront6targetE0EEEvT1_.kd
    .uniform_work_group_size: 1
    .uses_dynamic_stack: false
    .vgpr_count:     0
    .vgpr_spill_count: 0
    .wavefront_size: 32
    .workgroup_processor_mode: 1
  - .args:
      - .offset:         0
        .size:           128
        .value_kind:     by_value
    .group_segment_fixed_size: 0
    .kernarg_segment_align: 8
    .kernarg_segment_size: 128
    .language:       OpenCL C
    .language_version:
      - 2
      - 0
    .max_flat_workgroup_size: 128
    .name:           _ZN7rocprim17ROCPRIM_400000_NS6detail17trampoline_kernelINS0_14default_configENS1_25partition_config_selectorILNS1_17partition_subalgoE9ExxbEEZZNS1_14partition_implILS5_9ELb0ES3_jN6thrust23THRUST_200600_302600_NS6detail15normal_iteratorINS9_10device_ptrIxEEEESE_PNS0_10empty_typeENS0_5tupleIJSE_SF_EEENSH_IJSE_SG_EEENS0_18inequality_wrapperINS9_8equal_toIxEEEEPmJSF_EEE10hipError_tPvRmT3_T4_T5_T6_T7_T9_mT8_P12ihipStream_tbDpT10_ENKUlT_T0_E_clISt17integral_constantIbLb0EES17_IbLb1EEEEDaS13_S14_EUlS13_E_NS1_11comp_targetILNS1_3genE4ELNS1_11target_archE910ELNS1_3gpuE8ELNS1_3repE0EEENS1_30default_config_static_selectorELNS0_4arch9wavefront6targetE0EEEvT1_
    .private_segment_fixed_size: 0
    .sgpr_count:     0
    .sgpr_spill_count: 0
    .symbol:         _ZN7rocprim17ROCPRIM_400000_NS6detail17trampoline_kernelINS0_14default_configENS1_25partition_config_selectorILNS1_17partition_subalgoE9ExxbEEZZNS1_14partition_implILS5_9ELb0ES3_jN6thrust23THRUST_200600_302600_NS6detail15normal_iteratorINS9_10device_ptrIxEEEESE_PNS0_10empty_typeENS0_5tupleIJSE_SF_EEENSH_IJSE_SG_EEENS0_18inequality_wrapperINS9_8equal_toIxEEEEPmJSF_EEE10hipError_tPvRmT3_T4_T5_T6_T7_T9_mT8_P12ihipStream_tbDpT10_ENKUlT_T0_E_clISt17integral_constantIbLb0EES17_IbLb1EEEEDaS13_S14_EUlS13_E_NS1_11comp_targetILNS1_3genE4ELNS1_11target_archE910ELNS1_3gpuE8ELNS1_3repE0EEENS1_30default_config_static_selectorELNS0_4arch9wavefront6targetE0EEEvT1_.kd
    .uniform_work_group_size: 1
    .uses_dynamic_stack: false
    .vgpr_count:     0
    .vgpr_spill_count: 0
    .wavefront_size: 32
    .workgroup_processor_mode: 1
  - .args:
      - .offset:         0
        .size:           128
        .value_kind:     by_value
    .group_segment_fixed_size: 0
    .kernarg_segment_align: 8
    .kernarg_segment_size: 128
    .language:       OpenCL C
    .language_version:
      - 2
      - 0
    .max_flat_workgroup_size: 128
    .name:           _ZN7rocprim17ROCPRIM_400000_NS6detail17trampoline_kernelINS0_14default_configENS1_25partition_config_selectorILNS1_17partition_subalgoE9ExxbEEZZNS1_14partition_implILS5_9ELb0ES3_jN6thrust23THRUST_200600_302600_NS6detail15normal_iteratorINS9_10device_ptrIxEEEESE_PNS0_10empty_typeENS0_5tupleIJSE_SF_EEENSH_IJSE_SG_EEENS0_18inequality_wrapperINS9_8equal_toIxEEEEPmJSF_EEE10hipError_tPvRmT3_T4_T5_T6_T7_T9_mT8_P12ihipStream_tbDpT10_ENKUlT_T0_E_clISt17integral_constantIbLb0EES17_IbLb1EEEEDaS13_S14_EUlS13_E_NS1_11comp_targetILNS1_3genE3ELNS1_11target_archE908ELNS1_3gpuE7ELNS1_3repE0EEENS1_30default_config_static_selectorELNS0_4arch9wavefront6targetE0EEEvT1_
    .private_segment_fixed_size: 0
    .sgpr_count:     0
    .sgpr_spill_count: 0
    .symbol:         _ZN7rocprim17ROCPRIM_400000_NS6detail17trampoline_kernelINS0_14default_configENS1_25partition_config_selectorILNS1_17partition_subalgoE9ExxbEEZZNS1_14partition_implILS5_9ELb0ES3_jN6thrust23THRUST_200600_302600_NS6detail15normal_iteratorINS9_10device_ptrIxEEEESE_PNS0_10empty_typeENS0_5tupleIJSE_SF_EEENSH_IJSE_SG_EEENS0_18inequality_wrapperINS9_8equal_toIxEEEEPmJSF_EEE10hipError_tPvRmT3_T4_T5_T6_T7_T9_mT8_P12ihipStream_tbDpT10_ENKUlT_T0_E_clISt17integral_constantIbLb0EES17_IbLb1EEEEDaS13_S14_EUlS13_E_NS1_11comp_targetILNS1_3genE3ELNS1_11target_archE908ELNS1_3gpuE7ELNS1_3repE0EEENS1_30default_config_static_selectorELNS0_4arch9wavefront6targetE0EEEvT1_.kd
    .uniform_work_group_size: 1
    .uses_dynamic_stack: false
    .vgpr_count:     0
    .vgpr_spill_count: 0
    .wavefront_size: 32
    .workgroup_processor_mode: 1
  - .args:
      - .offset:         0
        .size:           128
        .value_kind:     by_value
    .group_segment_fixed_size: 0
    .kernarg_segment_align: 8
    .kernarg_segment_size: 128
    .language:       OpenCL C
    .language_version:
      - 2
      - 0
    .max_flat_workgroup_size: 192
    .name:           _ZN7rocprim17ROCPRIM_400000_NS6detail17trampoline_kernelINS0_14default_configENS1_25partition_config_selectorILNS1_17partition_subalgoE9ExxbEEZZNS1_14partition_implILS5_9ELb0ES3_jN6thrust23THRUST_200600_302600_NS6detail15normal_iteratorINS9_10device_ptrIxEEEESE_PNS0_10empty_typeENS0_5tupleIJSE_SF_EEENSH_IJSE_SG_EEENS0_18inequality_wrapperINS9_8equal_toIxEEEEPmJSF_EEE10hipError_tPvRmT3_T4_T5_T6_T7_T9_mT8_P12ihipStream_tbDpT10_ENKUlT_T0_E_clISt17integral_constantIbLb0EES17_IbLb1EEEEDaS13_S14_EUlS13_E_NS1_11comp_targetILNS1_3genE2ELNS1_11target_archE906ELNS1_3gpuE6ELNS1_3repE0EEENS1_30default_config_static_selectorELNS0_4arch9wavefront6targetE0EEEvT1_
    .private_segment_fixed_size: 0
    .sgpr_count:     0
    .sgpr_spill_count: 0
    .symbol:         _ZN7rocprim17ROCPRIM_400000_NS6detail17trampoline_kernelINS0_14default_configENS1_25partition_config_selectorILNS1_17partition_subalgoE9ExxbEEZZNS1_14partition_implILS5_9ELb0ES3_jN6thrust23THRUST_200600_302600_NS6detail15normal_iteratorINS9_10device_ptrIxEEEESE_PNS0_10empty_typeENS0_5tupleIJSE_SF_EEENSH_IJSE_SG_EEENS0_18inequality_wrapperINS9_8equal_toIxEEEEPmJSF_EEE10hipError_tPvRmT3_T4_T5_T6_T7_T9_mT8_P12ihipStream_tbDpT10_ENKUlT_T0_E_clISt17integral_constantIbLb0EES17_IbLb1EEEEDaS13_S14_EUlS13_E_NS1_11comp_targetILNS1_3genE2ELNS1_11target_archE906ELNS1_3gpuE6ELNS1_3repE0EEENS1_30default_config_static_selectorELNS0_4arch9wavefront6targetE0EEEvT1_.kd
    .uniform_work_group_size: 1
    .uses_dynamic_stack: false
    .vgpr_count:     0
    .vgpr_spill_count: 0
    .wavefront_size: 32
    .workgroup_processor_mode: 1
  - .args:
      - .offset:         0
        .size:           128
        .value_kind:     by_value
    .group_segment_fixed_size: 0
    .kernarg_segment_align: 8
    .kernarg_segment_size: 128
    .language:       OpenCL C
    .language_version:
      - 2
      - 0
    .max_flat_workgroup_size: 384
    .name:           _ZN7rocprim17ROCPRIM_400000_NS6detail17trampoline_kernelINS0_14default_configENS1_25partition_config_selectorILNS1_17partition_subalgoE9ExxbEEZZNS1_14partition_implILS5_9ELb0ES3_jN6thrust23THRUST_200600_302600_NS6detail15normal_iteratorINS9_10device_ptrIxEEEESE_PNS0_10empty_typeENS0_5tupleIJSE_SF_EEENSH_IJSE_SG_EEENS0_18inequality_wrapperINS9_8equal_toIxEEEEPmJSF_EEE10hipError_tPvRmT3_T4_T5_T6_T7_T9_mT8_P12ihipStream_tbDpT10_ENKUlT_T0_E_clISt17integral_constantIbLb0EES17_IbLb1EEEEDaS13_S14_EUlS13_E_NS1_11comp_targetILNS1_3genE10ELNS1_11target_archE1200ELNS1_3gpuE4ELNS1_3repE0EEENS1_30default_config_static_selectorELNS0_4arch9wavefront6targetE0EEEvT1_
    .private_segment_fixed_size: 0
    .sgpr_count:     0
    .sgpr_spill_count: 0
    .symbol:         _ZN7rocprim17ROCPRIM_400000_NS6detail17trampoline_kernelINS0_14default_configENS1_25partition_config_selectorILNS1_17partition_subalgoE9ExxbEEZZNS1_14partition_implILS5_9ELb0ES3_jN6thrust23THRUST_200600_302600_NS6detail15normal_iteratorINS9_10device_ptrIxEEEESE_PNS0_10empty_typeENS0_5tupleIJSE_SF_EEENSH_IJSE_SG_EEENS0_18inequality_wrapperINS9_8equal_toIxEEEEPmJSF_EEE10hipError_tPvRmT3_T4_T5_T6_T7_T9_mT8_P12ihipStream_tbDpT10_ENKUlT_T0_E_clISt17integral_constantIbLb0EES17_IbLb1EEEEDaS13_S14_EUlS13_E_NS1_11comp_targetILNS1_3genE10ELNS1_11target_archE1200ELNS1_3gpuE4ELNS1_3repE0EEENS1_30default_config_static_selectorELNS0_4arch9wavefront6targetE0EEEvT1_.kd
    .uniform_work_group_size: 1
    .uses_dynamic_stack: false
    .vgpr_count:     0
    .vgpr_spill_count: 0
    .wavefront_size: 32
    .workgroup_processor_mode: 1
  - .args:
      - .offset:         0
        .size:           128
        .value_kind:     by_value
    .group_segment_fixed_size: 33800
    .kernarg_segment_align: 8
    .kernarg_segment_size: 128
    .language:       OpenCL C
    .language_version:
      - 2
      - 0
    .max_flat_workgroup_size: 512
    .name:           _ZN7rocprim17ROCPRIM_400000_NS6detail17trampoline_kernelINS0_14default_configENS1_25partition_config_selectorILNS1_17partition_subalgoE9ExxbEEZZNS1_14partition_implILS5_9ELb0ES3_jN6thrust23THRUST_200600_302600_NS6detail15normal_iteratorINS9_10device_ptrIxEEEESE_PNS0_10empty_typeENS0_5tupleIJSE_SF_EEENSH_IJSE_SG_EEENS0_18inequality_wrapperINS9_8equal_toIxEEEEPmJSF_EEE10hipError_tPvRmT3_T4_T5_T6_T7_T9_mT8_P12ihipStream_tbDpT10_ENKUlT_T0_E_clISt17integral_constantIbLb0EES17_IbLb1EEEEDaS13_S14_EUlS13_E_NS1_11comp_targetILNS1_3genE9ELNS1_11target_archE1100ELNS1_3gpuE3ELNS1_3repE0EEENS1_30default_config_static_selectorELNS0_4arch9wavefront6targetE0EEEvT1_
    .private_segment_fixed_size: 0
    .sgpr_count:     31
    .sgpr_spill_count: 0
    .symbol:         _ZN7rocprim17ROCPRIM_400000_NS6detail17trampoline_kernelINS0_14default_configENS1_25partition_config_selectorILNS1_17partition_subalgoE9ExxbEEZZNS1_14partition_implILS5_9ELb0ES3_jN6thrust23THRUST_200600_302600_NS6detail15normal_iteratorINS9_10device_ptrIxEEEESE_PNS0_10empty_typeENS0_5tupleIJSE_SF_EEENSH_IJSE_SG_EEENS0_18inequality_wrapperINS9_8equal_toIxEEEEPmJSF_EEE10hipError_tPvRmT3_T4_T5_T6_T7_T9_mT8_P12ihipStream_tbDpT10_ENKUlT_T0_E_clISt17integral_constantIbLb0EES17_IbLb1EEEEDaS13_S14_EUlS13_E_NS1_11comp_targetILNS1_3genE9ELNS1_11target_archE1100ELNS1_3gpuE3ELNS1_3repE0EEENS1_30default_config_static_selectorELNS0_4arch9wavefront6targetE0EEEvT1_.kd
    .uniform_work_group_size: 1
    .uses_dynamic_stack: false
    .vgpr_count:     68
    .vgpr_spill_count: 0
    .wavefront_size: 32
    .workgroup_processor_mode: 1
  - .args:
      - .offset:         0
        .size:           128
        .value_kind:     by_value
    .group_segment_fixed_size: 0
    .kernarg_segment_align: 8
    .kernarg_segment_size: 128
    .language:       OpenCL C
    .language_version:
      - 2
      - 0
    .max_flat_workgroup_size: 512
    .name:           _ZN7rocprim17ROCPRIM_400000_NS6detail17trampoline_kernelINS0_14default_configENS1_25partition_config_selectorILNS1_17partition_subalgoE9ExxbEEZZNS1_14partition_implILS5_9ELb0ES3_jN6thrust23THRUST_200600_302600_NS6detail15normal_iteratorINS9_10device_ptrIxEEEESE_PNS0_10empty_typeENS0_5tupleIJSE_SF_EEENSH_IJSE_SG_EEENS0_18inequality_wrapperINS9_8equal_toIxEEEEPmJSF_EEE10hipError_tPvRmT3_T4_T5_T6_T7_T9_mT8_P12ihipStream_tbDpT10_ENKUlT_T0_E_clISt17integral_constantIbLb0EES17_IbLb1EEEEDaS13_S14_EUlS13_E_NS1_11comp_targetILNS1_3genE8ELNS1_11target_archE1030ELNS1_3gpuE2ELNS1_3repE0EEENS1_30default_config_static_selectorELNS0_4arch9wavefront6targetE0EEEvT1_
    .private_segment_fixed_size: 0
    .sgpr_count:     0
    .sgpr_spill_count: 0
    .symbol:         _ZN7rocprim17ROCPRIM_400000_NS6detail17trampoline_kernelINS0_14default_configENS1_25partition_config_selectorILNS1_17partition_subalgoE9ExxbEEZZNS1_14partition_implILS5_9ELb0ES3_jN6thrust23THRUST_200600_302600_NS6detail15normal_iteratorINS9_10device_ptrIxEEEESE_PNS0_10empty_typeENS0_5tupleIJSE_SF_EEENSH_IJSE_SG_EEENS0_18inequality_wrapperINS9_8equal_toIxEEEEPmJSF_EEE10hipError_tPvRmT3_T4_T5_T6_T7_T9_mT8_P12ihipStream_tbDpT10_ENKUlT_T0_E_clISt17integral_constantIbLb0EES17_IbLb1EEEEDaS13_S14_EUlS13_E_NS1_11comp_targetILNS1_3genE8ELNS1_11target_archE1030ELNS1_3gpuE2ELNS1_3repE0EEENS1_30default_config_static_selectorELNS0_4arch9wavefront6targetE0EEEvT1_.kd
    .uniform_work_group_size: 1
    .uses_dynamic_stack: false
    .vgpr_count:     0
    .vgpr_spill_count: 0
    .wavefront_size: 32
    .workgroup_processor_mode: 1
  - .args:
      - .offset:         0
        .size:           112
        .value_kind:     by_value
    .group_segment_fixed_size: 0
    .kernarg_segment_align: 8
    .kernarg_segment_size: 112
    .language:       OpenCL C
    .language_version:
      - 2
      - 0
    .max_flat_workgroup_size: 128
    .name:           _ZN7rocprim17ROCPRIM_400000_NS6detail17trampoline_kernelINS0_14default_configENS1_25partition_config_selectorILNS1_17partition_subalgoE9ExxbEEZZNS1_14partition_implILS5_9ELb0ES3_jN6thrust23THRUST_200600_302600_NS6detail15normal_iteratorINS9_10device_ptrIxEEEESE_PNS0_10empty_typeENS0_5tupleIJSE_SF_EEENSH_IJSE_SG_EEENS0_18inequality_wrapperI22is_equal_div_10_uniqueIxEEEPmJSF_EEE10hipError_tPvRmT3_T4_T5_T6_T7_T9_mT8_P12ihipStream_tbDpT10_ENKUlT_T0_E_clISt17integral_constantIbLb0EES18_EEDaS13_S14_EUlS13_E_NS1_11comp_targetILNS1_3genE0ELNS1_11target_archE4294967295ELNS1_3gpuE0ELNS1_3repE0EEENS1_30default_config_static_selectorELNS0_4arch9wavefront6targetE0EEEvT1_
    .private_segment_fixed_size: 0
    .sgpr_count:     0
    .sgpr_spill_count: 0
    .symbol:         _ZN7rocprim17ROCPRIM_400000_NS6detail17trampoline_kernelINS0_14default_configENS1_25partition_config_selectorILNS1_17partition_subalgoE9ExxbEEZZNS1_14partition_implILS5_9ELb0ES3_jN6thrust23THRUST_200600_302600_NS6detail15normal_iteratorINS9_10device_ptrIxEEEESE_PNS0_10empty_typeENS0_5tupleIJSE_SF_EEENSH_IJSE_SG_EEENS0_18inequality_wrapperI22is_equal_div_10_uniqueIxEEEPmJSF_EEE10hipError_tPvRmT3_T4_T5_T6_T7_T9_mT8_P12ihipStream_tbDpT10_ENKUlT_T0_E_clISt17integral_constantIbLb0EES18_EEDaS13_S14_EUlS13_E_NS1_11comp_targetILNS1_3genE0ELNS1_11target_archE4294967295ELNS1_3gpuE0ELNS1_3repE0EEENS1_30default_config_static_selectorELNS0_4arch9wavefront6targetE0EEEvT1_.kd
    .uniform_work_group_size: 1
    .uses_dynamic_stack: false
    .vgpr_count:     0
    .vgpr_spill_count: 0
    .wavefront_size: 32
    .workgroup_processor_mode: 1
  - .args:
      - .offset:         0
        .size:           112
        .value_kind:     by_value
    .group_segment_fixed_size: 0
    .kernarg_segment_align: 8
    .kernarg_segment_size: 112
    .language:       OpenCL C
    .language_version:
      - 2
      - 0
    .max_flat_workgroup_size: 512
    .name:           _ZN7rocprim17ROCPRIM_400000_NS6detail17trampoline_kernelINS0_14default_configENS1_25partition_config_selectorILNS1_17partition_subalgoE9ExxbEEZZNS1_14partition_implILS5_9ELb0ES3_jN6thrust23THRUST_200600_302600_NS6detail15normal_iteratorINS9_10device_ptrIxEEEESE_PNS0_10empty_typeENS0_5tupleIJSE_SF_EEENSH_IJSE_SG_EEENS0_18inequality_wrapperI22is_equal_div_10_uniqueIxEEEPmJSF_EEE10hipError_tPvRmT3_T4_T5_T6_T7_T9_mT8_P12ihipStream_tbDpT10_ENKUlT_T0_E_clISt17integral_constantIbLb0EES18_EEDaS13_S14_EUlS13_E_NS1_11comp_targetILNS1_3genE5ELNS1_11target_archE942ELNS1_3gpuE9ELNS1_3repE0EEENS1_30default_config_static_selectorELNS0_4arch9wavefront6targetE0EEEvT1_
    .private_segment_fixed_size: 0
    .sgpr_count:     0
    .sgpr_spill_count: 0
    .symbol:         _ZN7rocprim17ROCPRIM_400000_NS6detail17trampoline_kernelINS0_14default_configENS1_25partition_config_selectorILNS1_17partition_subalgoE9ExxbEEZZNS1_14partition_implILS5_9ELb0ES3_jN6thrust23THRUST_200600_302600_NS6detail15normal_iteratorINS9_10device_ptrIxEEEESE_PNS0_10empty_typeENS0_5tupleIJSE_SF_EEENSH_IJSE_SG_EEENS0_18inequality_wrapperI22is_equal_div_10_uniqueIxEEEPmJSF_EEE10hipError_tPvRmT3_T4_T5_T6_T7_T9_mT8_P12ihipStream_tbDpT10_ENKUlT_T0_E_clISt17integral_constantIbLb0EES18_EEDaS13_S14_EUlS13_E_NS1_11comp_targetILNS1_3genE5ELNS1_11target_archE942ELNS1_3gpuE9ELNS1_3repE0EEENS1_30default_config_static_selectorELNS0_4arch9wavefront6targetE0EEEvT1_.kd
    .uniform_work_group_size: 1
    .uses_dynamic_stack: false
    .vgpr_count:     0
    .vgpr_spill_count: 0
    .wavefront_size: 32
    .workgroup_processor_mode: 1
  - .args:
      - .offset:         0
        .size:           112
        .value_kind:     by_value
    .group_segment_fixed_size: 0
    .kernarg_segment_align: 8
    .kernarg_segment_size: 112
    .language:       OpenCL C
    .language_version:
      - 2
      - 0
    .max_flat_workgroup_size: 128
    .name:           _ZN7rocprim17ROCPRIM_400000_NS6detail17trampoline_kernelINS0_14default_configENS1_25partition_config_selectorILNS1_17partition_subalgoE9ExxbEEZZNS1_14partition_implILS5_9ELb0ES3_jN6thrust23THRUST_200600_302600_NS6detail15normal_iteratorINS9_10device_ptrIxEEEESE_PNS0_10empty_typeENS0_5tupleIJSE_SF_EEENSH_IJSE_SG_EEENS0_18inequality_wrapperI22is_equal_div_10_uniqueIxEEEPmJSF_EEE10hipError_tPvRmT3_T4_T5_T6_T7_T9_mT8_P12ihipStream_tbDpT10_ENKUlT_T0_E_clISt17integral_constantIbLb0EES18_EEDaS13_S14_EUlS13_E_NS1_11comp_targetILNS1_3genE4ELNS1_11target_archE910ELNS1_3gpuE8ELNS1_3repE0EEENS1_30default_config_static_selectorELNS0_4arch9wavefront6targetE0EEEvT1_
    .private_segment_fixed_size: 0
    .sgpr_count:     0
    .sgpr_spill_count: 0
    .symbol:         _ZN7rocprim17ROCPRIM_400000_NS6detail17trampoline_kernelINS0_14default_configENS1_25partition_config_selectorILNS1_17partition_subalgoE9ExxbEEZZNS1_14partition_implILS5_9ELb0ES3_jN6thrust23THRUST_200600_302600_NS6detail15normal_iteratorINS9_10device_ptrIxEEEESE_PNS0_10empty_typeENS0_5tupleIJSE_SF_EEENSH_IJSE_SG_EEENS0_18inequality_wrapperI22is_equal_div_10_uniqueIxEEEPmJSF_EEE10hipError_tPvRmT3_T4_T5_T6_T7_T9_mT8_P12ihipStream_tbDpT10_ENKUlT_T0_E_clISt17integral_constantIbLb0EES18_EEDaS13_S14_EUlS13_E_NS1_11comp_targetILNS1_3genE4ELNS1_11target_archE910ELNS1_3gpuE8ELNS1_3repE0EEENS1_30default_config_static_selectorELNS0_4arch9wavefront6targetE0EEEvT1_.kd
    .uniform_work_group_size: 1
    .uses_dynamic_stack: false
    .vgpr_count:     0
    .vgpr_spill_count: 0
    .wavefront_size: 32
    .workgroup_processor_mode: 1
  - .args:
      - .offset:         0
        .size:           112
        .value_kind:     by_value
    .group_segment_fixed_size: 0
    .kernarg_segment_align: 8
    .kernarg_segment_size: 112
    .language:       OpenCL C
    .language_version:
      - 2
      - 0
    .max_flat_workgroup_size: 128
    .name:           _ZN7rocprim17ROCPRIM_400000_NS6detail17trampoline_kernelINS0_14default_configENS1_25partition_config_selectorILNS1_17partition_subalgoE9ExxbEEZZNS1_14partition_implILS5_9ELb0ES3_jN6thrust23THRUST_200600_302600_NS6detail15normal_iteratorINS9_10device_ptrIxEEEESE_PNS0_10empty_typeENS0_5tupleIJSE_SF_EEENSH_IJSE_SG_EEENS0_18inequality_wrapperI22is_equal_div_10_uniqueIxEEEPmJSF_EEE10hipError_tPvRmT3_T4_T5_T6_T7_T9_mT8_P12ihipStream_tbDpT10_ENKUlT_T0_E_clISt17integral_constantIbLb0EES18_EEDaS13_S14_EUlS13_E_NS1_11comp_targetILNS1_3genE3ELNS1_11target_archE908ELNS1_3gpuE7ELNS1_3repE0EEENS1_30default_config_static_selectorELNS0_4arch9wavefront6targetE0EEEvT1_
    .private_segment_fixed_size: 0
    .sgpr_count:     0
    .sgpr_spill_count: 0
    .symbol:         _ZN7rocprim17ROCPRIM_400000_NS6detail17trampoline_kernelINS0_14default_configENS1_25partition_config_selectorILNS1_17partition_subalgoE9ExxbEEZZNS1_14partition_implILS5_9ELb0ES3_jN6thrust23THRUST_200600_302600_NS6detail15normal_iteratorINS9_10device_ptrIxEEEESE_PNS0_10empty_typeENS0_5tupleIJSE_SF_EEENSH_IJSE_SG_EEENS0_18inequality_wrapperI22is_equal_div_10_uniqueIxEEEPmJSF_EEE10hipError_tPvRmT3_T4_T5_T6_T7_T9_mT8_P12ihipStream_tbDpT10_ENKUlT_T0_E_clISt17integral_constantIbLb0EES18_EEDaS13_S14_EUlS13_E_NS1_11comp_targetILNS1_3genE3ELNS1_11target_archE908ELNS1_3gpuE7ELNS1_3repE0EEENS1_30default_config_static_selectorELNS0_4arch9wavefront6targetE0EEEvT1_.kd
    .uniform_work_group_size: 1
    .uses_dynamic_stack: false
    .vgpr_count:     0
    .vgpr_spill_count: 0
    .wavefront_size: 32
    .workgroup_processor_mode: 1
  - .args:
      - .offset:         0
        .size:           112
        .value_kind:     by_value
    .group_segment_fixed_size: 0
    .kernarg_segment_align: 8
    .kernarg_segment_size: 112
    .language:       OpenCL C
    .language_version:
      - 2
      - 0
    .max_flat_workgroup_size: 192
    .name:           _ZN7rocprim17ROCPRIM_400000_NS6detail17trampoline_kernelINS0_14default_configENS1_25partition_config_selectorILNS1_17partition_subalgoE9ExxbEEZZNS1_14partition_implILS5_9ELb0ES3_jN6thrust23THRUST_200600_302600_NS6detail15normal_iteratorINS9_10device_ptrIxEEEESE_PNS0_10empty_typeENS0_5tupleIJSE_SF_EEENSH_IJSE_SG_EEENS0_18inequality_wrapperI22is_equal_div_10_uniqueIxEEEPmJSF_EEE10hipError_tPvRmT3_T4_T5_T6_T7_T9_mT8_P12ihipStream_tbDpT10_ENKUlT_T0_E_clISt17integral_constantIbLb0EES18_EEDaS13_S14_EUlS13_E_NS1_11comp_targetILNS1_3genE2ELNS1_11target_archE906ELNS1_3gpuE6ELNS1_3repE0EEENS1_30default_config_static_selectorELNS0_4arch9wavefront6targetE0EEEvT1_
    .private_segment_fixed_size: 0
    .sgpr_count:     0
    .sgpr_spill_count: 0
    .symbol:         _ZN7rocprim17ROCPRIM_400000_NS6detail17trampoline_kernelINS0_14default_configENS1_25partition_config_selectorILNS1_17partition_subalgoE9ExxbEEZZNS1_14partition_implILS5_9ELb0ES3_jN6thrust23THRUST_200600_302600_NS6detail15normal_iteratorINS9_10device_ptrIxEEEESE_PNS0_10empty_typeENS0_5tupleIJSE_SF_EEENSH_IJSE_SG_EEENS0_18inequality_wrapperI22is_equal_div_10_uniqueIxEEEPmJSF_EEE10hipError_tPvRmT3_T4_T5_T6_T7_T9_mT8_P12ihipStream_tbDpT10_ENKUlT_T0_E_clISt17integral_constantIbLb0EES18_EEDaS13_S14_EUlS13_E_NS1_11comp_targetILNS1_3genE2ELNS1_11target_archE906ELNS1_3gpuE6ELNS1_3repE0EEENS1_30default_config_static_selectorELNS0_4arch9wavefront6targetE0EEEvT1_.kd
    .uniform_work_group_size: 1
    .uses_dynamic_stack: false
    .vgpr_count:     0
    .vgpr_spill_count: 0
    .wavefront_size: 32
    .workgroup_processor_mode: 1
  - .args:
      - .offset:         0
        .size:           112
        .value_kind:     by_value
    .group_segment_fixed_size: 0
    .kernarg_segment_align: 8
    .kernarg_segment_size: 112
    .language:       OpenCL C
    .language_version:
      - 2
      - 0
    .max_flat_workgroup_size: 384
    .name:           _ZN7rocprim17ROCPRIM_400000_NS6detail17trampoline_kernelINS0_14default_configENS1_25partition_config_selectorILNS1_17partition_subalgoE9ExxbEEZZNS1_14partition_implILS5_9ELb0ES3_jN6thrust23THRUST_200600_302600_NS6detail15normal_iteratorINS9_10device_ptrIxEEEESE_PNS0_10empty_typeENS0_5tupleIJSE_SF_EEENSH_IJSE_SG_EEENS0_18inequality_wrapperI22is_equal_div_10_uniqueIxEEEPmJSF_EEE10hipError_tPvRmT3_T4_T5_T6_T7_T9_mT8_P12ihipStream_tbDpT10_ENKUlT_T0_E_clISt17integral_constantIbLb0EES18_EEDaS13_S14_EUlS13_E_NS1_11comp_targetILNS1_3genE10ELNS1_11target_archE1200ELNS1_3gpuE4ELNS1_3repE0EEENS1_30default_config_static_selectorELNS0_4arch9wavefront6targetE0EEEvT1_
    .private_segment_fixed_size: 0
    .sgpr_count:     0
    .sgpr_spill_count: 0
    .symbol:         _ZN7rocprim17ROCPRIM_400000_NS6detail17trampoline_kernelINS0_14default_configENS1_25partition_config_selectorILNS1_17partition_subalgoE9ExxbEEZZNS1_14partition_implILS5_9ELb0ES3_jN6thrust23THRUST_200600_302600_NS6detail15normal_iteratorINS9_10device_ptrIxEEEESE_PNS0_10empty_typeENS0_5tupleIJSE_SF_EEENSH_IJSE_SG_EEENS0_18inequality_wrapperI22is_equal_div_10_uniqueIxEEEPmJSF_EEE10hipError_tPvRmT3_T4_T5_T6_T7_T9_mT8_P12ihipStream_tbDpT10_ENKUlT_T0_E_clISt17integral_constantIbLb0EES18_EEDaS13_S14_EUlS13_E_NS1_11comp_targetILNS1_3genE10ELNS1_11target_archE1200ELNS1_3gpuE4ELNS1_3repE0EEENS1_30default_config_static_selectorELNS0_4arch9wavefront6targetE0EEEvT1_.kd
    .uniform_work_group_size: 1
    .uses_dynamic_stack: false
    .vgpr_count:     0
    .vgpr_spill_count: 0
    .wavefront_size: 32
    .workgroup_processor_mode: 1
  - .args:
      - .offset:         0
        .size:           112
        .value_kind:     by_value
    .group_segment_fixed_size: 33800
    .kernarg_segment_align: 8
    .kernarg_segment_size: 112
    .language:       OpenCL C
    .language_version:
      - 2
      - 0
    .max_flat_workgroup_size: 512
    .name:           _ZN7rocprim17ROCPRIM_400000_NS6detail17trampoline_kernelINS0_14default_configENS1_25partition_config_selectorILNS1_17partition_subalgoE9ExxbEEZZNS1_14partition_implILS5_9ELb0ES3_jN6thrust23THRUST_200600_302600_NS6detail15normal_iteratorINS9_10device_ptrIxEEEESE_PNS0_10empty_typeENS0_5tupleIJSE_SF_EEENSH_IJSE_SG_EEENS0_18inequality_wrapperI22is_equal_div_10_uniqueIxEEEPmJSF_EEE10hipError_tPvRmT3_T4_T5_T6_T7_T9_mT8_P12ihipStream_tbDpT10_ENKUlT_T0_E_clISt17integral_constantIbLb0EES18_EEDaS13_S14_EUlS13_E_NS1_11comp_targetILNS1_3genE9ELNS1_11target_archE1100ELNS1_3gpuE3ELNS1_3repE0EEENS1_30default_config_static_selectorELNS0_4arch9wavefront6targetE0EEEvT1_
    .private_segment_fixed_size: 0
    .sgpr_count:     27
    .sgpr_spill_count: 0
    .symbol:         _ZN7rocprim17ROCPRIM_400000_NS6detail17trampoline_kernelINS0_14default_configENS1_25partition_config_selectorILNS1_17partition_subalgoE9ExxbEEZZNS1_14partition_implILS5_9ELb0ES3_jN6thrust23THRUST_200600_302600_NS6detail15normal_iteratorINS9_10device_ptrIxEEEESE_PNS0_10empty_typeENS0_5tupleIJSE_SF_EEENSH_IJSE_SG_EEENS0_18inequality_wrapperI22is_equal_div_10_uniqueIxEEEPmJSF_EEE10hipError_tPvRmT3_T4_T5_T6_T7_T9_mT8_P12ihipStream_tbDpT10_ENKUlT_T0_E_clISt17integral_constantIbLb0EES18_EEDaS13_S14_EUlS13_E_NS1_11comp_targetILNS1_3genE9ELNS1_11target_archE1100ELNS1_3gpuE3ELNS1_3repE0EEENS1_30default_config_static_selectorELNS0_4arch9wavefront6targetE0EEEvT1_.kd
    .uniform_work_group_size: 1
    .uses_dynamic_stack: false
    .vgpr_count:     68
    .vgpr_spill_count: 0
    .wavefront_size: 32
    .workgroup_processor_mode: 1
  - .args:
      - .offset:         0
        .size:           112
        .value_kind:     by_value
    .group_segment_fixed_size: 0
    .kernarg_segment_align: 8
    .kernarg_segment_size: 112
    .language:       OpenCL C
    .language_version:
      - 2
      - 0
    .max_flat_workgroup_size: 512
    .name:           _ZN7rocprim17ROCPRIM_400000_NS6detail17trampoline_kernelINS0_14default_configENS1_25partition_config_selectorILNS1_17partition_subalgoE9ExxbEEZZNS1_14partition_implILS5_9ELb0ES3_jN6thrust23THRUST_200600_302600_NS6detail15normal_iteratorINS9_10device_ptrIxEEEESE_PNS0_10empty_typeENS0_5tupleIJSE_SF_EEENSH_IJSE_SG_EEENS0_18inequality_wrapperI22is_equal_div_10_uniqueIxEEEPmJSF_EEE10hipError_tPvRmT3_T4_T5_T6_T7_T9_mT8_P12ihipStream_tbDpT10_ENKUlT_T0_E_clISt17integral_constantIbLb0EES18_EEDaS13_S14_EUlS13_E_NS1_11comp_targetILNS1_3genE8ELNS1_11target_archE1030ELNS1_3gpuE2ELNS1_3repE0EEENS1_30default_config_static_selectorELNS0_4arch9wavefront6targetE0EEEvT1_
    .private_segment_fixed_size: 0
    .sgpr_count:     0
    .sgpr_spill_count: 0
    .symbol:         _ZN7rocprim17ROCPRIM_400000_NS6detail17trampoline_kernelINS0_14default_configENS1_25partition_config_selectorILNS1_17partition_subalgoE9ExxbEEZZNS1_14partition_implILS5_9ELb0ES3_jN6thrust23THRUST_200600_302600_NS6detail15normal_iteratorINS9_10device_ptrIxEEEESE_PNS0_10empty_typeENS0_5tupleIJSE_SF_EEENSH_IJSE_SG_EEENS0_18inequality_wrapperI22is_equal_div_10_uniqueIxEEEPmJSF_EEE10hipError_tPvRmT3_T4_T5_T6_T7_T9_mT8_P12ihipStream_tbDpT10_ENKUlT_T0_E_clISt17integral_constantIbLb0EES18_EEDaS13_S14_EUlS13_E_NS1_11comp_targetILNS1_3genE8ELNS1_11target_archE1030ELNS1_3gpuE2ELNS1_3repE0EEENS1_30default_config_static_selectorELNS0_4arch9wavefront6targetE0EEEvT1_.kd
    .uniform_work_group_size: 1
    .uses_dynamic_stack: false
    .vgpr_count:     0
    .vgpr_spill_count: 0
    .wavefront_size: 32
    .workgroup_processor_mode: 1
  - .args:
      - .offset:         0
        .size:           128
        .value_kind:     by_value
    .group_segment_fixed_size: 0
    .kernarg_segment_align: 8
    .kernarg_segment_size: 128
    .language:       OpenCL C
    .language_version:
      - 2
      - 0
    .max_flat_workgroup_size: 128
    .name:           _ZN7rocprim17ROCPRIM_400000_NS6detail17trampoline_kernelINS0_14default_configENS1_25partition_config_selectorILNS1_17partition_subalgoE9ExxbEEZZNS1_14partition_implILS5_9ELb0ES3_jN6thrust23THRUST_200600_302600_NS6detail15normal_iteratorINS9_10device_ptrIxEEEESE_PNS0_10empty_typeENS0_5tupleIJSE_SF_EEENSH_IJSE_SG_EEENS0_18inequality_wrapperI22is_equal_div_10_uniqueIxEEEPmJSF_EEE10hipError_tPvRmT3_T4_T5_T6_T7_T9_mT8_P12ihipStream_tbDpT10_ENKUlT_T0_E_clISt17integral_constantIbLb1EES18_EEDaS13_S14_EUlS13_E_NS1_11comp_targetILNS1_3genE0ELNS1_11target_archE4294967295ELNS1_3gpuE0ELNS1_3repE0EEENS1_30default_config_static_selectorELNS0_4arch9wavefront6targetE0EEEvT1_
    .private_segment_fixed_size: 0
    .sgpr_count:     0
    .sgpr_spill_count: 0
    .symbol:         _ZN7rocprim17ROCPRIM_400000_NS6detail17trampoline_kernelINS0_14default_configENS1_25partition_config_selectorILNS1_17partition_subalgoE9ExxbEEZZNS1_14partition_implILS5_9ELb0ES3_jN6thrust23THRUST_200600_302600_NS6detail15normal_iteratorINS9_10device_ptrIxEEEESE_PNS0_10empty_typeENS0_5tupleIJSE_SF_EEENSH_IJSE_SG_EEENS0_18inequality_wrapperI22is_equal_div_10_uniqueIxEEEPmJSF_EEE10hipError_tPvRmT3_T4_T5_T6_T7_T9_mT8_P12ihipStream_tbDpT10_ENKUlT_T0_E_clISt17integral_constantIbLb1EES18_EEDaS13_S14_EUlS13_E_NS1_11comp_targetILNS1_3genE0ELNS1_11target_archE4294967295ELNS1_3gpuE0ELNS1_3repE0EEENS1_30default_config_static_selectorELNS0_4arch9wavefront6targetE0EEEvT1_.kd
    .uniform_work_group_size: 1
    .uses_dynamic_stack: false
    .vgpr_count:     0
    .vgpr_spill_count: 0
    .wavefront_size: 32
    .workgroup_processor_mode: 1
  - .args:
      - .offset:         0
        .size:           128
        .value_kind:     by_value
    .group_segment_fixed_size: 0
    .kernarg_segment_align: 8
    .kernarg_segment_size: 128
    .language:       OpenCL C
    .language_version:
      - 2
      - 0
    .max_flat_workgroup_size: 512
    .name:           _ZN7rocprim17ROCPRIM_400000_NS6detail17trampoline_kernelINS0_14default_configENS1_25partition_config_selectorILNS1_17partition_subalgoE9ExxbEEZZNS1_14partition_implILS5_9ELb0ES3_jN6thrust23THRUST_200600_302600_NS6detail15normal_iteratorINS9_10device_ptrIxEEEESE_PNS0_10empty_typeENS0_5tupleIJSE_SF_EEENSH_IJSE_SG_EEENS0_18inequality_wrapperI22is_equal_div_10_uniqueIxEEEPmJSF_EEE10hipError_tPvRmT3_T4_T5_T6_T7_T9_mT8_P12ihipStream_tbDpT10_ENKUlT_T0_E_clISt17integral_constantIbLb1EES18_EEDaS13_S14_EUlS13_E_NS1_11comp_targetILNS1_3genE5ELNS1_11target_archE942ELNS1_3gpuE9ELNS1_3repE0EEENS1_30default_config_static_selectorELNS0_4arch9wavefront6targetE0EEEvT1_
    .private_segment_fixed_size: 0
    .sgpr_count:     0
    .sgpr_spill_count: 0
    .symbol:         _ZN7rocprim17ROCPRIM_400000_NS6detail17trampoline_kernelINS0_14default_configENS1_25partition_config_selectorILNS1_17partition_subalgoE9ExxbEEZZNS1_14partition_implILS5_9ELb0ES3_jN6thrust23THRUST_200600_302600_NS6detail15normal_iteratorINS9_10device_ptrIxEEEESE_PNS0_10empty_typeENS0_5tupleIJSE_SF_EEENSH_IJSE_SG_EEENS0_18inequality_wrapperI22is_equal_div_10_uniqueIxEEEPmJSF_EEE10hipError_tPvRmT3_T4_T5_T6_T7_T9_mT8_P12ihipStream_tbDpT10_ENKUlT_T0_E_clISt17integral_constantIbLb1EES18_EEDaS13_S14_EUlS13_E_NS1_11comp_targetILNS1_3genE5ELNS1_11target_archE942ELNS1_3gpuE9ELNS1_3repE0EEENS1_30default_config_static_selectorELNS0_4arch9wavefront6targetE0EEEvT1_.kd
    .uniform_work_group_size: 1
    .uses_dynamic_stack: false
    .vgpr_count:     0
    .vgpr_spill_count: 0
    .wavefront_size: 32
    .workgroup_processor_mode: 1
  - .args:
      - .offset:         0
        .size:           128
        .value_kind:     by_value
    .group_segment_fixed_size: 0
    .kernarg_segment_align: 8
    .kernarg_segment_size: 128
    .language:       OpenCL C
    .language_version:
      - 2
      - 0
    .max_flat_workgroup_size: 128
    .name:           _ZN7rocprim17ROCPRIM_400000_NS6detail17trampoline_kernelINS0_14default_configENS1_25partition_config_selectorILNS1_17partition_subalgoE9ExxbEEZZNS1_14partition_implILS5_9ELb0ES3_jN6thrust23THRUST_200600_302600_NS6detail15normal_iteratorINS9_10device_ptrIxEEEESE_PNS0_10empty_typeENS0_5tupleIJSE_SF_EEENSH_IJSE_SG_EEENS0_18inequality_wrapperI22is_equal_div_10_uniqueIxEEEPmJSF_EEE10hipError_tPvRmT3_T4_T5_T6_T7_T9_mT8_P12ihipStream_tbDpT10_ENKUlT_T0_E_clISt17integral_constantIbLb1EES18_EEDaS13_S14_EUlS13_E_NS1_11comp_targetILNS1_3genE4ELNS1_11target_archE910ELNS1_3gpuE8ELNS1_3repE0EEENS1_30default_config_static_selectorELNS0_4arch9wavefront6targetE0EEEvT1_
    .private_segment_fixed_size: 0
    .sgpr_count:     0
    .sgpr_spill_count: 0
    .symbol:         _ZN7rocprim17ROCPRIM_400000_NS6detail17trampoline_kernelINS0_14default_configENS1_25partition_config_selectorILNS1_17partition_subalgoE9ExxbEEZZNS1_14partition_implILS5_9ELb0ES3_jN6thrust23THRUST_200600_302600_NS6detail15normal_iteratorINS9_10device_ptrIxEEEESE_PNS0_10empty_typeENS0_5tupleIJSE_SF_EEENSH_IJSE_SG_EEENS0_18inequality_wrapperI22is_equal_div_10_uniqueIxEEEPmJSF_EEE10hipError_tPvRmT3_T4_T5_T6_T7_T9_mT8_P12ihipStream_tbDpT10_ENKUlT_T0_E_clISt17integral_constantIbLb1EES18_EEDaS13_S14_EUlS13_E_NS1_11comp_targetILNS1_3genE4ELNS1_11target_archE910ELNS1_3gpuE8ELNS1_3repE0EEENS1_30default_config_static_selectorELNS0_4arch9wavefront6targetE0EEEvT1_.kd
    .uniform_work_group_size: 1
    .uses_dynamic_stack: false
    .vgpr_count:     0
    .vgpr_spill_count: 0
    .wavefront_size: 32
    .workgroup_processor_mode: 1
  - .args:
      - .offset:         0
        .size:           128
        .value_kind:     by_value
    .group_segment_fixed_size: 0
    .kernarg_segment_align: 8
    .kernarg_segment_size: 128
    .language:       OpenCL C
    .language_version:
      - 2
      - 0
    .max_flat_workgroup_size: 128
    .name:           _ZN7rocprim17ROCPRIM_400000_NS6detail17trampoline_kernelINS0_14default_configENS1_25partition_config_selectorILNS1_17partition_subalgoE9ExxbEEZZNS1_14partition_implILS5_9ELb0ES3_jN6thrust23THRUST_200600_302600_NS6detail15normal_iteratorINS9_10device_ptrIxEEEESE_PNS0_10empty_typeENS0_5tupleIJSE_SF_EEENSH_IJSE_SG_EEENS0_18inequality_wrapperI22is_equal_div_10_uniqueIxEEEPmJSF_EEE10hipError_tPvRmT3_T4_T5_T6_T7_T9_mT8_P12ihipStream_tbDpT10_ENKUlT_T0_E_clISt17integral_constantIbLb1EES18_EEDaS13_S14_EUlS13_E_NS1_11comp_targetILNS1_3genE3ELNS1_11target_archE908ELNS1_3gpuE7ELNS1_3repE0EEENS1_30default_config_static_selectorELNS0_4arch9wavefront6targetE0EEEvT1_
    .private_segment_fixed_size: 0
    .sgpr_count:     0
    .sgpr_spill_count: 0
    .symbol:         _ZN7rocprim17ROCPRIM_400000_NS6detail17trampoline_kernelINS0_14default_configENS1_25partition_config_selectorILNS1_17partition_subalgoE9ExxbEEZZNS1_14partition_implILS5_9ELb0ES3_jN6thrust23THRUST_200600_302600_NS6detail15normal_iteratorINS9_10device_ptrIxEEEESE_PNS0_10empty_typeENS0_5tupleIJSE_SF_EEENSH_IJSE_SG_EEENS0_18inequality_wrapperI22is_equal_div_10_uniqueIxEEEPmJSF_EEE10hipError_tPvRmT3_T4_T5_T6_T7_T9_mT8_P12ihipStream_tbDpT10_ENKUlT_T0_E_clISt17integral_constantIbLb1EES18_EEDaS13_S14_EUlS13_E_NS1_11comp_targetILNS1_3genE3ELNS1_11target_archE908ELNS1_3gpuE7ELNS1_3repE0EEENS1_30default_config_static_selectorELNS0_4arch9wavefront6targetE0EEEvT1_.kd
    .uniform_work_group_size: 1
    .uses_dynamic_stack: false
    .vgpr_count:     0
    .vgpr_spill_count: 0
    .wavefront_size: 32
    .workgroup_processor_mode: 1
  - .args:
      - .offset:         0
        .size:           128
        .value_kind:     by_value
    .group_segment_fixed_size: 0
    .kernarg_segment_align: 8
    .kernarg_segment_size: 128
    .language:       OpenCL C
    .language_version:
      - 2
      - 0
    .max_flat_workgroup_size: 192
    .name:           _ZN7rocprim17ROCPRIM_400000_NS6detail17trampoline_kernelINS0_14default_configENS1_25partition_config_selectorILNS1_17partition_subalgoE9ExxbEEZZNS1_14partition_implILS5_9ELb0ES3_jN6thrust23THRUST_200600_302600_NS6detail15normal_iteratorINS9_10device_ptrIxEEEESE_PNS0_10empty_typeENS0_5tupleIJSE_SF_EEENSH_IJSE_SG_EEENS0_18inequality_wrapperI22is_equal_div_10_uniqueIxEEEPmJSF_EEE10hipError_tPvRmT3_T4_T5_T6_T7_T9_mT8_P12ihipStream_tbDpT10_ENKUlT_T0_E_clISt17integral_constantIbLb1EES18_EEDaS13_S14_EUlS13_E_NS1_11comp_targetILNS1_3genE2ELNS1_11target_archE906ELNS1_3gpuE6ELNS1_3repE0EEENS1_30default_config_static_selectorELNS0_4arch9wavefront6targetE0EEEvT1_
    .private_segment_fixed_size: 0
    .sgpr_count:     0
    .sgpr_spill_count: 0
    .symbol:         _ZN7rocprim17ROCPRIM_400000_NS6detail17trampoline_kernelINS0_14default_configENS1_25partition_config_selectorILNS1_17partition_subalgoE9ExxbEEZZNS1_14partition_implILS5_9ELb0ES3_jN6thrust23THRUST_200600_302600_NS6detail15normal_iteratorINS9_10device_ptrIxEEEESE_PNS0_10empty_typeENS0_5tupleIJSE_SF_EEENSH_IJSE_SG_EEENS0_18inequality_wrapperI22is_equal_div_10_uniqueIxEEEPmJSF_EEE10hipError_tPvRmT3_T4_T5_T6_T7_T9_mT8_P12ihipStream_tbDpT10_ENKUlT_T0_E_clISt17integral_constantIbLb1EES18_EEDaS13_S14_EUlS13_E_NS1_11comp_targetILNS1_3genE2ELNS1_11target_archE906ELNS1_3gpuE6ELNS1_3repE0EEENS1_30default_config_static_selectorELNS0_4arch9wavefront6targetE0EEEvT1_.kd
    .uniform_work_group_size: 1
    .uses_dynamic_stack: false
    .vgpr_count:     0
    .vgpr_spill_count: 0
    .wavefront_size: 32
    .workgroup_processor_mode: 1
  - .args:
      - .offset:         0
        .size:           128
        .value_kind:     by_value
    .group_segment_fixed_size: 0
    .kernarg_segment_align: 8
    .kernarg_segment_size: 128
    .language:       OpenCL C
    .language_version:
      - 2
      - 0
    .max_flat_workgroup_size: 384
    .name:           _ZN7rocprim17ROCPRIM_400000_NS6detail17trampoline_kernelINS0_14default_configENS1_25partition_config_selectorILNS1_17partition_subalgoE9ExxbEEZZNS1_14partition_implILS5_9ELb0ES3_jN6thrust23THRUST_200600_302600_NS6detail15normal_iteratorINS9_10device_ptrIxEEEESE_PNS0_10empty_typeENS0_5tupleIJSE_SF_EEENSH_IJSE_SG_EEENS0_18inequality_wrapperI22is_equal_div_10_uniqueIxEEEPmJSF_EEE10hipError_tPvRmT3_T4_T5_T6_T7_T9_mT8_P12ihipStream_tbDpT10_ENKUlT_T0_E_clISt17integral_constantIbLb1EES18_EEDaS13_S14_EUlS13_E_NS1_11comp_targetILNS1_3genE10ELNS1_11target_archE1200ELNS1_3gpuE4ELNS1_3repE0EEENS1_30default_config_static_selectorELNS0_4arch9wavefront6targetE0EEEvT1_
    .private_segment_fixed_size: 0
    .sgpr_count:     0
    .sgpr_spill_count: 0
    .symbol:         _ZN7rocprim17ROCPRIM_400000_NS6detail17trampoline_kernelINS0_14default_configENS1_25partition_config_selectorILNS1_17partition_subalgoE9ExxbEEZZNS1_14partition_implILS5_9ELb0ES3_jN6thrust23THRUST_200600_302600_NS6detail15normal_iteratorINS9_10device_ptrIxEEEESE_PNS0_10empty_typeENS0_5tupleIJSE_SF_EEENSH_IJSE_SG_EEENS0_18inequality_wrapperI22is_equal_div_10_uniqueIxEEEPmJSF_EEE10hipError_tPvRmT3_T4_T5_T6_T7_T9_mT8_P12ihipStream_tbDpT10_ENKUlT_T0_E_clISt17integral_constantIbLb1EES18_EEDaS13_S14_EUlS13_E_NS1_11comp_targetILNS1_3genE10ELNS1_11target_archE1200ELNS1_3gpuE4ELNS1_3repE0EEENS1_30default_config_static_selectorELNS0_4arch9wavefront6targetE0EEEvT1_.kd
    .uniform_work_group_size: 1
    .uses_dynamic_stack: false
    .vgpr_count:     0
    .vgpr_spill_count: 0
    .wavefront_size: 32
    .workgroup_processor_mode: 1
  - .args:
      - .offset:         0
        .size:           128
        .value_kind:     by_value
    .group_segment_fixed_size: 33800
    .kernarg_segment_align: 8
    .kernarg_segment_size: 128
    .language:       OpenCL C
    .language_version:
      - 2
      - 0
    .max_flat_workgroup_size: 512
    .name:           _ZN7rocprim17ROCPRIM_400000_NS6detail17trampoline_kernelINS0_14default_configENS1_25partition_config_selectorILNS1_17partition_subalgoE9ExxbEEZZNS1_14partition_implILS5_9ELb0ES3_jN6thrust23THRUST_200600_302600_NS6detail15normal_iteratorINS9_10device_ptrIxEEEESE_PNS0_10empty_typeENS0_5tupleIJSE_SF_EEENSH_IJSE_SG_EEENS0_18inequality_wrapperI22is_equal_div_10_uniqueIxEEEPmJSF_EEE10hipError_tPvRmT3_T4_T5_T6_T7_T9_mT8_P12ihipStream_tbDpT10_ENKUlT_T0_E_clISt17integral_constantIbLb1EES18_EEDaS13_S14_EUlS13_E_NS1_11comp_targetILNS1_3genE9ELNS1_11target_archE1100ELNS1_3gpuE3ELNS1_3repE0EEENS1_30default_config_static_selectorELNS0_4arch9wavefront6targetE0EEEvT1_
    .private_segment_fixed_size: 0
    .sgpr_count:     31
    .sgpr_spill_count: 0
    .symbol:         _ZN7rocprim17ROCPRIM_400000_NS6detail17trampoline_kernelINS0_14default_configENS1_25partition_config_selectorILNS1_17partition_subalgoE9ExxbEEZZNS1_14partition_implILS5_9ELb0ES3_jN6thrust23THRUST_200600_302600_NS6detail15normal_iteratorINS9_10device_ptrIxEEEESE_PNS0_10empty_typeENS0_5tupleIJSE_SF_EEENSH_IJSE_SG_EEENS0_18inequality_wrapperI22is_equal_div_10_uniqueIxEEEPmJSF_EEE10hipError_tPvRmT3_T4_T5_T6_T7_T9_mT8_P12ihipStream_tbDpT10_ENKUlT_T0_E_clISt17integral_constantIbLb1EES18_EEDaS13_S14_EUlS13_E_NS1_11comp_targetILNS1_3genE9ELNS1_11target_archE1100ELNS1_3gpuE3ELNS1_3repE0EEENS1_30default_config_static_selectorELNS0_4arch9wavefront6targetE0EEEvT1_.kd
    .uniform_work_group_size: 1
    .uses_dynamic_stack: false
    .vgpr_count:     68
    .vgpr_spill_count: 0
    .wavefront_size: 32
    .workgroup_processor_mode: 1
  - .args:
      - .offset:         0
        .size:           128
        .value_kind:     by_value
    .group_segment_fixed_size: 0
    .kernarg_segment_align: 8
    .kernarg_segment_size: 128
    .language:       OpenCL C
    .language_version:
      - 2
      - 0
    .max_flat_workgroup_size: 512
    .name:           _ZN7rocprim17ROCPRIM_400000_NS6detail17trampoline_kernelINS0_14default_configENS1_25partition_config_selectorILNS1_17partition_subalgoE9ExxbEEZZNS1_14partition_implILS5_9ELb0ES3_jN6thrust23THRUST_200600_302600_NS6detail15normal_iteratorINS9_10device_ptrIxEEEESE_PNS0_10empty_typeENS0_5tupleIJSE_SF_EEENSH_IJSE_SG_EEENS0_18inequality_wrapperI22is_equal_div_10_uniqueIxEEEPmJSF_EEE10hipError_tPvRmT3_T4_T5_T6_T7_T9_mT8_P12ihipStream_tbDpT10_ENKUlT_T0_E_clISt17integral_constantIbLb1EES18_EEDaS13_S14_EUlS13_E_NS1_11comp_targetILNS1_3genE8ELNS1_11target_archE1030ELNS1_3gpuE2ELNS1_3repE0EEENS1_30default_config_static_selectorELNS0_4arch9wavefront6targetE0EEEvT1_
    .private_segment_fixed_size: 0
    .sgpr_count:     0
    .sgpr_spill_count: 0
    .symbol:         _ZN7rocprim17ROCPRIM_400000_NS6detail17trampoline_kernelINS0_14default_configENS1_25partition_config_selectorILNS1_17partition_subalgoE9ExxbEEZZNS1_14partition_implILS5_9ELb0ES3_jN6thrust23THRUST_200600_302600_NS6detail15normal_iteratorINS9_10device_ptrIxEEEESE_PNS0_10empty_typeENS0_5tupleIJSE_SF_EEENSH_IJSE_SG_EEENS0_18inequality_wrapperI22is_equal_div_10_uniqueIxEEEPmJSF_EEE10hipError_tPvRmT3_T4_T5_T6_T7_T9_mT8_P12ihipStream_tbDpT10_ENKUlT_T0_E_clISt17integral_constantIbLb1EES18_EEDaS13_S14_EUlS13_E_NS1_11comp_targetILNS1_3genE8ELNS1_11target_archE1030ELNS1_3gpuE2ELNS1_3repE0EEENS1_30default_config_static_selectorELNS0_4arch9wavefront6targetE0EEEvT1_.kd
    .uniform_work_group_size: 1
    .uses_dynamic_stack: false
    .vgpr_count:     0
    .vgpr_spill_count: 0
    .wavefront_size: 32
    .workgroup_processor_mode: 1
  - .args:
      - .offset:         0
        .size:           112
        .value_kind:     by_value
    .group_segment_fixed_size: 0
    .kernarg_segment_align: 8
    .kernarg_segment_size: 112
    .language:       OpenCL C
    .language_version:
      - 2
      - 0
    .max_flat_workgroup_size: 128
    .name:           _ZN7rocprim17ROCPRIM_400000_NS6detail17trampoline_kernelINS0_14default_configENS1_25partition_config_selectorILNS1_17partition_subalgoE9ExxbEEZZNS1_14partition_implILS5_9ELb0ES3_jN6thrust23THRUST_200600_302600_NS6detail15normal_iteratorINS9_10device_ptrIxEEEESE_PNS0_10empty_typeENS0_5tupleIJSE_SF_EEENSH_IJSE_SG_EEENS0_18inequality_wrapperI22is_equal_div_10_uniqueIxEEEPmJSF_EEE10hipError_tPvRmT3_T4_T5_T6_T7_T9_mT8_P12ihipStream_tbDpT10_ENKUlT_T0_E_clISt17integral_constantIbLb1EES17_IbLb0EEEEDaS13_S14_EUlS13_E_NS1_11comp_targetILNS1_3genE0ELNS1_11target_archE4294967295ELNS1_3gpuE0ELNS1_3repE0EEENS1_30default_config_static_selectorELNS0_4arch9wavefront6targetE0EEEvT1_
    .private_segment_fixed_size: 0
    .sgpr_count:     0
    .sgpr_spill_count: 0
    .symbol:         _ZN7rocprim17ROCPRIM_400000_NS6detail17trampoline_kernelINS0_14default_configENS1_25partition_config_selectorILNS1_17partition_subalgoE9ExxbEEZZNS1_14partition_implILS5_9ELb0ES3_jN6thrust23THRUST_200600_302600_NS6detail15normal_iteratorINS9_10device_ptrIxEEEESE_PNS0_10empty_typeENS0_5tupleIJSE_SF_EEENSH_IJSE_SG_EEENS0_18inequality_wrapperI22is_equal_div_10_uniqueIxEEEPmJSF_EEE10hipError_tPvRmT3_T4_T5_T6_T7_T9_mT8_P12ihipStream_tbDpT10_ENKUlT_T0_E_clISt17integral_constantIbLb1EES17_IbLb0EEEEDaS13_S14_EUlS13_E_NS1_11comp_targetILNS1_3genE0ELNS1_11target_archE4294967295ELNS1_3gpuE0ELNS1_3repE0EEENS1_30default_config_static_selectorELNS0_4arch9wavefront6targetE0EEEvT1_.kd
    .uniform_work_group_size: 1
    .uses_dynamic_stack: false
    .vgpr_count:     0
    .vgpr_spill_count: 0
    .wavefront_size: 32
    .workgroup_processor_mode: 1
  - .args:
      - .offset:         0
        .size:           112
        .value_kind:     by_value
    .group_segment_fixed_size: 0
    .kernarg_segment_align: 8
    .kernarg_segment_size: 112
    .language:       OpenCL C
    .language_version:
      - 2
      - 0
    .max_flat_workgroup_size: 512
    .name:           _ZN7rocprim17ROCPRIM_400000_NS6detail17trampoline_kernelINS0_14default_configENS1_25partition_config_selectorILNS1_17partition_subalgoE9ExxbEEZZNS1_14partition_implILS5_9ELb0ES3_jN6thrust23THRUST_200600_302600_NS6detail15normal_iteratorINS9_10device_ptrIxEEEESE_PNS0_10empty_typeENS0_5tupleIJSE_SF_EEENSH_IJSE_SG_EEENS0_18inequality_wrapperI22is_equal_div_10_uniqueIxEEEPmJSF_EEE10hipError_tPvRmT3_T4_T5_T6_T7_T9_mT8_P12ihipStream_tbDpT10_ENKUlT_T0_E_clISt17integral_constantIbLb1EES17_IbLb0EEEEDaS13_S14_EUlS13_E_NS1_11comp_targetILNS1_3genE5ELNS1_11target_archE942ELNS1_3gpuE9ELNS1_3repE0EEENS1_30default_config_static_selectorELNS0_4arch9wavefront6targetE0EEEvT1_
    .private_segment_fixed_size: 0
    .sgpr_count:     0
    .sgpr_spill_count: 0
    .symbol:         _ZN7rocprim17ROCPRIM_400000_NS6detail17trampoline_kernelINS0_14default_configENS1_25partition_config_selectorILNS1_17partition_subalgoE9ExxbEEZZNS1_14partition_implILS5_9ELb0ES3_jN6thrust23THRUST_200600_302600_NS6detail15normal_iteratorINS9_10device_ptrIxEEEESE_PNS0_10empty_typeENS0_5tupleIJSE_SF_EEENSH_IJSE_SG_EEENS0_18inequality_wrapperI22is_equal_div_10_uniqueIxEEEPmJSF_EEE10hipError_tPvRmT3_T4_T5_T6_T7_T9_mT8_P12ihipStream_tbDpT10_ENKUlT_T0_E_clISt17integral_constantIbLb1EES17_IbLb0EEEEDaS13_S14_EUlS13_E_NS1_11comp_targetILNS1_3genE5ELNS1_11target_archE942ELNS1_3gpuE9ELNS1_3repE0EEENS1_30default_config_static_selectorELNS0_4arch9wavefront6targetE0EEEvT1_.kd
    .uniform_work_group_size: 1
    .uses_dynamic_stack: false
    .vgpr_count:     0
    .vgpr_spill_count: 0
    .wavefront_size: 32
    .workgroup_processor_mode: 1
  - .args:
      - .offset:         0
        .size:           112
        .value_kind:     by_value
    .group_segment_fixed_size: 0
    .kernarg_segment_align: 8
    .kernarg_segment_size: 112
    .language:       OpenCL C
    .language_version:
      - 2
      - 0
    .max_flat_workgroup_size: 128
    .name:           _ZN7rocprim17ROCPRIM_400000_NS6detail17trampoline_kernelINS0_14default_configENS1_25partition_config_selectorILNS1_17partition_subalgoE9ExxbEEZZNS1_14partition_implILS5_9ELb0ES3_jN6thrust23THRUST_200600_302600_NS6detail15normal_iteratorINS9_10device_ptrIxEEEESE_PNS0_10empty_typeENS0_5tupleIJSE_SF_EEENSH_IJSE_SG_EEENS0_18inequality_wrapperI22is_equal_div_10_uniqueIxEEEPmJSF_EEE10hipError_tPvRmT3_T4_T5_T6_T7_T9_mT8_P12ihipStream_tbDpT10_ENKUlT_T0_E_clISt17integral_constantIbLb1EES17_IbLb0EEEEDaS13_S14_EUlS13_E_NS1_11comp_targetILNS1_3genE4ELNS1_11target_archE910ELNS1_3gpuE8ELNS1_3repE0EEENS1_30default_config_static_selectorELNS0_4arch9wavefront6targetE0EEEvT1_
    .private_segment_fixed_size: 0
    .sgpr_count:     0
    .sgpr_spill_count: 0
    .symbol:         _ZN7rocprim17ROCPRIM_400000_NS6detail17trampoline_kernelINS0_14default_configENS1_25partition_config_selectorILNS1_17partition_subalgoE9ExxbEEZZNS1_14partition_implILS5_9ELb0ES3_jN6thrust23THRUST_200600_302600_NS6detail15normal_iteratorINS9_10device_ptrIxEEEESE_PNS0_10empty_typeENS0_5tupleIJSE_SF_EEENSH_IJSE_SG_EEENS0_18inequality_wrapperI22is_equal_div_10_uniqueIxEEEPmJSF_EEE10hipError_tPvRmT3_T4_T5_T6_T7_T9_mT8_P12ihipStream_tbDpT10_ENKUlT_T0_E_clISt17integral_constantIbLb1EES17_IbLb0EEEEDaS13_S14_EUlS13_E_NS1_11comp_targetILNS1_3genE4ELNS1_11target_archE910ELNS1_3gpuE8ELNS1_3repE0EEENS1_30default_config_static_selectorELNS0_4arch9wavefront6targetE0EEEvT1_.kd
    .uniform_work_group_size: 1
    .uses_dynamic_stack: false
    .vgpr_count:     0
    .vgpr_spill_count: 0
    .wavefront_size: 32
    .workgroup_processor_mode: 1
  - .args:
      - .offset:         0
        .size:           112
        .value_kind:     by_value
    .group_segment_fixed_size: 0
    .kernarg_segment_align: 8
    .kernarg_segment_size: 112
    .language:       OpenCL C
    .language_version:
      - 2
      - 0
    .max_flat_workgroup_size: 128
    .name:           _ZN7rocprim17ROCPRIM_400000_NS6detail17trampoline_kernelINS0_14default_configENS1_25partition_config_selectorILNS1_17partition_subalgoE9ExxbEEZZNS1_14partition_implILS5_9ELb0ES3_jN6thrust23THRUST_200600_302600_NS6detail15normal_iteratorINS9_10device_ptrIxEEEESE_PNS0_10empty_typeENS0_5tupleIJSE_SF_EEENSH_IJSE_SG_EEENS0_18inequality_wrapperI22is_equal_div_10_uniqueIxEEEPmJSF_EEE10hipError_tPvRmT3_T4_T5_T6_T7_T9_mT8_P12ihipStream_tbDpT10_ENKUlT_T0_E_clISt17integral_constantIbLb1EES17_IbLb0EEEEDaS13_S14_EUlS13_E_NS1_11comp_targetILNS1_3genE3ELNS1_11target_archE908ELNS1_3gpuE7ELNS1_3repE0EEENS1_30default_config_static_selectorELNS0_4arch9wavefront6targetE0EEEvT1_
    .private_segment_fixed_size: 0
    .sgpr_count:     0
    .sgpr_spill_count: 0
    .symbol:         _ZN7rocprim17ROCPRIM_400000_NS6detail17trampoline_kernelINS0_14default_configENS1_25partition_config_selectorILNS1_17partition_subalgoE9ExxbEEZZNS1_14partition_implILS5_9ELb0ES3_jN6thrust23THRUST_200600_302600_NS6detail15normal_iteratorINS9_10device_ptrIxEEEESE_PNS0_10empty_typeENS0_5tupleIJSE_SF_EEENSH_IJSE_SG_EEENS0_18inequality_wrapperI22is_equal_div_10_uniqueIxEEEPmJSF_EEE10hipError_tPvRmT3_T4_T5_T6_T7_T9_mT8_P12ihipStream_tbDpT10_ENKUlT_T0_E_clISt17integral_constantIbLb1EES17_IbLb0EEEEDaS13_S14_EUlS13_E_NS1_11comp_targetILNS1_3genE3ELNS1_11target_archE908ELNS1_3gpuE7ELNS1_3repE0EEENS1_30default_config_static_selectorELNS0_4arch9wavefront6targetE0EEEvT1_.kd
    .uniform_work_group_size: 1
    .uses_dynamic_stack: false
    .vgpr_count:     0
    .vgpr_spill_count: 0
    .wavefront_size: 32
    .workgroup_processor_mode: 1
  - .args:
      - .offset:         0
        .size:           112
        .value_kind:     by_value
    .group_segment_fixed_size: 0
    .kernarg_segment_align: 8
    .kernarg_segment_size: 112
    .language:       OpenCL C
    .language_version:
      - 2
      - 0
    .max_flat_workgroup_size: 192
    .name:           _ZN7rocprim17ROCPRIM_400000_NS6detail17trampoline_kernelINS0_14default_configENS1_25partition_config_selectorILNS1_17partition_subalgoE9ExxbEEZZNS1_14partition_implILS5_9ELb0ES3_jN6thrust23THRUST_200600_302600_NS6detail15normal_iteratorINS9_10device_ptrIxEEEESE_PNS0_10empty_typeENS0_5tupleIJSE_SF_EEENSH_IJSE_SG_EEENS0_18inequality_wrapperI22is_equal_div_10_uniqueIxEEEPmJSF_EEE10hipError_tPvRmT3_T4_T5_T6_T7_T9_mT8_P12ihipStream_tbDpT10_ENKUlT_T0_E_clISt17integral_constantIbLb1EES17_IbLb0EEEEDaS13_S14_EUlS13_E_NS1_11comp_targetILNS1_3genE2ELNS1_11target_archE906ELNS1_3gpuE6ELNS1_3repE0EEENS1_30default_config_static_selectorELNS0_4arch9wavefront6targetE0EEEvT1_
    .private_segment_fixed_size: 0
    .sgpr_count:     0
    .sgpr_spill_count: 0
    .symbol:         _ZN7rocprim17ROCPRIM_400000_NS6detail17trampoline_kernelINS0_14default_configENS1_25partition_config_selectorILNS1_17partition_subalgoE9ExxbEEZZNS1_14partition_implILS5_9ELb0ES3_jN6thrust23THRUST_200600_302600_NS6detail15normal_iteratorINS9_10device_ptrIxEEEESE_PNS0_10empty_typeENS0_5tupleIJSE_SF_EEENSH_IJSE_SG_EEENS0_18inequality_wrapperI22is_equal_div_10_uniqueIxEEEPmJSF_EEE10hipError_tPvRmT3_T4_T5_T6_T7_T9_mT8_P12ihipStream_tbDpT10_ENKUlT_T0_E_clISt17integral_constantIbLb1EES17_IbLb0EEEEDaS13_S14_EUlS13_E_NS1_11comp_targetILNS1_3genE2ELNS1_11target_archE906ELNS1_3gpuE6ELNS1_3repE0EEENS1_30default_config_static_selectorELNS0_4arch9wavefront6targetE0EEEvT1_.kd
    .uniform_work_group_size: 1
    .uses_dynamic_stack: false
    .vgpr_count:     0
    .vgpr_spill_count: 0
    .wavefront_size: 32
    .workgroup_processor_mode: 1
  - .args:
      - .offset:         0
        .size:           112
        .value_kind:     by_value
    .group_segment_fixed_size: 0
    .kernarg_segment_align: 8
    .kernarg_segment_size: 112
    .language:       OpenCL C
    .language_version:
      - 2
      - 0
    .max_flat_workgroup_size: 384
    .name:           _ZN7rocprim17ROCPRIM_400000_NS6detail17trampoline_kernelINS0_14default_configENS1_25partition_config_selectorILNS1_17partition_subalgoE9ExxbEEZZNS1_14partition_implILS5_9ELb0ES3_jN6thrust23THRUST_200600_302600_NS6detail15normal_iteratorINS9_10device_ptrIxEEEESE_PNS0_10empty_typeENS0_5tupleIJSE_SF_EEENSH_IJSE_SG_EEENS0_18inequality_wrapperI22is_equal_div_10_uniqueIxEEEPmJSF_EEE10hipError_tPvRmT3_T4_T5_T6_T7_T9_mT8_P12ihipStream_tbDpT10_ENKUlT_T0_E_clISt17integral_constantIbLb1EES17_IbLb0EEEEDaS13_S14_EUlS13_E_NS1_11comp_targetILNS1_3genE10ELNS1_11target_archE1200ELNS1_3gpuE4ELNS1_3repE0EEENS1_30default_config_static_selectorELNS0_4arch9wavefront6targetE0EEEvT1_
    .private_segment_fixed_size: 0
    .sgpr_count:     0
    .sgpr_spill_count: 0
    .symbol:         _ZN7rocprim17ROCPRIM_400000_NS6detail17trampoline_kernelINS0_14default_configENS1_25partition_config_selectorILNS1_17partition_subalgoE9ExxbEEZZNS1_14partition_implILS5_9ELb0ES3_jN6thrust23THRUST_200600_302600_NS6detail15normal_iteratorINS9_10device_ptrIxEEEESE_PNS0_10empty_typeENS0_5tupleIJSE_SF_EEENSH_IJSE_SG_EEENS0_18inequality_wrapperI22is_equal_div_10_uniqueIxEEEPmJSF_EEE10hipError_tPvRmT3_T4_T5_T6_T7_T9_mT8_P12ihipStream_tbDpT10_ENKUlT_T0_E_clISt17integral_constantIbLb1EES17_IbLb0EEEEDaS13_S14_EUlS13_E_NS1_11comp_targetILNS1_3genE10ELNS1_11target_archE1200ELNS1_3gpuE4ELNS1_3repE0EEENS1_30default_config_static_selectorELNS0_4arch9wavefront6targetE0EEEvT1_.kd
    .uniform_work_group_size: 1
    .uses_dynamic_stack: false
    .vgpr_count:     0
    .vgpr_spill_count: 0
    .wavefront_size: 32
    .workgroup_processor_mode: 1
  - .args:
      - .offset:         0
        .size:           112
        .value_kind:     by_value
    .group_segment_fixed_size: 33800
    .kernarg_segment_align: 8
    .kernarg_segment_size: 112
    .language:       OpenCL C
    .language_version:
      - 2
      - 0
    .max_flat_workgroup_size: 512
    .name:           _ZN7rocprim17ROCPRIM_400000_NS6detail17trampoline_kernelINS0_14default_configENS1_25partition_config_selectorILNS1_17partition_subalgoE9ExxbEEZZNS1_14partition_implILS5_9ELb0ES3_jN6thrust23THRUST_200600_302600_NS6detail15normal_iteratorINS9_10device_ptrIxEEEESE_PNS0_10empty_typeENS0_5tupleIJSE_SF_EEENSH_IJSE_SG_EEENS0_18inequality_wrapperI22is_equal_div_10_uniqueIxEEEPmJSF_EEE10hipError_tPvRmT3_T4_T5_T6_T7_T9_mT8_P12ihipStream_tbDpT10_ENKUlT_T0_E_clISt17integral_constantIbLb1EES17_IbLb0EEEEDaS13_S14_EUlS13_E_NS1_11comp_targetILNS1_3genE9ELNS1_11target_archE1100ELNS1_3gpuE3ELNS1_3repE0EEENS1_30default_config_static_selectorELNS0_4arch9wavefront6targetE0EEEvT1_
    .private_segment_fixed_size: 0
    .sgpr_count:     27
    .sgpr_spill_count: 0
    .symbol:         _ZN7rocprim17ROCPRIM_400000_NS6detail17trampoline_kernelINS0_14default_configENS1_25partition_config_selectorILNS1_17partition_subalgoE9ExxbEEZZNS1_14partition_implILS5_9ELb0ES3_jN6thrust23THRUST_200600_302600_NS6detail15normal_iteratorINS9_10device_ptrIxEEEESE_PNS0_10empty_typeENS0_5tupleIJSE_SF_EEENSH_IJSE_SG_EEENS0_18inequality_wrapperI22is_equal_div_10_uniqueIxEEEPmJSF_EEE10hipError_tPvRmT3_T4_T5_T6_T7_T9_mT8_P12ihipStream_tbDpT10_ENKUlT_T0_E_clISt17integral_constantIbLb1EES17_IbLb0EEEEDaS13_S14_EUlS13_E_NS1_11comp_targetILNS1_3genE9ELNS1_11target_archE1100ELNS1_3gpuE3ELNS1_3repE0EEENS1_30default_config_static_selectorELNS0_4arch9wavefront6targetE0EEEvT1_.kd
    .uniform_work_group_size: 1
    .uses_dynamic_stack: false
    .vgpr_count:     68
    .vgpr_spill_count: 0
    .wavefront_size: 32
    .workgroup_processor_mode: 1
  - .args:
      - .offset:         0
        .size:           112
        .value_kind:     by_value
    .group_segment_fixed_size: 0
    .kernarg_segment_align: 8
    .kernarg_segment_size: 112
    .language:       OpenCL C
    .language_version:
      - 2
      - 0
    .max_flat_workgroup_size: 512
    .name:           _ZN7rocprim17ROCPRIM_400000_NS6detail17trampoline_kernelINS0_14default_configENS1_25partition_config_selectorILNS1_17partition_subalgoE9ExxbEEZZNS1_14partition_implILS5_9ELb0ES3_jN6thrust23THRUST_200600_302600_NS6detail15normal_iteratorINS9_10device_ptrIxEEEESE_PNS0_10empty_typeENS0_5tupleIJSE_SF_EEENSH_IJSE_SG_EEENS0_18inequality_wrapperI22is_equal_div_10_uniqueIxEEEPmJSF_EEE10hipError_tPvRmT3_T4_T5_T6_T7_T9_mT8_P12ihipStream_tbDpT10_ENKUlT_T0_E_clISt17integral_constantIbLb1EES17_IbLb0EEEEDaS13_S14_EUlS13_E_NS1_11comp_targetILNS1_3genE8ELNS1_11target_archE1030ELNS1_3gpuE2ELNS1_3repE0EEENS1_30default_config_static_selectorELNS0_4arch9wavefront6targetE0EEEvT1_
    .private_segment_fixed_size: 0
    .sgpr_count:     0
    .sgpr_spill_count: 0
    .symbol:         _ZN7rocprim17ROCPRIM_400000_NS6detail17trampoline_kernelINS0_14default_configENS1_25partition_config_selectorILNS1_17partition_subalgoE9ExxbEEZZNS1_14partition_implILS5_9ELb0ES3_jN6thrust23THRUST_200600_302600_NS6detail15normal_iteratorINS9_10device_ptrIxEEEESE_PNS0_10empty_typeENS0_5tupleIJSE_SF_EEENSH_IJSE_SG_EEENS0_18inequality_wrapperI22is_equal_div_10_uniqueIxEEEPmJSF_EEE10hipError_tPvRmT3_T4_T5_T6_T7_T9_mT8_P12ihipStream_tbDpT10_ENKUlT_T0_E_clISt17integral_constantIbLb1EES17_IbLb0EEEEDaS13_S14_EUlS13_E_NS1_11comp_targetILNS1_3genE8ELNS1_11target_archE1030ELNS1_3gpuE2ELNS1_3repE0EEENS1_30default_config_static_selectorELNS0_4arch9wavefront6targetE0EEEvT1_.kd
    .uniform_work_group_size: 1
    .uses_dynamic_stack: false
    .vgpr_count:     0
    .vgpr_spill_count: 0
    .wavefront_size: 32
    .workgroup_processor_mode: 1
  - .args:
      - .offset:         0
        .size:           128
        .value_kind:     by_value
    .group_segment_fixed_size: 0
    .kernarg_segment_align: 8
    .kernarg_segment_size: 128
    .language:       OpenCL C
    .language_version:
      - 2
      - 0
    .max_flat_workgroup_size: 128
    .name:           _ZN7rocprim17ROCPRIM_400000_NS6detail17trampoline_kernelINS0_14default_configENS1_25partition_config_selectorILNS1_17partition_subalgoE9ExxbEEZZNS1_14partition_implILS5_9ELb0ES3_jN6thrust23THRUST_200600_302600_NS6detail15normal_iteratorINS9_10device_ptrIxEEEESE_PNS0_10empty_typeENS0_5tupleIJSE_SF_EEENSH_IJSE_SG_EEENS0_18inequality_wrapperI22is_equal_div_10_uniqueIxEEEPmJSF_EEE10hipError_tPvRmT3_T4_T5_T6_T7_T9_mT8_P12ihipStream_tbDpT10_ENKUlT_T0_E_clISt17integral_constantIbLb0EES17_IbLb1EEEEDaS13_S14_EUlS13_E_NS1_11comp_targetILNS1_3genE0ELNS1_11target_archE4294967295ELNS1_3gpuE0ELNS1_3repE0EEENS1_30default_config_static_selectorELNS0_4arch9wavefront6targetE0EEEvT1_
    .private_segment_fixed_size: 0
    .sgpr_count:     0
    .sgpr_spill_count: 0
    .symbol:         _ZN7rocprim17ROCPRIM_400000_NS6detail17trampoline_kernelINS0_14default_configENS1_25partition_config_selectorILNS1_17partition_subalgoE9ExxbEEZZNS1_14partition_implILS5_9ELb0ES3_jN6thrust23THRUST_200600_302600_NS6detail15normal_iteratorINS9_10device_ptrIxEEEESE_PNS0_10empty_typeENS0_5tupleIJSE_SF_EEENSH_IJSE_SG_EEENS0_18inequality_wrapperI22is_equal_div_10_uniqueIxEEEPmJSF_EEE10hipError_tPvRmT3_T4_T5_T6_T7_T9_mT8_P12ihipStream_tbDpT10_ENKUlT_T0_E_clISt17integral_constantIbLb0EES17_IbLb1EEEEDaS13_S14_EUlS13_E_NS1_11comp_targetILNS1_3genE0ELNS1_11target_archE4294967295ELNS1_3gpuE0ELNS1_3repE0EEENS1_30default_config_static_selectorELNS0_4arch9wavefront6targetE0EEEvT1_.kd
    .uniform_work_group_size: 1
    .uses_dynamic_stack: false
    .vgpr_count:     0
    .vgpr_spill_count: 0
    .wavefront_size: 32
    .workgroup_processor_mode: 1
  - .args:
      - .offset:         0
        .size:           128
        .value_kind:     by_value
    .group_segment_fixed_size: 0
    .kernarg_segment_align: 8
    .kernarg_segment_size: 128
    .language:       OpenCL C
    .language_version:
      - 2
      - 0
    .max_flat_workgroup_size: 512
    .name:           _ZN7rocprim17ROCPRIM_400000_NS6detail17trampoline_kernelINS0_14default_configENS1_25partition_config_selectorILNS1_17partition_subalgoE9ExxbEEZZNS1_14partition_implILS5_9ELb0ES3_jN6thrust23THRUST_200600_302600_NS6detail15normal_iteratorINS9_10device_ptrIxEEEESE_PNS0_10empty_typeENS0_5tupleIJSE_SF_EEENSH_IJSE_SG_EEENS0_18inequality_wrapperI22is_equal_div_10_uniqueIxEEEPmJSF_EEE10hipError_tPvRmT3_T4_T5_T6_T7_T9_mT8_P12ihipStream_tbDpT10_ENKUlT_T0_E_clISt17integral_constantIbLb0EES17_IbLb1EEEEDaS13_S14_EUlS13_E_NS1_11comp_targetILNS1_3genE5ELNS1_11target_archE942ELNS1_3gpuE9ELNS1_3repE0EEENS1_30default_config_static_selectorELNS0_4arch9wavefront6targetE0EEEvT1_
    .private_segment_fixed_size: 0
    .sgpr_count:     0
    .sgpr_spill_count: 0
    .symbol:         _ZN7rocprim17ROCPRIM_400000_NS6detail17trampoline_kernelINS0_14default_configENS1_25partition_config_selectorILNS1_17partition_subalgoE9ExxbEEZZNS1_14partition_implILS5_9ELb0ES3_jN6thrust23THRUST_200600_302600_NS6detail15normal_iteratorINS9_10device_ptrIxEEEESE_PNS0_10empty_typeENS0_5tupleIJSE_SF_EEENSH_IJSE_SG_EEENS0_18inequality_wrapperI22is_equal_div_10_uniqueIxEEEPmJSF_EEE10hipError_tPvRmT3_T4_T5_T6_T7_T9_mT8_P12ihipStream_tbDpT10_ENKUlT_T0_E_clISt17integral_constantIbLb0EES17_IbLb1EEEEDaS13_S14_EUlS13_E_NS1_11comp_targetILNS1_3genE5ELNS1_11target_archE942ELNS1_3gpuE9ELNS1_3repE0EEENS1_30default_config_static_selectorELNS0_4arch9wavefront6targetE0EEEvT1_.kd
    .uniform_work_group_size: 1
    .uses_dynamic_stack: false
    .vgpr_count:     0
    .vgpr_spill_count: 0
    .wavefront_size: 32
    .workgroup_processor_mode: 1
  - .args:
      - .offset:         0
        .size:           128
        .value_kind:     by_value
    .group_segment_fixed_size: 0
    .kernarg_segment_align: 8
    .kernarg_segment_size: 128
    .language:       OpenCL C
    .language_version:
      - 2
      - 0
    .max_flat_workgroup_size: 128
    .name:           _ZN7rocprim17ROCPRIM_400000_NS6detail17trampoline_kernelINS0_14default_configENS1_25partition_config_selectorILNS1_17partition_subalgoE9ExxbEEZZNS1_14partition_implILS5_9ELb0ES3_jN6thrust23THRUST_200600_302600_NS6detail15normal_iteratorINS9_10device_ptrIxEEEESE_PNS0_10empty_typeENS0_5tupleIJSE_SF_EEENSH_IJSE_SG_EEENS0_18inequality_wrapperI22is_equal_div_10_uniqueIxEEEPmJSF_EEE10hipError_tPvRmT3_T4_T5_T6_T7_T9_mT8_P12ihipStream_tbDpT10_ENKUlT_T0_E_clISt17integral_constantIbLb0EES17_IbLb1EEEEDaS13_S14_EUlS13_E_NS1_11comp_targetILNS1_3genE4ELNS1_11target_archE910ELNS1_3gpuE8ELNS1_3repE0EEENS1_30default_config_static_selectorELNS0_4arch9wavefront6targetE0EEEvT1_
    .private_segment_fixed_size: 0
    .sgpr_count:     0
    .sgpr_spill_count: 0
    .symbol:         _ZN7rocprim17ROCPRIM_400000_NS6detail17trampoline_kernelINS0_14default_configENS1_25partition_config_selectorILNS1_17partition_subalgoE9ExxbEEZZNS1_14partition_implILS5_9ELb0ES3_jN6thrust23THRUST_200600_302600_NS6detail15normal_iteratorINS9_10device_ptrIxEEEESE_PNS0_10empty_typeENS0_5tupleIJSE_SF_EEENSH_IJSE_SG_EEENS0_18inequality_wrapperI22is_equal_div_10_uniqueIxEEEPmJSF_EEE10hipError_tPvRmT3_T4_T5_T6_T7_T9_mT8_P12ihipStream_tbDpT10_ENKUlT_T0_E_clISt17integral_constantIbLb0EES17_IbLb1EEEEDaS13_S14_EUlS13_E_NS1_11comp_targetILNS1_3genE4ELNS1_11target_archE910ELNS1_3gpuE8ELNS1_3repE0EEENS1_30default_config_static_selectorELNS0_4arch9wavefront6targetE0EEEvT1_.kd
    .uniform_work_group_size: 1
    .uses_dynamic_stack: false
    .vgpr_count:     0
    .vgpr_spill_count: 0
    .wavefront_size: 32
    .workgroup_processor_mode: 1
  - .args:
      - .offset:         0
        .size:           128
        .value_kind:     by_value
    .group_segment_fixed_size: 0
    .kernarg_segment_align: 8
    .kernarg_segment_size: 128
    .language:       OpenCL C
    .language_version:
      - 2
      - 0
    .max_flat_workgroup_size: 128
    .name:           _ZN7rocprim17ROCPRIM_400000_NS6detail17trampoline_kernelINS0_14default_configENS1_25partition_config_selectorILNS1_17partition_subalgoE9ExxbEEZZNS1_14partition_implILS5_9ELb0ES3_jN6thrust23THRUST_200600_302600_NS6detail15normal_iteratorINS9_10device_ptrIxEEEESE_PNS0_10empty_typeENS0_5tupleIJSE_SF_EEENSH_IJSE_SG_EEENS0_18inequality_wrapperI22is_equal_div_10_uniqueIxEEEPmJSF_EEE10hipError_tPvRmT3_T4_T5_T6_T7_T9_mT8_P12ihipStream_tbDpT10_ENKUlT_T0_E_clISt17integral_constantIbLb0EES17_IbLb1EEEEDaS13_S14_EUlS13_E_NS1_11comp_targetILNS1_3genE3ELNS1_11target_archE908ELNS1_3gpuE7ELNS1_3repE0EEENS1_30default_config_static_selectorELNS0_4arch9wavefront6targetE0EEEvT1_
    .private_segment_fixed_size: 0
    .sgpr_count:     0
    .sgpr_spill_count: 0
    .symbol:         _ZN7rocprim17ROCPRIM_400000_NS6detail17trampoline_kernelINS0_14default_configENS1_25partition_config_selectorILNS1_17partition_subalgoE9ExxbEEZZNS1_14partition_implILS5_9ELb0ES3_jN6thrust23THRUST_200600_302600_NS6detail15normal_iteratorINS9_10device_ptrIxEEEESE_PNS0_10empty_typeENS0_5tupleIJSE_SF_EEENSH_IJSE_SG_EEENS0_18inequality_wrapperI22is_equal_div_10_uniqueIxEEEPmJSF_EEE10hipError_tPvRmT3_T4_T5_T6_T7_T9_mT8_P12ihipStream_tbDpT10_ENKUlT_T0_E_clISt17integral_constantIbLb0EES17_IbLb1EEEEDaS13_S14_EUlS13_E_NS1_11comp_targetILNS1_3genE3ELNS1_11target_archE908ELNS1_3gpuE7ELNS1_3repE0EEENS1_30default_config_static_selectorELNS0_4arch9wavefront6targetE0EEEvT1_.kd
    .uniform_work_group_size: 1
    .uses_dynamic_stack: false
    .vgpr_count:     0
    .vgpr_spill_count: 0
    .wavefront_size: 32
    .workgroup_processor_mode: 1
  - .args:
      - .offset:         0
        .size:           128
        .value_kind:     by_value
    .group_segment_fixed_size: 0
    .kernarg_segment_align: 8
    .kernarg_segment_size: 128
    .language:       OpenCL C
    .language_version:
      - 2
      - 0
    .max_flat_workgroup_size: 192
    .name:           _ZN7rocprim17ROCPRIM_400000_NS6detail17trampoline_kernelINS0_14default_configENS1_25partition_config_selectorILNS1_17partition_subalgoE9ExxbEEZZNS1_14partition_implILS5_9ELb0ES3_jN6thrust23THRUST_200600_302600_NS6detail15normal_iteratorINS9_10device_ptrIxEEEESE_PNS0_10empty_typeENS0_5tupleIJSE_SF_EEENSH_IJSE_SG_EEENS0_18inequality_wrapperI22is_equal_div_10_uniqueIxEEEPmJSF_EEE10hipError_tPvRmT3_T4_T5_T6_T7_T9_mT8_P12ihipStream_tbDpT10_ENKUlT_T0_E_clISt17integral_constantIbLb0EES17_IbLb1EEEEDaS13_S14_EUlS13_E_NS1_11comp_targetILNS1_3genE2ELNS1_11target_archE906ELNS1_3gpuE6ELNS1_3repE0EEENS1_30default_config_static_selectorELNS0_4arch9wavefront6targetE0EEEvT1_
    .private_segment_fixed_size: 0
    .sgpr_count:     0
    .sgpr_spill_count: 0
    .symbol:         _ZN7rocprim17ROCPRIM_400000_NS6detail17trampoline_kernelINS0_14default_configENS1_25partition_config_selectorILNS1_17partition_subalgoE9ExxbEEZZNS1_14partition_implILS5_9ELb0ES3_jN6thrust23THRUST_200600_302600_NS6detail15normal_iteratorINS9_10device_ptrIxEEEESE_PNS0_10empty_typeENS0_5tupleIJSE_SF_EEENSH_IJSE_SG_EEENS0_18inequality_wrapperI22is_equal_div_10_uniqueIxEEEPmJSF_EEE10hipError_tPvRmT3_T4_T5_T6_T7_T9_mT8_P12ihipStream_tbDpT10_ENKUlT_T0_E_clISt17integral_constantIbLb0EES17_IbLb1EEEEDaS13_S14_EUlS13_E_NS1_11comp_targetILNS1_3genE2ELNS1_11target_archE906ELNS1_3gpuE6ELNS1_3repE0EEENS1_30default_config_static_selectorELNS0_4arch9wavefront6targetE0EEEvT1_.kd
    .uniform_work_group_size: 1
    .uses_dynamic_stack: false
    .vgpr_count:     0
    .vgpr_spill_count: 0
    .wavefront_size: 32
    .workgroup_processor_mode: 1
  - .args:
      - .offset:         0
        .size:           128
        .value_kind:     by_value
    .group_segment_fixed_size: 0
    .kernarg_segment_align: 8
    .kernarg_segment_size: 128
    .language:       OpenCL C
    .language_version:
      - 2
      - 0
    .max_flat_workgroup_size: 384
    .name:           _ZN7rocprim17ROCPRIM_400000_NS6detail17trampoline_kernelINS0_14default_configENS1_25partition_config_selectorILNS1_17partition_subalgoE9ExxbEEZZNS1_14partition_implILS5_9ELb0ES3_jN6thrust23THRUST_200600_302600_NS6detail15normal_iteratorINS9_10device_ptrIxEEEESE_PNS0_10empty_typeENS0_5tupleIJSE_SF_EEENSH_IJSE_SG_EEENS0_18inequality_wrapperI22is_equal_div_10_uniqueIxEEEPmJSF_EEE10hipError_tPvRmT3_T4_T5_T6_T7_T9_mT8_P12ihipStream_tbDpT10_ENKUlT_T0_E_clISt17integral_constantIbLb0EES17_IbLb1EEEEDaS13_S14_EUlS13_E_NS1_11comp_targetILNS1_3genE10ELNS1_11target_archE1200ELNS1_3gpuE4ELNS1_3repE0EEENS1_30default_config_static_selectorELNS0_4arch9wavefront6targetE0EEEvT1_
    .private_segment_fixed_size: 0
    .sgpr_count:     0
    .sgpr_spill_count: 0
    .symbol:         _ZN7rocprim17ROCPRIM_400000_NS6detail17trampoline_kernelINS0_14default_configENS1_25partition_config_selectorILNS1_17partition_subalgoE9ExxbEEZZNS1_14partition_implILS5_9ELb0ES3_jN6thrust23THRUST_200600_302600_NS6detail15normal_iteratorINS9_10device_ptrIxEEEESE_PNS0_10empty_typeENS0_5tupleIJSE_SF_EEENSH_IJSE_SG_EEENS0_18inequality_wrapperI22is_equal_div_10_uniqueIxEEEPmJSF_EEE10hipError_tPvRmT3_T4_T5_T6_T7_T9_mT8_P12ihipStream_tbDpT10_ENKUlT_T0_E_clISt17integral_constantIbLb0EES17_IbLb1EEEEDaS13_S14_EUlS13_E_NS1_11comp_targetILNS1_3genE10ELNS1_11target_archE1200ELNS1_3gpuE4ELNS1_3repE0EEENS1_30default_config_static_selectorELNS0_4arch9wavefront6targetE0EEEvT1_.kd
    .uniform_work_group_size: 1
    .uses_dynamic_stack: false
    .vgpr_count:     0
    .vgpr_spill_count: 0
    .wavefront_size: 32
    .workgroup_processor_mode: 1
  - .args:
      - .offset:         0
        .size:           128
        .value_kind:     by_value
    .group_segment_fixed_size: 33800
    .kernarg_segment_align: 8
    .kernarg_segment_size: 128
    .language:       OpenCL C
    .language_version:
      - 2
      - 0
    .max_flat_workgroup_size: 512
    .name:           _ZN7rocprim17ROCPRIM_400000_NS6detail17trampoline_kernelINS0_14default_configENS1_25partition_config_selectorILNS1_17partition_subalgoE9ExxbEEZZNS1_14partition_implILS5_9ELb0ES3_jN6thrust23THRUST_200600_302600_NS6detail15normal_iteratorINS9_10device_ptrIxEEEESE_PNS0_10empty_typeENS0_5tupleIJSE_SF_EEENSH_IJSE_SG_EEENS0_18inequality_wrapperI22is_equal_div_10_uniqueIxEEEPmJSF_EEE10hipError_tPvRmT3_T4_T5_T6_T7_T9_mT8_P12ihipStream_tbDpT10_ENKUlT_T0_E_clISt17integral_constantIbLb0EES17_IbLb1EEEEDaS13_S14_EUlS13_E_NS1_11comp_targetILNS1_3genE9ELNS1_11target_archE1100ELNS1_3gpuE3ELNS1_3repE0EEENS1_30default_config_static_selectorELNS0_4arch9wavefront6targetE0EEEvT1_
    .private_segment_fixed_size: 0
    .sgpr_count:     31
    .sgpr_spill_count: 0
    .symbol:         _ZN7rocprim17ROCPRIM_400000_NS6detail17trampoline_kernelINS0_14default_configENS1_25partition_config_selectorILNS1_17partition_subalgoE9ExxbEEZZNS1_14partition_implILS5_9ELb0ES3_jN6thrust23THRUST_200600_302600_NS6detail15normal_iteratorINS9_10device_ptrIxEEEESE_PNS0_10empty_typeENS0_5tupleIJSE_SF_EEENSH_IJSE_SG_EEENS0_18inequality_wrapperI22is_equal_div_10_uniqueIxEEEPmJSF_EEE10hipError_tPvRmT3_T4_T5_T6_T7_T9_mT8_P12ihipStream_tbDpT10_ENKUlT_T0_E_clISt17integral_constantIbLb0EES17_IbLb1EEEEDaS13_S14_EUlS13_E_NS1_11comp_targetILNS1_3genE9ELNS1_11target_archE1100ELNS1_3gpuE3ELNS1_3repE0EEENS1_30default_config_static_selectorELNS0_4arch9wavefront6targetE0EEEvT1_.kd
    .uniform_work_group_size: 1
    .uses_dynamic_stack: false
    .vgpr_count:     68
    .vgpr_spill_count: 0
    .wavefront_size: 32
    .workgroup_processor_mode: 1
  - .args:
      - .offset:         0
        .size:           128
        .value_kind:     by_value
    .group_segment_fixed_size: 0
    .kernarg_segment_align: 8
    .kernarg_segment_size: 128
    .language:       OpenCL C
    .language_version:
      - 2
      - 0
    .max_flat_workgroup_size: 512
    .name:           _ZN7rocprim17ROCPRIM_400000_NS6detail17trampoline_kernelINS0_14default_configENS1_25partition_config_selectorILNS1_17partition_subalgoE9ExxbEEZZNS1_14partition_implILS5_9ELb0ES3_jN6thrust23THRUST_200600_302600_NS6detail15normal_iteratorINS9_10device_ptrIxEEEESE_PNS0_10empty_typeENS0_5tupleIJSE_SF_EEENSH_IJSE_SG_EEENS0_18inequality_wrapperI22is_equal_div_10_uniqueIxEEEPmJSF_EEE10hipError_tPvRmT3_T4_T5_T6_T7_T9_mT8_P12ihipStream_tbDpT10_ENKUlT_T0_E_clISt17integral_constantIbLb0EES17_IbLb1EEEEDaS13_S14_EUlS13_E_NS1_11comp_targetILNS1_3genE8ELNS1_11target_archE1030ELNS1_3gpuE2ELNS1_3repE0EEENS1_30default_config_static_selectorELNS0_4arch9wavefront6targetE0EEEvT1_
    .private_segment_fixed_size: 0
    .sgpr_count:     0
    .sgpr_spill_count: 0
    .symbol:         _ZN7rocprim17ROCPRIM_400000_NS6detail17trampoline_kernelINS0_14default_configENS1_25partition_config_selectorILNS1_17partition_subalgoE9ExxbEEZZNS1_14partition_implILS5_9ELb0ES3_jN6thrust23THRUST_200600_302600_NS6detail15normal_iteratorINS9_10device_ptrIxEEEESE_PNS0_10empty_typeENS0_5tupleIJSE_SF_EEENSH_IJSE_SG_EEENS0_18inequality_wrapperI22is_equal_div_10_uniqueIxEEEPmJSF_EEE10hipError_tPvRmT3_T4_T5_T6_T7_T9_mT8_P12ihipStream_tbDpT10_ENKUlT_T0_E_clISt17integral_constantIbLb0EES17_IbLb1EEEEDaS13_S14_EUlS13_E_NS1_11comp_targetILNS1_3genE8ELNS1_11target_archE1030ELNS1_3gpuE2ELNS1_3repE0EEENS1_30default_config_static_selectorELNS0_4arch9wavefront6targetE0EEEvT1_.kd
    .uniform_work_group_size: 1
    .uses_dynamic_stack: false
    .vgpr_count:     0
    .vgpr_spill_count: 0
    .wavefront_size: 32
    .workgroup_processor_mode: 1
  - .args:
      - .offset:         0
        .size:           112
        .value_kind:     by_value
    .group_segment_fixed_size: 0
    .kernarg_segment_align: 8
    .kernarg_segment_size: 112
    .language:       OpenCL C
    .language_version:
      - 2
      - 0
    .max_flat_workgroup_size: 256
    .name:           _ZN7rocprim17ROCPRIM_400000_NS6detail17trampoline_kernelINS0_14default_configENS1_25partition_config_selectorILNS1_17partition_subalgoE9EiibEEZZNS1_14partition_implILS5_9ELb0ES3_jN6thrust23THRUST_200600_302600_NS6detail15normal_iteratorINS9_10device_ptrIiEEEESE_PNS0_10empty_typeENS0_5tupleIJSE_SF_EEENSH_IJSE_SG_EEENS0_18inequality_wrapperINS9_8equal_toIiEEEEPmJSF_EEE10hipError_tPvRmT3_T4_T5_T6_T7_T9_mT8_P12ihipStream_tbDpT10_ENKUlT_T0_E_clISt17integral_constantIbLb0EES18_EEDaS13_S14_EUlS13_E_NS1_11comp_targetILNS1_3genE0ELNS1_11target_archE4294967295ELNS1_3gpuE0ELNS1_3repE0EEENS1_30default_config_static_selectorELNS0_4arch9wavefront6targetE0EEEvT1_
    .private_segment_fixed_size: 0
    .sgpr_count:     0
    .sgpr_spill_count: 0
    .symbol:         _ZN7rocprim17ROCPRIM_400000_NS6detail17trampoline_kernelINS0_14default_configENS1_25partition_config_selectorILNS1_17partition_subalgoE9EiibEEZZNS1_14partition_implILS5_9ELb0ES3_jN6thrust23THRUST_200600_302600_NS6detail15normal_iteratorINS9_10device_ptrIiEEEESE_PNS0_10empty_typeENS0_5tupleIJSE_SF_EEENSH_IJSE_SG_EEENS0_18inequality_wrapperINS9_8equal_toIiEEEEPmJSF_EEE10hipError_tPvRmT3_T4_T5_T6_T7_T9_mT8_P12ihipStream_tbDpT10_ENKUlT_T0_E_clISt17integral_constantIbLb0EES18_EEDaS13_S14_EUlS13_E_NS1_11comp_targetILNS1_3genE0ELNS1_11target_archE4294967295ELNS1_3gpuE0ELNS1_3repE0EEENS1_30default_config_static_selectorELNS0_4arch9wavefront6targetE0EEEvT1_.kd
    .uniform_work_group_size: 1
    .uses_dynamic_stack: false
    .vgpr_count:     0
    .vgpr_spill_count: 0
    .wavefront_size: 32
    .workgroup_processor_mode: 1
  - .args:
      - .offset:         0
        .size:           112
        .value_kind:     by_value
    .group_segment_fixed_size: 0
    .kernarg_segment_align: 8
    .kernarg_segment_size: 112
    .language:       OpenCL C
    .language_version:
      - 2
      - 0
    .max_flat_workgroup_size: 512
    .name:           _ZN7rocprim17ROCPRIM_400000_NS6detail17trampoline_kernelINS0_14default_configENS1_25partition_config_selectorILNS1_17partition_subalgoE9EiibEEZZNS1_14partition_implILS5_9ELb0ES3_jN6thrust23THRUST_200600_302600_NS6detail15normal_iteratorINS9_10device_ptrIiEEEESE_PNS0_10empty_typeENS0_5tupleIJSE_SF_EEENSH_IJSE_SG_EEENS0_18inequality_wrapperINS9_8equal_toIiEEEEPmJSF_EEE10hipError_tPvRmT3_T4_T5_T6_T7_T9_mT8_P12ihipStream_tbDpT10_ENKUlT_T0_E_clISt17integral_constantIbLb0EES18_EEDaS13_S14_EUlS13_E_NS1_11comp_targetILNS1_3genE5ELNS1_11target_archE942ELNS1_3gpuE9ELNS1_3repE0EEENS1_30default_config_static_selectorELNS0_4arch9wavefront6targetE0EEEvT1_
    .private_segment_fixed_size: 0
    .sgpr_count:     0
    .sgpr_spill_count: 0
    .symbol:         _ZN7rocprim17ROCPRIM_400000_NS6detail17trampoline_kernelINS0_14default_configENS1_25partition_config_selectorILNS1_17partition_subalgoE9EiibEEZZNS1_14partition_implILS5_9ELb0ES3_jN6thrust23THRUST_200600_302600_NS6detail15normal_iteratorINS9_10device_ptrIiEEEESE_PNS0_10empty_typeENS0_5tupleIJSE_SF_EEENSH_IJSE_SG_EEENS0_18inequality_wrapperINS9_8equal_toIiEEEEPmJSF_EEE10hipError_tPvRmT3_T4_T5_T6_T7_T9_mT8_P12ihipStream_tbDpT10_ENKUlT_T0_E_clISt17integral_constantIbLb0EES18_EEDaS13_S14_EUlS13_E_NS1_11comp_targetILNS1_3genE5ELNS1_11target_archE942ELNS1_3gpuE9ELNS1_3repE0EEENS1_30default_config_static_selectorELNS0_4arch9wavefront6targetE0EEEvT1_.kd
    .uniform_work_group_size: 1
    .uses_dynamic_stack: false
    .vgpr_count:     0
    .vgpr_spill_count: 0
    .wavefront_size: 32
    .workgroup_processor_mode: 1
  - .args:
      - .offset:         0
        .size:           112
        .value_kind:     by_value
    .group_segment_fixed_size: 0
    .kernarg_segment_align: 8
    .kernarg_segment_size: 112
    .language:       OpenCL C
    .language_version:
      - 2
      - 0
    .max_flat_workgroup_size: 192
    .name:           _ZN7rocprim17ROCPRIM_400000_NS6detail17trampoline_kernelINS0_14default_configENS1_25partition_config_selectorILNS1_17partition_subalgoE9EiibEEZZNS1_14partition_implILS5_9ELb0ES3_jN6thrust23THRUST_200600_302600_NS6detail15normal_iteratorINS9_10device_ptrIiEEEESE_PNS0_10empty_typeENS0_5tupleIJSE_SF_EEENSH_IJSE_SG_EEENS0_18inequality_wrapperINS9_8equal_toIiEEEEPmJSF_EEE10hipError_tPvRmT3_T4_T5_T6_T7_T9_mT8_P12ihipStream_tbDpT10_ENKUlT_T0_E_clISt17integral_constantIbLb0EES18_EEDaS13_S14_EUlS13_E_NS1_11comp_targetILNS1_3genE4ELNS1_11target_archE910ELNS1_3gpuE8ELNS1_3repE0EEENS1_30default_config_static_selectorELNS0_4arch9wavefront6targetE0EEEvT1_
    .private_segment_fixed_size: 0
    .sgpr_count:     0
    .sgpr_spill_count: 0
    .symbol:         _ZN7rocprim17ROCPRIM_400000_NS6detail17trampoline_kernelINS0_14default_configENS1_25partition_config_selectorILNS1_17partition_subalgoE9EiibEEZZNS1_14partition_implILS5_9ELb0ES3_jN6thrust23THRUST_200600_302600_NS6detail15normal_iteratorINS9_10device_ptrIiEEEESE_PNS0_10empty_typeENS0_5tupleIJSE_SF_EEENSH_IJSE_SG_EEENS0_18inequality_wrapperINS9_8equal_toIiEEEEPmJSF_EEE10hipError_tPvRmT3_T4_T5_T6_T7_T9_mT8_P12ihipStream_tbDpT10_ENKUlT_T0_E_clISt17integral_constantIbLb0EES18_EEDaS13_S14_EUlS13_E_NS1_11comp_targetILNS1_3genE4ELNS1_11target_archE910ELNS1_3gpuE8ELNS1_3repE0EEENS1_30default_config_static_selectorELNS0_4arch9wavefront6targetE0EEEvT1_.kd
    .uniform_work_group_size: 1
    .uses_dynamic_stack: false
    .vgpr_count:     0
    .vgpr_spill_count: 0
    .wavefront_size: 32
    .workgroup_processor_mode: 1
  - .args:
      - .offset:         0
        .size:           112
        .value_kind:     by_value
    .group_segment_fixed_size: 0
    .kernarg_segment_align: 8
    .kernarg_segment_size: 112
    .language:       OpenCL C
    .language_version:
      - 2
      - 0
    .max_flat_workgroup_size: 256
    .name:           _ZN7rocprim17ROCPRIM_400000_NS6detail17trampoline_kernelINS0_14default_configENS1_25partition_config_selectorILNS1_17partition_subalgoE9EiibEEZZNS1_14partition_implILS5_9ELb0ES3_jN6thrust23THRUST_200600_302600_NS6detail15normal_iteratorINS9_10device_ptrIiEEEESE_PNS0_10empty_typeENS0_5tupleIJSE_SF_EEENSH_IJSE_SG_EEENS0_18inequality_wrapperINS9_8equal_toIiEEEEPmJSF_EEE10hipError_tPvRmT3_T4_T5_T6_T7_T9_mT8_P12ihipStream_tbDpT10_ENKUlT_T0_E_clISt17integral_constantIbLb0EES18_EEDaS13_S14_EUlS13_E_NS1_11comp_targetILNS1_3genE3ELNS1_11target_archE908ELNS1_3gpuE7ELNS1_3repE0EEENS1_30default_config_static_selectorELNS0_4arch9wavefront6targetE0EEEvT1_
    .private_segment_fixed_size: 0
    .sgpr_count:     0
    .sgpr_spill_count: 0
    .symbol:         _ZN7rocprim17ROCPRIM_400000_NS6detail17trampoline_kernelINS0_14default_configENS1_25partition_config_selectorILNS1_17partition_subalgoE9EiibEEZZNS1_14partition_implILS5_9ELb0ES3_jN6thrust23THRUST_200600_302600_NS6detail15normal_iteratorINS9_10device_ptrIiEEEESE_PNS0_10empty_typeENS0_5tupleIJSE_SF_EEENSH_IJSE_SG_EEENS0_18inequality_wrapperINS9_8equal_toIiEEEEPmJSF_EEE10hipError_tPvRmT3_T4_T5_T6_T7_T9_mT8_P12ihipStream_tbDpT10_ENKUlT_T0_E_clISt17integral_constantIbLb0EES18_EEDaS13_S14_EUlS13_E_NS1_11comp_targetILNS1_3genE3ELNS1_11target_archE908ELNS1_3gpuE7ELNS1_3repE0EEENS1_30default_config_static_selectorELNS0_4arch9wavefront6targetE0EEEvT1_.kd
    .uniform_work_group_size: 1
    .uses_dynamic_stack: false
    .vgpr_count:     0
    .vgpr_spill_count: 0
    .wavefront_size: 32
    .workgroup_processor_mode: 1
  - .args:
      - .offset:         0
        .size:           112
        .value_kind:     by_value
    .group_segment_fixed_size: 0
    .kernarg_segment_align: 8
    .kernarg_segment_size: 112
    .language:       OpenCL C
    .language_version:
      - 2
      - 0
    .max_flat_workgroup_size: 256
    .name:           _ZN7rocprim17ROCPRIM_400000_NS6detail17trampoline_kernelINS0_14default_configENS1_25partition_config_selectorILNS1_17partition_subalgoE9EiibEEZZNS1_14partition_implILS5_9ELb0ES3_jN6thrust23THRUST_200600_302600_NS6detail15normal_iteratorINS9_10device_ptrIiEEEESE_PNS0_10empty_typeENS0_5tupleIJSE_SF_EEENSH_IJSE_SG_EEENS0_18inequality_wrapperINS9_8equal_toIiEEEEPmJSF_EEE10hipError_tPvRmT3_T4_T5_T6_T7_T9_mT8_P12ihipStream_tbDpT10_ENKUlT_T0_E_clISt17integral_constantIbLb0EES18_EEDaS13_S14_EUlS13_E_NS1_11comp_targetILNS1_3genE2ELNS1_11target_archE906ELNS1_3gpuE6ELNS1_3repE0EEENS1_30default_config_static_selectorELNS0_4arch9wavefront6targetE0EEEvT1_
    .private_segment_fixed_size: 0
    .sgpr_count:     0
    .sgpr_spill_count: 0
    .symbol:         _ZN7rocprim17ROCPRIM_400000_NS6detail17trampoline_kernelINS0_14default_configENS1_25partition_config_selectorILNS1_17partition_subalgoE9EiibEEZZNS1_14partition_implILS5_9ELb0ES3_jN6thrust23THRUST_200600_302600_NS6detail15normal_iteratorINS9_10device_ptrIiEEEESE_PNS0_10empty_typeENS0_5tupleIJSE_SF_EEENSH_IJSE_SG_EEENS0_18inequality_wrapperINS9_8equal_toIiEEEEPmJSF_EEE10hipError_tPvRmT3_T4_T5_T6_T7_T9_mT8_P12ihipStream_tbDpT10_ENKUlT_T0_E_clISt17integral_constantIbLb0EES18_EEDaS13_S14_EUlS13_E_NS1_11comp_targetILNS1_3genE2ELNS1_11target_archE906ELNS1_3gpuE6ELNS1_3repE0EEENS1_30default_config_static_selectorELNS0_4arch9wavefront6targetE0EEEvT1_.kd
    .uniform_work_group_size: 1
    .uses_dynamic_stack: false
    .vgpr_count:     0
    .vgpr_spill_count: 0
    .wavefront_size: 32
    .workgroup_processor_mode: 1
  - .args:
      - .offset:         0
        .size:           112
        .value_kind:     by_value
    .group_segment_fixed_size: 0
    .kernarg_segment_align: 8
    .kernarg_segment_size: 112
    .language:       OpenCL C
    .language_version:
      - 2
      - 0
    .max_flat_workgroup_size: 384
    .name:           _ZN7rocprim17ROCPRIM_400000_NS6detail17trampoline_kernelINS0_14default_configENS1_25partition_config_selectorILNS1_17partition_subalgoE9EiibEEZZNS1_14partition_implILS5_9ELb0ES3_jN6thrust23THRUST_200600_302600_NS6detail15normal_iteratorINS9_10device_ptrIiEEEESE_PNS0_10empty_typeENS0_5tupleIJSE_SF_EEENSH_IJSE_SG_EEENS0_18inequality_wrapperINS9_8equal_toIiEEEEPmJSF_EEE10hipError_tPvRmT3_T4_T5_T6_T7_T9_mT8_P12ihipStream_tbDpT10_ENKUlT_T0_E_clISt17integral_constantIbLb0EES18_EEDaS13_S14_EUlS13_E_NS1_11comp_targetILNS1_3genE10ELNS1_11target_archE1200ELNS1_3gpuE4ELNS1_3repE0EEENS1_30default_config_static_selectorELNS0_4arch9wavefront6targetE0EEEvT1_
    .private_segment_fixed_size: 0
    .sgpr_count:     0
    .sgpr_spill_count: 0
    .symbol:         _ZN7rocprim17ROCPRIM_400000_NS6detail17trampoline_kernelINS0_14default_configENS1_25partition_config_selectorILNS1_17partition_subalgoE9EiibEEZZNS1_14partition_implILS5_9ELb0ES3_jN6thrust23THRUST_200600_302600_NS6detail15normal_iteratorINS9_10device_ptrIiEEEESE_PNS0_10empty_typeENS0_5tupleIJSE_SF_EEENSH_IJSE_SG_EEENS0_18inequality_wrapperINS9_8equal_toIiEEEEPmJSF_EEE10hipError_tPvRmT3_T4_T5_T6_T7_T9_mT8_P12ihipStream_tbDpT10_ENKUlT_T0_E_clISt17integral_constantIbLb0EES18_EEDaS13_S14_EUlS13_E_NS1_11comp_targetILNS1_3genE10ELNS1_11target_archE1200ELNS1_3gpuE4ELNS1_3repE0EEENS1_30default_config_static_selectorELNS0_4arch9wavefront6targetE0EEEvT1_.kd
    .uniform_work_group_size: 1
    .uses_dynamic_stack: false
    .vgpr_count:     0
    .vgpr_spill_count: 0
    .wavefront_size: 32
    .workgroup_processor_mode: 1
  - .args:
      - .offset:         0
        .size:           112
        .value_kind:     by_value
    .group_segment_fixed_size: 12680
    .kernarg_segment_align: 8
    .kernarg_segment_size: 112
    .language:       OpenCL C
    .language_version:
      - 2
      - 0
    .max_flat_workgroup_size: 384
    .name:           _ZN7rocprim17ROCPRIM_400000_NS6detail17trampoline_kernelINS0_14default_configENS1_25partition_config_selectorILNS1_17partition_subalgoE9EiibEEZZNS1_14partition_implILS5_9ELb0ES3_jN6thrust23THRUST_200600_302600_NS6detail15normal_iteratorINS9_10device_ptrIiEEEESE_PNS0_10empty_typeENS0_5tupleIJSE_SF_EEENSH_IJSE_SG_EEENS0_18inequality_wrapperINS9_8equal_toIiEEEEPmJSF_EEE10hipError_tPvRmT3_T4_T5_T6_T7_T9_mT8_P12ihipStream_tbDpT10_ENKUlT_T0_E_clISt17integral_constantIbLb0EES18_EEDaS13_S14_EUlS13_E_NS1_11comp_targetILNS1_3genE9ELNS1_11target_archE1100ELNS1_3gpuE3ELNS1_3repE0EEENS1_30default_config_static_selectorELNS0_4arch9wavefront6targetE0EEEvT1_
    .private_segment_fixed_size: 0
    .sgpr_count:     27
    .sgpr_spill_count: 0
    .symbol:         _ZN7rocprim17ROCPRIM_400000_NS6detail17trampoline_kernelINS0_14default_configENS1_25partition_config_selectorILNS1_17partition_subalgoE9EiibEEZZNS1_14partition_implILS5_9ELb0ES3_jN6thrust23THRUST_200600_302600_NS6detail15normal_iteratorINS9_10device_ptrIiEEEESE_PNS0_10empty_typeENS0_5tupleIJSE_SF_EEENSH_IJSE_SG_EEENS0_18inequality_wrapperINS9_8equal_toIiEEEEPmJSF_EEE10hipError_tPvRmT3_T4_T5_T6_T7_T9_mT8_P12ihipStream_tbDpT10_ENKUlT_T0_E_clISt17integral_constantIbLb0EES18_EEDaS13_S14_EUlS13_E_NS1_11comp_targetILNS1_3genE9ELNS1_11target_archE1100ELNS1_3gpuE3ELNS1_3repE0EEENS1_30default_config_static_selectorELNS0_4arch9wavefront6targetE0EEEvT1_.kd
    .uniform_work_group_size: 1
    .uses_dynamic_stack: false
    .vgpr_count:     51
    .vgpr_spill_count: 0
    .wavefront_size: 32
    .workgroup_processor_mode: 1
  - .args:
      - .offset:         0
        .size:           112
        .value_kind:     by_value
    .group_segment_fixed_size: 0
    .kernarg_segment_align: 8
    .kernarg_segment_size: 112
    .language:       OpenCL C
    .language_version:
      - 2
      - 0
    .max_flat_workgroup_size: 512
    .name:           _ZN7rocprim17ROCPRIM_400000_NS6detail17trampoline_kernelINS0_14default_configENS1_25partition_config_selectorILNS1_17partition_subalgoE9EiibEEZZNS1_14partition_implILS5_9ELb0ES3_jN6thrust23THRUST_200600_302600_NS6detail15normal_iteratorINS9_10device_ptrIiEEEESE_PNS0_10empty_typeENS0_5tupleIJSE_SF_EEENSH_IJSE_SG_EEENS0_18inequality_wrapperINS9_8equal_toIiEEEEPmJSF_EEE10hipError_tPvRmT3_T4_T5_T6_T7_T9_mT8_P12ihipStream_tbDpT10_ENKUlT_T0_E_clISt17integral_constantIbLb0EES18_EEDaS13_S14_EUlS13_E_NS1_11comp_targetILNS1_3genE8ELNS1_11target_archE1030ELNS1_3gpuE2ELNS1_3repE0EEENS1_30default_config_static_selectorELNS0_4arch9wavefront6targetE0EEEvT1_
    .private_segment_fixed_size: 0
    .sgpr_count:     0
    .sgpr_spill_count: 0
    .symbol:         _ZN7rocprim17ROCPRIM_400000_NS6detail17trampoline_kernelINS0_14default_configENS1_25partition_config_selectorILNS1_17partition_subalgoE9EiibEEZZNS1_14partition_implILS5_9ELb0ES3_jN6thrust23THRUST_200600_302600_NS6detail15normal_iteratorINS9_10device_ptrIiEEEESE_PNS0_10empty_typeENS0_5tupleIJSE_SF_EEENSH_IJSE_SG_EEENS0_18inequality_wrapperINS9_8equal_toIiEEEEPmJSF_EEE10hipError_tPvRmT3_T4_T5_T6_T7_T9_mT8_P12ihipStream_tbDpT10_ENKUlT_T0_E_clISt17integral_constantIbLb0EES18_EEDaS13_S14_EUlS13_E_NS1_11comp_targetILNS1_3genE8ELNS1_11target_archE1030ELNS1_3gpuE2ELNS1_3repE0EEENS1_30default_config_static_selectorELNS0_4arch9wavefront6targetE0EEEvT1_.kd
    .uniform_work_group_size: 1
    .uses_dynamic_stack: false
    .vgpr_count:     0
    .vgpr_spill_count: 0
    .wavefront_size: 32
    .workgroup_processor_mode: 1
  - .args:
      - .offset:         0
        .size:           128
        .value_kind:     by_value
    .group_segment_fixed_size: 0
    .kernarg_segment_align: 8
    .kernarg_segment_size: 128
    .language:       OpenCL C
    .language_version:
      - 2
      - 0
    .max_flat_workgroup_size: 256
    .name:           _ZN7rocprim17ROCPRIM_400000_NS6detail17trampoline_kernelINS0_14default_configENS1_25partition_config_selectorILNS1_17partition_subalgoE9EiibEEZZNS1_14partition_implILS5_9ELb0ES3_jN6thrust23THRUST_200600_302600_NS6detail15normal_iteratorINS9_10device_ptrIiEEEESE_PNS0_10empty_typeENS0_5tupleIJSE_SF_EEENSH_IJSE_SG_EEENS0_18inequality_wrapperINS9_8equal_toIiEEEEPmJSF_EEE10hipError_tPvRmT3_T4_T5_T6_T7_T9_mT8_P12ihipStream_tbDpT10_ENKUlT_T0_E_clISt17integral_constantIbLb1EES18_EEDaS13_S14_EUlS13_E_NS1_11comp_targetILNS1_3genE0ELNS1_11target_archE4294967295ELNS1_3gpuE0ELNS1_3repE0EEENS1_30default_config_static_selectorELNS0_4arch9wavefront6targetE0EEEvT1_
    .private_segment_fixed_size: 0
    .sgpr_count:     0
    .sgpr_spill_count: 0
    .symbol:         _ZN7rocprim17ROCPRIM_400000_NS6detail17trampoline_kernelINS0_14default_configENS1_25partition_config_selectorILNS1_17partition_subalgoE9EiibEEZZNS1_14partition_implILS5_9ELb0ES3_jN6thrust23THRUST_200600_302600_NS6detail15normal_iteratorINS9_10device_ptrIiEEEESE_PNS0_10empty_typeENS0_5tupleIJSE_SF_EEENSH_IJSE_SG_EEENS0_18inequality_wrapperINS9_8equal_toIiEEEEPmJSF_EEE10hipError_tPvRmT3_T4_T5_T6_T7_T9_mT8_P12ihipStream_tbDpT10_ENKUlT_T0_E_clISt17integral_constantIbLb1EES18_EEDaS13_S14_EUlS13_E_NS1_11comp_targetILNS1_3genE0ELNS1_11target_archE4294967295ELNS1_3gpuE0ELNS1_3repE0EEENS1_30default_config_static_selectorELNS0_4arch9wavefront6targetE0EEEvT1_.kd
    .uniform_work_group_size: 1
    .uses_dynamic_stack: false
    .vgpr_count:     0
    .vgpr_spill_count: 0
    .wavefront_size: 32
    .workgroup_processor_mode: 1
  - .args:
      - .offset:         0
        .size:           128
        .value_kind:     by_value
    .group_segment_fixed_size: 0
    .kernarg_segment_align: 8
    .kernarg_segment_size: 128
    .language:       OpenCL C
    .language_version:
      - 2
      - 0
    .max_flat_workgroup_size: 512
    .name:           _ZN7rocprim17ROCPRIM_400000_NS6detail17trampoline_kernelINS0_14default_configENS1_25partition_config_selectorILNS1_17partition_subalgoE9EiibEEZZNS1_14partition_implILS5_9ELb0ES3_jN6thrust23THRUST_200600_302600_NS6detail15normal_iteratorINS9_10device_ptrIiEEEESE_PNS0_10empty_typeENS0_5tupleIJSE_SF_EEENSH_IJSE_SG_EEENS0_18inequality_wrapperINS9_8equal_toIiEEEEPmJSF_EEE10hipError_tPvRmT3_T4_T5_T6_T7_T9_mT8_P12ihipStream_tbDpT10_ENKUlT_T0_E_clISt17integral_constantIbLb1EES18_EEDaS13_S14_EUlS13_E_NS1_11comp_targetILNS1_3genE5ELNS1_11target_archE942ELNS1_3gpuE9ELNS1_3repE0EEENS1_30default_config_static_selectorELNS0_4arch9wavefront6targetE0EEEvT1_
    .private_segment_fixed_size: 0
    .sgpr_count:     0
    .sgpr_spill_count: 0
    .symbol:         _ZN7rocprim17ROCPRIM_400000_NS6detail17trampoline_kernelINS0_14default_configENS1_25partition_config_selectorILNS1_17partition_subalgoE9EiibEEZZNS1_14partition_implILS5_9ELb0ES3_jN6thrust23THRUST_200600_302600_NS6detail15normal_iteratorINS9_10device_ptrIiEEEESE_PNS0_10empty_typeENS0_5tupleIJSE_SF_EEENSH_IJSE_SG_EEENS0_18inequality_wrapperINS9_8equal_toIiEEEEPmJSF_EEE10hipError_tPvRmT3_T4_T5_T6_T7_T9_mT8_P12ihipStream_tbDpT10_ENKUlT_T0_E_clISt17integral_constantIbLb1EES18_EEDaS13_S14_EUlS13_E_NS1_11comp_targetILNS1_3genE5ELNS1_11target_archE942ELNS1_3gpuE9ELNS1_3repE0EEENS1_30default_config_static_selectorELNS0_4arch9wavefront6targetE0EEEvT1_.kd
    .uniform_work_group_size: 1
    .uses_dynamic_stack: false
    .vgpr_count:     0
    .vgpr_spill_count: 0
    .wavefront_size: 32
    .workgroup_processor_mode: 1
  - .args:
      - .offset:         0
        .size:           128
        .value_kind:     by_value
    .group_segment_fixed_size: 0
    .kernarg_segment_align: 8
    .kernarg_segment_size: 128
    .language:       OpenCL C
    .language_version:
      - 2
      - 0
    .max_flat_workgroup_size: 192
    .name:           _ZN7rocprim17ROCPRIM_400000_NS6detail17trampoline_kernelINS0_14default_configENS1_25partition_config_selectorILNS1_17partition_subalgoE9EiibEEZZNS1_14partition_implILS5_9ELb0ES3_jN6thrust23THRUST_200600_302600_NS6detail15normal_iteratorINS9_10device_ptrIiEEEESE_PNS0_10empty_typeENS0_5tupleIJSE_SF_EEENSH_IJSE_SG_EEENS0_18inequality_wrapperINS9_8equal_toIiEEEEPmJSF_EEE10hipError_tPvRmT3_T4_T5_T6_T7_T9_mT8_P12ihipStream_tbDpT10_ENKUlT_T0_E_clISt17integral_constantIbLb1EES18_EEDaS13_S14_EUlS13_E_NS1_11comp_targetILNS1_3genE4ELNS1_11target_archE910ELNS1_3gpuE8ELNS1_3repE0EEENS1_30default_config_static_selectorELNS0_4arch9wavefront6targetE0EEEvT1_
    .private_segment_fixed_size: 0
    .sgpr_count:     0
    .sgpr_spill_count: 0
    .symbol:         _ZN7rocprim17ROCPRIM_400000_NS6detail17trampoline_kernelINS0_14default_configENS1_25partition_config_selectorILNS1_17partition_subalgoE9EiibEEZZNS1_14partition_implILS5_9ELb0ES3_jN6thrust23THRUST_200600_302600_NS6detail15normal_iteratorINS9_10device_ptrIiEEEESE_PNS0_10empty_typeENS0_5tupleIJSE_SF_EEENSH_IJSE_SG_EEENS0_18inequality_wrapperINS9_8equal_toIiEEEEPmJSF_EEE10hipError_tPvRmT3_T4_T5_T6_T7_T9_mT8_P12ihipStream_tbDpT10_ENKUlT_T0_E_clISt17integral_constantIbLb1EES18_EEDaS13_S14_EUlS13_E_NS1_11comp_targetILNS1_3genE4ELNS1_11target_archE910ELNS1_3gpuE8ELNS1_3repE0EEENS1_30default_config_static_selectorELNS0_4arch9wavefront6targetE0EEEvT1_.kd
    .uniform_work_group_size: 1
    .uses_dynamic_stack: false
    .vgpr_count:     0
    .vgpr_spill_count: 0
    .wavefront_size: 32
    .workgroup_processor_mode: 1
  - .args:
      - .offset:         0
        .size:           128
        .value_kind:     by_value
    .group_segment_fixed_size: 0
    .kernarg_segment_align: 8
    .kernarg_segment_size: 128
    .language:       OpenCL C
    .language_version:
      - 2
      - 0
    .max_flat_workgroup_size: 256
    .name:           _ZN7rocprim17ROCPRIM_400000_NS6detail17trampoline_kernelINS0_14default_configENS1_25partition_config_selectorILNS1_17partition_subalgoE9EiibEEZZNS1_14partition_implILS5_9ELb0ES3_jN6thrust23THRUST_200600_302600_NS6detail15normal_iteratorINS9_10device_ptrIiEEEESE_PNS0_10empty_typeENS0_5tupleIJSE_SF_EEENSH_IJSE_SG_EEENS0_18inequality_wrapperINS9_8equal_toIiEEEEPmJSF_EEE10hipError_tPvRmT3_T4_T5_T6_T7_T9_mT8_P12ihipStream_tbDpT10_ENKUlT_T0_E_clISt17integral_constantIbLb1EES18_EEDaS13_S14_EUlS13_E_NS1_11comp_targetILNS1_3genE3ELNS1_11target_archE908ELNS1_3gpuE7ELNS1_3repE0EEENS1_30default_config_static_selectorELNS0_4arch9wavefront6targetE0EEEvT1_
    .private_segment_fixed_size: 0
    .sgpr_count:     0
    .sgpr_spill_count: 0
    .symbol:         _ZN7rocprim17ROCPRIM_400000_NS6detail17trampoline_kernelINS0_14default_configENS1_25partition_config_selectorILNS1_17partition_subalgoE9EiibEEZZNS1_14partition_implILS5_9ELb0ES3_jN6thrust23THRUST_200600_302600_NS6detail15normal_iteratorINS9_10device_ptrIiEEEESE_PNS0_10empty_typeENS0_5tupleIJSE_SF_EEENSH_IJSE_SG_EEENS0_18inequality_wrapperINS9_8equal_toIiEEEEPmJSF_EEE10hipError_tPvRmT3_T4_T5_T6_T7_T9_mT8_P12ihipStream_tbDpT10_ENKUlT_T0_E_clISt17integral_constantIbLb1EES18_EEDaS13_S14_EUlS13_E_NS1_11comp_targetILNS1_3genE3ELNS1_11target_archE908ELNS1_3gpuE7ELNS1_3repE0EEENS1_30default_config_static_selectorELNS0_4arch9wavefront6targetE0EEEvT1_.kd
    .uniform_work_group_size: 1
    .uses_dynamic_stack: false
    .vgpr_count:     0
    .vgpr_spill_count: 0
    .wavefront_size: 32
    .workgroup_processor_mode: 1
  - .args:
      - .offset:         0
        .size:           128
        .value_kind:     by_value
    .group_segment_fixed_size: 0
    .kernarg_segment_align: 8
    .kernarg_segment_size: 128
    .language:       OpenCL C
    .language_version:
      - 2
      - 0
    .max_flat_workgroup_size: 256
    .name:           _ZN7rocprim17ROCPRIM_400000_NS6detail17trampoline_kernelINS0_14default_configENS1_25partition_config_selectorILNS1_17partition_subalgoE9EiibEEZZNS1_14partition_implILS5_9ELb0ES3_jN6thrust23THRUST_200600_302600_NS6detail15normal_iteratorINS9_10device_ptrIiEEEESE_PNS0_10empty_typeENS0_5tupleIJSE_SF_EEENSH_IJSE_SG_EEENS0_18inequality_wrapperINS9_8equal_toIiEEEEPmJSF_EEE10hipError_tPvRmT3_T4_T5_T6_T7_T9_mT8_P12ihipStream_tbDpT10_ENKUlT_T0_E_clISt17integral_constantIbLb1EES18_EEDaS13_S14_EUlS13_E_NS1_11comp_targetILNS1_3genE2ELNS1_11target_archE906ELNS1_3gpuE6ELNS1_3repE0EEENS1_30default_config_static_selectorELNS0_4arch9wavefront6targetE0EEEvT1_
    .private_segment_fixed_size: 0
    .sgpr_count:     0
    .sgpr_spill_count: 0
    .symbol:         _ZN7rocprim17ROCPRIM_400000_NS6detail17trampoline_kernelINS0_14default_configENS1_25partition_config_selectorILNS1_17partition_subalgoE9EiibEEZZNS1_14partition_implILS5_9ELb0ES3_jN6thrust23THRUST_200600_302600_NS6detail15normal_iteratorINS9_10device_ptrIiEEEESE_PNS0_10empty_typeENS0_5tupleIJSE_SF_EEENSH_IJSE_SG_EEENS0_18inequality_wrapperINS9_8equal_toIiEEEEPmJSF_EEE10hipError_tPvRmT3_T4_T5_T6_T7_T9_mT8_P12ihipStream_tbDpT10_ENKUlT_T0_E_clISt17integral_constantIbLb1EES18_EEDaS13_S14_EUlS13_E_NS1_11comp_targetILNS1_3genE2ELNS1_11target_archE906ELNS1_3gpuE6ELNS1_3repE0EEENS1_30default_config_static_selectorELNS0_4arch9wavefront6targetE0EEEvT1_.kd
    .uniform_work_group_size: 1
    .uses_dynamic_stack: false
    .vgpr_count:     0
    .vgpr_spill_count: 0
    .wavefront_size: 32
    .workgroup_processor_mode: 1
  - .args:
      - .offset:         0
        .size:           128
        .value_kind:     by_value
    .group_segment_fixed_size: 0
    .kernarg_segment_align: 8
    .kernarg_segment_size: 128
    .language:       OpenCL C
    .language_version:
      - 2
      - 0
    .max_flat_workgroup_size: 384
    .name:           _ZN7rocprim17ROCPRIM_400000_NS6detail17trampoline_kernelINS0_14default_configENS1_25partition_config_selectorILNS1_17partition_subalgoE9EiibEEZZNS1_14partition_implILS5_9ELb0ES3_jN6thrust23THRUST_200600_302600_NS6detail15normal_iteratorINS9_10device_ptrIiEEEESE_PNS0_10empty_typeENS0_5tupleIJSE_SF_EEENSH_IJSE_SG_EEENS0_18inequality_wrapperINS9_8equal_toIiEEEEPmJSF_EEE10hipError_tPvRmT3_T4_T5_T6_T7_T9_mT8_P12ihipStream_tbDpT10_ENKUlT_T0_E_clISt17integral_constantIbLb1EES18_EEDaS13_S14_EUlS13_E_NS1_11comp_targetILNS1_3genE10ELNS1_11target_archE1200ELNS1_3gpuE4ELNS1_3repE0EEENS1_30default_config_static_selectorELNS0_4arch9wavefront6targetE0EEEvT1_
    .private_segment_fixed_size: 0
    .sgpr_count:     0
    .sgpr_spill_count: 0
    .symbol:         _ZN7rocprim17ROCPRIM_400000_NS6detail17trampoline_kernelINS0_14default_configENS1_25partition_config_selectorILNS1_17partition_subalgoE9EiibEEZZNS1_14partition_implILS5_9ELb0ES3_jN6thrust23THRUST_200600_302600_NS6detail15normal_iteratorINS9_10device_ptrIiEEEESE_PNS0_10empty_typeENS0_5tupleIJSE_SF_EEENSH_IJSE_SG_EEENS0_18inequality_wrapperINS9_8equal_toIiEEEEPmJSF_EEE10hipError_tPvRmT3_T4_T5_T6_T7_T9_mT8_P12ihipStream_tbDpT10_ENKUlT_T0_E_clISt17integral_constantIbLb1EES18_EEDaS13_S14_EUlS13_E_NS1_11comp_targetILNS1_3genE10ELNS1_11target_archE1200ELNS1_3gpuE4ELNS1_3repE0EEENS1_30default_config_static_selectorELNS0_4arch9wavefront6targetE0EEEvT1_.kd
    .uniform_work_group_size: 1
    .uses_dynamic_stack: false
    .vgpr_count:     0
    .vgpr_spill_count: 0
    .wavefront_size: 32
    .workgroup_processor_mode: 1
  - .args:
      - .offset:         0
        .size:           128
        .value_kind:     by_value
    .group_segment_fixed_size: 12680
    .kernarg_segment_align: 8
    .kernarg_segment_size: 128
    .language:       OpenCL C
    .language_version:
      - 2
      - 0
    .max_flat_workgroup_size: 384
    .name:           _ZN7rocprim17ROCPRIM_400000_NS6detail17trampoline_kernelINS0_14default_configENS1_25partition_config_selectorILNS1_17partition_subalgoE9EiibEEZZNS1_14partition_implILS5_9ELb0ES3_jN6thrust23THRUST_200600_302600_NS6detail15normal_iteratorINS9_10device_ptrIiEEEESE_PNS0_10empty_typeENS0_5tupleIJSE_SF_EEENSH_IJSE_SG_EEENS0_18inequality_wrapperINS9_8equal_toIiEEEEPmJSF_EEE10hipError_tPvRmT3_T4_T5_T6_T7_T9_mT8_P12ihipStream_tbDpT10_ENKUlT_T0_E_clISt17integral_constantIbLb1EES18_EEDaS13_S14_EUlS13_E_NS1_11comp_targetILNS1_3genE9ELNS1_11target_archE1100ELNS1_3gpuE3ELNS1_3repE0EEENS1_30default_config_static_selectorELNS0_4arch9wavefront6targetE0EEEvT1_
    .private_segment_fixed_size: 0
    .sgpr_count:     31
    .sgpr_spill_count: 0
    .symbol:         _ZN7rocprim17ROCPRIM_400000_NS6detail17trampoline_kernelINS0_14default_configENS1_25partition_config_selectorILNS1_17partition_subalgoE9EiibEEZZNS1_14partition_implILS5_9ELb0ES3_jN6thrust23THRUST_200600_302600_NS6detail15normal_iteratorINS9_10device_ptrIiEEEESE_PNS0_10empty_typeENS0_5tupleIJSE_SF_EEENSH_IJSE_SG_EEENS0_18inequality_wrapperINS9_8equal_toIiEEEEPmJSF_EEE10hipError_tPvRmT3_T4_T5_T6_T7_T9_mT8_P12ihipStream_tbDpT10_ENKUlT_T0_E_clISt17integral_constantIbLb1EES18_EEDaS13_S14_EUlS13_E_NS1_11comp_targetILNS1_3genE9ELNS1_11target_archE1100ELNS1_3gpuE3ELNS1_3repE0EEENS1_30default_config_static_selectorELNS0_4arch9wavefront6targetE0EEEvT1_.kd
    .uniform_work_group_size: 1
    .uses_dynamic_stack: false
    .vgpr_count:     51
    .vgpr_spill_count: 0
    .wavefront_size: 32
    .workgroup_processor_mode: 1
  - .args:
      - .offset:         0
        .size:           128
        .value_kind:     by_value
    .group_segment_fixed_size: 0
    .kernarg_segment_align: 8
    .kernarg_segment_size: 128
    .language:       OpenCL C
    .language_version:
      - 2
      - 0
    .max_flat_workgroup_size: 512
    .name:           _ZN7rocprim17ROCPRIM_400000_NS6detail17trampoline_kernelINS0_14default_configENS1_25partition_config_selectorILNS1_17partition_subalgoE9EiibEEZZNS1_14partition_implILS5_9ELb0ES3_jN6thrust23THRUST_200600_302600_NS6detail15normal_iteratorINS9_10device_ptrIiEEEESE_PNS0_10empty_typeENS0_5tupleIJSE_SF_EEENSH_IJSE_SG_EEENS0_18inequality_wrapperINS9_8equal_toIiEEEEPmJSF_EEE10hipError_tPvRmT3_T4_T5_T6_T7_T9_mT8_P12ihipStream_tbDpT10_ENKUlT_T0_E_clISt17integral_constantIbLb1EES18_EEDaS13_S14_EUlS13_E_NS1_11comp_targetILNS1_3genE8ELNS1_11target_archE1030ELNS1_3gpuE2ELNS1_3repE0EEENS1_30default_config_static_selectorELNS0_4arch9wavefront6targetE0EEEvT1_
    .private_segment_fixed_size: 0
    .sgpr_count:     0
    .sgpr_spill_count: 0
    .symbol:         _ZN7rocprim17ROCPRIM_400000_NS6detail17trampoline_kernelINS0_14default_configENS1_25partition_config_selectorILNS1_17partition_subalgoE9EiibEEZZNS1_14partition_implILS5_9ELb0ES3_jN6thrust23THRUST_200600_302600_NS6detail15normal_iteratorINS9_10device_ptrIiEEEESE_PNS0_10empty_typeENS0_5tupleIJSE_SF_EEENSH_IJSE_SG_EEENS0_18inequality_wrapperINS9_8equal_toIiEEEEPmJSF_EEE10hipError_tPvRmT3_T4_T5_T6_T7_T9_mT8_P12ihipStream_tbDpT10_ENKUlT_T0_E_clISt17integral_constantIbLb1EES18_EEDaS13_S14_EUlS13_E_NS1_11comp_targetILNS1_3genE8ELNS1_11target_archE1030ELNS1_3gpuE2ELNS1_3repE0EEENS1_30default_config_static_selectorELNS0_4arch9wavefront6targetE0EEEvT1_.kd
    .uniform_work_group_size: 1
    .uses_dynamic_stack: false
    .vgpr_count:     0
    .vgpr_spill_count: 0
    .wavefront_size: 32
    .workgroup_processor_mode: 1
  - .args:
      - .offset:         0
        .size:           112
        .value_kind:     by_value
    .group_segment_fixed_size: 0
    .kernarg_segment_align: 8
    .kernarg_segment_size: 112
    .language:       OpenCL C
    .language_version:
      - 2
      - 0
    .max_flat_workgroup_size: 256
    .name:           _ZN7rocprim17ROCPRIM_400000_NS6detail17trampoline_kernelINS0_14default_configENS1_25partition_config_selectorILNS1_17partition_subalgoE9EiibEEZZNS1_14partition_implILS5_9ELb0ES3_jN6thrust23THRUST_200600_302600_NS6detail15normal_iteratorINS9_10device_ptrIiEEEESE_PNS0_10empty_typeENS0_5tupleIJSE_SF_EEENSH_IJSE_SG_EEENS0_18inequality_wrapperINS9_8equal_toIiEEEEPmJSF_EEE10hipError_tPvRmT3_T4_T5_T6_T7_T9_mT8_P12ihipStream_tbDpT10_ENKUlT_T0_E_clISt17integral_constantIbLb1EES17_IbLb0EEEEDaS13_S14_EUlS13_E_NS1_11comp_targetILNS1_3genE0ELNS1_11target_archE4294967295ELNS1_3gpuE0ELNS1_3repE0EEENS1_30default_config_static_selectorELNS0_4arch9wavefront6targetE0EEEvT1_
    .private_segment_fixed_size: 0
    .sgpr_count:     0
    .sgpr_spill_count: 0
    .symbol:         _ZN7rocprim17ROCPRIM_400000_NS6detail17trampoline_kernelINS0_14default_configENS1_25partition_config_selectorILNS1_17partition_subalgoE9EiibEEZZNS1_14partition_implILS5_9ELb0ES3_jN6thrust23THRUST_200600_302600_NS6detail15normal_iteratorINS9_10device_ptrIiEEEESE_PNS0_10empty_typeENS0_5tupleIJSE_SF_EEENSH_IJSE_SG_EEENS0_18inequality_wrapperINS9_8equal_toIiEEEEPmJSF_EEE10hipError_tPvRmT3_T4_T5_T6_T7_T9_mT8_P12ihipStream_tbDpT10_ENKUlT_T0_E_clISt17integral_constantIbLb1EES17_IbLb0EEEEDaS13_S14_EUlS13_E_NS1_11comp_targetILNS1_3genE0ELNS1_11target_archE4294967295ELNS1_3gpuE0ELNS1_3repE0EEENS1_30default_config_static_selectorELNS0_4arch9wavefront6targetE0EEEvT1_.kd
    .uniform_work_group_size: 1
    .uses_dynamic_stack: false
    .vgpr_count:     0
    .vgpr_spill_count: 0
    .wavefront_size: 32
    .workgroup_processor_mode: 1
  - .args:
      - .offset:         0
        .size:           112
        .value_kind:     by_value
    .group_segment_fixed_size: 0
    .kernarg_segment_align: 8
    .kernarg_segment_size: 112
    .language:       OpenCL C
    .language_version:
      - 2
      - 0
    .max_flat_workgroup_size: 512
    .name:           _ZN7rocprim17ROCPRIM_400000_NS6detail17trampoline_kernelINS0_14default_configENS1_25partition_config_selectorILNS1_17partition_subalgoE9EiibEEZZNS1_14partition_implILS5_9ELb0ES3_jN6thrust23THRUST_200600_302600_NS6detail15normal_iteratorINS9_10device_ptrIiEEEESE_PNS0_10empty_typeENS0_5tupleIJSE_SF_EEENSH_IJSE_SG_EEENS0_18inequality_wrapperINS9_8equal_toIiEEEEPmJSF_EEE10hipError_tPvRmT3_T4_T5_T6_T7_T9_mT8_P12ihipStream_tbDpT10_ENKUlT_T0_E_clISt17integral_constantIbLb1EES17_IbLb0EEEEDaS13_S14_EUlS13_E_NS1_11comp_targetILNS1_3genE5ELNS1_11target_archE942ELNS1_3gpuE9ELNS1_3repE0EEENS1_30default_config_static_selectorELNS0_4arch9wavefront6targetE0EEEvT1_
    .private_segment_fixed_size: 0
    .sgpr_count:     0
    .sgpr_spill_count: 0
    .symbol:         _ZN7rocprim17ROCPRIM_400000_NS6detail17trampoline_kernelINS0_14default_configENS1_25partition_config_selectorILNS1_17partition_subalgoE9EiibEEZZNS1_14partition_implILS5_9ELb0ES3_jN6thrust23THRUST_200600_302600_NS6detail15normal_iteratorINS9_10device_ptrIiEEEESE_PNS0_10empty_typeENS0_5tupleIJSE_SF_EEENSH_IJSE_SG_EEENS0_18inequality_wrapperINS9_8equal_toIiEEEEPmJSF_EEE10hipError_tPvRmT3_T4_T5_T6_T7_T9_mT8_P12ihipStream_tbDpT10_ENKUlT_T0_E_clISt17integral_constantIbLb1EES17_IbLb0EEEEDaS13_S14_EUlS13_E_NS1_11comp_targetILNS1_3genE5ELNS1_11target_archE942ELNS1_3gpuE9ELNS1_3repE0EEENS1_30default_config_static_selectorELNS0_4arch9wavefront6targetE0EEEvT1_.kd
    .uniform_work_group_size: 1
    .uses_dynamic_stack: false
    .vgpr_count:     0
    .vgpr_spill_count: 0
    .wavefront_size: 32
    .workgroup_processor_mode: 1
  - .args:
      - .offset:         0
        .size:           112
        .value_kind:     by_value
    .group_segment_fixed_size: 0
    .kernarg_segment_align: 8
    .kernarg_segment_size: 112
    .language:       OpenCL C
    .language_version:
      - 2
      - 0
    .max_flat_workgroup_size: 192
    .name:           _ZN7rocprim17ROCPRIM_400000_NS6detail17trampoline_kernelINS0_14default_configENS1_25partition_config_selectorILNS1_17partition_subalgoE9EiibEEZZNS1_14partition_implILS5_9ELb0ES3_jN6thrust23THRUST_200600_302600_NS6detail15normal_iteratorINS9_10device_ptrIiEEEESE_PNS0_10empty_typeENS0_5tupleIJSE_SF_EEENSH_IJSE_SG_EEENS0_18inequality_wrapperINS9_8equal_toIiEEEEPmJSF_EEE10hipError_tPvRmT3_T4_T5_T6_T7_T9_mT8_P12ihipStream_tbDpT10_ENKUlT_T0_E_clISt17integral_constantIbLb1EES17_IbLb0EEEEDaS13_S14_EUlS13_E_NS1_11comp_targetILNS1_3genE4ELNS1_11target_archE910ELNS1_3gpuE8ELNS1_3repE0EEENS1_30default_config_static_selectorELNS0_4arch9wavefront6targetE0EEEvT1_
    .private_segment_fixed_size: 0
    .sgpr_count:     0
    .sgpr_spill_count: 0
    .symbol:         _ZN7rocprim17ROCPRIM_400000_NS6detail17trampoline_kernelINS0_14default_configENS1_25partition_config_selectorILNS1_17partition_subalgoE9EiibEEZZNS1_14partition_implILS5_9ELb0ES3_jN6thrust23THRUST_200600_302600_NS6detail15normal_iteratorINS9_10device_ptrIiEEEESE_PNS0_10empty_typeENS0_5tupleIJSE_SF_EEENSH_IJSE_SG_EEENS0_18inequality_wrapperINS9_8equal_toIiEEEEPmJSF_EEE10hipError_tPvRmT3_T4_T5_T6_T7_T9_mT8_P12ihipStream_tbDpT10_ENKUlT_T0_E_clISt17integral_constantIbLb1EES17_IbLb0EEEEDaS13_S14_EUlS13_E_NS1_11comp_targetILNS1_3genE4ELNS1_11target_archE910ELNS1_3gpuE8ELNS1_3repE0EEENS1_30default_config_static_selectorELNS0_4arch9wavefront6targetE0EEEvT1_.kd
    .uniform_work_group_size: 1
    .uses_dynamic_stack: false
    .vgpr_count:     0
    .vgpr_spill_count: 0
    .wavefront_size: 32
    .workgroup_processor_mode: 1
  - .args:
      - .offset:         0
        .size:           112
        .value_kind:     by_value
    .group_segment_fixed_size: 0
    .kernarg_segment_align: 8
    .kernarg_segment_size: 112
    .language:       OpenCL C
    .language_version:
      - 2
      - 0
    .max_flat_workgroup_size: 256
    .name:           _ZN7rocprim17ROCPRIM_400000_NS6detail17trampoline_kernelINS0_14default_configENS1_25partition_config_selectorILNS1_17partition_subalgoE9EiibEEZZNS1_14partition_implILS5_9ELb0ES3_jN6thrust23THRUST_200600_302600_NS6detail15normal_iteratorINS9_10device_ptrIiEEEESE_PNS0_10empty_typeENS0_5tupleIJSE_SF_EEENSH_IJSE_SG_EEENS0_18inequality_wrapperINS9_8equal_toIiEEEEPmJSF_EEE10hipError_tPvRmT3_T4_T5_T6_T7_T9_mT8_P12ihipStream_tbDpT10_ENKUlT_T0_E_clISt17integral_constantIbLb1EES17_IbLb0EEEEDaS13_S14_EUlS13_E_NS1_11comp_targetILNS1_3genE3ELNS1_11target_archE908ELNS1_3gpuE7ELNS1_3repE0EEENS1_30default_config_static_selectorELNS0_4arch9wavefront6targetE0EEEvT1_
    .private_segment_fixed_size: 0
    .sgpr_count:     0
    .sgpr_spill_count: 0
    .symbol:         _ZN7rocprim17ROCPRIM_400000_NS6detail17trampoline_kernelINS0_14default_configENS1_25partition_config_selectorILNS1_17partition_subalgoE9EiibEEZZNS1_14partition_implILS5_9ELb0ES3_jN6thrust23THRUST_200600_302600_NS6detail15normal_iteratorINS9_10device_ptrIiEEEESE_PNS0_10empty_typeENS0_5tupleIJSE_SF_EEENSH_IJSE_SG_EEENS0_18inequality_wrapperINS9_8equal_toIiEEEEPmJSF_EEE10hipError_tPvRmT3_T4_T5_T6_T7_T9_mT8_P12ihipStream_tbDpT10_ENKUlT_T0_E_clISt17integral_constantIbLb1EES17_IbLb0EEEEDaS13_S14_EUlS13_E_NS1_11comp_targetILNS1_3genE3ELNS1_11target_archE908ELNS1_3gpuE7ELNS1_3repE0EEENS1_30default_config_static_selectorELNS0_4arch9wavefront6targetE0EEEvT1_.kd
    .uniform_work_group_size: 1
    .uses_dynamic_stack: false
    .vgpr_count:     0
    .vgpr_spill_count: 0
    .wavefront_size: 32
    .workgroup_processor_mode: 1
  - .args:
      - .offset:         0
        .size:           112
        .value_kind:     by_value
    .group_segment_fixed_size: 0
    .kernarg_segment_align: 8
    .kernarg_segment_size: 112
    .language:       OpenCL C
    .language_version:
      - 2
      - 0
    .max_flat_workgroup_size: 256
    .name:           _ZN7rocprim17ROCPRIM_400000_NS6detail17trampoline_kernelINS0_14default_configENS1_25partition_config_selectorILNS1_17partition_subalgoE9EiibEEZZNS1_14partition_implILS5_9ELb0ES3_jN6thrust23THRUST_200600_302600_NS6detail15normal_iteratorINS9_10device_ptrIiEEEESE_PNS0_10empty_typeENS0_5tupleIJSE_SF_EEENSH_IJSE_SG_EEENS0_18inequality_wrapperINS9_8equal_toIiEEEEPmJSF_EEE10hipError_tPvRmT3_T4_T5_T6_T7_T9_mT8_P12ihipStream_tbDpT10_ENKUlT_T0_E_clISt17integral_constantIbLb1EES17_IbLb0EEEEDaS13_S14_EUlS13_E_NS1_11comp_targetILNS1_3genE2ELNS1_11target_archE906ELNS1_3gpuE6ELNS1_3repE0EEENS1_30default_config_static_selectorELNS0_4arch9wavefront6targetE0EEEvT1_
    .private_segment_fixed_size: 0
    .sgpr_count:     0
    .sgpr_spill_count: 0
    .symbol:         _ZN7rocprim17ROCPRIM_400000_NS6detail17trampoline_kernelINS0_14default_configENS1_25partition_config_selectorILNS1_17partition_subalgoE9EiibEEZZNS1_14partition_implILS5_9ELb0ES3_jN6thrust23THRUST_200600_302600_NS6detail15normal_iteratorINS9_10device_ptrIiEEEESE_PNS0_10empty_typeENS0_5tupleIJSE_SF_EEENSH_IJSE_SG_EEENS0_18inequality_wrapperINS9_8equal_toIiEEEEPmJSF_EEE10hipError_tPvRmT3_T4_T5_T6_T7_T9_mT8_P12ihipStream_tbDpT10_ENKUlT_T0_E_clISt17integral_constantIbLb1EES17_IbLb0EEEEDaS13_S14_EUlS13_E_NS1_11comp_targetILNS1_3genE2ELNS1_11target_archE906ELNS1_3gpuE6ELNS1_3repE0EEENS1_30default_config_static_selectorELNS0_4arch9wavefront6targetE0EEEvT1_.kd
    .uniform_work_group_size: 1
    .uses_dynamic_stack: false
    .vgpr_count:     0
    .vgpr_spill_count: 0
    .wavefront_size: 32
    .workgroup_processor_mode: 1
  - .args:
      - .offset:         0
        .size:           112
        .value_kind:     by_value
    .group_segment_fixed_size: 0
    .kernarg_segment_align: 8
    .kernarg_segment_size: 112
    .language:       OpenCL C
    .language_version:
      - 2
      - 0
    .max_flat_workgroup_size: 384
    .name:           _ZN7rocprim17ROCPRIM_400000_NS6detail17trampoline_kernelINS0_14default_configENS1_25partition_config_selectorILNS1_17partition_subalgoE9EiibEEZZNS1_14partition_implILS5_9ELb0ES3_jN6thrust23THRUST_200600_302600_NS6detail15normal_iteratorINS9_10device_ptrIiEEEESE_PNS0_10empty_typeENS0_5tupleIJSE_SF_EEENSH_IJSE_SG_EEENS0_18inequality_wrapperINS9_8equal_toIiEEEEPmJSF_EEE10hipError_tPvRmT3_T4_T5_T6_T7_T9_mT8_P12ihipStream_tbDpT10_ENKUlT_T0_E_clISt17integral_constantIbLb1EES17_IbLb0EEEEDaS13_S14_EUlS13_E_NS1_11comp_targetILNS1_3genE10ELNS1_11target_archE1200ELNS1_3gpuE4ELNS1_3repE0EEENS1_30default_config_static_selectorELNS0_4arch9wavefront6targetE0EEEvT1_
    .private_segment_fixed_size: 0
    .sgpr_count:     0
    .sgpr_spill_count: 0
    .symbol:         _ZN7rocprim17ROCPRIM_400000_NS6detail17trampoline_kernelINS0_14default_configENS1_25partition_config_selectorILNS1_17partition_subalgoE9EiibEEZZNS1_14partition_implILS5_9ELb0ES3_jN6thrust23THRUST_200600_302600_NS6detail15normal_iteratorINS9_10device_ptrIiEEEESE_PNS0_10empty_typeENS0_5tupleIJSE_SF_EEENSH_IJSE_SG_EEENS0_18inequality_wrapperINS9_8equal_toIiEEEEPmJSF_EEE10hipError_tPvRmT3_T4_T5_T6_T7_T9_mT8_P12ihipStream_tbDpT10_ENKUlT_T0_E_clISt17integral_constantIbLb1EES17_IbLb0EEEEDaS13_S14_EUlS13_E_NS1_11comp_targetILNS1_3genE10ELNS1_11target_archE1200ELNS1_3gpuE4ELNS1_3repE0EEENS1_30default_config_static_selectorELNS0_4arch9wavefront6targetE0EEEvT1_.kd
    .uniform_work_group_size: 1
    .uses_dynamic_stack: false
    .vgpr_count:     0
    .vgpr_spill_count: 0
    .wavefront_size: 32
    .workgroup_processor_mode: 1
  - .args:
      - .offset:         0
        .size:           112
        .value_kind:     by_value
    .group_segment_fixed_size: 12680
    .kernarg_segment_align: 8
    .kernarg_segment_size: 112
    .language:       OpenCL C
    .language_version:
      - 2
      - 0
    .max_flat_workgroup_size: 384
    .name:           _ZN7rocprim17ROCPRIM_400000_NS6detail17trampoline_kernelINS0_14default_configENS1_25partition_config_selectorILNS1_17partition_subalgoE9EiibEEZZNS1_14partition_implILS5_9ELb0ES3_jN6thrust23THRUST_200600_302600_NS6detail15normal_iteratorINS9_10device_ptrIiEEEESE_PNS0_10empty_typeENS0_5tupleIJSE_SF_EEENSH_IJSE_SG_EEENS0_18inequality_wrapperINS9_8equal_toIiEEEEPmJSF_EEE10hipError_tPvRmT3_T4_T5_T6_T7_T9_mT8_P12ihipStream_tbDpT10_ENKUlT_T0_E_clISt17integral_constantIbLb1EES17_IbLb0EEEEDaS13_S14_EUlS13_E_NS1_11comp_targetILNS1_3genE9ELNS1_11target_archE1100ELNS1_3gpuE3ELNS1_3repE0EEENS1_30default_config_static_selectorELNS0_4arch9wavefront6targetE0EEEvT1_
    .private_segment_fixed_size: 0
    .sgpr_count:     27
    .sgpr_spill_count: 0
    .symbol:         _ZN7rocprim17ROCPRIM_400000_NS6detail17trampoline_kernelINS0_14default_configENS1_25partition_config_selectorILNS1_17partition_subalgoE9EiibEEZZNS1_14partition_implILS5_9ELb0ES3_jN6thrust23THRUST_200600_302600_NS6detail15normal_iteratorINS9_10device_ptrIiEEEESE_PNS0_10empty_typeENS0_5tupleIJSE_SF_EEENSH_IJSE_SG_EEENS0_18inequality_wrapperINS9_8equal_toIiEEEEPmJSF_EEE10hipError_tPvRmT3_T4_T5_T6_T7_T9_mT8_P12ihipStream_tbDpT10_ENKUlT_T0_E_clISt17integral_constantIbLb1EES17_IbLb0EEEEDaS13_S14_EUlS13_E_NS1_11comp_targetILNS1_3genE9ELNS1_11target_archE1100ELNS1_3gpuE3ELNS1_3repE0EEENS1_30default_config_static_selectorELNS0_4arch9wavefront6targetE0EEEvT1_.kd
    .uniform_work_group_size: 1
    .uses_dynamic_stack: false
    .vgpr_count:     51
    .vgpr_spill_count: 0
    .wavefront_size: 32
    .workgroup_processor_mode: 1
  - .args:
      - .offset:         0
        .size:           112
        .value_kind:     by_value
    .group_segment_fixed_size: 0
    .kernarg_segment_align: 8
    .kernarg_segment_size: 112
    .language:       OpenCL C
    .language_version:
      - 2
      - 0
    .max_flat_workgroup_size: 512
    .name:           _ZN7rocprim17ROCPRIM_400000_NS6detail17trampoline_kernelINS0_14default_configENS1_25partition_config_selectorILNS1_17partition_subalgoE9EiibEEZZNS1_14partition_implILS5_9ELb0ES3_jN6thrust23THRUST_200600_302600_NS6detail15normal_iteratorINS9_10device_ptrIiEEEESE_PNS0_10empty_typeENS0_5tupleIJSE_SF_EEENSH_IJSE_SG_EEENS0_18inequality_wrapperINS9_8equal_toIiEEEEPmJSF_EEE10hipError_tPvRmT3_T4_T5_T6_T7_T9_mT8_P12ihipStream_tbDpT10_ENKUlT_T0_E_clISt17integral_constantIbLb1EES17_IbLb0EEEEDaS13_S14_EUlS13_E_NS1_11comp_targetILNS1_3genE8ELNS1_11target_archE1030ELNS1_3gpuE2ELNS1_3repE0EEENS1_30default_config_static_selectorELNS0_4arch9wavefront6targetE0EEEvT1_
    .private_segment_fixed_size: 0
    .sgpr_count:     0
    .sgpr_spill_count: 0
    .symbol:         _ZN7rocprim17ROCPRIM_400000_NS6detail17trampoline_kernelINS0_14default_configENS1_25partition_config_selectorILNS1_17partition_subalgoE9EiibEEZZNS1_14partition_implILS5_9ELb0ES3_jN6thrust23THRUST_200600_302600_NS6detail15normal_iteratorINS9_10device_ptrIiEEEESE_PNS0_10empty_typeENS0_5tupleIJSE_SF_EEENSH_IJSE_SG_EEENS0_18inequality_wrapperINS9_8equal_toIiEEEEPmJSF_EEE10hipError_tPvRmT3_T4_T5_T6_T7_T9_mT8_P12ihipStream_tbDpT10_ENKUlT_T0_E_clISt17integral_constantIbLb1EES17_IbLb0EEEEDaS13_S14_EUlS13_E_NS1_11comp_targetILNS1_3genE8ELNS1_11target_archE1030ELNS1_3gpuE2ELNS1_3repE0EEENS1_30default_config_static_selectorELNS0_4arch9wavefront6targetE0EEEvT1_.kd
    .uniform_work_group_size: 1
    .uses_dynamic_stack: false
    .vgpr_count:     0
    .vgpr_spill_count: 0
    .wavefront_size: 32
    .workgroup_processor_mode: 1
  - .args:
      - .offset:         0
        .size:           128
        .value_kind:     by_value
    .group_segment_fixed_size: 0
    .kernarg_segment_align: 8
    .kernarg_segment_size: 128
    .language:       OpenCL C
    .language_version:
      - 2
      - 0
    .max_flat_workgroup_size: 256
    .name:           _ZN7rocprim17ROCPRIM_400000_NS6detail17trampoline_kernelINS0_14default_configENS1_25partition_config_selectorILNS1_17partition_subalgoE9EiibEEZZNS1_14partition_implILS5_9ELb0ES3_jN6thrust23THRUST_200600_302600_NS6detail15normal_iteratorINS9_10device_ptrIiEEEESE_PNS0_10empty_typeENS0_5tupleIJSE_SF_EEENSH_IJSE_SG_EEENS0_18inequality_wrapperINS9_8equal_toIiEEEEPmJSF_EEE10hipError_tPvRmT3_T4_T5_T6_T7_T9_mT8_P12ihipStream_tbDpT10_ENKUlT_T0_E_clISt17integral_constantIbLb0EES17_IbLb1EEEEDaS13_S14_EUlS13_E_NS1_11comp_targetILNS1_3genE0ELNS1_11target_archE4294967295ELNS1_3gpuE0ELNS1_3repE0EEENS1_30default_config_static_selectorELNS0_4arch9wavefront6targetE0EEEvT1_
    .private_segment_fixed_size: 0
    .sgpr_count:     0
    .sgpr_spill_count: 0
    .symbol:         _ZN7rocprim17ROCPRIM_400000_NS6detail17trampoline_kernelINS0_14default_configENS1_25partition_config_selectorILNS1_17partition_subalgoE9EiibEEZZNS1_14partition_implILS5_9ELb0ES3_jN6thrust23THRUST_200600_302600_NS6detail15normal_iteratorINS9_10device_ptrIiEEEESE_PNS0_10empty_typeENS0_5tupleIJSE_SF_EEENSH_IJSE_SG_EEENS0_18inequality_wrapperINS9_8equal_toIiEEEEPmJSF_EEE10hipError_tPvRmT3_T4_T5_T6_T7_T9_mT8_P12ihipStream_tbDpT10_ENKUlT_T0_E_clISt17integral_constantIbLb0EES17_IbLb1EEEEDaS13_S14_EUlS13_E_NS1_11comp_targetILNS1_3genE0ELNS1_11target_archE4294967295ELNS1_3gpuE0ELNS1_3repE0EEENS1_30default_config_static_selectorELNS0_4arch9wavefront6targetE0EEEvT1_.kd
    .uniform_work_group_size: 1
    .uses_dynamic_stack: false
    .vgpr_count:     0
    .vgpr_spill_count: 0
    .wavefront_size: 32
    .workgroup_processor_mode: 1
  - .args:
      - .offset:         0
        .size:           128
        .value_kind:     by_value
    .group_segment_fixed_size: 0
    .kernarg_segment_align: 8
    .kernarg_segment_size: 128
    .language:       OpenCL C
    .language_version:
      - 2
      - 0
    .max_flat_workgroup_size: 512
    .name:           _ZN7rocprim17ROCPRIM_400000_NS6detail17trampoline_kernelINS0_14default_configENS1_25partition_config_selectorILNS1_17partition_subalgoE9EiibEEZZNS1_14partition_implILS5_9ELb0ES3_jN6thrust23THRUST_200600_302600_NS6detail15normal_iteratorINS9_10device_ptrIiEEEESE_PNS0_10empty_typeENS0_5tupleIJSE_SF_EEENSH_IJSE_SG_EEENS0_18inequality_wrapperINS9_8equal_toIiEEEEPmJSF_EEE10hipError_tPvRmT3_T4_T5_T6_T7_T9_mT8_P12ihipStream_tbDpT10_ENKUlT_T0_E_clISt17integral_constantIbLb0EES17_IbLb1EEEEDaS13_S14_EUlS13_E_NS1_11comp_targetILNS1_3genE5ELNS1_11target_archE942ELNS1_3gpuE9ELNS1_3repE0EEENS1_30default_config_static_selectorELNS0_4arch9wavefront6targetE0EEEvT1_
    .private_segment_fixed_size: 0
    .sgpr_count:     0
    .sgpr_spill_count: 0
    .symbol:         _ZN7rocprim17ROCPRIM_400000_NS6detail17trampoline_kernelINS0_14default_configENS1_25partition_config_selectorILNS1_17partition_subalgoE9EiibEEZZNS1_14partition_implILS5_9ELb0ES3_jN6thrust23THRUST_200600_302600_NS6detail15normal_iteratorINS9_10device_ptrIiEEEESE_PNS0_10empty_typeENS0_5tupleIJSE_SF_EEENSH_IJSE_SG_EEENS0_18inequality_wrapperINS9_8equal_toIiEEEEPmJSF_EEE10hipError_tPvRmT3_T4_T5_T6_T7_T9_mT8_P12ihipStream_tbDpT10_ENKUlT_T0_E_clISt17integral_constantIbLb0EES17_IbLb1EEEEDaS13_S14_EUlS13_E_NS1_11comp_targetILNS1_3genE5ELNS1_11target_archE942ELNS1_3gpuE9ELNS1_3repE0EEENS1_30default_config_static_selectorELNS0_4arch9wavefront6targetE0EEEvT1_.kd
    .uniform_work_group_size: 1
    .uses_dynamic_stack: false
    .vgpr_count:     0
    .vgpr_spill_count: 0
    .wavefront_size: 32
    .workgroup_processor_mode: 1
  - .args:
      - .offset:         0
        .size:           128
        .value_kind:     by_value
    .group_segment_fixed_size: 0
    .kernarg_segment_align: 8
    .kernarg_segment_size: 128
    .language:       OpenCL C
    .language_version:
      - 2
      - 0
    .max_flat_workgroup_size: 192
    .name:           _ZN7rocprim17ROCPRIM_400000_NS6detail17trampoline_kernelINS0_14default_configENS1_25partition_config_selectorILNS1_17partition_subalgoE9EiibEEZZNS1_14partition_implILS5_9ELb0ES3_jN6thrust23THRUST_200600_302600_NS6detail15normal_iteratorINS9_10device_ptrIiEEEESE_PNS0_10empty_typeENS0_5tupleIJSE_SF_EEENSH_IJSE_SG_EEENS0_18inequality_wrapperINS9_8equal_toIiEEEEPmJSF_EEE10hipError_tPvRmT3_T4_T5_T6_T7_T9_mT8_P12ihipStream_tbDpT10_ENKUlT_T0_E_clISt17integral_constantIbLb0EES17_IbLb1EEEEDaS13_S14_EUlS13_E_NS1_11comp_targetILNS1_3genE4ELNS1_11target_archE910ELNS1_3gpuE8ELNS1_3repE0EEENS1_30default_config_static_selectorELNS0_4arch9wavefront6targetE0EEEvT1_
    .private_segment_fixed_size: 0
    .sgpr_count:     0
    .sgpr_spill_count: 0
    .symbol:         _ZN7rocprim17ROCPRIM_400000_NS6detail17trampoline_kernelINS0_14default_configENS1_25partition_config_selectorILNS1_17partition_subalgoE9EiibEEZZNS1_14partition_implILS5_9ELb0ES3_jN6thrust23THRUST_200600_302600_NS6detail15normal_iteratorINS9_10device_ptrIiEEEESE_PNS0_10empty_typeENS0_5tupleIJSE_SF_EEENSH_IJSE_SG_EEENS0_18inequality_wrapperINS9_8equal_toIiEEEEPmJSF_EEE10hipError_tPvRmT3_T4_T5_T6_T7_T9_mT8_P12ihipStream_tbDpT10_ENKUlT_T0_E_clISt17integral_constantIbLb0EES17_IbLb1EEEEDaS13_S14_EUlS13_E_NS1_11comp_targetILNS1_3genE4ELNS1_11target_archE910ELNS1_3gpuE8ELNS1_3repE0EEENS1_30default_config_static_selectorELNS0_4arch9wavefront6targetE0EEEvT1_.kd
    .uniform_work_group_size: 1
    .uses_dynamic_stack: false
    .vgpr_count:     0
    .vgpr_spill_count: 0
    .wavefront_size: 32
    .workgroup_processor_mode: 1
  - .args:
      - .offset:         0
        .size:           128
        .value_kind:     by_value
    .group_segment_fixed_size: 0
    .kernarg_segment_align: 8
    .kernarg_segment_size: 128
    .language:       OpenCL C
    .language_version:
      - 2
      - 0
    .max_flat_workgroup_size: 256
    .name:           _ZN7rocprim17ROCPRIM_400000_NS6detail17trampoline_kernelINS0_14default_configENS1_25partition_config_selectorILNS1_17partition_subalgoE9EiibEEZZNS1_14partition_implILS5_9ELb0ES3_jN6thrust23THRUST_200600_302600_NS6detail15normal_iteratorINS9_10device_ptrIiEEEESE_PNS0_10empty_typeENS0_5tupleIJSE_SF_EEENSH_IJSE_SG_EEENS0_18inequality_wrapperINS9_8equal_toIiEEEEPmJSF_EEE10hipError_tPvRmT3_T4_T5_T6_T7_T9_mT8_P12ihipStream_tbDpT10_ENKUlT_T0_E_clISt17integral_constantIbLb0EES17_IbLb1EEEEDaS13_S14_EUlS13_E_NS1_11comp_targetILNS1_3genE3ELNS1_11target_archE908ELNS1_3gpuE7ELNS1_3repE0EEENS1_30default_config_static_selectorELNS0_4arch9wavefront6targetE0EEEvT1_
    .private_segment_fixed_size: 0
    .sgpr_count:     0
    .sgpr_spill_count: 0
    .symbol:         _ZN7rocprim17ROCPRIM_400000_NS6detail17trampoline_kernelINS0_14default_configENS1_25partition_config_selectorILNS1_17partition_subalgoE9EiibEEZZNS1_14partition_implILS5_9ELb0ES3_jN6thrust23THRUST_200600_302600_NS6detail15normal_iteratorINS9_10device_ptrIiEEEESE_PNS0_10empty_typeENS0_5tupleIJSE_SF_EEENSH_IJSE_SG_EEENS0_18inequality_wrapperINS9_8equal_toIiEEEEPmJSF_EEE10hipError_tPvRmT3_T4_T5_T6_T7_T9_mT8_P12ihipStream_tbDpT10_ENKUlT_T0_E_clISt17integral_constantIbLb0EES17_IbLb1EEEEDaS13_S14_EUlS13_E_NS1_11comp_targetILNS1_3genE3ELNS1_11target_archE908ELNS1_3gpuE7ELNS1_3repE0EEENS1_30default_config_static_selectorELNS0_4arch9wavefront6targetE0EEEvT1_.kd
    .uniform_work_group_size: 1
    .uses_dynamic_stack: false
    .vgpr_count:     0
    .vgpr_spill_count: 0
    .wavefront_size: 32
    .workgroup_processor_mode: 1
  - .args:
      - .offset:         0
        .size:           128
        .value_kind:     by_value
    .group_segment_fixed_size: 0
    .kernarg_segment_align: 8
    .kernarg_segment_size: 128
    .language:       OpenCL C
    .language_version:
      - 2
      - 0
    .max_flat_workgroup_size: 256
    .name:           _ZN7rocprim17ROCPRIM_400000_NS6detail17trampoline_kernelINS0_14default_configENS1_25partition_config_selectorILNS1_17partition_subalgoE9EiibEEZZNS1_14partition_implILS5_9ELb0ES3_jN6thrust23THRUST_200600_302600_NS6detail15normal_iteratorINS9_10device_ptrIiEEEESE_PNS0_10empty_typeENS0_5tupleIJSE_SF_EEENSH_IJSE_SG_EEENS0_18inequality_wrapperINS9_8equal_toIiEEEEPmJSF_EEE10hipError_tPvRmT3_T4_T5_T6_T7_T9_mT8_P12ihipStream_tbDpT10_ENKUlT_T0_E_clISt17integral_constantIbLb0EES17_IbLb1EEEEDaS13_S14_EUlS13_E_NS1_11comp_targetILNS1_3genE2ELNS1_11target_archE906ELNS1_3gpuE6ELNS1_3repE0EEENS1_30default_config_static_selectorELNS0_4arch9wavefront6targetE0EEEvT1_
    .private_segment_fixed_size: 0
    .sgpr_count:     0
    .sgpr_spill_count: 0
    .symbol:         _ZN7rocprim17ROCPRIM_400000_NS6detail17trampoline_kernelINS0_14default_configENS1_25partition_config_selectorILNS1_17partition_subalgoE9EiibEEZZNS1_14partition_implILS5_9ELb0ES3_jN6thrust23THRUST_200600_302600_NS6detail15normal_iteratorINS9_10device_ptrIiEEEESE_PNS0_10empty_typeENS0_5tupleIJSE_SF_EEENSH_IJSE_SG_EEENS0_18inequality_wrapperINS9_8equal_toIiEEEEPmJSF_EEE10hipError_tPvRmT3_T4_T5_T6_T7_T9_mT8_P12ihipStream_tbDpT10_ENKUlT_T0_E_clISt17integral_constantIbLb0EES17_IbLb1EEEEDaS13_S14_EUlS13_E_NS1_11comp_targetILNS1_3genE2ELNS1_11target_archE906ELNS1_3gpuE6ELNS1_3repE0EEENS1_30default_config_static_selectorELNS0_4arch9wavefront6targetE0EEEvT1_.kd
    .uniform_work_group_size: 1
    .uses_dynamic_stack: false
    .vgpr_count:     0
    .vgpr_spill_count: 0
    .wavefront_size: 32
    .workgroup_processor_mode: 1
  - .args:
      - .offset:         0
        .size:           128
        .value_kind:     by_value
    .group_segment_fixed_size: 0
    .kernarg_segment_align: 8
    .kernarg_segment_size: 128
    .language:       OpenCL C
    .language_version:
      - 2
      - 0
    .max_flat_workgroup_size: 384
    .name:           _ZN7rocprim17ROCPRIM_400000_NS6detail17trampoline_kernelINS0_14default_configENS1_25partition_config_selectorILNS1_17partition_subalgoE9EiibEEZZNS1_14partition_implILS5_9ELb0ES3_jN6thrust23THRUST_200600_302600_NS6detail15normal_iteratorINS9_10device_ptrIiEEEESE_PNS0_10empty_typeENS0_5tupleIJSE_SF_EEENSH_IJSE_SG_EEENS0_18inequality_wrapperINS9_8equal_toIiEEEEPmJSF_EEE10hipError_tPvRmT3_T4_T5_T6_T7_T9_mT8_P12ihipStream_tbDpT10_ENKUlT_T0_E_clISt17integral_constantIbLb0EES17_IbLb1EEEEDaS13_S14_EUlS13_E_NS1_11comp_targetILNS1_3genE10ELNS1_11target_archE1200ELNS1_3gpuE4ELNS1_3repE0EEENS1_30default_config_static_selectorELNS0_4arch9wavefront6targetE0EEEvT1_
    .private_segment_fixed_size: 0
    .sgpr_count:     0
    .sgpr_spill_count: 0
    .symbol:         _ZN7rocprim17ROCPRIM_400000_NS6detail17trampoline_kernelINS0_14default_configENS1_25partition_config_selectorILNS1_17partition_subalgoE9EiibEEZZNS1_14partition_implILS5_9ELb0ES3_jN6thrust23THRUST_200600_302600_NS6detail15normal_iteratorINS9_10device_ptrIiEEEESE_PNS0_10empty_typeENS0_5tupleIJSE_SF_EEENSH_IJSE_SG_EEENS0_18inequality_wrapperINS9_8equal_toIiEEEEPmJSF_EEE10hipError_tPvRmT3_T4_T5_T6_T7_T9_mT8_P12ihipStream_tbDpT10_ENKUlT_T0_E_clISt17integral_constantIbLb0EES17_IbLb1EEEEDaS13_S14_EUlS13_E_NS1_11comp_targetILNS1_3genE10ELNS1_11target_archE1200ELNS1_3gpuE4ELNS1_3repE0EEENS1_30default_config_static_selectorELNS0_4arch9wavefront6targetE0EEEvT1_.kd
    .uniform_work_group_size: 1
    .uses_dynamic_stack: false
    .vgpr_count:     0
    .vgpr_spill_count: 0
    .wavefront_size: 32
    .workgroup_processor_mode: 1
  - .args:
      - .offset:         0
        .size:           128
        .value_kind:     by_value
    .group_segment_fixed_size: 12680
    .kernarg_segment_align: 8
    .kernarg_segment_size: 128
    .language:       OpenCL C
    .language_version:
      - 2
      - 0
    .max_flat_workgroup_size: 384
    .name:           _ZN7rocprim17ROCPRIM_400000_NS6detail17trampoline_kernelINS0_14default_configENS1_25partition_config_selectorILNS1_17partition_subalgoE9EiibEEZZNS1_14partition_implILS5_9ELb0ES3_jN6thrust23THRUST_200600_302600_NS6detail15normal_iteratorINS9_10device_ptrIiEEEESE_PNS0_10empty_typeENS0_5tupleIJSE_SF_EEENSH_IJSE_SG_EEENS0_18inequality_wrapperINS9_8equal_toIiEEEEPmJSF_EEE10hipError_tPvRmT3_T4_T5_T6_T7_T9_mT8_P12ihipStream_tbDpT10_ENKUlT_T0_E_clISt17integral_constantIbLb0EES17_IbLb1EEEEDaS13_S14_EUlS13_E_NS1_11comp_targetILNS1_3genE9ELNS1_11target_archE1100ELNS1_3gpuE3ELNS1_3repE0EEENS1_30default_config_static_selectorELNS0_4arch9wavefront6targetE0EEEvT1_
    .private_segment_fixed_size: 0
    .sgpr_count:     31
    .sgpr_spill_count: 0
    .symbol:         _ZN7rocprim17ROCPRIM_400000_NS6detail17trampoline_kernelINS0_14default_configENS1_25partition_config_selectorILNS1_17partition_subalgoE9EiibEEZZNS1_14partition_implILS5_9ELb0ES3_jN6thrust23THRUST_200600_302600_NS6detail15normal_iteratorINS9_10device_ptrIiEEEESE_PNS0_10empty_typeENS0_5tupleIJSE_SF_EEENSH_IJSE_SG_EEENS0_18inequality_wrapperINS9_8equal_toIiEEEEPmJSF_EEE10hipError_tPvRmT3_T4_T5_T6_T7_T9_mT8_P12ihipStream_tbDpT10_ENKUlT_T0_E_clISt17integral_constantIbLb0EES17_IbLb1EEEEDaS13_S14_EUlS13_E_NS1_11comp_targetILNS1_3genE9ELNS1_11target_archE1100ELNS1_3gpuE3ELNS1_3repE0EEENS1_30default_config_static_selectorELNS0_4arch9wavefront6targetE0EEEvT1_.kd
    .uniform_work_group_size: 1
    .uses_dynamic_stack: false
    .vgpr_count:     51
    .vgpr_spill_count: 0
    .wavefront_size: 32
    .workgroup_processor_mode: 1
  - .args:
      - .offset:         0
        .size:           128
        .value_kind:     by_value
    .group_segment_fixed_size: 0
    .kernarg_segment_align: 8
    .kernarg_segment_size: 128
    .language:       OpenCL C
    .language_version:
      - 2
      - 0
    .max_flat_workgroup_size: 512
    .name:           _ZN7rocprim17ROCPRIM_400000_NS6detail17trampoline_kernelINS0_14default_configENS1_25partition_config_selectorILNS1_17partition_subalgoE9EiibEEZZNS1_14partition_implILS5_9ELb0ES3_jN6thrust23THRUST_200600_302600_NS6detail15normal_iteratorINS9_10device_ptrIiEEEESE_PNS0_10empty_typeENS0_5tupleIJSE_SF_EEENSH_IJSE_SG_EEENS0_18inequality_wrapperINS9_8equal_toIiEEEEPmJSF_EEE10hipError_tPvRmT3_T4_T5_T6_T7_T9_mT8_P12ihipStream_tbDpT10_ENKUlT_T0_E_clISt17integral_constantIbLb0EES17_IbLb1EEEEDaS13_S14_EUlS13_E_NS1_11comp_targetILNS1_3genE8ELNS1_11target_archE1030ELNS1_3gpuE2ELNS1_3repE0EEENS1_30default_config_static_selectorELNS0_4arch9wavefront6targetE0EEEvT1_
    .private_segment_fixed_size: 0
    .sgpr_count:     0
    .sgpr_spill_count: 0
    .symbol:         _ZN7rocprim17ROCPRIM_400000_NS6detail17trampoline_kernelINS0_14default_configENS1_25partition_config_selectorILNS1_17partition_subalgoE9EiibEEZZNS1_14partition_implILS5_9ELb0ES3_jN6thrust23THRUST_200600_302600_NS6detail15normal_iteratorINS9_10device_ptrIiEEEESE_PNS0_10empty_typeENS0_5tupleIJSE_SF_EEENSH_IJSE_SG_EEENS0_18inequality_wrapperINS9_8equal_toIiEEEEPmJSF_EEE10hipError_tPvRmT3_T4_T5_T6_T7_T9_mT8_P12ihipStream_tbDpT10_ENKUlT_T0_E_clISt17integral_constantIbLb0EES17_IbLb1EEEEDaS13_S14_EUlS13_E_NS1_11comp_targetILNS1_3genE8ELNS1_11target_archE1030ELNS1_3gpuE2ELNS1_3repE0EEENS1_30default_config_static_selectorELNS0_4arch9wavefront6targetE0EEEvT1_.kd
    .uniform_work_group_size: 1
    .uses_dynamic_stack: false
    .vgpr_count:     0
    .vgpr_spill_count: 0
    .wavefront_size: 32
    .workgroup_processor_mode: 1
  - .args:
      - .offset:         0
        .size:           112
        .value_kind:     by_value
    .group_segment_fixed_size: 0
    .kernarg_segment_align: 8
    .kernarg_segment_size: 112
    .language:       OpenCL C
    .language_version:
      - 2
      - 0
    .max_flat_workgroup_size: 256
    .name:           _ZN7rocprim17ROCPRIM_400000_NS6detail17trampoline_kernelINS0_14default_configENS1_25partition_config_selectorILNS1_17partition_subalgoE9EiibEEZZNS1_14partition_implILS5_9ELb0ES3_jN6thrust23THRUST_200600_302600_NS6detail15normal_iteratorINS9_10device_ptrIiEEEESE_PNS0_10empty_typeENS0_5tupleIJSE_SF_EEENSH_IJSE_SG_EEENS0_18inequality_wrapperI22is_equal_div_10_uniqueIiEEEPmJSF_EEE10hipError_tPvRmT3_T4_T5_T6_T7_T9_mT8_P12ihipStream_tbDpT10_ENKUlT_T0_E_clISt17integral_constantIbLb0EES18_EEDaS13_S14_EUlS13_E_NS1_11comp_targetILNS1_3genE0ELNS1_11target_archE4294967295ELNS1_3gpuE0ELNS1_3repE0EEENS1_30default_config_static_selectorELNS0_4arch9wavefront6targetE0EEEvT1_
    .private_segment_fixed_size: 0
    .sgpr_count:     0
    .sgpr_spill_count: 0
    .symbol:         _ZN7rocprim17ROCPRIM_400000_NS6detail17trampoline_kernelINS0_14default_configENS1_25partition_config_selectorILNS1_17partition_subalgoE9EiibEEZZNS1_14partition_implILS5_9ELb0ES3_jN6thrust23THRUST_200600_302600_NS6detail15normal_iteratorINS9_10device_ptrIiEEEESE_PNS0_10empty_typeENS0_5tupleIJSE_SF_EEENSH_IJSE_SG_EEENS0_18inequality_wrapperI22is_equal_div_10_uniqueIiEEEPmJSF_EEE10hipError_tPvRmT3_T4_T5_T6_T7_T9_mT8_P12ihipStream_tbDpT10_ENKUlT_T0_E_clISt17integral_constantIbLb0EES18_EEDaS13_S14_EUlS13_E_NS1_11comp_targetILNS1_3genE0ELNS1_11target_archE4294967295ELNS1_3gpuE0ELNS1_3repE0EEENS1_30default_config_static_selectorELNS0_4arch9wavefront6targetE0EEEvT1_.kd
    .uniform_work_group_size: 1
    .uses_dynamic_stack: false
    .vgpr_count:     0
    .vgpr_spill_count: 0
    .wavefront_size: 32
    .workgroup_processor_mode: 1
  - .args:
      - .offset:         0
        .size:           112
        .value_kind:     by_value
    .group_segment_fixed_size: 0
    .kernarg_segment_align: 8
    .kernarg_segment_size: 112
    .language:       OpenCL C
    .language_version:
      - 2
      - 0
    .max_flat_workgroup_size: 512
    .name:           _ZN7rocprim17ROCPRIM_400000_NS6detail17trampoline_kernelINS0_14default_configENS1_25partition_config_selectorILNS1_17partition_subalgoE9EiibEEZZNS1_14partition_implILS5_9ELb0ES3_jN6thrust23THRUST_200600_302600_NS6detail15normal_iteratorINS9_10device_ptrIiEEEESE_PNS0_10empty_typeENS0_5tupleIJSE_SF_EEENSH_IJSE_SG_EEENS0_18inequality_wrapperI22is_equal_div_10_uniqueIiEEEPmJSF_EEE10hipError_tPvRmT3_T4_T5_T6_T7_T9_mT8_P12ihipStream_tbDpT10_ENKUlT_T0_E_clISt17integral_constantIbLb0EES18_EEDaS13_S14_EUlS13_E_NS1_11comp_targetILNS1_3genE5ELNS1_11target_archE942ELNS1_3gpuE9ELNS1_3repE0EEENS1_30default_config_static_selectorELNS0_4arch9wavefront6targetE0EEEvT1_
    .private_segment_fixed_size: 0
    .sgpr_count:     0
    .sgpr_spill_count: 0
    .symbol:         _ZN7rocprim17ROCPRIM_400000_NS6detail17trampoline_kernelINS0_14default_configENS1_25partition_config_selectorILNS1_17partition_subalgoE9EiibEEZZNS1_14partition_implILS5_9ELb0ES3_jN6thrust23THRUST_200600_302600_NS6detail15normal_iteratorINS9_10device_ptrIiEEEESE_PNS0_10empty_typeENS0_5tupleIJSE_SF_EEENSH_IJSE_SG_EEENS0_18inequality_wrapperI22is_equal_div_10_uniqueIiEEEPmJSF_EEE10hipError_tPvRmT3_T4_T5_T6_T7_T9_mT8_P12ihipStream_tbDpT10_ENKUlT_T0_E_clISt17integral_constantIbLb0EES18_EEDaS13_S14_EUlS13_E_NS1_11comp_targetILNS1_3genE5ELNS1_11target_archE942ELNS1_3gpuE9ELNS1_3repE0EEENS1_30default_config_static_selectorELNS0_4arch9wavefront6targetE0EEEvT1_.kd
    .uniform_work_group_size: 1
    .uses_dynamic_stack: false
    .vgpr_count:     0
    .vgpr_spill_count: 0
    .wavefront_size: 32
    .workgroup_processor_mode: 1
  - .args:
      - .offset:         0
        .size:           112
        .value_kind:     by_value
    .group_segment_fixed_size: 0
    .kernarg_segment_align: 8
    .kernarg_segment_size: 112
    .language:       OpenCL C
    .language_version:
      - 2
      - 0
    .max_flat_workgroup_size: 192
    .name:           _ZN7rocprim17ROCPRIM_400000_NS6detail17trampoline_kernelINS0_14default_configENS1_25partition_config_selectorILNS1_17partition_subalgoE9EiibEEZZNS1_14partition_implILS5_9ELb0ES3_jN6thrust23THRUST_200600_302600_NS6detail15normal_iteratorINS9_10device_ptrIiEEEESE_PNS0_10empty_typeENS0_5tupleIJSE_SF_EEENSH_IJSE_SG_EEENS0_18inequality_wrapperI22is_equal_div_10_uniqueIiEEEPmJSF_EEE10hipError_tPvRmT3_T4_T5_T6_T7_T9_mT8_P12ihipStream_tbDpT10_ENKUlT_T0_E_clISt17integral_constantIbLb0EES18_EEDaS13_S14_EUlS13_E_NS1_11comp_targetILNS1_3genE4ELNS1_11target_archE910ELNS1_3gpuE8ELNS1_3repE0EEENS1_30default_config_static_selectorELNS0_4arch9wavefront6targetE0EEEvT1_
    .private_segment_fixed_size: 0
    .sgpr_count:     0
    .sgpr_spill_count: 0
    .symbol:         _ZN7rocprim17ROCPRIM_400000_NS6detail17trampoline_kernelINS0_14default_configENS1_25partition_config_selectorILNS1_17partition_subalgoE9EiibEEZZNS1_14partition_implILS5_9ELb0ES3_jN6thrust23THRUST_200600_302600_NS6detail15normal_iteratorINS9_10device_ptrIiEEEESE_PNS0_10empty_typeENS0_5tupleIJSE_SF_EEENSH_IJSE_SG_EEENS0_18inequality_wrapperI22is_equal_div_10_uniqueIiEEEPmJSF_EEE10hipError_tPvRmT3_T4_T5_T6_T7_T9_mT8_P12ihipStream_tbDpT10_ENKUlT_T0_E_clISt17integral_constantIbLb0EES18_EEDaS13_S14_EUlS13_E_NS1_11comp_targetILNS1_3genE4ELNS1_11target_archE910ELNS1_3gpuE8ELNS1_3repE0EEENS1_30default_config_static_selectorELNS0_4arch9wavefront6targetE0EEEvT1_.kd
    .uniform_work_group_size: 1
    .uses_dynamic_stack: false
    .vgpr_count:     0
    .vgpr_spill_count: 0
    .wavefront_size: 32
    .workgroup_processor_mode: 1
  - .args:
      - .offset:         0
        .size:           112
        .value_kind:     by_value
    .group_segment_fixed_size: 0
    .kernarg_segment_align: 8
    .kernarg_segment_size: 112
    .language:       OpenCL C
    .language_version:
      - 2
      - 0
    .max_flat_workgroup_size: 256
    .name:           _ZN7rocprim17ROCPRIM_400000_NS6detail17trampoline_kernelINS0_14default_configENS1_25partition_config_selectorILNS1_17partition_subalgoE9EiibEEZZNS1_14partition_implILS5_9ELb0ES3_jN6thrust23THRUST_200600_302600_NS6detail15normal_iteratorINS9_10device_ptrIiEEEESE_PNS0_10empty_typeENS0_5tupleIJSE_SF_EEENSH_IJSE_SG_EEENS0_18inequality_wrapperI22is_equal_div_10_uniqueIiEEEPmJSF_EEE10hipError_tPvRmT3_T4_T5_T6_T7_T9_mT8_P12ihipStream_tbDpT10_ENKUlT_T0_E_clISt17integral_constantIbLb0EES18_EEDaS13_S14_EUlS13_E_NS1_11comp_targetILNS1_3genE3ELNS1_11target_archE908ELNS1_3gpuE7ELNS1_3repE0EEENS1_30default_config_static_selectorELNS0_4arch9wavefront6targetE0EEEvT1_
    .private_segment_fixed_size: 0
    .sgpr_count:     0
    .sgpr_spill_count: 0
    .symbol:         _ZN7rocprim17ROCPRIM_400000_NS6detail17trampoline_kernelINS0_14default_configENS1_25partition_config_selectorILNS1_17partition_subalgoE9EiibEEZZNS1_14partition_implILS5_9ELb0ES3_jN6thrust23THRUST_200600_302600_NS6detail15normal_iteratorINS9_10device_ptrIiEEEESE_PNS0_10empty_typeENS0_5tupleIJSE_SF_EEENSH_IJSE_SG_EEENS0_18inequality_wrapperI22is_equal_div_10_uniqueIiEEEPmJSF_EEE10hipError_tPvRmT3_T4_T5_T6_T7_T9_mT8_P12ihipStream_tbDpT10_ENKUlT_T0_E_clISt17integral_constantIbLb0EES18_EEDaS13_S14_EUlS13_E_NS1_11comp_targetILNS1_3genE3ELNS1_11target_archE908ELNS1_3gpuE7ELNS1_3repE0EEENS1_30default_config_static_selectorELNS0_4arch9wavefront6targetE0EEEvT1_.kd
    .uniform_work_group_size: 1
    .uses_dynamic_stack: false
    .vgpr_count:     0
    .vgpr_spill_count: 0
    .wavefront_size: 32
    .workgroup_processor_mode: 1
  - .args:
      - .offset:         0
        .size:           112
        .value_kind:     by_value
    .group_segment_fixed_size: 0
    .kernarg_segment_align: 8
    .kernarg_segment_size: 112
    .language:       OpenCL C
    .language_version:
      - 2
      - 0
    .max_flat_workgroup_size: 256
    .name:           _ZN7rocprim17ROCPRIM_400000_NS6detail17trampoline_kernelINS0_14default_configENS1_25partition_config_selectorILNS1_17partition_subalgoE9EiibEEZZNS1_14partition_implILS5_9ELb0ES3_jN6thrust23THRUST_200600_302600_NS6detail15normal_iteratorINS9_10device_ptrIiEEEESE_PNS0_10empty_typeENS0_5tupleIJSE_SF_EEENSH_IJSE_SG_EEENS0_18inequality_wrapperI22is_equal_div_10_uniqueIiEEEPmJSF_EEE10hipError_tPvRmT3_T4_T5_T6_T7_T9_mT8_P12ihipStream_tbDpT10_ENKUlT_T0_E_clISt17integral_constantIbLb0EES18_EEDaS13_S14_EUlS13_E_NS1_11comp_targetILNS1_3genE2ELNS1_11target_archE906ELNS1_3gpuE6ELNS1_3repE0EEENS1_30default_config_static_selectorELNS0_4arch9wavefront6targetE0EEEvT1_
    .private_segment_fixed_size: 0
    .sgpr_count:     0
    .sgpr_spill_count: 0
    .symbol:         _ZN7rocprim17ROCPRIM_400000_NS6detail17trampoline_kernelINS0_14default_configENS1_25partition_config_selectorILNS1_17partition_subalgoE9EiibEEZZNS1_14partition_implILS5_9ELb0ES3_jN6thrust23THRUST_200600_302600_NS6detail15normal_iteratorINS9_10device_ptrIiEEEESE_PNS0_10empty_typeENS0_5tupleIJSE_SF_EEENSH_IJSE_SG_EEENS0_18inequality_wrapperI22is_equal_div_10_uniqueIiEEEPmJSF_EEE10hipError_tPvRmT3_T4_T5_T6_T7_T9_mT8_P12ihipStream_tbDpT10_ENKUlT_T0_E_clISt17integral_constantIbLb0EES18_EEDaS13_S14_EUlS13_E_NS1_11comp_targetILNS1_3genE2ELNS1_11target_archE906ELNS1_3gpuE6ELNS1_3repE0EEENS1_30default_config_static_selectorELNS0_4arch9wavefront6targetE0EEEvT1_.kd
    .uniform_work_group_size: 1
    .uses_dynamic_stack: false
    .vgpr_count:     0
    .vgpr_spill_count: 0
    .wavefront_size: 32
    .workgroup_processor_mode: 1
  - .args:
      - .offset:         0
        .size:           112
        .value_kind:     by_value
    .group_segment_fixed_size: 0
    .kernarg_segment_align: 8
    .kernarg_segment_size: 112
    .language:       OpenCL C
    .language_version:
      - 2
      - 0
    .max_flat_workgroup_size: 384
    .name:           _ZN7rocprim17ROCPRIM_400000_NS6detail17trampoline_kernelINS0_14default_configENS1_25partition_config_selectorILNS1_17partition_subalgoE9EiibEEZZNS1_14partition_implILS5_9ELb0ES3_jN6thrust23THRUST_200600_302600_NS6detail15normal_iteratorINS9_10device_ptrIiEEEESE_PNS0_10empty_typeENS0_5tupleIJSE_SF_EEENSH_IJSE_SG_EEENS0_18inequality_wrapperI22is_equal_div_10_uniqueIiEEEPmJSF_EEE10hipError_tPvRmT3_T4_T5_T6_T7_T9_mT8_P12ihipStream_tbDpT10_ENKUlT_T0_E_clISt17integral_constantIbLb0EES18_EEDaS13_S14_EUlS13_E_NS1_11comp_targetILNS1_3genE10ELNS1_11target_archE1200ELNS1_3gpuE4ELNS1_3repE0EEENS1_30default_config_static_selectorELNS0_4arch9wavefront6targetE0EEEvT1_
    .private_segment_fixed_size: 0
    .sgpr_count:     0
    .sgpr_spill_count: 0
    .symbol:         _ZN7rocprim17ROCPRIM_400000_NS6detail17trampoline_kernelINS0_14default_configENS1_25partition_config_selectorILNS1_17partition_subalgoE9EiibEEZZNS1_14partition_implILS5_9ELb0ES3_jN6thrust23THRUST_200600_302600_NS6detail15normal_iteratorINS9_10device_ptrIiEEEESE_PNS0_10empty_typeENS0_5tupleIJSE_SF_EEENSH_IJSE_SG_EEENS0_18inequality_wrapperI22is_equal_div_10_uniqueIiEEEPmJSF_EEE10hipError_tPvRmT3_T4_T5_T6_T7_T9_mT8_P12ihipStream_tbDpT10_ENKUlT_T0_E_clISt17integral_constantIbLb0EES18_EEDaS13_S14_EUlS13_E_NS1_11comp_targetILNS1_3genE10ELNS1_11target_archE1200ELNS1_3gpuE4ELNS1_3repE0EEENS1_30default_config_static_selectorELNS0_4arch9wavefront6targetE0EEEvT1_.kd
    .uniform_work_group_size: 1
    .uses_dynamic_stack: false
    .vgpr_count:     0
    .vgpr_spill_count: 0
    .wavefront_size: 32
    .workgroup_processor_mode: 1
  - .args:
      - .offset:         0
        .size:           112
        .value_kind:     by_value
    .group_segment_fixed_size: 12680
    .kernarg_segment_align: 8
    .kernarg_segment_size: 112
    .language:       OpenCL C
    .language_version:
      - 2
      - 0
    .max_flat_workgroup_size: 384
    .name:           _ZN7rocprim17ROCPRIM_400000_NS6detail17trampoline_kernelINS0_14default_configENS1_25partition_config_selectorILNS1_17partition_subalgoE9EiibEEZZNS1_14partition_implILS5_9ELb0ES3_jN6thrust23THRUST_200600_302600_NS6detail15normal_iteratorINS9_10device_ptrIiEEEESE_PNS0_10empty_typeENS0_5tupleIJSE_SF_EEENSH_IJSE_SG_EEENS0_18inequality_wrapperI22is_equal_div_10_uniqueIiEEEPmJSF_EEE10hipError_tPvRmT3_T4_T5_T6_T7_T9_mT8_P12ihipStream_tbDpT10_ENKUlT_T0_E_clISt17integral_constantIbLb0EES18_EEDaS13_S14_EUlS13_E_NS1_11comp_targetILNS1_3genE9ELNS1_11target_archE1100ELNS1_3gpuE3ELNS1_3repE0EEENS1_30default_config_static_selectorELNS0_4arch9wavefront6targetE0EEEvT1_
    .private_segment_fixed_size: 0
    .sgpr_count:     27
    .sgpr_spill_count: 0
    .symbol:         _ZN7rocprim17ROCPRIM_400000_NS6detail17trampoline_kernelINS0_14default_configENS1_25partition_config_selectorILNS1_17partition_subalgoE9EiibEEZZNS1_14partition_implILS5_9ELb0ES3_jN6thrust23THRUST_200600_302600_NS6detail15normal_iteratorINS9_10device_ptrIiEEEESE_PNS0_10empty_typeENS0_5tupleIJSE_SF_EEENSH_IJSE_SG_EEENS0_18inequality_wrapperI22is_equal_div_10_uniqueIiEEEPmJSF_EEE10hipError_tPvRmT3_T4_T5_T6_T7_T9_mT8_P12ihipStream_tbDpT10_ENKUlT_T0_E_clISt17integral_constantIbLb0EES18_EEDaS13_S14_EUlS13_E_NS1_11comp_targetILNS1_3genE9ELNS1_11target_archE1100ELNS1_3gpuE3ELNS1_3repE0EEENS1_30default_config_static_selectorELNS0_4arch9wavefront6targetE0EEEvT1_.kd
    .uniform_work_group_size: 1
    .uses_dynamic_stack: false
    .vgpr_count:     51
    .vgpr_spill_count: 0
    .wavefront_size: 32
    .workgroup_processor_mode: 1
  - .args:
      - .offset:         0
        .size:           112
        .value_kind:     by_value
    .group_segment_fixed_size: 0
    .kernarg_segment_align: 8
    .kernarg_segment_size: 112
    .language:       OpenCL C
    .language_version:
      - 2
      - 0
    .max_flat_workgroup_size: 512
    .name:           _ZN7rocprim17ROCPRIM_400000_NS6detail17trampoline_kernelINS0_14default_configENS1_25partition_config_selectorILNS1_17partition_subalgoE9EiibEEZZNS1_14partition_implILS5_9ELb0ES3_jN6thrust23THRUST_200600_302600_NS6detail15normal_iteratorINS9_10device_ptrIiEEEESE_PNS0_10empty_typeENS0_5tupleIJSE_SF_EEENSH_IJSE_SG_EEENS0_18inequality_wrapperI22is_equal_div_10_uniqueIiEEEPmJSF_EEE10hipError_tPvRmT3_T4_T5_T6_T7_T9_mT8_P12ihipStream_tbDpT10_ENKUlT_T0_E_clISt17integral_constantIbLb0EES18_EEDaS13_S14_EUlS13_E_NS1_11comp_targetILNS1_3genE8ELNS1_11target_archE1030ELNS1_3gpuE2ELNS1_3repE0EEENS1_30default_config_static_selectorELNS0_4arch9wavefront6targetE0EEEvT1_
    .private_segment_fixed_size: 0
    .sgpr_count:     0
    .sgpr_spill_count: 0
    .symbol:         _ZN7rocprim17ROCPRIM_400000_NS6detail17trampoline_kernelINS0_14default_configENS1_25partition_config_selectorILNS1_17partition_subalgoE9EiibEEZZNS1_14partition_implILS5_9ELb0ES3_jN6thrust23THRUST_200600_302600_NS6detail15normal_iteratorINS9_10device_ptrIiEEEESE_PNS0_10empty_typeENS0_5tupleIJSE_SF_EEENSH_IJSE_SG_EEENS0_18inequality_wrapperI22is_equal_div_10_uniqueIiEEEPmJSF_EEE10hipError_tPvRmT3_T4_T5_T6_T7_T9_mT8_P12ihipStream_tbDpT10_ENKUlT_T0_E_clISt17integral_constantIbLb0EES18_EEDaS13_S14_EUlS13_E_NS1_11comp_targetILNS1_3genE8ELNS1_11target_archE1030ELNS1_3gpuE2ELNS1_3repE0EEENS1_30default_config_static_selectorELNS0_4arch9wavefront6targetE0EEEvT1_.kd
    .uniform_work_group_size: 1
    .uses_dynamic_stack: false
    .vgpr_count:     0
    .vgpr_spill_count: 0
    .wavefront_size: 32
    .workgroup_processor_mode: 1
  - .args:
      - .offset:         0
        .size:           128
        .value_kind:     by_value
    .group_segment_fixed_size: 0
    .kernarg_segment_align: 8
    .kernarg_segment_size: 128
    .language:       OpenCL C
    .language_version:
      - 2
      - 0
    .max_flat_workgroup_size: 256
    .name:           _ZN7rocprim17ROCPRIM_400000_NS6detail17trampoline_kernelINS0_14default_configENS1_25partition_config_selectorILNS1_17partition_subalgoE9EiibEEZZNS1_14partition_implILS5_9ELb0ES3_jN6thrust23THRUST_200600_302600_NS6detail15normal_iteratorINS9_10device_ptrIiEEEESE_PNS0_10empty_typeENS0_5tupleIJSE_SF_EEENSH_IJSE_SG_EEENS0_18inequality_wrapperI22is_equal_div_10_uniqueIiEEEPmJSF_EEE10hipError_tPvRmT3_T4_T5_T6_T7_T9_mT8_P12ihipStream_tbDpT10_ENKUlT_T0_E_clISt17integral_constantIbLb1EES18_EEDaS13_S14_EUlS13_E_NS1_11comp_targetILNS1_3genE0ELNS1_11target_archE4294967295ELNS1_3gpuE0ELNS1_3repE0EEENS1_30default_config_static_selectorELNS0_4arch9wavefront6targetE0EEEvT1_
    .private_segment_fixed_size: 0
    .sgpr_count:     0
    .sgpr_spill_count: 0
    .symbol:         _ZN7rocprim17ROCPRIM_400000_NS6detail17trampoline_kernelINS0_14default_configENS1_25partition_config_selectorILNS1_17partition_subalgoE9EiibEEZZNS1_14partition_implILS5_9ELb0ES3_jN6thrust23THRUST_200600_302600_NS6detail15normal_iteratorINS9_10device_ptrIiEEEESE_PNS0_10empty_typeENS0_5tupleIJSE_SF_EEENSH_IJSE_SG_EEENS0_18inequality_wrapperI22is_equal_div_10_uniqueIiEEEPmJSF_EEE10hipError_tPvRmT3_T4_T5_T6_T7_T9_mT8_P12ihipStream_tbDpT10_ENKUlT_T0_E_clISt17integral_constantIbLb1EES18_EEDaS13_S14_EUlS13_E_NS1_11comp_targetILNS1_3genE0ELNS1_11target_archE4294967295ELNS1_3gpuE0ELNS1_3repE0EEENS1_30default_config_static_selectorELNS0_4arch9wavefront6targetE0EEEvT1_.kd
    .uniform_work_group_size: 1
    .uses_dynamic_stack: false
    .vgpr_count:     0
    .vgpr_spill_count: 0
    .wavefront_size: 32
    .workgroup_processor_mode: 1
  - .args:
      - .offset:         0
        .size:           128
        .value_kind:     by_value
    .group_segment_fixed_size: 0
    .kernarg_segment_align: 8
    .kernarg_segment_size: 128
    .language:       OpenCL C
    .language_version:
      - 2
      - 0
    .max_flat_workgroup_size: 512
    .name:           _ZN7rocprim17ROCPRIM_400000_NS6detail17trampoline_kernelINS0_14default_configENS1_25partition_config_selectorILNS1_17partition_subalgoE9EiibEEZZNS1_14partition_implILS5_9ELb0ES3_jN6thrust23THRUST_200600_302600_NS6detail15normal_iteratorINS9_10device_ptrIiEEEESE_PNS0_10empty_typeENS0_5tupleIJSE_SF_EEENSH_IJSE_SG_EEENS0_18inequality_wrapperI22is_equal_div_10_uniqueIiEEEPmJSF_EEE10hipError_tPvRmT3_T4_T5_T6_T7_T9_mT8_P12ihipStream_tbDpT10_ENKUlT_T0_E_clISt17integral_constantIbLb1EES18_EEDaS13_S14_EUlS13_E_NS1_11comp_targetILNS1_3genE5ELNS1_11target_archE942ELNS1_3gpuE9ELNS1_3repE0EEENS1_30default_config_static_selectorELNS0_4arch9wavefront6targetE0EEEvT1_
    .private_segment_fixed_size: 0
    .sgpr_count:     0
    .sgpr_spill_count: 0
    .symbol:         _ZN7rocprim17ROCPRIM_400000_NS6detail17trampoline_kernelINS0_14default_configENS1_25partition_config_selectorILNS1_17partition_subalgoE9EiibEEZZNS1_14partition_implILS5_9ELb0ES3_jN6thrust23THRUST_200600_302600_NS6detail15normal_iteratorINS9_10device_ptrIiEEEESE_PNS0_10empty_typeENS0_5tupleIJSE_SF_EEENSH_IJSE_SG_EEENS0_18inequality_wrapperI22is_equal_div_10_uniqueIiEEEPmJSF_EEE10hipError_tPvRmT3_T4_T5_T6_T7_T9_mT8_P12ihipStream_tbDpT10_ENKUlT_T0_E_clISt17integral_constantIbLb1EES18_EEDaS13_S14_EUlS13_E_NS1_11comp_targetILNS1_3genE5ELNS1_11target_archE942ELNS1_3gpuE9ELNS1_3repE0EEENS1_30default_config_static_selectorELNS0_4arch9wavefront6targetE0EEEvT1_.kd
    .uniform_work_group_size: 1
    .uses_dynamic_stack: false
    .vgpr_count:     0
    .vgpr_spill_count: 0
    .wavefront_size: 32
    .workgroup_processor_mode: 1
  - .args:
      - .offset:         0
        .size:           128
        .value_kind:     by_value
    .group_segment_fixed_size: 0
    .kernarg_segment_align: 8
    .kernarg_segment_size: 128
    .language:       OpenCL C
    .language_version:
      - 2
      - 0
    .max_flat_workgroup_size: 192
    .name:           _ZN7rocprim17ROCPRIM_400000_NS6detail17trampoline_kernelINS0_14default_configENS1_25partition_config_selectorILNS1_17partition_subalgoE9EiibEEZZNS1_14partition_implILS5_9ELb0ES3_jN6thrust23THRUST_200600_302600_NS6detail15normal_iteratorINS9_10device_ptrIiEEEESE_PNS0_10empty_typeENS0_5tupleIJSE_SF_EEENSH_IJSE_SG_EEENS0_18inequality_wrapperI22is_equal_div_10_uniqueIiEEEPmJSF_EEE10hipError_tPvRmT3_T4_T5_T6_T7_T9_mT8_P12ihipStream_tbDpT10_ENKUlT_T0_E_clISt17integral_constantIbLb1EES18_EEDaS13_S14_EUlS13_E_NS1_11comp_targetILNS1_3genE4ELNS1_11target_archE910ELNS1_3gpuE8ELNS1_3repE0EEENS1_30default_config_static_selectorELNS0_4arch9wavefront6targetE0EEEvT1_
    .private_segment_fixed_size: 0
    .sgpr_count:     0
    .sgpr_spill_count: 0
    .symbol:         _ZN7rocprim17ROCPRIM_400000_NS6detail17trampoline_kernelINS0_14default_configENS1_25partition_config_selectorILNS1_17partition_subalgoE9EiibEEZZNS1_14partition_implILS5_9ELb0ES3_jN6thrust23THRUST_200600_302600_NS6detail15normal_iteratorINS9_10device_ptrIiEEEESE_PNS0_10empty_typeENS0_5tupleIJSE_SF_EEENSH_IJSE_SG_EEENS0_18inequality_wrapperI22is_equal_div_10_uniqueIiEEEPmJSF_EEE10hipError_tPvRmT3_T4_T5_T6_T7_T9_mT8_P12ihipStream_tbDpT10_ENKUlT_T0_E_clISt17integral_constantIbLb1EES18_EEDaS13_S14_EUlS13_E_NS1_11comp_targetILNS1_3genE4ELNS1_11target_archE910ELNS1_3gpuE8ELNS1_3repE0EEENS1_30default_config_static_selectorELNS0_4arch9wavefront6targetE0EEEvT1_.kd
    .uniform_work_group_size: 1
    .uses_dynamic_stack: false
    .vgpr_count:     0
    .vgpr_spill_count: 0
    .wavefront_size: 32
    .workgroup_processor_mode: 1
  - .args:
      - .offset:         0
        .size:           128
        .value_kind:     by_value
    .group_segment_fixed_size: 0
    .kernarg_segment_align: 8
    .kernarg_segment_size: 128
    .language:       OpenCL C
    .language_version:
      - 2
      - 0
    .max_flat_workgroup_size: 256
    .name:           _ZN7rocprim17ROCPRIM_400000_NS6detail17trampoline_kernelINS0_14default_configENS1_25partition_config_selectorILNS1_17partition_subalgoE9EiibEEZZNS1_14partition_implILS5_9ELb0ES3_jN6thrust23THRUST_200600_302600_NS6detail15normal_iteratorINS9_10device_ptrIiEEEESE_PNS0_10empty_typeENS0_5tupleIJSE_SF_EEENSH_IJSE_SG_EEENS0_18inequality_wrapperI22is_equal_div_10_uniqueIiEEEPmJSF_EEE10hipError_tPvRmT3_T4_T5_T6_T7_T9_mT8_P12ihipStream_tbDpT10_ENKUlT_T0_E_clISt17integral_constantIbLb1EES18_EEDaS13_S14_EUlS13_E_NS1_11comp_targetILNS1_3genE3ELNS1_11target_archE908ELNS1_3gpuE7ELNS1_3repE0EEENS1_30default_config_static_selectorELNS0_4arch9wavefront6targetE0EEEvT1_
    .private_segment_fixed_size: 0
    .sgpr_count:     0
    .sgpr_spill_count: 0
    .symbol:         _ZN7rocprim17ROCPRIM_400000_NS6detail17trampoline_kernelINS0_14default_configENS1_25partition_config_selectorILNS1_17partition_subalgoE9EiibEEZZNS1_14partition_implILS5_9ELb0ES3_jN6thrust23THRUST_200600_302600_NS6detail15normal_iteratorINS9_10device_ptrIiEEEESE_PNS0_10empty_typeENS0_5tupleIJSE_SF_EEENSH_IJSE_SG_EEENS0_18inequality_wrapperI22is_equal_div_10_uniqueIiEEEPmJSF_EEE10hipError_tPvRmT3_T4_T5_T6_T7_T9_mT8_P12ihipStream_tbDpT10_ENKUlT_T0_E_clISt17integral_constantIbLb1EES18_EEDaS13_S14_EUlS13_E_NS1_11comp_targetILNS1_3genE3ELNS1_11target_archE908ELNS1_3gpuE7ELNS1_3repE0EEENS1_30default_config_static_selectorELNS0_4arch9wavefront6targetE0EEEvT1_.kd
    .uniform_work_group_size: 1
    .uses_dynamic_stack: false
    .vgpr_count:     0
    .vgpr_spill_count: 0
    .wavefront_size: 32
    .workgroup_processor_mode: 1
  - .args:
      - .offset:         0
        .size:           128
        .value_kind:     by_value
    .group_segment_fixed_size: 0
    .kernarg_segment_align: 8
    .kernarg_segment_size: 128
    .language:       OpenCL C
    .language_version:
      - 2
      - 0
    .max_flat_workgroup_size: 256
    .name:           _ZN7rocprim17ROCPRIM_400000_NS6detail17trampoline_kernelINS0_14default_configENS1_25partition_config_selectorILNS1_17partition_subalgoE9EiibEEZZNS1_14partition_implILS5_9ELb0ES3_jN6thrust23THRUST_200600_302600_NS6detail15normal_iteratorINS9_10device_ptrIiEEEESE_PNS0_10empty_typeENS0_5tupleIJSE_SF_EEENSH_IJSE_SG_EEENS0_18inequality_wrapperI22is_equal_div_10_uniqueIiEEEPmJSF_EEE10hipError_tPvRmT3_T4_T5_T6_T7_T9_mT8_P12ihipStream_tbDpT10_ENKUlT_T0_E_clISt17integral_constantIbLb1EES18_EEDaS13_S14_EUlS13_E_NS1_11comp_targetILNS1_3genE2ELNS1_11target_archE906ELNS1_3gpuE6ELNS1_3repE0EEENS1_30default_config_static_selectorELNS0_4arch9wavefront6targetE0EEEvT1_
    .private_segment_fixed_size: 0
    .sgpr_count:     0
    .sgpr_spill_count: 0
    .symbol:         _ZN7rocprim17ROCPRIM_400000_NS6detail17trampoline_kernelINS0_14default_configENS1_25partition_config_selectorILNS1_17partition_subalgoE9EiibEEZZNS1_14partition_implILS5_9ELb0ES3_jN6thrust23THRUST_200600_302600_NS6detail15normal_iteratorINS9_10device_ptrIiEEEESE_PNS0_10empty_typeENS0_5tupleIJSE_SF_EEENSH_IJSE_SG_EEENS0_18inequality_wrapperI22is_equal_div_10_uniqueIiEEEPmJSF_EEE10hipError_tPvRmT3_T4_T5_T6_T7_T9_mT8_P12ihipStream_tbDpT10_ENKUlT_T0_E_clISt17integral_constantIbLb1EES18_EEDaS13_S14_EUlS13_E_NS1_11comp_targetILNS1_3genE2ELNS1_11target_archE906ELNS1_3gpuE6ELNS1_3repE0EEENS1_30default_config_static_selectorELNS0_4arch9wavefront6targetE0EEEvT1_.kd
    .uniform_work_group_size: 1
    .uses_dynamic_stack: false
    .vgpr_count:     0
    .vgpr_spill_count: 0
    .wavefront_size: 32
    .workgroup_processor_mode: 1
  - .args:
      - .offset:         0
        .size:           128
        .value_kind:     by_value
    .group_segment_fixed_size: 0
    .kernarg_segment_align: 8
    .kernarg_segment_size: 128
    .language:       OpenCL C
    .language_version:
      - 2
      - 0
    .max_flat_workgroup_size: 384
    .name:           _ZN7rocprim17ROCPRIM_400000_NS6detail17trampoline_kernelINS0_14default_configENS1_25partition_config_selectorILNS1_17partition_subalgoE9EiibEEZZNS1_14partition_implILS5_9ELb0ES3_jN6thrust23THRUST_200600_302600_NS6detail15normal_iteratorINS9_10device_ptrIiEEEESE_PNS0_10empty_typeENS0_5tupleIJSE_SF_EEENSH_IJSE_SG_EEENS0_18inequality_wrapperI22is_equal_div_10_uniqueIiEEEPmJSF_EEE10hipError_tPvRmT3_T4_T5_T6_T7_T9_mT8_P12ihipStream_tbDpT10_ENKUlT_T0_E_clISt17integral_constantIbLb1EES18_EEDaS13_S14_EUlS13_E_NS1_11comp_targetILNS1_3genE10ELNS1_11target_archE1200ELNS1_3gpuE4ELNS1_3repE0EEENS1_30default_config_static_selectorELNS0_4arch9wavefront6targetE0EEEvT1_
    .private_segment_fixed_size: 0
    .sgpr_count:     0
    .sgpr_spill_count: 0
    .symbol:         _ZN7rocprim17ROCPRIM_400000_NS6detail17trampoline_kernelINS0_14default_configENS1_25partition_config_selectorILNS1_17partition_subalgoE9EiibEEZZNS1_14partition_implILS5_9ELb0ES3_jN6thrust23THRUST_200600_302600_NS6detail15normal_iteratorINS9_10device_ptrIiEEEESE_PNS0_10empty_typeENS0_5tupleIJSE_SF_EEENSH_IJSE_SG_EEENS0_18inequality_wrapperI22is_equal_div_10_uniqueIiEEEPmJSF_EEE10hipError_tPvRmT3_T4_T5_T6_T7_T9_mT8_P12ihipStream_tbDpT10_ENKUlT_T0_E_clISt17integral_constantIbLb1EES18_EEDaS13_S14_EUlS13_E_NS1_11comp_targetILNS1_3genE10ELNS1_11target_archE1200ELNS1_3gpuE4ELNS1_3repE0EEENS1_30default_config_static_selectorELNS0_4arch9wavefront6targetE0EEEvT1_.kd
    .uniform_work_group_size: 1
    .uses_dynamic_stack: false
    .vgpr_count:     0
    .vgpr_spill_count: 0
    .wavefront_size: 32
    .workgroup_processor_mode: 1
  - .args:
      - .offset:         0
        .size:           128
        .value_kind:     by_value
    .group_segment_fixed_size: 12680
    .kernarg_segment_align: 8
    .kernarg_segment_size: 128
    .language:       OpenCL C
    .language_version:
      - 2
      - 0
    .max_flat_workgroup_size: 384
    .name:           _ZN7rocprim17ROCPRIM_400000_NS6detail17trampoline_kernelINS0_14default_configENS1_25partition_config_selectorILNS1_17partition_subalgoE9EiibEEZZNS1_14partition_implILS5_9ELb0ES3_jN6thrust23THRUST_200600_302600_NS6detail15normal_iteratorINS9_10device_ptrIiEEEESE_PNS0_10empty_typeENS0_5tupleIJSE_SF_EEENSH_IJSE_SG_EEENS0_18inequality_wrapperI22is_equal_div_10_uniqueIiEEEPmJSF_EEE10hipError_tPvRmT3_T4_T5_T6_T7_T9_mT8_P12ihipStream_tbDpT10_ENKUlT_T0_E_clISt17integral_constantIbLb1EES18_EEDaS13_S14_EUlS13_E_NS1_11comp_targetILNS1_3genE9ELNS1_11target_archE1100ELNS1_3gpuE3ELNS1_3repE0EEENS1_30default_config_static_selectorELNS0_4arch9wavefront6targetE0EEEvT1_
    .private_segment_fixed_size: 0
    .sgpr_count:     31
    .sgpr_spill_count: 0
    .symbol:         _ZN7rocprim17ROCPRIM_400000_NS6detail17trampoline_kernelINS0_14default_configENS1_25partition_config_selectorILNS1_17partition_subalgoE9EiibEEZZNS1_14partition_implILS5_9ELb0ES3_jN6thrust23THRUST_200600_302600_NS6detail15normal_iteratorINS9_10device_ptrIiEEEESE_PNS0_10empty_typeENS0_5tupleIJSE_SF_EEENSH_IJSE_SG_EEENS0_18inequality_wrapperI22is_equal_div_10_uniqueIiEEEPmJSF_EEE10hipError_tPvRmT3_T4_T5_T6_T7_T9_mT8_P12ihipStream_tbDpT10_ENKUlT_T0_E_clISt17integral_constantIbLb1EES18_EEDaS13_S14_EUlS13_E_NS1_11comp_targetILNS1_3genE9ELNS1_11target_archE1100ELNS1_3gpuE3ELNS1_3repE0EEENS1_30default_config_static_selectorELNS0_4arch9wavefront6targetE0EEEvT1_.kd
    .uniform_work_group_size: 1
    .uses_dynamic_stack: false
    .vgpr_count:     51
    .vgpr_spill_count: 0
    .wavefront_size: 32
    .workgroup_processor_mode: 1
  - .args:
      - .offset:         0
        .size:           128
        .value_kind:     by_value
    .group_segment_fixed_size: 0
    .kernarg_segment_align: 8
    .kernarg_segment_size: 128
    .language:       OpenCL C
    .language_version:
      - 2
      - 0
    .max_flat_workgroup_size: 512
    .name:           _ZN7rocprim17ROCPRIM_400000_NS6detail17trampoline_kernelINS0_14default_configENS1_25partition_config_selectorILNS1_17partition_subalgoE9EiibEEZZNS1_14partition_implILS5_9ELb0ES3_jN6thrust23THRUST_200600_302600_NS6detail15normal_iteratorINS9_10device_ptrIiEEEESE_PNS0_10empty_typeENS0_5tupleIJSE_SF_EEENSH_IJSE_SG_EEENS0_18inequality_wrapperI22is_equal_div_10_uniqueIiEEEPmJSF_EEE10hipError_tPvRmT3_T4_T5_T6_T7_T9_mT8_P12ihipStream_tbDpT10_ENKUlT_T0_E_clISt17integral_constantIbLb1EES18_EEDaS13_S14_EUlS13_E_NS1_11comp_targetILNS1_3genE8ELNS1_11target_archE1030ELNS1_3gpuE2ELNS1_3repE0EEENS1_30default_config_static_selectorELNS0_4arch9wavefront6targetE0EEEvT1_
    .private_segment_fixed_size: 0
    .sgpr_count:     0
    .sgpr_spill_count: 0
    .symbol:         _ZN7rocprim17ROCPRIM_400000_NS6detail17trampoline_kernelINS0_14default_configENS1_25partition_config_selectorILNS1_17partition_subalgoE9EiibEEZZNS1_14partition_implILS5_9ELb0ES3_jN6thrust23THRUST_200600_302600_NS6detail15normal_iteratorINS9_10device_ptrIiEEEESE_PNS0_10empty_typeENS0_5tupleIJSE_SF_EEENSH_IJSE_SG_EEENS0_18inequality_wrapperI22is_equal_div_10_uniqueIiEEEPmJSF_EEE10hipError_tPvRmT3_T4_T5_T6_T7_T9_mT8_P12ihipStream_tbDpT10_ENKUlT_T0_E_clISt17integral_constantIbLb1EES18_EEDaS13_S14_EUlS13_E_NS1_11comp_targetILNS1_3genE8ELNS1_11target_archE1030ELNS1_3gpuE2ELNS1_3repE0EEENS1_30default_config_static_selectorELNS0_4arch9wavefront6targetE0EEEvT1_.kd
    .uniform_work_group_size: 1
    .uses_dynamic_stack: false
    .vgpr_count:     0
    .vgpr_spill_count: 0
    .wavefront_size: 32
    .workgroup_processor_mode: 1
  - .args:
      - .offset:         0
        .size:           112
        .value_kind:     by_value
    .group_segment_fixed_size: 0
    .kernarg_segment_align: 8
    .kernarg_segment_size: 112
    .language:       OpenCL C
    .language_version:
      - 2
      - 0
    .max_flat_workgroup_size: 256
    .name:           _ZN7rocprim17ROCPRIM_400000_NS6detail17trampoline_kernelINS0_14default_configENS1_25partition_config_selectorILNS1_17partition_subalgoE9EiibEEZZNS1_14partition_implILS5_9ELb0ES3_jN6thrust23THRUST_200600_302600_NS6detail15normal_iteratorINS9_10device_ptrIiEEEESE_PNS0_10empty_typeENS0_5tupleIJSE_SF_EEENSH_IJSE_SG_EEENS0_18inequality_wrapperI22is_equal_div_10_uniqueIiEEEPmJSF_EEE10hipError_tPvRmT3_T4_T5_T6_T7_T9_mT8_P12ihipStream_tbDpT10_ENKUlT_T0_E_clISt17integral_constantIbLb1EES17_IbLb0EEEEDaS13_S14_EUlS13_E_NS1_11comp_targetILNS1_3genE0ELNS1_11target_archE4294967295ELNS1_3gpuE0ELNS1_3repE0EEENS1_30default_config_static_selectorELNS0_4arch9wavefront6targetE0EEEvT1_
    .private_segment_fixed_size: 0
    .sgpr_count:     0
    .sgpr_spill_count: 0
    .symbol:         _ZN7rocprim17ROCPRIM_400000_NS6detail17trampoline_kernelINS0_14default_configENS1_25partition_config_selectorILNS1_17partition_subalgoE9EiibEEZZNS1_14partition_implILS5_9ELb0ES3_jN6thrust23THRUST_200600_302600_NS6detail15normal_iteratorINS9_10device_ptrIiEEEESE_PNS0_10empty_typeENS0_5tupleIJSE_SF_EEENSH_IJSE_SG_EEENS0_18inequality_wrapperI22is_equal_div_10_uniqueIiEEEPmJSF_EEE10hipError_tPvRmT3_T4_T5_T6_T7_T9_mT8_P12ihipStream_tbDpT10_ENKUlT_T0_E_clISt17integral_constantIbLb1EES17_IbLb0EEEEDaS13_S14_EUlS13_E_NS1_11comp_targetILNS1_3genE0ELNS1_11target_archE4294967295ELNS1_3gpuE0ELNS1_3repE0EEENS1_30default_config_static_selectorELNS0_4arch9wavefront6targetE0EEEvT1_.kd
    .uniform_work_group_size: 1
    .uses_dynamic_stack: false
    .vgpr_count:     0
    .vgpr_spill_count: 0
    .wavefront_size: 32
    .workgroup_processor_mode: 1
  - .args:
      - .offset:         0
        .size:           112
        .value_kind:     by_value
    .group_segment_fixed_size: 0
    .kernarg_segment_align: 8
    .kernarg_segment_size: 112
    .language:       OpenCL C
    .language_version:
      - 2
      - 0
    .max_flat_workgroup_size: 512
    .name:           _ZN7rocprim17ROCPRIM_400000_NS6detail17trampoline_kernelINS0_14default_configENS1_25partition_config_selectorILNS1_17partition_subalgoE9EiibEEZZNS1_14partition_implILS5_9ELb0ES3_jN6thrust23THRUST_200600_302600_NS6detail15normal_iteratorINS9_10device_ptrIiEEEESE_PNS0_10empty_typeENS0_5tupleIJSE_SF_EEENSH_IJSE_SG_EEENS0_18inequality_wrapperI22is_equal_div_10_uniqueIiEEEPmJSF_EEE10hipError_tPvRmT3_T4_T5_T6_T7_T9_mT8_P12ihipStream_tbDpT10_ENKUlT_T0_E_clISt17integral_constantIbLb1EES17_IbLb0EEEEDaS13_S14_EUlS13_E_NS1_11comp_targetILNS1_3genE5ELNS1_11target_archE942ELNS1_3gpuE9ELNS1_3repE0EEENS1_30default_config_static_selectorELNS0_4arch9wavefront6targetE0EEEvT1_
    .private_segment_fixed_size: 0
    .sgpr_count:     0
    .sgpr_spill_count: 0
    .symbol:         _ZN7rocprim17ROCPRIM_400000_NS6detail17trampoline_kernelINS0_14default_configENS1_25partition_config_selectorILNS1_17partition_subalgoE9EiibEEZZNS1_14partition_implILS5_9ELb0ES3_jN6thrust23THRUST_200600_302600_NS6detail15normal_iteratorINS9_10device_ptrIiEEEESE_PNS0_10empty_typeENS0_5tupleIJSE_SF_EEENSH_IJSE_SG_EEENS0_18inequality_wrapperI22is_equal_div_10_uniqueIiEEEPmJSF_EEE10hipError_tPvRmT3_T4_T5_T6_T7_T9_mT8_P12ihipStream_tbDpT10_ENKUlT_T0_E_clISt17integral_constantIbLb1EES17_IbLb0EEEEDaS13_S14_EUlS13_E_NS1_11comp_targetILNS1_3genE5ELNS1_11target_archE942ELNS1_3gpuE9ELNS1_3repE0EEENS1_30default_config_static_selectorELNS0_4arch9wavefront6targetE0EEEvT1_.kd
    .uniform_work_group_size: 1
    .uses_dynamic_stack: false
    .vgpr_count:     0
    .vgpr_spill_count: 0
    .wavefront_size: 32
    .workgroup_processor_mode: 1
  - .args:
      - .offset:         0
        .size:           112
        .value_kind:     by_value
    .group_segment_fixed_size: 0
    .kernarg_segment_align: 8
    .kernarg_segment_size: 112
    .language:       OpenCL C
    .language_version:
      - 2
      - 0
    .max_flat_workgroup_size: 192
    .name:           _ZN7rocprim17ROCPRIM_400000_NS6detail17trampoline_kernelINS0_14default_configENS1_25partition_config_selectorILNS1_17partition_subalgoE9EiibEEZZNS1_14partition_implILS5_9ELb0ES3_jN6thrust23THRUST_200600_302600_NS6detail15normal_iteratorINS9_10device_ptrIiEEEESE_PNS0_10empty_typeENS0_5tupleIJSE_SF_EEENSH_IJSE_SG_EEENS0_18inequality_wrapperI22is_equal_div_10_uniqueIiEEEPmJSF_EEE10hipError_tPvRmT3_T4_T5_T6_T7_T9_mT8_P12ihipStream_tbDpT10_ENKUlT_T0_E_clISt17integral_constantIbLb1EES17_IbLb0EEEEDaS13_S14_EUlS13_E_NS1_11comp_targetILNS1_3genE4ELNS1_11target_archE910ELNS1_3gpuE8ELNS1_3repE0EEENS1_30default_config_static_selectorELNS0_4arch9wavefront6targetE0EEEvT1_
    .private_segment_fixed_size: 0
    .sgpr_count:     0
    .sgpr_spill_count: 0
    .symbol:         _ZN7rocprim17ROCPRIM_400000_NS6detail17trampoline_kernelINS0_14default_configENS1_25partition_config_selectorILNS1_17partition_subalgoE9EiibEEZZNS1_14partition_implILS5_9ELb0ES3_jN6thrust23THRUST_200600_302600_NS6detail15normal_iteratorINS9_10device_ptrIiEEEESE_PNS0_10empty_typeENS0_5tupleIJSE_SF_EEENSH_IJSE_SG_EEENS0_18inequality_wrapperI22is_equal_div_10_uniqueIiEEEPmJSF_EEE10hipError_tPvRmT3_T4_T5_T6_T7_T9_mT8_P12ihipStream_tbDpT10_ENKUlT_T0_E_clISt17integral_constantIbLb1EES17_IbLb0EEEEDaS13_S14_EUlS13_E_NS1_11comp_targetILNS1_3genE4ELNS1_11target_archE910ELNS1_3gpuE8ELNS1_3repE0EEENS1_30default_config_static_selectorELNS0_4arch9wavefront6targetE0EEEvT1_.kd
    .uniform_work_group_size: 1
    .uses_dynamic_stack: false
    .vgpr_count:     0
    .vgpr_spill_count: 0
    .wavefront_size: 32
    .workgroup_processor_mode: 1
  - .args:
      - .offset:         0
        .size:           112
        .value_kind:     by_value
    .group_segment_fixed_size: 0
    .kernarg_segment_align: 8
    .kernarg_segment_size: 112
    .language:       OpenCL C
    .language_version:
      - 2
      - 0
    .max_flat_workgroup_size: 256
    .name:           _ZN7rocprim17ROCPRIM_400000_NS6detail17trampoline_kernelINS0_14default_configENS1_25partition_config_selectorILNS1_17partition_subalgoE9EiibEEZZNS1_14partition_implILS5_9ELb0ES3_jN6thrust23THRUST_200600_302600_NS6detail15normal_iteratorINS9_10device_ptrIiEEEESE_PNS0_10empty_typeENS0_5tupleIJSE_SF_EEENSH_IJSE_SG_EEENS0_18inequality_wrapperI22is_equal_div_10_uniqueIiEEEPmJSF_EEE10hipError_tPvRmT3_T4_T5_T6_T7_T9_mT8_P12ihipStream_tbDpT10_ENKUlT_T0_E_clISt17integral_constantIbLb1EES17_IbLb0EEEEDaS13_S14_EUlS13_E_NS1_11comp_targetILNS1_3genE3ELNS1_11target_archE908ELNS1_3gpuE7ELNS1_3repE0EEENS1_30default_config_static_selectorELNS0_4arch9wavefront6targetE0EEEvT1_
    .private_segment_fixed_size: 0
    .sgpr_count:     0
    .sgpr_spill_count: 0
    .symbol:         _ZN7rocprim17ROCPRIM_400000_NS6detail17trampoline_kernelINS0_14default_configENS1_25partition_config_selectorILNS1_17partition_subalgoE9EiibEEZZNS1_14partition_implILS5_9ELb0ES3_jN6thrust23THRUST_200600_302600_NS6detail15normal_iteratorINS9_10device_ptrIiEEEESE_PNS0_10empty_typeENS0_5tupleIJSE_SF_EEENSH_IJSE_SG_EEENS0_18inequality_wrapperI22is_equal_div_10_uniqueIiEEEPmJSF_EEE10hipError_tPvRmT3_T4_T5_T6_T7_T9_mT8_P12ihipStream_tbDpT10_ENKUlT_T0_E_clISt17integral_constantIbLb1EES17_IbLb0EEEEDaS13_S14_EUlS13_E_NS1_11comp_targetILNS1_3genE3ELNS1_11target_archE908ELNS1_3gpuE7ELNS1_3repE0EEENS1_30default_config_static_selectorELNS0_4arch9wavefront6targetE0EEEvT1_.kd
    .uniform_work_group_size: 1
    .uses_dynamic_stack: false
    .vgpr_count:     0
    .vgpr_spill_count: 0
    .wavefront_size: 32
    .workgroup_processor_mode: 1
  - .args:
      - .offset:         0
        .size:           112
        .value_kind:     by_value
    .group_segment_fixed_size: 0
    .kernarg_segment_align: 8
    .kernarg_segment_size: 112
    .language:       OpenCL C
    .language_version:
      - 2
      - 0
    .max_flat_workgroup_size: 256
    .name:           _ZN7rocprim17ROCPRIM_400000_NS6detail17trampoline_kernelINS0_14default_configENS1_25partition_config_selectorILNS1_17partition_subalgoE9EiibEEZZNS1_14partition_implILS5_9ELb0ES3_jN6thrust23THRUST_200600_302600_NS6detail15normal_iteratorINS9_10device_ptrIiEEEESE_PNS0_10empty_typeENS0_5tupleIJSE_SF_EEENSH_IJSE_SG_EEENS0_18inequality_wrapperI22is_equal_div_10_uniqueIiEEEPmJSF_EEE10hipError_tPvRmT3_T4_T5_T6_T7_T9_mT8_P12ihipStream_tbDpT10_ENKUlT_T0_E_clISt17integral_constantIbLb1EES17_IbLb0EEEEDaS13_S14_EUlS13_E_NS1_11comp_targetILNS1_3genE2ELNS1_11target_archE906ELNS1_3gpuE6ELNS1_3repE0EEENS1_30default_config_static_selectorELNS0_4arch9wavefront6targetE0EEEvT1_
    .private_segment_fixed_size: 0
    .sgpr_count:     0
    .sgpr_spill_count: 0
    .symbol:         _ZN7rocprim17ROCPRIM_400000_NS6detail17trampoline_kernelINS0_14default_configENS1_25partition_config_selectorILNS1_17partition_subalgoE9EiibEEZZNS1_14partition_implILS5_9ELb0ES3_jN6thrust23THRUST_200600_302600_NS6detail15normal_iteratorINS9_10device_ptrIiEEEESE_PNS0_10empty_typeENS0_5tupleIJSE_SF_EEENSH_IJSE_SG_EEENS0_18inequality_wrapperI22is_equal_div_10_uniqueIiEEEPmJSF_EEE10hipError_tPvRmT3_T4_T5_T6_T7_T9_mT8_P12ihipStream_tbDpT10_ENKUlT_T0_E_clISt17integral_constantIbLb1EES17_IbLb0EEEEDaS13_S14_EUlS13_E_NS1_11comp_targetILNS1_3genE2ELNS1_11target_archE906ELNS1_3gpuE6ELNS1_3repE0EEENS1_30default_config_static_selectorELNS0_4arch9wavefront6targetE0EEEvT1_.kd
    .uniform_work_group_size: 1
    .uses_dynamic_stack: false
    .vgpr_count:     0
    .vgpr_spill_count: 0
    .wavefront_size: 32
    .workgroup_processor_mode: 1
  - .args:
      - .offset:         0
        .size:           112
        .value_kind:     by_value
    .group_segment_fixed_size: 0
    .kernarg_segment_align: 8
    .kernarg_segment_size: 112
    .language:       OpenCL C
    .language_version:
      - 2
      - 0
    .max_flat_workgroup_size: 384
    .name:           _ZN7rocprim17ROCPRIM_400000_NS6detail17trampoline_kernelINS0_14default_configENS1_25partition_config_selectorILNS1_17partition_subalgoE9EiibEEZZNS1_14partition_implILS5_9ELb0ES3_jN6thrust23THRUST_200600_302600_NS6detail15normal_iteratorINS9_10device_ptrIiEEEESE_PNS0_10empty_typeENS0_5tupleIJSE_SF_EEENSH_IJSE_SG_EEENS0_18inequality_wrapperI22is_equal_div_10_uniqueIiEEEPmJSF_EEE10hipError_tPvRmT3_T4_T5_T6_T7_T9_mT8_P12ihipStream_tbDpT10_ENKUlT_T0_E_clISt17integral_constantIbLb1EES17_IbLb0EEEEDaS13_S14_EUlS13_E_NS1_11comp_targetILNS1_3genE10ELNS1_11target_archE1200ELNS1_3gpuE4ELNS1_3repE0EEENS1_30default_config_static_selectorELNS0_4arch9wavefront6targetE0EEEvT1_
    .private_segment_fixed_size: 0
    .sgpr_count:     0
    .sgpr_spill_count: 0
    .symbol:         _ZN7rocprim17ROCPRIM_400000_NS6detail17trampoline_kernelINS0_14default_configENS1_25partition_config_selectorILNS1_17partition_subalgoE9EiibEEZZNS1_14partition_implILS5_9ELb0ES3_jN6thrust23THRUST_200600_302600_NS6detail15normal_iteratorINS9_10device_ptrIiEEEESE_PNS0_10empty_typeENS0_5tupleIJSE_SF_EEENSH_IJSE_SG_EEENS0_18inequality_wrapperI22is_equal_div_10_uniqueIiEEEPmJSF_EEE10hipError_tPvRmT3_T4_T5_T6_T7_T9_mT8_P12ihipStream_tbDpT10_ENKUlT_T0_E_clISt17integral_constantIbLb1EES17_IbLb0EEEEDaS13_S14_EUlS13_E_NS1_11comp_targetILNS1_3genE10ELNS1_11target_archE1200ELNS1_3gpuE4ELNS1_3repE0EEENS1_30default_config_static_selectorELNS0_4arch9wavefront6targetE0EEEvT1_.kd
    .uniform_work_group_size: 1
    .uses_dynamic_stack: false
    .vgpr_count:     0
    .vgpr_spill_count: 0
    .wavefront_size: 32
    .workgroup_processor_mode: 1
  - .args:
      - .offset:         0
        .size:           112
        .value_kind:     by_value
    .group_segment_fixed_size: 12680
    .kernarg_segment_align: 8
    .kernarg_segment_size: 112
    .language:       OpenCL C
    .language_version:
      - 2
      - 0
    .max_flat_workgroup_size: 384
    .name:           _ZN7rocprim17ROCPRIM_400000_NS6detail17trampoline_kernelINS0_14default_configENS1_25partition_config_selectorILNS1_17partition_subalgoE9EiibEEZZNS1_14partition_implILS5_9ELb0ES3_jN6thrust23THRUST_200600_302600_NS6detail15normal_iteratorINS9_10device_ptrIiEEEESE_PNS0_10empty_typeENS0_5tupleIJSE_SF_EEENSH_IJSE_SG_EEENS0_18inequality_wrapperI22is_equal_div_10_uniqueIiEEEPmJSF_EEE10hipError_tPvRmT3_T4_T5_T6_T7_T9_mT8_P12ihipStream_tbDpT10_ENKUlT_T0_E_clISt17integral_constantIbLb1EES17_IbLb0EEEEDaS13_S14_EUlS13_E_NS1_11comp_targetILNS1_3genE9ELNS1_11target_archE1100ELNS1_3gpuE3ELNS1_3repE0EEENS1_30default_config_static_selectorELNS0_4arch9wavefront6targetE0EEEvT1_
    .private_segment_fixed_size: 0
    .sgpr_count:     27
    .sgpr_spill_count: 0
    .symbol:         _ZN7rocprim17ROCPRIM_400000_NS6detail17trampoline_kernelINS0_14default_configENS1_25partition_config_selectorILNS1_17partition_subalgoE9EiibEEZZNS1_14partition_implILS5_9ELb0ES3_jN6thrust23THRUST_200600_302600_NS6detail15normal_iteratorINS9_10device_ptrIiEEEESE_PNS0_10empty_typeENS0_5tupleIJSE_SF_EEENSH_IJSE_SG_EEENS0_18inequality_wrapperI22is_equal_div_10_uniqueIiEEEPmJSF_EEE10hipError_tPvRmT3_T4_T5_T6_T7_T9_mT8_P12ihipStream_tbDpT10_ENKUlT_T0_E_clISt17integral_constantIbLb1EES17_IbLb0EEEEDaS13_S14_EUlS13_E_NS1_11comp_targetILNS1_3genE9ELNS1_11target_archE1100ELNS1_3gpuE3ELNS1_3repE0EEENS1_30default_config_static_selectorELNS0_4arch9wavefront6targetE0EEEvT1_.kd
    .uniform_work_group_size: 1
    .uses_dynamic_stack: false
    .vgpr_count:     51
    .vgpr_spill_count: 0
    .wavefront_size: 32
    .workgroup_processor_mode: 1
  - .args:
      - .offset:         0
        .size:           112
        .value_kind:     by_value
    .group_segment_fixed_size: 0
    .kernarg_segment_align: 8
    .kernarg_segment_size: 112
    .language:       OpenCL C
    .language_version:
      - 2
      - 0
    .max_flat_workgroup_size: 512
    .name:           _ZN7rocprim17ROCPRIM_400000_NS6detail17trampoline_kernelINS0_14default_configENS1_25partition_config_selectorILNS1_17partition_subalgoE9EiibEEZZNS1_14partition_implILS5_9ELb0ES3_jN6thrust23THRUST_200600_302600_NS6detail15normal_iteratorINS9_10device_ptrIiEEEESE_PNS0_10empty_typeENS0_5tupleIJSE_SF_EEENSH_IJSE_SG_EEENS0_18inequality_wrapperI22is_equal_div_10_uniqueIiEEEPmJSF_EEE10hipError_tPvRmT3_T4_T5_T6_T7_T9_mT8_P12ihipStream_tbDpT10_ENKUlT_T0_E_clISt17integral_constantIbLb1EES17_IbLb0EEEEDaS13_S14_EUlS13_E_NS1_11comp_targetILNS1_3genE8ELNS1_11target_archE1030ELNS1_3gpuE2ELNS1_3repE0EEENS1_30default_config_static_selectorELNS0_4arch9wavefront6targetE0EEEvT1_
    .private_segment_fixed_size: 0
    .sgpr_count:     0
    .sgpr_spill_count: 0
    .symbol:         _ZN7rocprim17ROCPRIM_400000_NS6detail17trampoline_kernelINS0_14default_configENS1_25partition_config_selectorILNS1_17partition_subalgoE9EiibEEZZNS1_14partition_implILS5_9ELb0ES3_jN6thrust23THRUST_200600_302600_NS6detail15normal_iteratorINS9_10device_ptrIiEEEESE_PNS0_10empty_typeENS0_5tupleIJSE_SF_EEENSH_IJSE_SG_EEENS0_18inequality_wrapperI22is_equal_div_10_uniqueIiEEEPmJSF_EEE10hipError_tPvRmT3_T4_T5_T6_T7_T9_mT8_P12ihipStream_tbDpT10_ENKUlT_T0_E_clISt17integral_constantIbLb1EES17_IbLb0EEEEDaS13_S14_EUlS13_E_NS1_11comp_targetILNS1_3genE8ELNS1_11target_archE1030ELNS1_3gpuE2ELNS1_3repE0EEENS1_30default_config_static_selectorELNS0_4arch9wavefront6targetE0EEEvT1_.kd
    .uniform_work_group_size: 1
    .uses_dynamic_stack: false
    .vgpr_count:     0
    .vgpr_spill_count: 0
    .wavefront_size: 32
    .workgroup_processor_mode: 1
  - .args:
      - .offset:         0
        .size:           128
        .value_kind:     by_value
    .group_segment_fixed_size: 0
    .kernarg_segment_align: 8
    .kernarg_segment_size: 128
    .language:       OpenCL C
    .language_version:
      - 2
      - 0
    .max_flat_workgroup_size: 256
    .name:           _ZN7rocprim17ROCPRIM_400000_NS6detail17trampoline_kernelINS0_14default_configENS1_25partition_config_selectorILNS1_17partition_subalgoE9EiibEEZZNS1_14partition_implILS5_9ELb0ES3_jN6thrust23THRUST_200600_302600_NS6detail15normal_iteratorINS9_10device_ptrIiEEEESE_PNS0_10empty_typeENS0_5tupleIJSE_SF_EEENSH_IJSE_SG_EEENS0_18inequality_wrapperI22is_equal_div_10_uniqueIiEEEPmJSF_EEE10hipError_tPvRmT3_T4_T5_T6_T7_T9_mT8_P12ihipStream_tbDpT10_ENKUlT_T0_E_clISt17integral_constantIbLb0EES17_IbLb1EEEEDaS13_S14_EUlS13_E_NS1_11comp_targetILNS1_3genE0ELNS1_11target_archE4294967295ELNS1_3gpuE0ELNS1_3repE0EEENS1_30default_config_static_selectorELNS0_4arch9wavefront6targetE0EEEvT1_
    .private_segment_fixed_size: 0
    .sgpr_count:     0
    .sgpr_spill_count: 0
    .symbol:         _ZN7rocprim17ROCPRIM_400000_NS6detail17trampoline_kernelINS0_14default_configENS1_25partition_config_selectorILNS1_17partition_subalgoE9EiibEEZZNS1_14partition_implILS5_9ELb0ES3_jN6thrust23THRUST_200600_302600_NS6detail15normal_iteratorINS9_10device_ptrIiEEEESE_PNS0_10empty_typeENS0_5tupleIJSE_SF_EEENSH_IJSE_SG_EEENS0_18inequality_wrapperI22is_equal_div_10_uniqueIiEEEPmJSF_EEE10hipError_tPvRmT3_T4_T5_T6_T7_T9_mT8_P12ihipStream_tbDpT10_ENKUlT_T0_E_clISt17integral_constantIbLb0EES17_IbLb1EEEEDaS13_S14_EUlS13_E_NS1_11comp_targetILNS1_3genE0ELNS1_11target_archE4294967295ELNS1_3gpuE0ELNS1_3repE0EEENS1_30default_config_static_selectorELNS0_4arch9wavefront6targetE0EEEvT1_.kd
    .uniform_work_group_size: 1
    .uses_dynamic_stack: false
    .vgpr_count:     0
    .vgpr_spill_count: 0
    .wavefront_size: 32
    .workgroup_processor_mode: 1
  - .args:
      - .offset:         0
        .size:           128
        .value_kind:     by_value
    .group_segment_fixed_size: 0
    .kernarg_segment_align: 8
    .kernarg_segment_size: 128
    .language:       OpenCL C
    .language_version:
      - 2
      - 0
    .max_flat_workgroup_size: 512
    .name:           _ZN7rocprim17ROCPRIM_400000_NS6detail17trampoline_kernelINS0_14default_configENS1_25partition_config_selectorILNS1_17partition_subalgoE9EiibEEZZNS1_14partition_implILS5_9ELb0ES3_jN6thrust23THRUST_200600_302600_NS6detail15normal_iteratorINS9_10device_ptrIiEEEESE_PNS0_10empty_typeENS0_5tupleIJSE_SF_EEENSH_IJSE_SG_EEENS0_18inequality_wrapperI22is_equal_div_10_uniqueIiEEEPmJSF_EEE10hipError_tPvRmT3_T4_T5_T6_T7_T9_mT8_P12ihipStream_tbDpT10_ENKUlT_T0_E_clISt17integral_constantIbLb0EES17_IbLb1EEEEDaS13_S14_EUlS13_E_NS1_11comp_targetILNS1_3genE5ELNS1_11target_archE942ELNS1_3gpuE9ELNS1_3repE0EEENS1_30default_config_static_selectorELNS0_4arch9wavefront6targetE0EEEvT1_
    .private_segment_fixed_size: 0
    .sgpr_count:     0
    .sgpr_spill_count: 0
    .symbol:         _ZN7rocprim17ROCPRIM_400000_NS6detail17trampoline_kernelINS0_14default_configENS1_25partition_config_selectorILNS1_17partition_subalgoE9EiibEEZZNS1_14partition_implILS5_9ELb0ES3_jN6thrust23THRUST_200600_302600_NS6detail15normal_iteratorINS9_10device_ptrIiEEEESE_PNS0_10empty_typeENS0_5tupleIJSE_SF_EEENSH_IJSE_SG_EEENS0_18inequality_wrapperI22is_equal_div_10_uniqueIiEEEPmJSF_EEE10hipError_tPvRmT3_T4_T5_T6_T7_T9_mT8_P12ihipStream_tbDpT10_ENKUlT_T0_E_clISt17integral_constantIbLb0EES17_IbLb1EEEEDaS13_S14_EUlS13_E_NS1_11comp_targetILNS1_3genE5ELNS1_11target_archE942ELNS1_3gpuE9ELNS1_3repE0EEENS1_30default_config_static_selectorELNS0_4arch9wavefront6targetE0EEEvT1_.kd
    .uniform_work_group_size: 1
    .uses_dynamic_stack: false
    .vgpr_count:     0
    .vgpr_spill_count: 0
    .wavefront_size: 32
    .workgroup_processor_mode: 1
  - .args:
      - .offset:         0
        .size:           128
        .value_kind:     by_value
    .group_segment_fixed_size: 0
    .kernarg_segment_align: 8
    .kernarg_segment_size: 128
    .language:       OpenCL C
    .language_version:
      - 2
      - 0
    .max_flat_workgroup_size: 192
    .name:           _ZN7rocprim17ROCPRIM_400000_NS6detail17trampoline_kernelINS0_14default_configENS1_25partition_config_selectorILNS1_17partition_subalgoE9EiibEEZZNS1_14partition_implILS5_9ELb0ES3_jN6thrust23THRUST_200600_302600_NS6detail15normal_iteratorINS9_10device_ptrIiEEEESE_PNS0_10empty_typeENS0_5tupleIJSE_SF_EEENSH_IJSE_SG_EEENS0_18inequality_wrapperI22is_equal_div_10_uniqueIiEEEPmJSF_EEE10hipError_tPvRmT3_T4_T5_T6_T7_T9_mT8_P12ihipStream_tbDpT10_ENKUlT_T0_E_clISt17integral_constantIbLb0EES17_IbLb1EEEEDaS13_S14_EUlS13_E_NS1_11comp_targetILNS1_3genE4ELNS1_11target_archE910ELNS1_3gpuE8ELNS1_3repE0EEENS1_30default_config_static_selectorELNS0_4arch9wavefront6targetE0EEEvT1_
    .private_segment_fixed_size: 0
    .sgpr_count:     0
    .sgpr_spill_count: 0
    .symbol:         _ZN7rocprim17ROCPRIM_400000_NS6detail17trampoline_kernelINS0_14default_configENS1_25partition_config_selectorILNS1_17partition_subalgoE9EiibEEZZNS1_14partition_implILS5_9ELb0ES3_jN6thrust23THRUST_200600_302600_NS6detail15normal_iteratorINS9_10device_ptrIiEEEESE_PNS0_10empty_typeENS0_5tupleIJSE_SF_EEENSH_IJSE_SG_EEENS0_18inequality_wrapperI22is_equal_div_10_uniqueIiEEEPmJSF_EEE10hipError_tPvRmT3_T4_T5_T6_T7_T9_mT8_P12ihipStream_tbDpT10_ENKUlT_T0_E_clISt17integral_constantIbLb0EES17_IbLb1EEEEDaS13_S14_EUlS13_E_NS1_11comp_targetILNS1_3genE4ELNS1_11target_archE910ELNS1_3gpuE8ELNS1_3repE0EEENS1_30default_config_static_selectorELNS0_4arch9wavefront6targetE0EEEvT1_.kd
    .uniform_work_group_size: 1
    .uses_dynamic_stack: false
    .vgpr_count:     0
    .vgpr_spill_count: 0
    .wavefront_size: 32
    .workgroup_processor_mode: 1
  - .args:
      - .offset:         0
        .size:           128
        .value_kind:     by_value
    .group_segment_fixed_size: 0
    .kernarg_segment_align: 8
    .kernarg_segment_size: 128
    .language:       OpenCL C
    .language_version:
      - 2
      - 0
    .max_flat_workgroup_size: 256
    .name:           _ZN7rocprim17ROCPRIM_400000_NS6detail17trampoline_kernelINS0_14default_configENS1_25partition_config_selectorILNS1_17partition_subalgoE9EiibEEZZNS1_14partition_implILS5_9ELb0ES3_jN6thrust23THRUST_200600_302600_NS6detail15normal_iteratorINS9_10device_ptrIiEEEESE_PNS0_10empty_typeENS0_5tupleIJSE_SF_EEENSH_IJSE_SG_EEENS0_18inequality_wrapperI22is_equal_div_10_uniqueIiEEEPmJSF_EEE10hipError_tPvRmT3_T4_T5_T6_T7_T9_mT8_P12ihipStream_tbDpT10_ENKUlT_T0_E_clISt17integral_constantIbLb0EES17_IbLb1EEEEDaS13_S14_EUlS13_E_NS1_11comp_targetILNS1_3genE3ELNS1_11target_archE908ELNS1_3gpuE7ELNS1_3repE0EEENS1_30default_config_static_selectorELNS0_4arch9wavefront6targetE0EEEvT1_
    .private_segment_fixed_size: 0
    .sgpr_count:     0
    .sgpr_spill_count: 0
    .symbol:         _ZN7rocprim17ROCPRIM_400000_NS6detail17trampoline_kernelINS0_14default_configENS1_25partition_config_selectorILNS1_17partition_subalgoE9EiibEEZZNS1_14partition_implILS5_9ELb0ES3_jN6thrust23THRUST_200600_302600_NS6detail15normal_iteratorINS9_10device_ptrIiEEEESE_PNS0_10empty_typeENS0_5tupleIJSE_SF_EEENSH_IJSE_SG_EEENS0_18inequality_wrapperI22is_equal_div_10_uniqueIiEEEPmJSF_EEE10hipError_tPvRmT3_T4_T5_T6_T7_T9_mT8_P12ihipStream_tbDpT10_ENKUlT_T0_E_clISt17integral_constantIbLb0EES17_IbLb1EEEEDaS13_S14_EUlS13_E_NS1_11comp_targetILNS1_3genE3ELNS1_11target_archE908ELNS1_3gpuE7ELNS1_3repE0EEENS1_30default_config_static_selectorELNS0_4arch9wavefront6targetE0EEEvT1_.kd
    .uniform_work_group_size: 1
    .uses_dynamic_stack: false
    .vgpr_count:     0
    .vgpr_spill_count: 0
    .wavefront_size: 32
    .workgroup_processor_mode: 1
  - .args:
      - .offset:         0
        .size:           128
        .value_kind:     by_value
    .group_segment_fixed_size: 0
    .kernarg_segment_align: 8
    .kernarg_segment_size: 128
    .language:       OpenCL C
    .language_version:
      - 2
      - 0
    .max_flat_workgroup_size: 256
    .name:           _ZN7rocprim17ROCPRIM_400000_NS6detail17trampoline_kernelINS0_14default_configENS1_25partition_config_selectorILNS1_17partition_subalgoE9EiibEEZZNS1_14partition_implILS5_9ELb0ES3_jN6thrust23THRUST_200600_302600_NS6detail15normal_iteratorINS9_10device_ptrIiEEEESE_PNS0_10empty_typeENS0_5tupleIJSE_SF_EEENSH_IJSE_SG_EEENS0_18inequality_wrapperI22is_equal_div_10_uniqueIiEEEPmJSF_EEE10hipError_tPvRmT3_T4_T5_T6_T7_T9_mT8_P12ihipStream_tbDpT10_ENKUlT_T0_E_clISt17integral_constantIbLb0EES17_IbLb1EEEEDaS13_S14_EUlS13_E_NS1_11comp_targetILNS1_3genE2ELNS1_11target_archE906ELNS1_3gpuE6ELNS1_3repE0EEENS1_30default_config_static_selectorELNS0_4arch9wavefront6targetE0EEEvT1_
    .private_segment_fixed_size: 0
    .sgpr_count:     0
    .sgpr_spill_count: 0
    .symbol:         _ZN7rocprim17ROCPRIM_400000_NS6detail17trampoline_kernelINS0_14default_configENS1_25partition_config_selectorILNS1_17partition_subalgoE9EiibEEZZNS1_14partition_implILS5_9ELb0ES3_jN6thrust23THRUST_200600_302600_NS6detail15normal_iteratorINS9_10device_ptrIiEEEESE_PNS0_10empty_typeENS0_5tupleIJSE_SF_EEENSH_IJSE_SG_EEENS0_18inequality_wrapperI22is_equal_div_10_uniqueIiEEEPmJSF_EEE10hipError_tPvRmT3_T4_T5_T6_T7_T9_mT8_P12ihipStream_tbDpT10_ENKUlT_T0_E_clISt17integral_constantIbLb0EES17_IbLb1EEEEDaS13_S14_EUlS13_E_NS1_11comp_targetILNS1_3genE2ELNS1_11target_archE906ELNS1_3gpuE6ELNS1_3repE0EEENS1_30default_config_static_selectorELNS0_4arch9wavefront6targetE0EEEvT1_.kd
    .uniform_work_group_size: 1
    .uses_dynamic_stack: false
    .vgpr_count:     0
    .vgpr_spill_count: 0
    .wavefront_size: 32
    .workgroup_processor_mode: 1
  - .args:
      - .offset:         0
        .size:           128
        .value_kind:     by_value
    .group_segment_fixed_size: 0
    .kernarg_segment_align: 8
    .kernarg_segment_size: 128
    .language:       OpenCL C
    .language_version:
      - 2
      - 0
    .max_flat_workgroup_size: 384
    .name:           _ZN7rocprim17ROCPRIM_400000_NS6detail17trampoline_kernelINS0_14default_configENS1_25partition_config_selectorILNS1_17partition_subalgoE9EiibEEZZNS1_14partition_implILS5_9ELb0ES3_jN6thrust23THRUST_200600_302600_NS6detail15normal_iteratorINS9_10device_ptrIiEEEESE_PNS0_10empty_typeENS0_5tupleIJSE_SF_EEENSH_IJSE_SG_EEENS0_18inequality_wrapperI22is_equal_div_10_uniqueIiEEEPmJSF_EEE10hipError_tPvRmT3_T4_T5_T6_T7_T9_mT8_P12ihipStream_tbDpT10_ENKUlT_T0_E_clISt17integral_constantIbLb0EES17_IbLb1EEEEDaS13_S14_EUlS13_E_NS1_11comp_targetILNS1_3genE10ELNS1_11target_archE1200ELNS1_3gpuE4ELNS1_3repE0EEENS1_30default_config_static_selectorELNS0_4arch9wavefront6targetE0EEEvT1_
    .private_segment_fixed_size: 0
    .sgpr_count:     0
    .sgpr_spill_count: 0
    .symbol:         _ZN7rocprim17ROCPRIM_400000_NS6detail17trampoline_kernelINS0_14default_configENS1_25partition_config_selectorILNS1_17partition_subalgoE9EiibEEZZNS1_14partition_implILS5_9ELb0ES3_jN6thrust23THRUST_200600_302600_NS6detail15normal_iteratorINS9_10device_ptrIiEEEESE_PNS0_10empty_typeENS0_5tupleIJSE_SF_EEENSH_IJSE_SG_EEENS0_18inequality_wrapperI22is_equal_div_10_uniqueIiEEEPmJSF_EEE10hipError_tPvRmT3_T4_T5_T6_T7_T9_mT8_P12ihipStream_tbDpT10_ENKUlT_T0_E_clISt17integral_constantIbLb0EES17_IbLb1EEEEDaS13_S14_EUlS13_E_NS1_11comp_targetILNS1_3genE10ELNS1_11target_archE1200ELNS1_3gpuE4ELNS1_3repE0EEENS1_30default_config_static_selectorELNS0_4arch9wavefront6targetE0EEEvT1_.kd
    .uniform_work_group_size: 1
    .uses_dynamic_stack: false
    .vgpr_count:     0
    .vgpr_spill_count: 0
    .wavefront_size: 32
    .workgroup_processor_mode: 1
  - .args:
      - .offset:         0
        .size:           128
        .value_kind:     by_value
    .group_segment_fixed_size: 12680
    .kernarg_segment_align: 8
    .kernarg_segment_size: 128
    .language:       OpenCL C
    .language_version:
      - 2
      - 0
    .max_flat_workgroup_size: 384
    .name:           _ZN7rocprim17ROCPRIM_400000_NS6detail17trampoline_kernelINS0_14default_configENS1_25partition_config_selectorILNS1_17partition_subalgoE9EiibEEZZNS1_14partition_implILS5_9ELb0ES3_jN6thrust23THRUST_200600_302600_NS6detail15normal_iteratorINS9_10device_ptrIiEEEESE_PNS0_10empty_typeENS0_5tupleIJSE_SF_EEENSH_IJSE_SG_EEENS0_18inequality_wrapperI22is_equal_div_10_uniqueIiEEEPmJSF_EEE10hipError_tPvRmT3_T4_T5_T6_T7_T9_mT8_P12ihipStream_tbDpT10_ENKUlT_T0_E_clISt17integral_constantIbLb0EES17_IbLb1EEEEDaS13_S14_EUlS13_E_NS1_11comp_targetILNS1_3genE9ELNS1_11target_archE1100ELNS1_3gpuE3ELNS1_3repE0EEENS1_30default_config_static_selectorELNS0_4arch9wavefront6targetE0EEEvT1_
    .private_segment_fixed_size: 0
    .sgpr_count:     31
    .sgpr_spill_count: 0
    .symbol:         _ZN7rocprim17ROCPRIM_400000_NS6detail17trampoline_kernelINS0_14default_configENS1_25partition_config_selectorILNS1_17partition_subalgoE9EiibEEZZNS1_14partition_implILS5_9ELb0ES3_jN6thrust23THRUST_200600_302600_NS6detail15normal_iteratorINS9_10device_ptrIiEEEESE_PNS0_10empty_typeENS0_5tupleIJSE_SF_EEENSH_IJSE_SG_EEENS0_18inequality_wrapperI22is_equal_div_10_uniqueIiEEEPmJSF_EEE10hipError_tPvRmT3_T4_T5_T6_T7_T9_mT8_P12ihipStream_tbDpT10_ENKUlT_T0_E_clISt17integral_constantIbLb0EES17_IbLb1EEEEDaS13_S14_EUlS13_E_NS1_11comp_targetILNS1_3genE9ELNS1_11target_archE1100ELNS1_3gpuE3ELNS1_3repE0EEENS1_30default_config_static_selectorELNS0_4arch9wavefront6targetE0EEEvT1_.kd
    .uniform_work_group_size: 1
    .uses_dynamic_stack: false
    .vgpr_count:     51
    .vgpr_spill_count: 0
    .wavefront_size: 32
    .workgroup_processor_mode: 1
  - .args:
      - .offset:         0
        .size:           128
        .value_kind:     by_value
    .group_segment_fixed_size: 0
    .kernarg_segment_align: 8
    .kernarg_segment_size: 128
    .language:       OpenCL C
    .language_version:
      - 2
      - 0
    .max_flat_workgroup_size: 512
    .name:           _ZN7rocprim17ROCPRIM_400000_NS6detail17trampoline_kernelINS0_14default_configENS1_25partition_config_selectorILNS1_17partition_subalgoE9EiibEEZZNS1_14partition_implILS5_9ELb0ES3_jN6thrust23THRUST_200600_302600_NS6detail15normal_iteratorINS9_10device_ptrIiEEEESE_PNS0_10empty_typeENS0_5tupleIJSE_SF_EEENSH_IJSE_SG_EEENS0_18inequality_wrapperI22is_equal_div_10_uniqueIiEEEPmJSF_EEE10hipError_tPvRmT3_T4_T5_T6_T7_T9_mT8_P12ihipStream_tbDpT10_ENKUlT_T0_E_clISt17integral_constantIbLb0EES17_IbLb1EEEEDaS13_S14_EUlS13_E_NS1_11comp_targetILNS1_3genE8ELNS1_11target_archE1030ELNS1_3gpuE2ELNS1_3repE0EEENS1_30default_config_static_selectorELNS0_4arch9wavefront6targetE0EEEvT1_
    .private_segment_fixed_size: 0
    .sgpr_count:     0
    .sgpr_spill_count: 0
    .symbol:         _ZN7rocprim17ROCPRIM_400000_NS6detail17trampoline_kernelINS0_14default_configENS1_25partition_config_selectorILNS1_17partition_subalgoE9EiibEEZZNS1_14partition_implILS5_9ELb0ES3_jN6thrust23THRUST_200600_302600_NS6detail15normal_iteratorINS9_10device_ptrIiEEEESE_PNS0_10empty_typeENS0_5tupleIJSE_SF_EEENSH_IJSE_SG_EEENS0_18inequality_wrapperI22is_equal_div_10_uniqueIiEEEPmJSF_EEE10hipError_tPvRmT3_T4_T5_T6_T7_T9_mT8_P12ihipStream_tbDpT10_ENKUlT_T0_E_clISt17integral_constantIbLb0EES17_IbLb1EEEEDaS13_S14_EUlS13_E_NS1_11comp_targetILNS1_3genE8ELNS1_11target_archE1030ELNS1_3gpuE2ELNS1_3repE0EEENS1_30default_config_static_selectorELNS0_4arch9wavefront6targetE0EEEvT1_.kd
    .uniform_work_group_size: 1
    .uses_dynamic_stack: false
    .vgpr_count:     0
    .vgpr_spill_count: 0
    .wavefront_size: 32
    .workgroup_processor_mode: 1
  - .args:
      - .offset:         0
        .size:           16
        .value_kind:     by_value
      - .offset:         16
        .size:           8
        .value_kind:     by_value
      - .offset:         24
        .size:           8
        .value_kind:     by_value
    .group_segment_fixed_size: 0
    .kernarg_segment_align: 8
    .kernarg_segment_size: 32
    .language:       OpenCL C
    .language_version:
      - 2
      - 0
    .max_flat_workgroup_size: 256
    .name:           _ZN6thrust23THRUST_200600_302600_NS11hip_rocprim14__parallel_for6kernelILj256ENS1_20__uninitialized_fill7functorINS0_10device_ptrIsEEsEEmLj1EEEvT0_T1_SA_
    .private_segment_fixed_size: 0
    .sgpr_count:     18
    .sgpr_spill_count: 0
    .symbol:         _ZN6thrust23THRUST_200600_302600_NS11hip_rocprim14__parallel_for6kernelILj256ENS1_20__uninitialized_fill7functorINS0_10device_ptrIsEEsEEmLj1EEEvT0_T1_SA_.kd
    .uniform_work_group_size: 1
    .uses_dynamic_stack: false
    .vgpr_count:     3
    .vgpr_spill_count: 0
    .wavefront_size: 32
    .workgroup_processor_mode: 1
  - .args:
      - .offset:         0
        .size:           112
        .value_kind:     by_value
    .group_segment_fixed_size: 0
    .kernarg_segment_align: 8
    .kernarg_segment_size: 112
    .language:       OpenCL C
    .language_version:
      - 2
      - 0
    .max_flat_workgroup_size: 256
    .name:           _ZN7rocprim17ROCPRIM_400000_NS6detail17trampoline_kernelINS0_14default_configENS1_25partition_config_selectorILNS1_17partition_subalgoE9EssbEEZZNS1_14partition_implILS5_9ELb0ES3_jN6thrust23THRUST_200600_302600_NS6detail15normal_iteratorINS9_10device_ptrIsEEEESE_PNS0_10empty_typeENS0_5tupleIJSE_SF_EEENSH_IJSE_SG_EEENS0_18inequality_wrapperINS9_8equal_toIsEEEEPmJSF_EEE10hipError_tPvRmT3_T4_T5_T6_T7_T9_mT8_P12ihipStream_tbDpT10_ENKUlT_T0_E_clISt17integral_constantIbLb0EES18_EEDaS13_S14_EUlS13_E_NS1_11comp_targetILNS1_3genE0ELNS1_11target_archE4294967295ELNS1_3gpuE0ELNS1_3repE0EEENS1_30default_config_static_selectorELNS0_4arch9wavefront6targetE0EEEvT1_
    .private_segment_fixed_size: 0
    .sgpr_count:     0
    .sgpr_spill_count: 0
    .symbol:         _ZN7rocprim17ROCPRIM_400000_NS6detail17trampoline_kernelINS0_14default_configENS1_25partition_config_selectorILNS1_17partition_subalgoE9EssbEEZZNS1_14partition_implILS5_9ELb0ES3_jN6thrust23THRUST_200600_302600_NS6detail15normal_iteratorINS9_10device_ptrIsEEEESE_PNS0_10empty_typeENS0_5tupleIJSE_SF_EEENSH_IJSE_SG_EEENS0_18inequality_wrapperINS9_8equal_toIsEEEEPmJSF_EEE10hipError_tPvRmT3_T4_T5_T6_T7_T9_mT8_P12ihipStream_tbDpT10_ENKUlT_T0_E_clISt17integral_constantIbLb0EES18_EEDaS13_S14_EUlS13_E_NS1_11comp_targetILNS1_3genE0ELNS1_11target_archE4294967295ELNS1_3gpuE0ELNS1_3repE0EEENS1_30default_config_static_selectorELNS0_4arch9wavefront6targetE0EEEvT1_.kd
    .uniform_work_group_size: 1
    .uses_dynamic_stack: false
    .vgpr_count:     0
    .vgpr_spill_count: 0
    .wavefront_size: 32
    .workgroup_processor_mode: 1
  - .args:
      - .offset:         0
        .size:           112
        .value_kind:     by_value
    .group_segment_fixed_size: 0
    .kernarg_segment_align: 8
    .kernarg_segment_size: 112
    .language:       OpenCL C
    .language_version:
      - 2
      - 0
    .max_flat_workgroup_size: 512
    .name:           _ZN7rocprim17ROCPRIM_400000_NS6detail17trampoline_kernelINS0_14default_configENS1_25partition_config_selectorILNS1_17partition_subalgoE9EssbEEZZNS1_14partition_implILS5_9ELb0ES3_jN6thrust23THRUST_200600_302600_NS6detail15normal_iteratorINS9_10device_ptrIsEEEESE_PNS0_10empty_typeENS0_5tupleIJSE_SF_EEENSH_IJSE_SG_EEENS0_18inequality_wrapperINS9_8equal_toIsEEEEPmJSF_EEE10hipError_tPvRmT3_T4_T5_T6_T7_T9_mT8_P12ihipStream_tbDpT10_ENKUlT_T0_E_clISt17integral_constantIbLb0EES18_EEDaS13_S14_EUlS13_E_NS1_11comp_targetILNS1_3genE5ELNS1_11target_archE942ELNS1_3gpuE9ELNS1_3repE0EEENS1_30default_config_static_selectorELNS0_4arch9wavefront6targetE0EEEvT1_
    .private_segment_fixed_size: 0
    .sgpr_count:     0
    .sgpr_spill_count: 0
    .symbol:         _ZN7rocprim17ROCPRIM_400000_NS6detail17trampoline_kernelINS0_14default_configENS1_25partition_config_selectorILNS1_17partition_subalgoE9EssbEEZZNS1_14partition_implILS5_9ELb0ES3_jN6thrust23THRUST_200600_302600_NS6detail15normal_iteratorINS9_10device_ptrIsEEEESE_PNS0_10empty_typeENS0_5tupleIJSE_SF_EEENSH_IJSE_SG_EEENS0_18inequality_wrapperINS9_8equal_toIsEEEEPmJSF_EEE10hipError_tPvRmT3_T4_T5_T6_T7_T9_mT8_P12ihipStream_tbDpT10_ENKUlT_T0_E_clISt17integral_constantIbLb0EES18_EEDaS13_S14_EUlS13_E_NS1_11comp_targetILNS1_3genE5ELNS1_11target_archE942ELNS1_3gpuE9ELNS1_3repE0EEENS1_30default_config_static_selectorELNS0_4arch9wavefront6targetE0EEEvT1_.kd
    .uniform_work_group_size: 1
    .uses_dynamic_stack: false
    .vgpr_count:     0
    .vgpr_spill_count: 0
    .wavefront_size: 32
    .workgroup_processor_mode: 1
  - .args:
      - .offset:         0
        .size:           112
        .value_kind:     by_value
    .group_segment_fixed_size: 0
    .kernarg_segment_align: 8
    .kernarg_segment_size: 112
    .language:       OpenCL C
    .language_version:
      - 2
      - 0
    .max_flat_workgroup_size: 256
    .name:           _ZN7rocprim17ROCPRIM_400000_NS6detail17trampoline_kernelINS0_14default_configENS1_25partition_config_selectorILNS1_17partition_subalgoE9EssbEEZZNS1_14partition_implILS5_9ELb0ES3_jN6thrust23THRUST_200600_302600_NS6detail15normal_iteratorINS9_10device_ptrIsEEEESE_PNS0_10empty_typeENS0_5tupleIJSE_SF_EEENSH_IJSE_SG_EEENS0_18inequality_wrapperINS9_8equal_toIsEEEEPmJSF_EEE10hipError_tPvRmT3_T4_T5_T6_T7_T9_mT8_P12ihipStream_tbDpT10_ENKUlT_T0_E_clISt17integral_constantIbLb0EES18_EEDaS13_S14_EUlS13_E_NS1_11comp_targetILNS1_3genE4ELNS1_11target_archE910ELNS1_3gpuE8ELNS1_3repE0EEENS1_30default_config_static_selectorELNS0_4arch9wavefront6targetE0EEEvT1_
    .private_segment_fixed_size: 0
    .sgpr_count:     0
    .sgpr_spill_count: 0
    .symbol:         _ZN7rocprim17ROCPRIM_400000_NS6detail17trampoline_kernelINS0_14default_configENS1_25partition_config_selectorILNS1_17partition_subalgoE9EssbEEZZNS1_14partition_implILS5_9ELb0ES3_jN6thrust23THRUST_200600_302600_NS6detail15normal_iteratorINS9_10device_ptrIsEEEESE_PNS0_10empty_typeENS0_5tupleIJSE_SF_EEENSH_IJSE_SG_EEENS0_18inequality_wrapperINS9_8equal_toIsEEEEPmJSF_EEE10hipError_tPvRmT3_T4_T5_T6_T7_T9_mT8_P12ihipStream_tbDpT10_ENKUlT_T0_E_clISt17integral_constantIbLb0EES18_EEDaS13_S14_EUlS13_E_NS1_11comp_targetILNS1_3genE4ELNS1_11target_archE910ELNS1_3gpuE8ELNS1_3repE0EEENS1_30default_config_static_selectorELNS0_4arch9wavefront6targetE0EEEvT1_.kd
    .uniform_work_group_size: 1
    .uses_dynamic_stack: false
    .vgpr_count:     0
    .vgpr_spill_count: 0
    .wavefront_size: 32
    .workgroup_processor_mode: 1
  - .args:
      - .offset:         0
        .size:           112
        .value_kind:     by_value
    .group_segment_fixed_size: 0
    .kernarg_segment_align: 8
    .kernarg_segment_size: 112
    .language:       OpenCL C
    .language_version:
      - 2
      - 0
    .max_flat_workgroup_size: 256
    .name:           _ZN7rocprim17ROCPRIM_400000_NS6detail17trampoline_kernelINS0_14default_configENS1_25partition_config_selectorILNS1_17partition_subalgoE9EssbEEZZNS1_14partition_implILS5_9ELb0ES3_jN6thrust23THRUST_200600_302600_NS6detail15normal_iteratorINS9_10device_ptrIsEEEESE_PNS0_10empty_typeENS0_5tupleIJSE_SF_EEENSH_IJSE_SG_EEENS0_18inequality_wrapperINS9_8equal_toIsEEEEPmJSF_EEE10hipError_tPvRmT3_T4_T5_T6_T7_T9_mT8_P12ihipStream_tbDpT10_ENKUlT_T0_E_clISt17integral_constantIbLb0EES18_EEDaS13_S14_EUlS13_E_NS1_11comp_targetILNS1_3genE3ELNS1_11target_archE908ELNS1_3gpuE7ELNS1_3repE0EEENS1_30default_config_static_selectorELNS0_4arch9wavefront6targetE0EEEvT1_
    .private_segment_fixed_size: 0
    .sgpr_count:     0
    .sgpr_spill_count: 0
    .symbol:         _ZN7rocprim17ROCPRIM_400000_NS6detail17trampoline_kernelINS0_14default_configENS1_25partition_config_selectorILNS1_17partition_subalgoE9EssbEEZZNS1_14partition_implILS5_9ELb0ES3_jN6thrust23THRUST_200600_302600_NS6detail15normal_iteratorINS9_10device_ptrIsEEEESE_PNS0_10empty_typeENS0_5tupleIJSE_SF_EEENSH_IJSE_SG_EEENS0_18inequality_wrapperINS9_8equal_toIsEEEEPmJSF_EEE10hipError_tPvRmT3_T4_T5_T6_T7_T9_mT8_P12ihipStream_tbDpT10_ENKUlT_T0_E_clISt17integral_constantIbLb0EES18_EEDaS13_S14_EUlS13_E_NS1_11comp_targetILNS1_3genE3ELNS1_11target_archE908ELNS1_3gpuE7ELNS1_3repE0EEENS1_30default_config_static_selectorELNS0_4arch9wavefront6targetE0EEEvT1_.kd
    .uniform_work_group_size: 1
    .uses_dynamic_stack: false
    .vgpr_count:     0
    .vgpr_spill_count: 0
    .wavefront_size: 32
    .workgroup_processor_mode: 1
  - .args:
      - .offset:         0
        .size:           112
        .value_kind:     by_value
    .group_segment_fixed_size: 0
    .kernarg_segment_align: 8
    .kernarg_segment_size: 112
    .language:       OpenCL C
    .language_version:
      - 2
      - 0
    .max_flat_workgroup_size: 256
    .name:           _ZN7rocprim17ROCPRIM_400000_NS6detail17trampoline_kernelINS0_14default_configENS1_25partition_config_selectorILNS1_17partition_subalgoE9EssbEEZZNS1_14partition_implILS5_9ELb0ES3_jN6thrust23THRUST_200600_302600_NS6detail15normal_iteratorINS9_10device_ptrIsEEEESE_PNS0_10empty_typeENS0_5tupleIJSE_SF_EEENSH_IJSE_SG_EEENS0_18inequality_wrapperINS9_8equal_toIsEEEEPmJSF_EEE10hipError_tPvRmT3_T4_T5_T6_T7_T9_mT8_P12ihipStream_tbDpT10_ENKUlT_T0_E_clISt17integral_constantIbLb0EES18_EEDaS13_S14_EUlS13_E_NS1_11comp_targetILNS1_3genE2ELNS1_11target_archE906ELNS1_3gpuE6ELNS1_3repE0EEENS1_30default_config_static_selectorELNS0_4arch9wavefront6targetE0EEEvT1_
    .private_segment_fixed_size: 0
    .sgpr_count:     0
    .sgpr_spill_count: 0
    .symbol:         _ZN7rocprim17ROCPRIM_400000_NS6detail17trampoline_kernelINS0_14default_configENS1_25partition_config_selectorILNS1_17partition_subalgoE9EssbEEZZNS1_14partition_implILS5_9ELb0ES3_jN6thrust23THRUST_200600_302600_NS6detail15normal_iteratorINS9_10device_ptrIsEEEESE_PNS0_10empty_typeENS0_5tupleIJSE_SF_EEENSH_IJSE_SG_EEENS0_18inequality_wrapperINS9_8equal_toIsEEEEPmJSF_EEE10hipError_tPvRmT3_T4_T5_T6_T7_T9_mT8_P12ihipStream_tbDpT10_ENKUlT_T0_E_clISt17integral_constantIbLb0EES18_EEDaS13_S14_EUlS13_E_NS1_11comp_targetILNS1_3genE2ELNS1_11target_archE906ELNS1_3gpuE6ELNS1_3repE0EEENS1_30default_config_static_selectorELNS0_4arch9wavefront6targetE0EEEvT1_.kd
    .uniform_work_group_size: 1
    .uses_dynamic_stack: false
    .vgpr_count:     0
    .vgpr_spill_count: 0
    .wavefront_size: 32
    .workgroup_processor_mode: 1
  - .args:
      - .offset:         0
        .size:           112
        .value_kind:     by_value
    .group_segment_fixed_size: 0
    .kernarg_segment_align: 8
    .kernarg_segment_size: 112
    .language:       OpenCL C
    .language_version:
      - 2
      - 0
    .max_flat_workgroup_size: 512
    .name:           _ZN7rocprim17ROCPRIM_400000_NS6detail17trampoline_kernelINS0_14default_configENS1_25partition_config_selectorILNS1_17partition_subalgoE9EssbEEZZNS1_14partition_implILS5_9ELb0ES3_jN6thrust23THRUST_200600_302600_NS6detail15normal_iteratorINS9_10device_ptrIsEEEESE_PNS0_10empty_typeENS0_5tupleIJSE_SF_EEENSH_IJSE_SG_EEENS0_18inequality_wrapperINS9_8equal_toIsEEEEPmJSF_EEE10hipError_tPvRmT3_T4_T5_T6_T7_T9_mT8_P12ihipStream_tbDpT10_ENKUlT_T0_E_clISt17integral_constantIbLb0EES18_EEDaS13_S14_EUlS13_E_NS1_11comp_targetILNS1_3genE10ELNS1_11target_archE1200ELNS1_3gpuE4ELNS1_3repE0EEENS1_30default_config_static_selectorELNS0_4arch9wavefront6targetE0EEEvT1_
    .private_segment_fixed_size: 0
    .sgpr_count:     0
    .sgpr_spill_count: 0
    .symbol:         _ZN7rocprim17ROCPRIM_400000_NS6detail17trampoline_kernelINS0_14default_configENS1_25partition_config_selectorILNS1_17partition_subalgoE9EssbEEZZNS1_14partition_implILS5_9ELb0ES3_jN6thrust23THRUST_200600_302600_NS6detail15normal_iteratorINS9_10device_ptrIsEEEESE_PNS0_10empty_typeENS0_5tupleIJSE_SF_EEENSH_IJSE_SG_EEENS0_18inequality_wrapperINS9_8equal_toIsEEEEPmJSF_EEE10hipError_tPvRmT3_T4_T5_T6_T7_T9_mT8_P12ihipStream_tbDpT10_ENKUlT_T0_E_clISt17integral_constantIbLb0EES18_EEDaS13_S14_EUlS13_E_NS1_11comp_targetILNS1_3genE10ELNS1_11target_archE1200ELNS1_3gpuE4ELNS1_3repE0EEENS1_30default_config_static_selectorELNS0_4arch9wavefront6targetE0EEEvT1_.kd
    .uniform_work_group_size: 1
    .uses_dynamic_stack: false
    .vgpr_count:     0
    .vgpr_spill_count: 0
    .wavefront_size: 32
    .workgroup_processor_mode: 1
  - .args:
      - .offset:         0
        .size:           112
        .value_kind:     by_value
    .group_segment_fixed_size: 3080
    .kernarg_segment_align: 8
    .kernarg_segment_size: 112
    .language:       OpenCL C
    .language_version:
      - 2
      - 0
    .max_flat_workgroup_size: 128
    .name:           _ZN7rocprim17ROCPRIM_400000_NS6detail17trampoline_kernelINS0_14default_configENS1_25partition_config_selectorILNS1_17partition_subalgoE9EssbEEZZNS1_14partition_implILS5_9ELb0ES3_jN6thrust23THRUST_200600_302600_NS6detail15normal_iteratorINS9_10device_ptrIsEEEESE_PNS0_10empty_typeENS0_5tupleIJSE_SF_EEENSH_IJSE_SG_EEENS0_18inequality_wrapperINS9_8equal_toIsEEEEPmJSF_EEE10hipError_tPvRmT3_T4_T5_T6_T7_T9_mT8_P12ihipStream_tbDpT10_ENKUlT_T0_E_clISt17integral_constantIbLb0EES18_EEDaS13_S14_EUlS13_E_NS1_11comp_targetILNS1_3genE9ELNS1_11target_archE1100ELNS1_3gpuE3ELNS1_3repE0EEENS1_30default_config_static_selectorELNS0_4arch9wavefront6targetE0EEEvT1_
    .private_segment_fixed_size: 0
    .sgpr_count:     26
    .sgpr_spill_count: 0
    .symbol:         _ZN7rocprim17ROCPRIM_400000_NS6detail17trampoline_kernelINS0_14default_configENS1_25partition_config_selectorILNS1_17partition_subalgoE9EssbEEZZNS1_14partition_implILS5_9ELb0ES3_jN6thrust23THRUST_200600_302600_NS6detail15normal_iteratorINS9_10device_ptrIsEEEESE_PNS0_10empty_typeENS0_5tupleIJSE_SF_EEENSH_IJSE_SG_EEENS0_18inequality_wrapperINS9_8equal_toIsEEEEPmJSF_EEE10hipError_tPvRmT3_T4_T5_T6_T7_T9_mT8_P12ihipStream_tbDpT10_ENKUlT_T0_E_clISt17integral_constantIbLb0EES18_EEDaS13_S14_EUlS13_E_NS1_11comp_targetILNS1_3genE9ELNS1_11target_archE1100ELNS1_3gpuE3ELNS1_3repE0EEENS1_30default_config_static_selectorELNS0_4arch9wavefront6targetE0EEEvT1_.kd
    .uniform_work_group_size: 1
    .uses_dynamic_stack: false
    .vgpr_count:     81
    .vgpr_spill_count: 0
    .wavefront_size: 32
    .workgroup_processor_mode: 1
  - .args:
      - .offset:         0
        .size:           112
        .value_kind:     by_value
    .group_segment_fixed_size: 0
    .kernarg_segment_align: 8
    .kernarg_segment_size: 112
    .language:       OpenCL C
    .language_version:
      - 2
      - 0
    .max_flat_workgroup_size: 384
    .name:           _ZN7rocprim17ROCPRIM_400000_NS6detail17trampoline_kernelINS0_14default_configENS1_25partition_config_selectorILNS1_17partition_subalgoE9EssbEEZZNS1_14partition_implILS5_9ELb0ES3_jN6thrust23THRUST_200600_302600_NS6detail15normal_iteratorINS9_10device_ptrIsEEEESE_PNS0_10empty_typeENS0_5tupleIJSE_SF_EEENSH_IJSE_SG_EEENS0_18inequality_wrapperINS9_8equal_toIsEEEEPmJSF_EEE10hipError_tPvRmT3_T4_T5_T6_T7_T9_mT8_P12ihipStream_tbDpT10_ENKUlT_T0_E_clISt17integral_constantIbLb0EES18_EEDaS13_S14_EUlS13_E_NS1_11comp_targetILNS1_3genE8ELNS1_11target_archE1030ELNS1_3gpuE2ELNS1_3repE0EEENS1_30default_config_static_selectorELNS0_4arch9wavefront6targetE0EEEvT1_
    .private_segment_fixed_size: 0
    .sgpr_count:     0
    .sgpr_spill_count: 0
    .symbol:         _ZN7rocprim17ROCPRIM_400000_NS6detail17trampoline_kernelINS0_14default_configENS1_25partition_config_selectorILNS1_17partition_subalgoE9EssbEEZZNS1_14partition_implILS5_9ELb0ES3_jN6thrust23THRUST_200600_302600_NS6detail15normal_iteratorINS9_10device_ptrIsEEEESE_PNS0_10empty_typeENS0_5tupleIJSE_SF_EEENSH_IJSE_SG_EEENS0_18inequality_wrapperINS9_8equal_toIsEEEEPmJSF_EEE10hipError_tPvRmT3_T4_T5_T6_T7_T9_mT8_P12ihipStream_tbDpT10_ENKUlT_T0_E_clISt17integral_constantIbLb0EES18_EEDaS13_S14_EUlS13_E_NS1_11comp_targetILNS1_3genE8ELNS1_11target_archE1030ELNS1_3gpuE2ELNS1_3repE0EEENS1_30default_config_static_selectorELNS0_4arch9wavefront6targetE0EEEvT1_.kd
    .uniform_work_group_size: 1
    .uses_dynamic_stack: false
    .vgpr_count:     0
    .vgpr_spill_count: 0
    .wavefront_size: 32
    .workgroup_processor_mode: 1
  - .args:
      - .offset:         0
        .size:           128
        .value_kind:     by_value
    .group_segment_fixed_size: 0
    .kernarg_segment_align: 8
    .kernarg_segment_size: 128
    .language:       OpenCL C
    .language_version:
      - 2
      - 0
    .max_flat_workgroup_size: 256
    .name:           _ZN7rocprim17ROCPRIM_400000_NS6detail17trampoline_kernelINS0_14default_configENS1_25partition_config_selectorILNS1_17partition_subalgoE9EssbEEZZNS1_14partition_implILS5_9ELb0ES3_jN6thrust23THRUST_200600_302600_NS6detail15normal_iteratorINS9_10device_ptrIsEEEESE_PNS0_10empty_typeENS0_5tupleIJSE_SF_EEENSH_IJSE_SG_EEENS0_18inequality_wrapperINS9_8equal_toIsEEEEPmJSF_EEE10hipError_tPvRmT3_T4_T5_T6_T7_T9_mT8_P12ihipStream_tbDpT10_ENKUlT_T0_E_clISt17integral_constantIbLb1EES18_EEDaS13_S14_EUlS13_E_NS1_11comp_targetILNS1_3genE0ELNS1_11target_archE4294967295ELNS1_3gpuE0ELNS1_3repE0EEENS1_30default_config_static_selectorELNS0_4arch9wavefront6targetE0EEEvT1_
    .private_segment_fixed_size: 0
    .sgpr_count:     0
    .sgpr_spill_count: 0
    .symbol:         _ZN7rocprim17ROCPRIM_400000_NS6detail17trampoline_kernelINS0_14default_configENS1_25partition_config_selectorILNS1_17partition_subalgoE9EssbEEZZNS1_14partition_implILS5_9ELb0ES3_jN6thrust23THRUST_200600_302600_NS6detail15normal_iteratorINS9_10device_ptrIsEEEESE_PNS0_10empty_typeENS0_5tupleIJSE_SF_EEENSH_IJSE_SG_EEENS0_18inequality_wrapperINS9_8equal_toIsEEEEPmJSF_EEE10hipError_tPvRmT3_T4_T5_T6_T7_T9_mT8_P12ihipStream_tbDpT10_ENKUlT_T0_E_clISt17integral_constantIbLb1EES18_EEDaS13_S14_EUlS13_E_NS1_11comp_targetILNS1_3genE0ELNS1_11target_archE4294967295ELNS1_3gpuE0ELNS1_3repE0EEENS1_30default_config_static_selectorELNS0_4arch9wavefront6targetE0EEEvT1_.kd
    .uniform_work_group_size: 1
    .uses_dynamic_stack: false
    .vgpr_count:     0
    .vgpr_spill_count: 0
    .wavefront_size: 32
    .workgroup_processor_mode: 1
  - .args:
      - .offset:         0
        .size:           128
        .value_kind:     by_value
    .group_segment_fixed_size: 0
    .kernarg_segment_align: 8
    .kernarg_segment_size: 128
    .language:       OpenCL C
    .language_version:
      - 2
      - 0
    .max_flat_workgroup_size: 512
    .name:           _ZN7rocprim17ROCPRIM_400000_NS6detail17trampoline_kernelINS0_14default_configENS1_25partition_config_selectorILNS1_17partition_subalgoE9EssbEEZZNS1_14partition_implILS5_9ELb0ES3_jN6thrust23THRUST_200600_302600_NS6detail15normal_iteratorINS9_10device_ptrIsEEEESE_PNS0_10empty_typeENS0_5tupleIJSE_SF_EEENSH_IJSE_SG_EEENS0_18inequality_wrapperINS9_8equal_toIsEEEEPmJSF_EEE10hipError_tPvRmT3_T4_T5_T6_T7_T9_mT8_P12ihipStream_tbDpT10_ENKUlT_T0_E_clISt17integral_constantIbLb1EES18_EEDaS13_S14_EUlS13_E_NS1_11comp_targetILNS1_3genE5ELNS1_11target_archE942ELNS1_3gpuE9ELNS1_3repE0EEENS1_30default_config_static_selectorELNS0_4arch9wavefront6targetE0EEEvT1_
    .private_segment_fixed_size: 0
    .sgpr_count:     0
    .sgpr_spill_count: 0
    .symbol:         _ZN7rocprim17ROCPRIM_400000_NS6detail17trampoline_kernelINS0_14default_configENS1_25partition_config_selectorILNS1_17partition_subalgoE9EssbEEZZNS1_14partition_implILS5_9ELb0ES3_jN6thrust23THRUST_200600_302600_NS6detail15normal_iteratorINS9_10device_ptrIsEEEESE_PNS0_10empty_typeENS0_5tupleIJSE_SF_EEENSH_IJSE_SG_EEENS0_18inequality_wrapperINS9_8equal_toIsEEEEPmJSF_EEE10hipError_tPvRmT3_T4_T5_T6_T7_T9_mT8_P12ihipStream_tbDpT10_ENKUlT_T0_E_clISt17integral_constantIbLb1EES18_EEDaS13_S14_EUlS13_E_NS1_11comp_targetILNS1_3genE5ELNS1_11target_archE942ELNS1_3gpuE9ELNS1_3repE0EEENS1_30default_config_static_selectorELNS0_4arch9wavefront6targetE0EEEvT1_.kd
    .uniform_work_group_size: 1
    .uses_dynamic_stack: false
    .vgpr_count:     0
    .vgpr_spill_count: 0
    .wavefront_size: 32
    .workgroup_processor_mode: 1
  - .args:
      - .offset:         0
        .size:           128
        .value_kind:     by_value
    .group_segment_fixed_size: 0
    .kernarg_segment_align: 8
    .kernarg_segment_size: 128
    .language:       OpenCL C
    .language_version:
      - 2
      - 0
    .max_flat_workgroup_size: 256
    .name:           _ZN7rocprim17ROCPRIM_400000_NS6detail17trampoline_kernelINS0_14default_configENS1_25partition_config_selectorILNS1_17partition_subalgoE9EssbEEZZNS1_14partition_implILS5_9ELb0ES3_jN6thrust23THRUST_200600_302600_NS6detail15normal_iteratorINS9_10device_ptrIsEEEESE_PNS0_10empty_typeENS0_5tupleIJSE_SF_EEENSH_IJSE_SG_EEENS0_18inequality_wrapperINS9_8equal_toIsEEEEPmJSF_EEE10hipError_tPvRmT3_T4_T5_T6_T7_T9_mT8_P12ihipStream_tbDpT10_ENKUlT_T0_E_clISt17integral_constantIbLb1EES18_EEDaS13_S14_EUlS13_E_NS1_11comp_targetILNS1_3genE4ELNS1_11target_archE910ELNS1_3gpuE8ELNS1_3repE0EEENS1_30default_config_static_selectorELNS0_4arch9wavefront6targetE0EEEvT1_
    .private_segment_fixed_size: 0
    .sgpr_count:     0
    .sgpr_spill_count: 0
    .symbol:         _ZN7rocprim17ROCPRIM_400000_NS6detail17trampoline_kernelINS0_14default_configENS1_25partition_config_selectorILNS1_17partition_subalgoE9EssbEEZZNS1_14partition_implILS5_9ELb0ES3_jN6thrust23THRUST_200600_302600_NS6detail15normal_iteratorINS9_10device_ptrIsEEEESE_PNS0_10empty_typeENS0_5tupleIJSE_SF_EEENSH_IJSE_SG_EEENS0_18inequality_wrapperINS9_8equal_toIsEEEEPmJSF_EEE10hipError_tPvRmT3_T4_T5_T6_T7_T9_mT8_P12ihipStream_tbDpT10_ENKUlT_T0_E_clISt17integral_constantIbLb1EES18_EEDaS13_S14_EUlS13_E_NS1_11comp_targetILNS1_3genE4ELNS1_11target_archE910ELNS1_3gpuE8ELNS1_3repE0EEENS1_30default_config_static_selectorELNS0_4arch9wavefront6targetE0EEEvT1_.kd
    .uniform_work_group_size: 1
    .uses_dynamic_stack: false
    .vgpr_count:     0
    .vgpr_spill_count: 0
    .wavefront_size: 32
    .workgroup_processor_mode: 1
  - .args:
      - .offset:         0
        .size:           128
        .value_kind:     by_value
    .group_segment_fixed_size: 0
    .kernarg_segment_align: 8
    .kernarg_segment_size: 128
    .language:       OpenCL C
    .language_version:
      - 2
      - 0
    .max_flat_workgroup_size: 256
    .name:           _ZN7rocprim17ROCPRIM_400000_NS6detail17trampoline_kernelINS0_14default_configENS1_25partition_config_selectorILNS1_17partition_subalgoE9EssbEEZZNS1_14partition_implILS5_9ELb0ES3_jN6thrust23THRUST_200600_302600_NS6detail15normal_iteratorINS9_10device_ptrIsEEEESE_PNS0_10empty_typeENS0_5tupleIJSE_SF_EEENSH_IJSE_SG_EEENS0_18inequality_wrapperINS9_8equal_toIsEEEEPmJSF_EEE10hipError_tPvRmT3_T4_T5_T6_T7_T9_mT8_P12ihipStream_tbDpT10_ENKUlT_T0_E_clISt17integral_constantIbLb1EES18_EEDaS13_S14_EUlS13_E_NS1_11comp_targetILNS1_3genE3ELNS1_11target_archE908ELNS1_3gpuE7ELNS1_3repE0EEENS1_30default_config_static_selectorELNS0_4arch9wavefront6targetE0EEEvT1_
    .private_segment_fixed_size: 0
    .sgpr_count:     0
    .sgpr_spill_count: 0
    .symbol:         _ZN7rocprim17ROCPRIM_400000_NS6detail17trampoline_kernelINS0_14default_configENS1_25partition_config_selectorILNS1_17partition_subalgoE9EssbEEZZNS1_14partition_implILS5_9ELb0ES3_jN6thrust23THRUST_200600_302600_NS6detail15normal_iteratorINS9_10device_ptrIsEEEESE_PNS0_10empty_typeENS0_5tupleIJSE_SF_EEENSH_IJSE_SG_EEENS0_18inequality_wrapperINS9_8equal_toIsEEEEPmJSF_EEE10hipError_tPvRmT3_T4_T5_T6_T7_T9_mT8_P12ihipStream_tbDpT10_ENKUlT_T0_E_clISt17integral_constantIbLb1EES18_EEDaS13_S14_EUlS13_E_NS1_11comp_targetILNS1_3genE3ELNS1_11target_archE908ELNS1_3gpuE7ELNS1_3repE0EEENS1_30default_config_static_selectorELNS0_4arch9wavefront6targetE0EEEvT1_.kd
    .uniform_work_group_size: 1
    .uses_dynamic_stack: false
    .vgpr_count:     0
    .vgpr_spill_count: 0
    .wavefront_size: 32
    .workgroup_processor_mode: 1
  - .args:
      - .offset:         0
        .size:           128
        .value_kind:     by_value
    .group_segment_fixed_size: 0
    .kernarg_segment_align: 8
    .kernarg_segment_size: 128
    .language:       OpenCL C
    .language_version:
      - 2
      - 0
    .max_flat_workgroup_size: 256
    .name:           _ZN7rocprim17ROCPRIM_400000_NS6detail17trampoline_kernelINS0_14default_configENS1_25partition_config_selectorILNS1_17partition_subalgoE9EssbEEZZNS1_14partition_implILS5_9ELb0ES3_jN6thrust23THRUST_200600_302600_NS6detail15normal_iteratorINS9_10device_ptrIsEEEESE_PNS0_10empty_typeENS0_5tupleIJSE_SF_EEENSH_IJSE_SG_EEENS0_18inequality_wrapperINS9_8equal_toIsEEEEPmJSF_EEE10hipError_tPvRmT3_T4_T5_T6_T7_T9_mT8_P12ihipStream_tbDpT10_ENKUlT_T0_E_clISt17integral_constantIbLb1EES18_EEDaS13_S14_EUlS13_E_NS1_11comp_targetILNS1_3genE2ELNS1_11target_archE906ELNS1_3gpuE6ELNS1_3repE0EEENS1_30default_config_static_selectorELNS0_4arch9wavefront6targetE0EEEvT1_
    .private_segment_fixed_size: 0
    .sgpr_count:     0
    .sgpr_spill_count: 0
    .symbol:         _ZN7rocprim17ROCPRIM_400000_NS6detail17trampoline_kernelINS0_14default_configENS1_25partition_config_selectorILNS1_17partition_subalgoE9EssbEEZZNS1_14partition_implILS5_9ELb0ES3_jN6thrust23THRUST_200600_302600_NS6detail15normal_iteratorINS9_10device_ptrIsEEEESE_PNS0_10empty_typeENS0_5tupleIJSE_SF_EEENSH_IJSE_SG_EEENS0_18inequality_wrapperINS9_8equal_toIsEEEEPmJSF_EEE10hipError_tPvRmT3_T4_T5_T6_T7_T9_mT8_P12ihipStream_tbDpT10_ENKUlT_T0_E_clISt17integral_constantIbLb1EES18_EEDaS13_S14_EUlS13_E_NS1_11comp_targetILNS1_3genE2ELNS1_11target_archE906ELNS1_3gpuE6ELNS1_3repE0EEENS1_30default_config_static_selectorELNS0_4arch9wavefront6targetE0EEEvT1_.kd
    .uniform_work_group_size: 1
    .uses_dynamic_stack: false
    .vgpr_count:     0
    .vgpr_spill_count: 0
    .wavefront_size: 32
    .workgroup_processor_mode: 1
  - .args:
      - .offset:         0
        .size:           128
        .value_kind:     by_value
    .group_segment_fixed_size: 0
    .kernarg_segment_align: 8
    .kernarg_segment_size: 128
    .language:       OpenCL C
    .language_version:
      - 2
      - 0
    .max_flat_workgroup_size: 512
    .name:           _ZN7rocprim17ROCPRIM_400000_NS6detail17trampoline_kernelINS0_14default_configENS1_25partition_config_selectorILNS1_17partition_subalgoE9EssbEEZZNS1_14partition_implILS5_9ELb0ES3_jN6thrust23THRUST_200600_302600_NS6detail15normal_iteratorINS9_10device_ptrIsEEEESE_PNS0_10empty_typeENS0_5tupleIJSE_SF_EEENSH_IJSE_SG_EEENS0_18inequality_wrapperINS9_8equal_toIsEEEEPmJSF_EEE10hipError_tPvRmT3_T4_T5_T6_T7_T9_mT8_P12ihipStream_tbDpT10_ENKUlT_T0_E_clISt17integral_constantIbLb1EES18_EEDaS13_S14_EUlS13_E_NS1_11comp_targetILNS1_3genE10ELNS1_11target_archE1200ELNS1_3gpuE4ELNS1_3repE0EEENS1_30default_config_static_selectorELNS0_4arch9wavefront6targetE0EEEvT1_
    .private_segment_fixed_size: 0
    .sgpr_count:     0
    .sgpr_spill_count: 0
    .symbol:         _ZN7rocprim17ROCPRIM_400000_NS6detail17trampoline_kernelINS0_14default_configENS1_25partition_config_selectorILNS1_17partition_subalgoE9EssbEEZZNS1_14partition_implILS5_9ELb0ES3_jN6thrust23THRUST_200600_302600_NS6detail15normal_iteratorINS9_10device_ptrIsEEEESE_PNS0_10empty_typeENS0_5tupleIJSE_SF_EEENSH_IJSE_SG_EEENS0_18inequality_wrapperINS9_8equal_toIsEEEEPmJSF_EEE10hipError_tPvRmT3_T4_T5_T6_T7_T9_mT8_P12ihipStream_tbDpT10_ENKUlT_T0_E_clISt17integral_constantIbLb1EES18_EEDaS13_S14_EUlS13_E_NS1_11comp_targetILNS1_3genE10ELNS1_11target_archE1200ELNS1_3gpuE4ELNS1_3repE0EEENS1_30default_config_static_selectorELNS0_4arch9wavefront6targetE0EEEvT1_.kd
    .uniform_work_group_size: 1
    .uses_dynamic_stack: false
    .vgpr_count:     0
    .vgpr_spill_count: 0
    .wavefront_size: 32
    .workgroup_processor_mode: 1
  - .args:
      - .offset:         0
        .size:           128
        .value_kind:     by_value
    .group_segment_fixed_size: 3080
    .kernarg_segment_align: 8
    .kernarg_segment_size: 128
    .language:       OpenCL C
    .language_version:
      - 2
      - 0
    .max_flat_workgroup_size: 128
    .name:           _ZN7rocprim17ROCPRIM_400000_NS6detail17trampoline_kernelINS0_14default_configENS1_25partition_config_selectorILNS1_17partition_subalgoE9EssbEEZZNS1_14partition_implILS5_9ELb0ES3_jN6thrust23THRUST_200600_302600_NS6detail15normal_iteratorINS9_10device_ptrIsEEEESE_PNS0_10empty_typeENS0_5tupleIJSE_SF_EEENSH_IJSE_SG_EEENS0_18inequality_wrapperINS9_8equal_toIsEEEEPmJSF_EEE10hipError_tPvRmT3_T4_T5_T6_T7_T9_mT8_P12ihipStream_tbDpT10_ENKUlT_T0_E_clISt17integral_constantIbLb1EES18_EEDaS13_S14_EUlS13_E_NS1_11comp_targetILNS1_3genE9ELNS1_11target_archE1100ELNS1_3gpuE3ELNS1_3repE0EEENS1_30default_config_static_selectorELNS0_4arch9wavefront6targetE0EEEvT1_
    .private_segment_fixed_size: 0
    .sgpr_count:     32
    .sgpr_spill_count: 0
    .symbol:         _ZN7rocprim17ROCPRIM_400000_NS6detail17trampoline_kernelINS0_14default_configENS1_25partition_config_selectorILNS1_17partition_subalgoE9EssbEEZZNS1_14partition_implILS5_9ELb0ES3_jN6thrust23THRUST_200600_302600_NS6detail15normal_iteratorINS9_10device_ptrIsEEEESE_PNS0_10empty_typeENS0_5tupleIJSE_SF_EEENSH_IJSE_SG_EEENS0_18inequality_wrapperINS9_8equal_toIsEEEEPmJSF_EEE10hipError_tPvRmT3_T4_T5_T6_T7_T9_mT8_P12ihipStream_tbDpT10_ENKUlT_T0_E_clISt17integral_constantIbLb1EES18_EEDaS13_S14_EUlS13_E_NS1_11comp_targetILNS1_3genE9ELNS1_11target_archE1100ELNS1_3gpuE3ELNS1_3repE0EEENS1_30default_config_static_selectorELNS0_4arch9wavefront6targetE0EEEvT1_.kd
    .uniform_work_group_size: 1
    .uses_dynamic_stack: false
    .vgpr_count:     81
    .vgpr_spill_count: 0
    .wavefront_size: 32
    .workgroup_processor_mode: 1
  - .args:
      - .offset:         0
        .size:           128
        .value_kind:     by_value
    .group_segment_fixed_size: 0
    .kernarg_segment_align: 8
    .kernarg_segment_size: 128
    .language:       OpenCL C
    .language_version:
      - 2
      - 0
    .max_flat_workgroup_size: 384
    .name:           _ZN7rocprim17ROCPRIM_400000_NS6detail17trampoline_kernelINS0_14default_configENS1_25partition_config_selectorILNS1_17partition_subalgoE9EssbEEZZNS1_14partition_implILS5_9ELb0ES3_jN6thrust23THRUST_200600_302600_NS6detail15normal_iteratorINS9_10device_ptrIsEEEESE_PNS0_10empty_typeENS0_5tupleIJSE_SF_EEENSH_IJSE_SG_EEENS0_18inequality_wrapperINS9_8equal_toIsEEEEPmJSF_EEE10hipError_tPvRmT3_T4_T5_T6_T7_T9_mT8_P12ihipStream_tbDpT10_ENKUlT_T0_E_clISt17integral_constantIbLb1EES18_EEDaS13_S14_EUlS13_E_NS1_11comp_targetILNS1_3genE8ELNS1_11target_archE1030ELNS1_3gpuE2ELNS1_3repE0EEENS1_30default_config_static_selectorELNS0_4arch9wavefront6targetE0EEEvT1_
    .private_segment_fixed_size: 0
    .sgpr_count:     0
    .sgpr_spill_count: 0
    .symbol:         _ZN7rocprim17ROCPRIM_400000_NS6detail17trampoline_kernelINS0_14default_configENS1_25partition_config_selectorILNS1_17partition_subalgoE9EssbEEZZNS1_14partition_implILS5_9ELb0ES3_jN6thrust23THRUST_200600_302600_NS6detail15normal_iteratorINS9_10device_ptrIsEEEESE_PNS0_10empty_typeENS0_5tupleIJSE_SF_EEENSH_IJSE_SG_EEENS0_18inequality_wrapperINS9_8equal_toIsEEEEPmJSF_EEE10hipError_tPvRmT3_T4_T5_T6_T7_T9_mT8_P12ihipStream_tbDpT10_ENKUlT_T0_E_clISt17integral_constantIbLb1EES18_EEDaS13_S14_EUlS13_E_NS1_11comp_targetILNS1_3genE8ELNS1_11target_archE1030ELNS1_3gpuE2ELNS1_3repE0EEENS1_30default_config_static_selectorELNS0_4arch9wavefront6targetE0EEEvT1_.kd
    .uniform_work_group_size: 1
    .uses_dynamic_stack: false
    .vgpr_count:     0
    .vgpr_spill_count: 0
    .wavefront_size: 32
    .workgroup_processor_mode: 1
  - .args:
      - .offset:         0
        .size:           112
        .value_kind:     by_value
    .group_segment_fixed_size: 0
    .kernarg_segment_align: 8
    .kernarg_segment_size: 112
    .language:       OpenCL C
    .language_version:
      - 2
      - 0
    .max_flat_workgroup_size: 256
    .name:           _ZN7rocprim17ROCPRIM_400000_NS6detail17trampoline_kernelINS0_14default_configENS1_25partition_config_selectorILNS1_17partition_subalgoE9EssbEEZZNS1_14partition_implILS5_9ELb0ES3_jN6thrust23THRUST_200600_302600_NS6detail15normal_iteratorINS9_10device_ptrIsEEEESE_PNS0_10empty_typeENS0_5tupleIJSE_SF_EEENSH_IJSE_SG_EEENS0_18inequality_wrapperINS9_8equal_toIsEEEEPmJSF_EEE10hipError_tPvRmT3_T4_T5_T6_T7_T9_mT8_P12ihipStream_tbDpT10_ENKUlT_T0_E_clISt17integral_constantIbLb1EES17_IbLb0EEEEDaS13_S14_EUlS13_E_NS1_11comp_targetILNS1_3genE0ELNS1_11target_archE4294967295ELNS1_3gpuE0ELNS1_3repE0EEENS1_30default_config_static_selectorELNS0_4arch9wavefront6targetE0EEEvT1_
    .private_segment_fixed_size: 0
    .sgpr_count:     0
    .sgpr_spill_count: 0
    .symbol:         _ZN7rocprim17ROCPRIM_400000_NS6detail17trampoline_kernelINS0_14default_configENS1_25partition_config_selectorILNS1_17partition_subalgoE9EssbEEZZNS1_14partition_implILS5_9ELb0ES3_jN6thrust23THRUST_200600_302600_NS6detail15normal_iteratorINS9_10device_ptrIsEEEESE_PNS0_10empty_typeENS0_5tupleIJSE_SF_EEENSH_IJSE_SG_EEENS0_18inequality_wrapperINS9_8equal_toIsEEEEPmJSF_EEE10hipError_tPvRmT3_T4_T5_T6_T7_T9_mT8_P12ihipStream_tbDpT10_ENKUlT_T0_E_clISt17integral_constantIbLb1EES17_IbLb0EEEEDaS13_S14_EUlS13_E_NS1_11comp_targetILNS1_3genE0ELNS1_11target_archE4294967295ELNS1_3gpuE0ELNS1_3repE0EEENS1_30default_config_static_selectorELNS0_4arch9wavefront6targetE0EEEvT1_.kd
    .uniform_work_group_size: 1
    .uses_dynamic_stack: false
    .vgpr_count:     0
    .vgpr_spill_count: 0
    .wavefront_size: 32
    .workgroup_processor_mode: 1
  - .args:
      - .offset:         0
        .size:           112
        .value_kind:     by_value
    .group_segment_fixed_size: 0
    .kernarg_segment_align: 8
    .kernarg_segment_size: 112
    .language:       OpenCL C
    .language_version:
      - 2
      - 0
    .max_flat_workgroup_size: 512
    .name:           _ZN7rocprim17ROCPRIM_400000_NS6detail17trampoline_kernelINS0_14default_configENS1_25partition_config_selectorILNS1_17partition_subalgoE9EssbEEZZNS1_14partition_implILS5_9ELb0ES3_jN6thrust23THRUST_200600_302600_NS6detail15normal_iteratorINS9_10device_ptrIsEEEESE_PNS0_10empty_typeENS0_5tupleIJSE_SF_EEENSH_IJSE_SG_EEENS0_18inequality_wrapperINS9_8equal_toIsEEEEPmJSF_EEE10hipError_tPvRmT3_T4_T5_T6_T7_T9_mT8_P12ihipStream_tbDpT10_ENKUlT_T0_E_clISt17integral_constantIbLb1EES17_IbLb0EEEEDaS13_S14_EUlS13_E_NS1_11comp_targetILNS1_3genE5ELNS1_11target_archE942ELNS1_3gpuE9ELNS1_3repE0EEENS1_30default_config_static_selectorELNS0_4arch9wavefront6targetE0EEEvT1_
    .private_segment_fixed_size: 0
    .sgpr_count:     0
    .sgpr_spill_count: 0
    .symbol:         _ZN7rocprim17ROCPRIM_400000_NS6detail17trampoline_kernelINS0_14default_configENS1_25partition_config_selectorILNS1_17partition_subalgoE9EssbEEZZNS1_14partition_implILS5_9ELb0ES3_jN6thrust23THRUST_200600_302600_NS6detail15normal_iteratorINS9_10device_ptrIsEEEESE_PNS0_10empty_typeENS0_5tupleIJSE_SF_EEENSH_IJSE_SG_EEENS0_18inequality_wrapperINS9_8equal_toIsEEEEPmJSF_EEE10hipError_tPvRmT3_T4_T5_T6_T7_T9_mT8_P12ihipStream_tbDpT10_ENKUlT_T0_E_clISt17integral_constantIbLb1EES17_IbLb0EEEEDaS13_S14_EUlS13_E_NS1_11comp_targetILNS1_3genE5ELNS1_11target_archE942ELNS1_3gpuE9ELNS1_3repE0EEENS1_30default_config_static_selectorELNS0_4arch9wavefront6targetE0EEEvT1_.kd
    .uniform_work_group_size: 1
    .uses_dynamic_stack: false
    .vgpr_count:     0
    .vgpr_spill_count: 0
    .wavefront_size: 32
    .workgroup_processor_mode: 1
  - .args:
      - .offset:         0
        .size:           112
        .value_kind:     by_value
    .group_segment_fixed_size: 0
    .kernarg_segment_align: 8
    .kernarg_segment_size: 112
    .language:       OpenCL C
    .language_version:
      - 2
      - 0
    .max_flat_workgroup_size: 256
    .name:           _ZN7rocprim17ROCPRIM_400000_NS6detail17trampoline_kernelINS0_14default_configENS1_25partition_config_selectorILNS1_17partition_subalgoE9EssbEEZZNS1_14partition_implILS5_9ELb0ES3_jN6thrust23THRUST_200600_302600_NS6detail15normal_iteratorINS9_10device_ptrIsEEEESE_PNS0_10empty_typeENS0_5tupleIJSE_SF_EEENSH_IJSE_SG_EEENS0_18inequality_wrapperINS9_8equal_toIsEEEEPmJSF_EEE10hipError_tPvRmT3_T4_T5_T6_T7_T9_mT8_P12ihipStream_tbDpT10_ENKUlT_T0_E_clISt17integral_constantIbLb1EES17_IbLb0EEEEDaS13_S14_EUlS13_E_NS1_11comp_targetILNS1_3genE4ELNS1_11target_archE910ELNS1_3gpuE8ELNS1_3repE0EEENS1_30default_config_static_selectorELNS0_4arch9wavefront6targetE0EEEvT1_
    .private_segment_fixed_size: 0
    .sgpr_count:     0
    .sgpr_spill_count: 0
    .symbol:         _ZN7rocprim17ROCPRIM_400000_NS6detail17trampoline_kernelINS0_14default_configENS1_25partition_config_selectorILNS1_17partition_subalgoE9EssbEEZZNS1_14partition_implILS5_9ELb0ES3_jN6thrust23THRUST_200600_302600_NS6detail15normal_iteratorINS9_10device_ptrIsEEEESE_PNS0_10empty_typeENS0_5tupleIJSE_SF_EEENSH_IJSE_SG_EEENS0_18inequality_wrapperINS9_8equal_toIsEEEEPmJSF_EEE10hipError_tPvRmT3_T4_T5_T6_T7_T9_mT8_P12ihipStream_tbDpT10_ENKUlT_T0_E_clISt17integral_constantIbLb1EES17_IbLb0EEEEDaS13_S14_EUlS13_E_NS1_11comp_targetILNS1_3genE4ELNS1_11target_archE910ELNS1_3gpuE8ELNS1_3repE0EEENS1_30default_config_static_selectorELNS0_4arch9wavefront6targetE0EEEvT1_.kd
    .uniform_work_group_size: 1
    .uses_dynamic_stack: false
    .vgpr_count:     0
    .vgpr_spill_count: 0
    .wavefront_size: 32
    .workgroup_processor_mode: 1
  - .args:
      - .offset:         0
        .size:           112
        .value_kind:     by_value
    .group_segment_fixed_size: 0
    .kernarg_segment_align: 8
    .kernarg_segment_size: 112
    .language:       OpenCL C
    .language_version:
      - 2
      - 0
    .max_flat_workgroup_size: 256
    .name:           _ZN7rocprim17ROCPRIM_400000_NS6detail17trampoline_kernelINS0_14default_configENS1_25partition_config_selectorILNS1_17partition_subalgoE9EssbEEZZNS1_14partition_implILS5_9ELb0ES3_jN6thrust23THRUST_200600_302600_NS6detail15normal_iteratorINS9_10device_ptrIsEEEESE_PNS0_10empty_typeENS0_5tupleIJSE_SF_EEENSH_IJSE_SG_EEENS0_18inequality_wrapperINS9_8equal_toIsEEEEPmJSF_EEE10hipError_tPvRmT3_T4_T5_T6_T7_T9_mT8_P12ihipStream_tbDpT10_ENKUlT_T0_E_clISt17integral_constantIbLb1EES17_IbLb0EEEEDaS13_S14_EUlS13_E_NS1_11comp_targetILNS1_3genE3ELNS1_11target_archE908ELNS1_3gpuE7ELNS1_3repE0EEENS1_30default_config_static_selectorELNS0_4arch9wavefront6targetE0EEEvT1_
    .private_segment_fixed_size: 0
    .sgpr_count:     0
    .sgpr_spill_count: 0
    .symbol:         _ZN7rocprim17ROCPRIM_400000_NS6detail17trampoline_kernelINS0_14default_configENS1_25partition_config_selectorILNS1_17partition_subalgoE9EssbEEZZNS1_14partition_implILS5_9ELb0ES3_jN6thrust23THRUST_200600_302600_NS6detail15normal_iteratorINS9_10device_ptrIsEEEESE_PNS0_10empty_typeENS0_5tupleIJSE_SF_EEENSH_IJSE_SG_EEENS0_18inequality_wrapperINS9_8equal_toIsEEEEPmJSF_EEE10hipError_tPvRmT3_T4_T5_T6_T7_T9_mT8_P12ihipStream_tbDpT10_ENKUlT_T0_E_clISt17integral_constantIbLb1EES17_IbLb0EEEEDaS13_S14_EUlS13_E_NS1_11comp_targetILNS1_3genE3ELNS1_11target_archE908ELNS1_3gpuE7ELNS1_3repE0EEENS1_30default_config_static_selectorELNS0_4arch9wavefront6targetE0EEEvT1_.kd
    .uniform_work_group_size: 1
    .uses_dynamic_stack: false
    .vgpr_count:     0
    .vgpr_spill_count: 0
    .wavefront_size: 32
    .workgroup_processor_mode: 1
  - .args:
      - .offset:         0
        .size:           112
        .value_kind:     by_value
    .group_segment_fixed_size: 0
    .kernarg_segment_align: 8
    .kernarg_segment_size: 112
    .language:       OpenCL C
    .language_version:
      - 2
      - 0
    .max_flat_workgroup_size: 256
    .name:           _ZN7rocprim17ROCPRIM_400000_NS6detail17trampoline_kernelINS0_14default_configENS1_25partition_config_selectorILNS1_17partition_subalgoE9EssbEEZZNS1_14partition_implILS5_9ELb0ES3_jN6thrust23THRUST_200600_302600_NS6detail15normal_iteratorINS9_10device_ptrIsEEEESE_PNS0_10empty_typeENS0_5tupleIJSE_SF_EEENSH_IJSE_SG_EEENS0_18inequality_wrapperINS9_8equal_toIsEEEEPmJSF_EEE10hipError_tPvRmT3_T4_T5_T6_T7_T9_mT8_P12ihipStream_tbDpT10_ENKUlT_T0_E_clISt17integral_constantIbLb1EES17_IbLb0EEEEDaS13_S14_EUlS13_E_NS1_11comp_targetILNS1_3genE2ELNS1_11target_archE906ELNS1_3gpuE6ELNS1_3repE0EEENS1_30default_config_static_selectorELNS0_4arch9wavefront6targetE0EEEvT1_
    .private_segment_fixed_size: 0
    .sgpr_count:     0
    .sgpr_spill_count: 0
    .symbol:         _ZN7rocprim17ROCPRIM_400000_NS6detail17trampoline_kernelINS0_14default_configENS1_25partition_config_selectorILNS1_17partition_subalgoE9EssbEEZZNS1_14partition_implILS5_9ELb0ES3_jN6thrust23THRUST_200600_302600_NS6detail15normal_iteratorINS9_10device_ptrIsEEEESE_PNS0_10empty_typeENS0_5tupleIJSE_SF_EEENSH_IJSE_SG_EEENS0_18inequality_wrapperINS9_8equal_toIsEEEEPmJSF_EEE10hipError_tPvRmT3_T4_T5_T6_T7_T9_mT8_P12ihipStream_tbDpT10_ENKUlT_T0_E_clISt17integral_constantIbLb1EES17_IbLb0EEEEDaS13_S14_EUlS13_E_NS1_11comp_targetILNS1_3genE2ELNS1_11target_archE906ELNS1_3gpuE6ELNS1_3repE0EEENS1_30default_config_static_selectorELNS0_4arch9wavefront6targetE0EEEvT1_.kd
    .uniform_work_group_size: 1
    .uses_dynamic_stack: false
    .vgpr_count:     0
    .vgpr_spill_count: 0
    .wavefront_size: 32
    .workgroup_processor_mode: 1
  - .args:
      - .offset:         0
        .size:           112
        .value_kind:     by_value
    .group_segment_fixed_size: 0
    .kernarg_segment_align: 8
    .kernarg_segment_size: 112
    .language:       OpenCL C
    .language_version:
      - 2
      - 0
    .max_flat_workgroup_size: 512
    .name:           _ZN7rocprim17ROCPRIM_400000_NS6detail17trampoline_kernelINS0_14default_configENS1_25partition_config_selectorILNS1_17partition_subalgoE9EssbEEZZNS1_14partition_implILS5_9ELb0ES3_jN6thrust23THRUST_200600_302600_NS6detail15normal_iteratorINS9_10device_ptrIsEEEESE_PNS0_10empty_typeENS0_5tupleIJSE_SF_EEENSH_IJSE_SG_EEENS0_18inequality_wrapperINS9_8equal_toIsEEEEPmJSF_EEE10hipError_tPvRmT3_T4_T5_T6_T7_T9_mT8_P12ihipStream_tbDpT10_ENKUlT_T0_E_clISt17integral_constantIbLb1EES17_IbLb0EEEEDaS13_S14_EUlS13_E_NS1_11comp_targetILNS1_3genE10ELNS1_11target_archE1200ELNS1_3gpuE4ELNS1_3repE0EEENS1_30default_config_static_selectorELNS0_4arch9wavefront6targetE0EEEvT1_
    .private_segment_fixed_size: 0
    .sgpr_count:     0
    .sgpr_spill_count: 0
    .symbol:         _ZN7rocprim17ROCPRIM_400000_NS6detail17trampoline_kernelINS0_14default_configENS1_25partition_config_selectorILNS1_17partition_subalgoE9EssbEEZZNS1_14partition_implILS5_9ELb0ES3_jN6thrust23THRUST_200600_302600_NS6detail15normal_iteratorINS9_10device_ptrIsEEEESE_PNS0_10empty_typeENS0_5tupleIJSE_SF_EEENSH_IJSE_SG_EEENS0_18inequality_wrapperINS9_8equal_toIsEEEEPmJSF_EEE10hipError_tPvRmT3_T4_T5_T6_T7_T9_mT8_P12ihipStream_tbDpT10_ENKUlT_T0_E_clISt17integral_constantIbLb1EES17_IbLb0EEEEDaS13_S14_EUlS13_E_NS1_11comp_targetILNS1_3genE10ELNS1_11target_archE1200ELNS1_3gpuE4ELNS1_3repE0EEENS1_30default_config_static_selectorELNS0_4arch9wavefront6targetE0EEEvT1_.kd
    .uniform_work_group_size: 1
    .uses_dynamic_stack: false
    .vgpr_count:     0
    .vgpr_spill_count: 0
    .wavefront_size: 32
    .workgroup_processor_mode: 1
  - .args:
      - .offset:         0
        .size:           112
        .value_kind:     by_value
    .group_segment_fixed_size: 3080
    .kernarg_segment_align: 8
    .kernarg_segment_size: 112
    .language:       OpenCL C
    .language_version:
      - 2
      - 0
    .max_flat_workgroup_size: 128
    .name:           _ZN7rocprim17ROCPRIM_400000_NS6detail17trampoline_kernelINS0_14default_configENS1_25partition_config_selectorILNS1_17partition_subalgoE9EssbEEZZNS1_14partition_implILS5_9ELb0ES3_jN6thrust23THRUST_200600_302600_NS6detail15normal_iteratorINS9_10device_ptrIsEEEESE_PNS0_10empty_typeENS0_5tupleIJSE_SF_EEENSH_IJSE_SG_EEENS0_18inequality_wrapperINS9_8equal_toIsEEEEPmJSF_EEE10hipError_tPvRmT3_T4_T5_T6_T7_T9_mT8_P12ihipStream_tbDpT10_ENKUlT_T0_E_clISt17integral_constantIbLb1EES17_IbLb0EEEEDaS13_S14_EUlS13_E_NS1_11comp_targetILNS1_3genE9ELNS1_11target_archE1100ELNS1_3gpuE3ELNS1_3repE0EEENS1_30default_config_static_selectorELNS0_4arch9wavefront6targetE0EEEvT1_
    .private_segment_fixed_size: 0
    .sgpr_count:     26
    .sgpr_spill_count: 0
    .symbol:         _ZN7rocprim17ROCPRIM_400000_NS6detail17trampoline_kernelINS0_14default_configENS1_25partition_config_selectorILNS1_17partition_subalgoE9EssbEEZZNS1_14partition_implILS5_9ELb0ES3_jN6thrust23THRUST_200600_302600_NS6detail15normal_iteratorINS9_10device_ptrIsEEEESE_PNS0_10empty_typeENS0_5tupleIJSE_SF_EEENSH_IJSE_SG_EEENS0_18inequality_wrapperINS9_8equal_toIsEEEEPmJSF_EEE10hipError_tPvRmT3_T4_T5_T6_T7_T9_mT8_P12ihipStream_tbDpT10_ENKUlT_T0_E_clISt17integral_constantIbLb1EES17_IbLb0EEEEDaS13_S14_EUlS13_E_NS1_11comp_targetILNS1_3genE9ELNS1_11target_archE1100ELNS1_3gpuE3ELNS1_3repE0EEENS1_30default_config_static_selectorELNS0_4arch9wavefront6targetE0EEEvT1_.kd
    .uniform_work_group_size: 1
    .uses_dynamic_stack: false
    .vgpr_count:     81
    .vgpr_spill_count: 0
    .wavefront_size: 32
    .workgroup_processor_mode: 1
  - .args:
      - .offset:         0
        .size:           112
        .value_kind:     by_value
    .group_segment_fixed_size: 0
    .kernarg_segment_align: 8
    .kernarg_segment_size: 112
    .language:       OpenCL C
    .language_version:
      - 2
      - 0
    .max_flat_workgroup_size: 384
    .name:           _ZN7rocprim17ROCPRIM_400000_NS6detail17trampoline_kernelINS0_14default_configENS1_25partition_config_selectorILNS1_17partition_subalgoE9EssbEEZZNS1_14partition_implILS5_9ELb0ES3_jN6thrust23THRUST_200600_302600_NS6detail15normal_iteratorINS9_10device_ptrIsEEEESE_PNS0_10empty_typeENS0_5tupleIJSE_SF_EEENSH_IJSE_SG_EEENS0_18inequality_wrapperINS9_8equal_toIsEEEEPmJSF_EEE10hipError_tPvRmT3_T4_T5_T6_T7_T9_mT8_P12ihipStream_tbDpT10_ENKUlT_T0_E_clISt17integral_constantIbLb1EES17_IbLb0EEEEDaS13_S14_EUlS13_E_NS1_11comp_targetILNS1_3genE8ELNS1_11target_archE1030ELNS1_3gpuE2ELNS1_3repE0EEENS1_30default_config_static_selectorELNS0_4arch9wavefront6targetE0EEEvT1_
    .private_segment_fixed_size: 0
    .sgpr_count:     0
    .sgpr_spill_count: 0
    .symbol:         _ZN7rocprim17ROCPRIM_400000_NS6detail17trampoline_kernelINS0_14default_configENS1_25partition_config_selectorILNS1_17partition_subalgoE9EssbEEZZNS1_14partition_implILS5_9ELb0ES3_jN6thrust23THRUST_200600_302600_NS6detail15normal_iteratorINS9_10device_ptrIsEEEESE_PNS0_10empty_typeENS0_5tupleIJSE_SF_EEENSH_IJSE_SG_EEENS0_18inequality_wrapperINS9_8equal_toIsEEEEPmJSF_EEE10hipError_tPvRmT3_T4_T5_T6_T7_T9_mT8_P12ihipStream_tbDpT10_ENKUlT_T0_E_clISt17integral_constantIbLb1EES17_IbLb0EEEEDaS13_S14_EUlS13_E_NS1_11comp_targetILNS1_3genE8ELNS1_11target_archE1030ELNS1_3gpuE2ELNS1_3repE0EEENS1_30default_config_static_selectorELNS0_4arch9wavefront6targetE0EEEvT1_.kd
    .uniform_work_group_size: 1
    .uses_dynamic_stack: false
    .vgpr_count:     0
    .vgpr_spill_count: 0
    .wavefront_size: 32
    .workgroup_processor_mode: 1
  - .args:
      - .offset:         0
        .size:           128
        .value_kind:     by_value
    .group_segment_fixed_size: 0
    .kernarg_segment_align: 8
    .kernarg_segment_size: 128
    .language:       OpenCL C
    .language_version:
      - 2
      - 0
    .max_flat_workgroup_size: 256
    .name:           _ZN7rocprim17ROCPRIM_400000_NS6detail17trampoline_kernelINS0_14default_configENS1_25partition_config_selectorILNS1_17partition_subalgoE9EssbEEZZNS1_14partition_implILS5_9ELb0ES3_jN6thrust23THRUST_200600_302600_NS6detail15normal_iteratorINS9_10device_ptrIsEEEESE_PNS0_10empty_typeENS0_5tupleIJSE_SF_EEENSH_IJSE_SG_EEENS0_18inequality_wrapperINS9_8equal_toIsEEEEPmJSF_EEE10hipError_tPvRmT3_T4_T5_T6_T7_T9_mT8_P12ihipStream_tbDpT10_ENKUlT_T0_E_clISt17integral_constantIbLb0EES17_IbLb1EEEEDaS13_S14_EUlS13_E_NS1_11comp_targetILNS1_3genE0ELNS1_11target_archE4294967295ELNS1_3gpuE0ELNS1_3repE0EEENS1_30default_config_static_selectorELNS0_4arch9wavefront6targetE0EEEvT1_
    .private_segment_fixed_size: 0
    .sgpr_count:     0
    .sgpr_spill_count: 0
    .symbol:         _ZN7rocprim17ROCPRIM_400000_NS6detail17trampoline_kernelINS0_14default_configENS1_25partition_config_selectorILNS1_17partition_subalgoE9EssbEEZZNS1_14partition_implILS5_9ELb0ES3_jN6thrust23THRUST_200600_302600_NS6detail15normal_iteratorINS9_10device_ptrIsEEEESE_PNS0_10empty_typeENS0_5tupleIJSE_SF_EEENSH_IJSE_SG_EEENS0_18inequality_wrapperINS9_8equal_toIsEEEEPmJSF_EEE10hipError_tPvRmT3_T4_T5_T6_T7_T9_mT8_P12ihipStream_tbDpT10_ENKUlT_T0_E_clISt17integral_constantIbLb0EES17_IbLb1EEEEDaS13_S14_EUlS13_E_NS1_11comp_targetILNS1_3genE0ELNS1_11target_archE4294967295ELNS1_3gpuE0ELNS1_3repE0EEENS1_30default_config_static_selectorELNS0_4arch9wavefront6targetE0EEEvT1_.kd
    .uniform_work_group_size: 1
    .uses_dynamic_stack: false
    .vgpr_count:     0
    .vgpr_spill_count: 0
    .wavefront_size: 32
    .workgroup_processor_mode: 1
  - .args:
      - .offset:         0
        .size:           128
        .value_kind:     by_value
    .group_segment_fixed_size: 0
    .kernarg_segment_align: 8
    .kernarg_segment_size: 128
    .language:       OpenCL C
    .language_version:
      - 2
      - 0
    .max_flat_workgroup_size: 512
    .name:           _ZN7rocprim17ROCPRIM_400000_NS6detail17trampoline_kernelINS0_14default_configENS1_25partition_config_selectorILNS1_17partition_subalgoE9EssbEEZZNS1_14partition_implILS5_9ELb0ES3_jN6thrust23THRUST_200600_302600_NS6detail15normal_iteratorINS9_10device_ptrIsEEEESE_PNS0_10empty_typeENS0_5tupleIJSE_SF_EEENSH_IJSE_SG_EEENS0_18inequality_wrapperINS9_8equal_toIsEEEEPmJSF_EEE10hipError_tPvRmT3_T4_T5_T6_T7_T9_mT8_P12ihipStream_tbDpT10_ENKUlT_T0_E_clISt17integral_constantIbLb0EES17_IbLb1EEEEDaS13_S14_EUlS13_E_NS1_11comp_targetILNS1_3genE5ELNS1_11target_archE942ELNS1_3gpuE9ELNS1_3repE0EEENS1_30default_config_static_selectorELNS0_4arch9wavefront6targetE0EEEvT1_
    .private_segment_fixed_size: 0
    .sgpr_count:     0
    .sgpr_spill_count: 0
    .symbol:         _ZN7rocprim17ROCPRIM_400000_NS6detail17trampoline_kernelINS0_14default_configENS1_25partition_config_selectorILNS1_17partition_subalgoE9EssbEEZZNS1_14partition_implILS5_9ELb0ES3_jN6thrust23THRUST_200600_302600_NS6detail15normal_iteratorINS9_10device_ptrIsEEEESE_PNS0_10empty_typeENS0_5tupleIJSE_SF_EEENSH_IJSE_SG_EEENS0_18inequality_wrapperINS9_8equal_toIsEEEEPmJSF_EEE10hipError_tPvRmT3_T4_T5_T6_T7_T9_mT8_P12ihipStream_tbDpT10_ENKUlT_T0_E_clISt17integral_constantIbLb0EES17_IbLb1EEEEDaS13_S14_EUlS13_E_NS1_11comp_targetILNS1_3genE5ELNS1_11target_archE942ELNS1_3gpuE9ELNS1_3repE0EEENS1_30default_config_static_selectorELNS0_4arch9wavefront6targetE0EEEvT1_.kd
    .uniform_work_group_size: 1
    .uses_dynamic_stack: false
    .vgpr_count:     0
    .vgpr_spill_count: 0
    .wavefront_size: 32
    .workgroup_processor_mode: 1
  - .args:
      - .offset:         0
        .size:           128
        .value_kind:     by_value
    .group_segment_fixed_size: 0
    .kernarg_segment_align: 8
    .kernarg_segment_size: 128
    .language:       OpenCL C
    .language_version:
      - 2
      - 0
    .max_flat_workgroup_size: 256
    .name:           _ZN7rocprim17ROCPRIM_400000_NS6detail17trampoline_kernelINS0_14default_configENS1_25partition_config_selectorILNS1_17partition_subalgoE9EssbEEZZNS1_14partition_implILS5_9ELb0ES3_jN6thrust23THRUST_200600_302600_NS6detail15normal_iteratorINS9_10device_ptrIsEEEESE_PNS0_10empty_typeENS0_5tupleIJSE_SF_EEENSH_IJSE_SG_EEENS0_18inequality_wrapperINS9_8equal_toIsEEEEPmJSF_EEE10hipError_tPvRmT3_T4_T5_T6_T7_T9_mT8_P12ihipStream_tbDpT10_ENKUlT_T0_E_clISt17integral_constantIbLb0EES17_IbLb1EEEEDaS13_S14_EUlS13_E_NS1_11comp_targetILNS1_3genE4ELNS1_11target_archE910ELNS1_3gpuE8ELNS1_3repE0EEENS1_30default_config_static_selectorELNS0_4arch9wavefront6targetE0EEEvT1_
    .private_segment_fixed_size: 0
    .sgpr_count:     0
    .sgpr_spill_count: 0
    .symbol:         _ZN7rocprim17ROCPRIM_400000_NS6detail17trampoline_kernelINS0_14default_configENS1_25partition_config_selectorILNS1_17partition_subalgoE9EssbEEZZNS1_14partition_implILS5_9ELb0ES3_jN6thrust23THRUST_200600_302600_NS6detail15normal_iteratorINS9_10device_ptrIsEEEESE_PNS0_10empty_typeENS0_5tupleIJSE_SF_EEENSH_IJSE_SG_EEENS0_18inequality_wrapperINS9_8equal_toIsEEEEPmJSF_EEE10hipError_tPvRmT3_T4_T5_T6_T7_T9_mT8_P12ihipStream_tbDpT10_ENKUlT_T0_E_clISt17integral_constantIbLb0EES17_IbLb1EEEEDaS13_S14_EUlS13_E_NS1_11comp_targetILNS1_3genE4ELNS1_11target_archE910ELNS1_3gpuE8ELNS1_3repE0EEENS1_30default_config_static_selectorELNS0_4arch9wavefront6targetE0EEEvT1_.kd
    .uniform_work_group_size: 1
    .uses_dynamic_stack: false
    .vgpr_count:     0
    .vgpr_spill_count: 0
    .wavefront_size: 32
    .workgroup_processor_mode: 1
  - .args:
      - .offset:         0
        .size:           128
        .value_kind:     by_value
    .group_segment_fixed_size: 0
    .kernarg_segment_align: 8
    .kernarg_segment_size: 128
    .language:       OpenCL C
    .language_version:
      - 2
      - 0
    .max_flat_workgroup_size: 256
    .name:           _ZN7rocprim17ROCPRIM_400000_NS6detail17trampoline_kernelINS0_14default_configENS1_25partition_config_selectorILNS1_17partition_subalgoE9EssbEEZZNS1_14partition_implILS5_9ELb0ES3_jN6thrust23THRUST_200600_302600_NS6detail15normal_iteratorINS9_10device_ptrIsEEEESE_PNS0_10empty_typeENS0_5tupleIJSE_SF_EEENSH_IJSE_SG_EEENS0_18inequality_wrapperINS9_8equal_toIsEEEEPmJSF_EEE10hipError_tPvRmT3_T4_T5_T6_T7_T9_mT8_P12ihipStream_tbDpT10_ENKUlT_T0_E_clISt17integral_constantIbLb0EES17_IbLb1EEEEDaS13_S14_EUlS13_E_NS1_11comp_targetILNS1_3genE3ELNS1_11target_archE908ELNS1_3gpuE7ELNS1_3repE0EEENS1_30default_config_static_selectorELNS0_4arch9wavefront6targetE0EEEvT1_
    .private_segment_fixed_size: 0
    .sgpr_count:     0
    .sgpr_spill_count: 0
    .symbol:         _ZN7rocprim17ROCPRIM_400000_NS6detail17trampoline_kernelINS0_14default_configENS1_25partition_config_selectorILNS1_17partition_subalgoE9EssbEEZZNS1_14partition_implILS5_9ELb0ES3_jN6thrust23THRUST_200600_302600_NS6detail15normal_iteratorINS9_10device_ptrIsEEEESE_PNS0_10empty_typeENS0_5tupleIJSE_SF_EEENSH_IJSE_SG_EEENS0_18inequality_wrapperINS9_8equal_toIsEEEEPmJSF_EEE10hipError_tPvRmT3_T4_T5_T6_T7_T9_mT8_P12ihipStream_tbDpT10_ENKUlT_T0_E_clISt17integral_constantIbLb0EES17_IbLb1EEEEDaS13_S14_EUlS13_E_NS1_11comp_targetILNS1_3genE3ELNS1_11target_archE908ELNS1_3gpuE7ELNS1_3repE0EEENS1_30default_config_static_selectorELNS0_4arch9wavefront6targetE0EEEvT1_.kd
    .uniform_work_group_size: 1
    .uses_dynamic_stack: false
    .vgpr_count:     0
    .vgpr_spill_count: 0
    .wavefront_size: 32
    .workgroup_processor_mode: 1
  - .args:
      - .offset:         0
        .size:           128
        .value_kind:     by_value
    .group_segment_fixed_size: 0
    .kernarg_segment_align: 8
    .kernarg_segment_size: 128
    .language:       OpenCL C
    .language_version:
      - 2
      - 0
    .max_flat_workgroup_size: 256
    .name:           _ZN7rocprim17ROCPRIM_400000_NS6detail17trampoline_kernelINS0_14default_configENS1_25partition_config_selectorILNS1_17partition_subalgoE9EssbEEZZNS1_14partition_implILS5_9ELb0ES3_jN6thrust23THRUST_200600_302600_NS6detail15normal_iteratorINS9_10device_ptrIsEEEESE_PNS0_10empty_typeENS0_5tupleIJSE_SF_EEENSH_IJSE_SG_EEENS0_18inequality_wrapperINS9_8equal_toIsEEEEPmJSF_EEE10hipError_tPvRmT3_T4_T5_T6_T7_T9_mT8_P12ihipStream_tbDpT10_ENKUlT_T0_E_clISt17integral_constantIbLb0EES17_IbLb1EEEEDaS13_S14_EUlS13_E_NS1_11comp_targetILNS1_3genE2ELNS1_11target_archE906ELNS1_3gpuE6ELNS1_3repE0EEENS1_30default_config_static_selectorELNS0_4arch9wavefront6targetE0EEEvT1_
    .private_segment_fixed_size: 0
    .sgpr_count:     0
    .sgpr_spill_count: 0
    .symbol:         _ZN7rocprim17ROCPRIM_400000_NS6detail17trampoline_kernelINS0_14default_configENS1_25partition_config_selectorILNS1_17partition_subalgoE9EssbEEZZNS1_14partition_implILS5_9ELb0ES3_jN6thrust23THRUST_200600_302600_NS6detail15normal_iteratorINS9_10device_ptrIsEEEESE_PNS0_10empty_typeENS0_5tupleIJSE_SF_EEENSH_IJSE_SG_EEENS0_18inequality_wrapperINS9_8equal_toIsEEEEPmJSF_EEE10hipError_tPvRmT3_T4_T5_T6_T7_T9_mT8_P12ihipStream_tbDpT10_ENKUlT_T0_E_clISt17integral_constantIbLb0EES17_IbLb1EEEEDaS13_S14_EUlS13_E_NS1_11comp_targetILNS1_3genE2ELNS1_11target_archE906ELNS1_3gpuE6ELNS1_3repE0EEENS1_30default_config_static_selectorELNS0_4arch9wavefront6targetE0EEEvT1_.kd
    .uniform_work_group_size: 1
    .uses_dynamic_stack: false
    .vgpr_count:     0
    .vgpr_spill_count: 0
    .wavefront_size: 32
    .workgroup_processor_mode: 1
  - .args:
      - .offset:         0
        .size:           128
        .value_kind:     by_value
    .group_segment_fixed_size: 0
    .kernarg_segment_align: 8
    .kernarg_segment_size: 128
    .language:       OpenCL C
    .language_version:
      - 2
      - 0
    .max_flat_workgroup_size: 512
    .name:           _ZN7rocprim17ROCPRIM_400000_NS6detail17trampoline_kernelINS0_14default_configENS1_25partition_config_selectorILNS1_17partition_subalgoE9EssbEEZZNS1_14partition_implILS5_9ELb0ES3_jN6thrust23THRUST_200600_302600_NS6detail15normal_iteratorINS9_10device_ptrIsEEEESE_PNS0_10empty_typeENS0_5tupleIJSE_SF_EEENSH_IJSE_SG_EEENS0_18inequality_wrapperINS9_8equal_toIsEEEEPmJSF_EEE10hipError_tPvRmT3_T4_T5_T6_T7_T9_mT8_P12ihipStream_tbDpT10_ENKUlT_T0_E_clISt17integral_constantIbLb0EES17_IbLb1EEEEDaS13_S14_EUlS13_E_NS1_11comp_targetILNS1_3genE10ELNS1_11target_archE1200ELNS1_3gpuE4ELNS1_3repE0EEENS1_30default_config_static_selectorELNS0_4arch9wavefront6targetE0EEEvT1_
    .private_segment_fixed_size: 0
    .sgpr_count:     0
    .sgpr_spill_count: 0
    .symbol:         _ZN7rocprim17ROCPRIM_400000_NS6detail17trampoline_kernelINS0_14default_configENS1_25partition_config_selectorILNS1_17partition_subalgoE9EssbEEZZNS1_14partition_implILS5_9ELb0ES3_jN6thrust23THRUST_200600_302600_NS6detail15normal_iteratorINS9_10device_ptrIsEEEESE_PNS0_10empty_typeENS0_5tupleIJSE_SF_EEENSH_IJSE_SG_EEENS0_18inequality_wrapperINS9_8equal_toIsEEEEPmJSF_EEE10hipError_tPvRmT3_T4_T5_T6_T7_T9_mT8_P12ihipStream_tbDpT10_ENKUlT_T0_E_clISt17integral_constantIbLb0EES17_IbLb1EEEEDaS13_S14_EUlS13_E_NS1_11comp_targetILNS1_3genE10ELNS1_11target_archE1200ELNS1_3gpuE4ELNS1_3repE0EEENS1_30default_config_static_selectorELNS0_4arch9wavefront6targetE0EEEvT1_.kd
    .uniform_work_group_size: 1
    .uses_dynamic_stack: false
    .vgpr_count:     0
    .vgpr_spill_count: 0
    .wavefront_size: 32
    .workgroup_processor_mode: 1
  - .args:
      - .offset:         0
        .size:           128
        .value_kind:     by_value
    .group_segment_fixed_size: 3080
    .kernarg_segment_align: 8
    .kernarg_segment_size: 128
    .language:       OpenCL C
    .language_version:
      - 2
      - 0
    .max_flat_workgroup_size: 128
    .name:           _ZN7rocprim17ROCPRIM_400000_NS6detail17trampoline_kernelINS0_14default_configENS1_25partition_config_selectorILNS1_17partition_subalgoE9EssbEEZZNS1_14partition_implILS5_9ELb0ES3_jN6thrust23THRUST_200600_302600_NS6detail15normal_iteratorINS9_10device_ptrIsEEEESE_PNS0_10empty_typeENS0_5tupleIJSE_SF_EEENSH_IJSE_SG_EEENS0_18inequality_wrapperINS9_8equal_toIsEEEEPmJSF_EEE10hipError_tPvRmT3_T4_T5_T6_T7_T9_mT8_P12ihipStream_tbDpT10_ENKUlT_T0_E_clISt17integral_constantIbLb0EES17_IbLb1EEEEDaS13_S14_EUlS13_E_NS1_11comp_targetILNS1_3genE9ELNS1_11target_archE1100ELNS1_3gpuE3ELNS1_3repE0EEENS1_30default_config_static_selectorELNS0_4arch9wavefront6targetE0EEEvT1_
    .private_segment_fixed_size: 0
    .sgpr_count:     32
    .sgpr_spill_count: 0
    .symbol:         _ZN7rocprim17ROCPRIM_400000_NS6detail17trampoline_kernelINS0_14default_configENS1_25partition_config_selectorILNS1_17partition_subalgoE9EssbEEZZNS1_14partition_implILS5_9ELb0ES3_jN6thrust23THRUST_200600_302600_NS6detail15normal_iteratorINS9_10device_ptrIsEEEESE_PNS0_10empty_typeENS0_5tupleIJSE_SF_EEENSH_IJSE_SG_EEENS0_18inequality_wrapperINS9_8equal_toIsEEEEPmJSF_EEE10hipError_tPvRmT3_T4_T5_T6_T7_T9_mT8_P12ihipStream_tbDpT10_ENKUlT_T0_E_clISt17integral_constantIbLb0EES17_IbLb1EEEEDaS13_S14_EUlS13_E_NS1_11comp_targetILNS1_3genE9ELNS1_11target_archE1100ELNS1_3gpuE3ELNS1_3repE0EEENS1_30default_config_static_selectorELNS0_4arch9wavefront6targetE0EEEvT1_.kd
    .uniform_work_group_size: 1
    .uses_dynamic_stack: false
    .vgpr_count:     81
    .vgpr_spill_count: 0
    .wavefront_size: 32
    .workgroup_processor_mode: 1
  - .args:
      - .offset:         0
        .size:           128
        .value_kind:     by_value
    .group_segment_fixed_size: 0
    .kernarg_segment_align: 8
    .kernarg_segment_size: 128
    .language:       OpenCL C
    .language_version:
      - 2
      - 0
    .max_flat_workgroup_size: 384
    .name:           _ZN7rocprim17ROCPRIM_400000_NS6detail17trampoline_kernelINS0_14default_configENS1_25partition_config_selectorILNS1_17partition_subalgoE9EssbEEZZNS1_14partition_implILS5_9ELb0ES3_jN6thrust23THRUST_200600_302600_NS6detail15normal_iteratorINS9_10device_ptrIsEEEESE_PNS0_10empty_typeENS0_5tupleIJSE_SF_EEENSH_IJSE_SG_EEENS0_18inequality_wrapperINS9_8equal_toIsEEEEPmJSF_EEE10hipError_tPvRmT3_T4_T5_T6_T7_T9_mT8_P12ihipStream_tbDpT10_ENKUlT_T0_E_clISt17integral_constantIbLb0EES17_IbLb1EEEEDaS13_S14_EUlS13_E_NS1_11comp_targetILNS1_3genE8ELNS1_11target_archE1030ELNS1_3gpuE2ELNS1_3repE0EEENS1_30default_config_static_selectorELNS0_4arch9wavefront6targetE0EEEvT1_
    .private_segment_fixed_size: 0
    .sgpr_count:     0
    .sgpr_spill_count: 0
    .symbol:         _ZN7rocprim17ROCPRIM_400000_NS6detail17trampoline_kernelINS0_14default_configENS1_25partition_config_selectorILNS1_17partition_subalgoE9EssbEEZZNS1_14partition_implILS5_9ELb0ES3_jN6thrust23THRUST_200600_302600_NS6detail15normal_iteratorINS9_10device_ptrIsEEEESE_PNS0_10empty_typeENS0_5tupleIJSE_SF_EEENSH_IJSE_SG_EEENS0_18inequality_wrapperINS9_8equal_toIsEEEEPmJSF_EEE10hipError_tPvRmT3_T4_T5_T6_T7_T9_mT8_P12ihipStream_tbDpT10_ENKUlT_T0_E_clISt17integral_constantIbLb0EES17_IbLb1EEEEDaS13_S14_EUlS13_E_NS1_11comp_targetILNS1_3genE8ELNS1_11target_archE1030ELNS1_3gpuE2ELNS1_3repE0EEENS1_30default_config_static_selectorELNS0_4arch9wavefront6targetE0EEEvT1_.kd
    .uniform_work_group_size: 1
    .uses_dynamic_stack: false
    .vgpr_count:     0
    .vgpr_spill_count: 0
    .wavefront_size: 32
    .workgroup_processor_mode: 1
  - .args:
      - .offset:         0
        .size:           112
        .value_kind:     by_value
    .group_segment_fixed_size: 0
    .kernarg_segment_align: 8
    .kernarg_segment_size: 112
    .language:       OpenCL C
    .language_version:
      - 2
      - 0
    .max_flat_workgroup_size: 256
    .name:           _ZN7rocprim17ROCPRIM_400000_NS6detail17trampoline_kernelINS0_14default_configENS1_25partition_config_selectorILNS1_17partition_subalgoE9EssbEEZZNS1_14partition_implILS5_9ELb0ES3_jN6thrust23THRUST_200600_302600_NS6detail15normal_iteratorINS9_10device_ptrIsEEEESE_PNS0_10empty_typeENS0_5tupleIJSE_SF_EEENSH_IJSE_SG_EEENS0_18inequality_wrapperI22is_equal_div_10_uniqueIsEEEPmJSF_EEE10hipError_tPvRmT3_T4_T5_T6_T7_T9_mT8_P12ihipStream_tbDpT10_ENKUlT_T0_E_clISt17integral_constantIbLb0EES18_EEDaS13_S14_EUlS13_E_NS1_11comp_targetILNS1_3genE0ELNS1_11target_archE4294967295ELNS1_3gpuE0ELNS1_3repE0EEENS1_30default_config_static_selectorELNS0_4arch9wavefront6targetE0EEEvT1_
    .private_segment_fixed_size: 0
    .sgpr_count:     0
    .sgpr_spill_count: 0
    .symbol:         _ZN7rocprim17ROCPRIM_400000_NS6detail17trampoline_kernelINS0_14default_configENS1_25partition_config_selectorILNS1_17partition_subalgoE9EssbEEZZNS1_14partition_implILS5_9ELb0ES3_jN6thrust23THRUST_200600_302600_NS6detail15normal_iteratorINS9_10device_ptrIsEEEESE_PNS0_10empty_typeENS0_5tupleIJSE_SF_EEENSH_IJSE_SG_EEENS0_18inequality_wrapperI22is_equal_div_10_uniqueIsEEEPmJSF_EEE10hipError_tPvRmT3_T4_T5_T6_T7_T9_mT8_P12ihipStream_tbDpT10_ENKUlT_T0_E_clISt17integral_constantIbLb0EES18_EEDaS13_S14_EUlS13_E_NS1_11comp_targetILNS1_3genE0ELNS1_11target_archE4294967295ELNS1_3gpuE0ELNS1_3repE0EEENS1_30default_config_static_selectorELNS0_4arch9wavefront6targetE0EEEvT1_.kd
    .uniform_work_group_size: 1
    .uses_dynamic_stack: false
    .vgpr_count:     0
    .vgpr_spill_count: 0
    .wavefront_size: 32
    .workgroup_processor_mode: 1
  - .args:
      - .offset:         0
        .size:           112
        .value_kind:     by_value
    .group_segment_fixed_size: 0
    .kernarg_segment_align: 8
    .kernarg_segment_size: 112
    .language:       OpenCL C
    .language_version:
      - 2
      - 0
    .max_flat_workgroup_size: 512
    .name:           _ZN7rocprim17ROCPRIM_400000_NS6detail17trampoline_kernelINS0_14default_configENS1_25partition_config_selectorILNS1_17partition_subalgoE9EssbEEZZNS1_14partition_implILS5_9ELb0ES3_jN6thrust23THRUST_200600_302600_NS6detail15normal_iteratorINS9_10device_ptrIsEEEESE_PNS0_10empty_typeENS0_5tupleIJSE_SF_EEENSH_IJSE_SG_EEENS0_18inequality_wrapperI22is_equal_div_10_uniqueIsEEEPmJSF_EEE10hipError_tPvRmT3_T4_T5_T6_T7_T9_mT8_P12ihipStream_tbDpT10_ENKUlT_T0_E_clISt17integral_constantIbLb0EES18_EEDaS13_S14_EUlS13_E_NS1_11comp_targetILNS1_3genE5ELNS1_11target_archE942ELNS1_3gpuE9ELNS1_3repE0EEENS1_30default_config_static_selectorELNS0_4arch9wavefront6targetE0EEEvT1_
    .private_segment_fixed_size: 0
    .sgpr_count:     0
    .sgpr_spill_count: 0
    .symbol:         _ZN7rocprim17ROCPRIM_400000_NS6detail17trampoline_kernelINS0_14default_configENS1_25partition_config_selectorILNS1_17partition_subalgoE9EssbEEZZNS1_14partition_implILS5_9ELb0ES3_jN6thrust23THRUST_200600_302600_NS6detail15normal_iteratorINS9_10device_ptrIsEEEESE_PNS0_10empty_typeENS0_5tupleIJSE_SF_EEENSH_IJSE_SG_EEENS0_18inequality_wrapperI22is_equal_div_10_uniqueIsEEEPmJSF_EEE10hipError_tPvRmT3_T4_T5_T6_T7_T9_mT8_P12ihipStream_tbDpT10_ENKUlT_T0_E_clISt17integral_constantIbLb0EES18_EEDaS13_S14_EUlS13_E_NS1_11comp_targetILNS1_3genE5ELNS1_11target_archE942ELNS1_3gpuE9ELNS1_3repE0EEENS1_30default_config_static_selectorELNS0_4arch9wavefront6targetE0EEEvT1_.kd
    .uniform_work_group_size: 1
    .uses_dynamic_stack: false
    .vgpr_count:     0
    .vgpr_spill_count: 0
    .wavefront_size: 32
    .workgroup_processor_mode: 1
  - .args:
      - .offset:         0
        .size:           112
        .value_kind:     by_value
    .group_segment_fixed_size: 0
    .kernarg_segment_align: 8
    .kernarg_segment_size: 112
    .language:       OpenCL C
    .language_version:
      - 2
      - 0
    .max_flat_workgroup_size: 256
    .name:           _ZN7rocprim17ROCPRIM_400000_NS6detail17trampoline_kernelINS0_14default_configENS1_25partition_config_selectorILNS1_17partition_subalgoE9EssbEEZZNS1_14partition_implILS5_9ELb0ES3_jN6thrust23THRUST_200600_302600_NS6detail15normal_iteratorINS9_10device_ptrIsEEEESE_PNS0_10empty_typeENS0_5tupleIJSE_SF_EEENSH_IJSE_SG_EEENS0_18inequality_wrapperI22is_equal_div_10_uniqueIsEEEPmJSF_EEE10hipError_tPvRmT3_T4_T5_T6_T7_T9_mT8_P12ihipStream_tbDpT10_ENKUlT_T0_E_clISt17integral_constantIbLb0EES18_EEDaS13_S14_EUlS13_E_NS1_11comp_targetILNS1_3genE4ELNS1_11target_archE910ELNS1_3gpuE8ELNS1_3repE0EEENS1_30default_config_static_selectorELNS0_4arch9wavefront6targetE0EEEvT1_
    .private_segment_fixed_size: 0
    .sgpr_count:     0
    .sgpr_spill_count: 0
    .symbol:         _ZN7rocprim17ROCPRIM_400000_NS6detail17trampoline_kernelINS0_14default_configENS1_25partition_config_selectorILNS1_17partition_subalgoE9EssbEEZZNS1_14partition_implILS5_9ELb0ES3_jN6thrust23THRUST_200600_302600_NS6detail15normal_iteratorINS9_10device_ptrIsEEEESE_PNS0_10empty_typeENS0_5tupleIJSE_SF_EEENSH_IJSE_SG_EEENS0_18inequality_wrapperI22is_equal_div_10_uniqueIsEEEPmJSF_EEE10hipError_tPvRmT3_T4_T5_T6_T7_T9_mT8_P12ihipStream_tbDpT10_ENKUlT_T0_E_clISt17integral_constantIbLb0EES18_EEDaS13_S14_EUlS13_E_NS1_11comp_targetILNS1_3genE4ELNS1_11target_archE910ELNS1_3gpuE8ELNS1_3repE0EEENS1_30default_config_static_selectorELNS0_4arch9wavefront6targetE0EEEvT1_.kd
    .uniform_work_group_size: 1
    .uses_dynamic_stack: false
    .vgpr_count:     0
    .vgpr_spill_count: 0
    .wavefront_size: 32
    .workgroup_processor_mode: 1
  - .args:
      - .offset:         0
        .size:           112
        .value_kind:     by_value
    .group_segment_fixed_size: 0
    .kernarg_segment_align: 8
    .kernarg_segment_size: 112
    .language:       OpenCL C
    .language_version:
      - 2
      - 0
    .max_flat_workgroup_size: 256
    .name:           _ZN7rocprim17ROCPRIM_400000_NS6detail17trampoline_kernelINS0_14default_configENS1_25partition_config_selectorILNS1_17partition_subalgoE9EssbEEZZNS1_14partition_implILS5_9ELb0ES3_jN6thrust23THRUST_200600_302600_NS6detail15normal_iteratorINS9_10device_ptrIsEEEESE_PNS0_10empty_typeENS0_5tupleIJSE_SF_EEENSH_IJSE_SG_EEENS0_18inequality_wrapperI22is_equal_div_10_uniqueIsEEEPmJSF_EEE10hipError_tPvRmT3_T4_T5_T6_T7_T9_mT8_P12ihipStream_tbDpT10_ENKUlT_T0_E_clISt17integral_constantIbLb0EES18_EEDaS13_S14_EUlS13_E_NS1_11comp_targetILNS1_3genE3ELNS1_11target_archE908ELNS1_3gpuE7ELNS1_3repE0EEENS1_30default_config_static_selectorELNS0_4arch9wavefront6targetE0EEEvT1_
    .private_segment_fixed_size: 0
    .sgpr_count:     0
    .sgpr_spill_count: 0
    .symbol:         _ZN7rocprim17ROCPRIM_400000_NS6detail17trampoline_kernelINS0_14default_configENS1_25partition_config_selectorILNS1_17partition_subalgoE9EssbEEZZNS1_14partition_implILS5_9ELb0ES3_jN6thrust23THRUST_200600_302600_NS6detail15normal_iteratorINS9_10device_ptrIsEEEESE_PNS0_10empty_typeENS0_5tupleIJSE_SF_EEENSH_IJSE_SG_EEENS0_18inequality_wrapperI22is_equal_div_10_uniqueIsEEEPmJSF_EEE10hipError_tPvRmT3_T4_T5_T6_T7_T9_mT8_P12ihipStream_tbDpT10_ENKUlT_T0_E_clISt17integral_constantIbLb0EES18_EEDaS13_S14_EUlS13_E_NS1_11comp_targetILNS1_3genE3ELNS1_11target_archE908ELNS1_3gpuE7ELNS1_3repE0EEENS1_30default_config_static_selectorELNS0_4arch9wavefront6targetE0EEEvT1_.kd
    .uniform_work_group_size: 1
    .uses_dynamic_stack: false
    .vgpr_count:     0
    .vgpr_spill_count: 0
    .wavefront_size: 32
    .workgroup_processor_mode: 1
  - .args:
      - .offset:         0
        .size:           112
        .value_kind:     by_value
    .group_segment_fixed_size: 0
    .kernarg_segment_align: 8
    .kernarg_segment_size: 112
    .language:       OpenCL C
    .language_version:
      - 2
      - 0
    .max_flat_workgroup_size: 256
    .name:           _ZN7rocprim17ROCPRIM_400000_NS6detail17trampoline_kernelINS0_14default_configENS1_25partition_config_selectorILNS1_17partition_subalgoE9EssbEEZZNS1_14partition_implILS5_9ELb0ES3_jN6thrust23THRUST_200600_302600_NS6detail15normal_iteratorINS9_10device_ptrIsEEEESE_PNS0_10empty_typeENS0_5tupleIJSE_SF_EEENSH_IJSE_SG_EEENS0_18inequality_wrapperI22is_equal_div_10_uniqueIsEEEPmJSF_EEE10hipError_tPvRmT3_T4_T5_T6_T7_T9_mT8_P12ihipStream_tbDpT10_ENKUlT_T0_E_clISt17integral_constantIbLb0EES18_EEDaS13_S14_EUlS13_E_NS1_11comp_targetILNS1_3genE2ELNS1_11target_archE906ELNS1_3gpuE6ELNS1_3repE0EEENS1_30default_config_static_selectorELNS0_4arch9wavefront6targetE0EEEvT1_
    .private_segment_fixed_size: 0
    .sgpr_count:     0
    .sgpr_spill_count: 0
    .symbol:         _ZN7rocprim17ROCPRIM_400000_NS6detail17trampoline_kernelINS0_14default_configENS1_25partition_config_selectorILNS1_17partition_subalgoE9EssbEEZZNS1_14partition_implILS5_9ELb0ES3_jN6thrust23THRUST_200600_302600_NS6detail15normal_iteratorINS9_10device_ptrIsEEEESE_PNS0_10empty_typeENS0_5tupleIJSE_SF_EEENSH_IJSE_SG_EEENS0_18inequality_wrapperI22is_equal_div_10_uniqueIsEEEPmJSF_EEE10hipError_tPvRmT3_T4_T5_T6_T7_T9_mT8_P12ihipStream_tbDpT10_ENKUlT_T0_E_clISt17integral_constantIbLb0EES18_EEDaS13_S14_EUlS13_E_NS1_11comp_targetILNS1_3genE2ELNS1_11target_archE906ELNS1_3gpuE6ELNS1_3repE0EEENS1_30default_config_static_selectorELNS0_4arch9wavefront6targetE0EEEvT1_.kd
    .uniform_work_group_size: 1
    .uses_dynamic_stack: false
    .vgpr_count:     0
    .vgpr_spill_count: 0
    .wavefront_size: 32
    .workgroup_processor_mode: 1
  - .args:
      - .offset:         0
        .size:           112
        .value_kind:     by_value
    .group_segment_fixed_size: 0
    .kernarg_segment_align: 8
    .kernarg_segment_size: 112
    .language:       OpenCL C
    .language_version:
      - 2
      - 0
    .max_flat_workgroup_size: 512
    .name:           _ZN7rocprim17ROCPRIM_400000_NS6detail17trampoline_kernelINS0_14default_configENS1_25partition_config_selectorILNS1_17partition_subalgoE9EssbEEZZNS1_14partition_implILS5_9ELb0ES3_jN6thrust23THRUST_200600_302600_NS6detail15normal_iteratorINS9_10device_ptrIsEEEESE_PNS0_10empty_typeENS0_5tupleIJSE_SF_EEENSH_IJSE_SG_EEENS0_18inequality_wrapperI22is_equal_div_10_uniqueIsEEEPmJSF_EEE10hipError_tPvRmT3_T4_T5_T6_T7_T9_mT8_P12ihipStream_tbDpT10_ENKUlT_T0_E_clISt17integral_constantIbLb0EES18_EEDaS13_S14_EUlS13_E_NS1_11comp_targetILNS1_3genE10ELNS1_11target_archE1200ELNS1_3gpuE4ELNS1_3repE0EEENS1_30default_config_static_selectorELNS0_4arch9wavefront6targetE0EEEvT1_
    .private_segment_fixed_size: 0
    .sgpr_count:     0
    .sgpr_spill_count: 0
    .symbol:         _ZN7rocprim17ROCPRIM_400000_NS6detail17trampoline_kernelINS0_14default_configENS1_25partition_config_selectorILNS1_17partition_subalgoE9EssbEEZZNS1_14partition_implILS5_9ELb0ES3_jN6thrust23THRUST_200600_302600_NS6detail15normal_iteratorINS9_10device_ptrIsEEEESE_PNS0_10empty_typeENS0_5tupleIJSE_SF_EEENSH_IJSE_SG_EEENS0_18inequality_wrapperI22is_equal_div_10_uniqueIsEEEPmJSF_EEE10hipError_tPvRmT3_T4_T5_T6_T7_T9_mT8_P12ihipStream_tbDpT10_ENKUlT_T0_E_clISt17integral_constantIbLb0EES18_EEDaS13_S14_EUlS13_E_NS1_11comp_targetILNS1_3genE10ELNS1_11target_archE1200ELNS1_3gpuE4ELNS1_3repE0EEENS1_30default_config_static_selectorELNS0_4arch9wavefront6targetE0EEEvT1_.kd
    .uniform_work_group_size: 1
    .uses_dynamic_stack: false
    .vgpr_count:     0
    .vgpr_spill_count: 0
    .wavefront_size: 32
    .workgroup_processor_mode: 1
  - .args:
      - .offset:         0
        .size:           112
        .value_kind:     by_value
    .group_segment_fixed_size: 3080
    .kernarg_segment_align: 8
    .kernarg_segment_size: 112
    .language:       OpenCL C
    .language_version:
      - 2
      - 0
    .max_flat_workgroup_size: 128
    .name:           _ZN7rocprim17ROCPRIM_400000_NS6detail17trampoline_kernelINS0_14default_configENS1_25partition_config_selectorILNS1_17partition_subalgoE9EssbEEZZNS1_14partition_implILS5_9ELb0ES3_jN6thrust23THRUST_200600_302600_NS6detail15normal_iteratorINS9_10device_ptrIsEEEESE_PNS0_10empty_typeENS0_5tupleIJSE_SF_EEENSH_IJSE_SG_EEENS0_18inequality_wrapperI22is_equal_div_10_uniqueIsEEEPmJSF_EEE10hipError_tPvRmT3_T4_T5_T6_T7_T9_mT8_P12ihipStream_tbDpT10_ENKUlT_T0_E_clISt17integral_constantIbLb0EES18_EEDaS13_S14_EUlS13_E_NS1_11comp_targetILNS1_3genE9ELNS1_11target_archE1100ELNS1_3gpuE3ELNS1_3repE0EEENS1_30default_config_static_selectorELNS0_4arch9wavefront6targetE0EEEvT1_
    .private_segment_fixed_size: 0
    .sgpr_count:     27
    .sgpr_spill_count: 0
    .symbol:         _ZN7rocprim17ROCPRIM_400000_NS6detail17trampoline_kernelINS0_14default_configENS1_25partition_config_selectorILNS1_17partition_subalgoE9EssbEEZZNS1_14partition_implILS5_9ELb0ES3_jN6thrust23THRUST_200600_302600_NS6detail15normal_iteratorINS9_10device_ptrIsEEEESE_PNS0_10empty_typeENS0_5tupleIJSE_SF_EEENSH_IJSE_SG_EEENS0_18inequality_wrapperI22is_equal_div_10_uniqueIsEEEPmJSF_EEE10hipError_tPvRmT3_T4_T5_T6_T7_T9_mT8_P12ihipStream_tbDpT10_ENKUlT_T0_E_clISt17integral_constantIbLb0EES18_EEDaS13_S14_EUlS13_E_NS1_11comp_targetILNS1_3genE9ELNS1_11target_archE1100ELNS1_3gpuE3ELNS1_3repE0EEENS1_30default_config_static_selectorELNS0_4arch9wavefront6targetE0EEEvT1_.kd
    .uniform_work_group_size: 1
    .uses_dynamic_stack: false
    .vgpr_count:     81
    .vgpr_spill_count: 0
    .wavefront_size: 32
    .workgroup_processor_mode: 1
  - .args:
      - .offset:         0
        .size:           112
        .value_kind:     by_value
    .group_segment_fixed_size: 0
    .kernarg_segment_align: 8
    .kernarg_segment_size: 112
    .language:       OpenCL C
    .language_version:
      - 2
      - 0
    .max_flat_workgroup_size: 384
    .name:           _ZN7rocprim17ROCPRIM_400000_NS6detail17trampoline_kernelINS0_14default_configENS1_25partition_config_selectorILNS1_17partition_subalgoE9EssbEEZZNS1_14partition_implILS5_9ELb0ES3_jN6thrust23THRUST_200600_302600_NS6detail15normal_iteratorINS9_10device_ptrIsEEEESE_PNS0_10empty_typeENS0_5tupleIJSE_SF_EEENSH_IJSE_SG_EEENS0_18inequality_wrapperI22is_equal_div_10_uniqueIsEEEPmJSF_EEE10hipError_tPvRmT3_T4_T5_T6_T7_T9_mT8_P12ihipStream_tbDpT10_ENKUlT_T0_E_clISt17integral_constantIbLb0EES18_EEDaS13_S14_EUlS13_E_NS1_11comp_targetILNS1_3genE8ELNS1_11target_archE1030ELNS1_3gpuE2ELNS1_3repE0EEENS1_30default_config_static_selectorELNS0_4arch9wavefront6targetE0EEEvT1_
    .private_segment_fixed_size: 0
    .sgpr_count:     0
    .sgpr_spill_count: 0
    .symbol:         _ZN7rocprim17ROCPRIM_400000_NS6detail17trampoline_kernelINS0_14default_configENS1_25partition_config_selectorILNS1_17partition_subalgoE9EssbEEZZNS1_14partition_implILS5_9ELb0ES3_jN6thrust23THRUST_200600_302600_NS6detail15normal_iteratorINS9_10device_ptrIsEEEESE_PNS0_10empty_typeENS0_5tupleIJSE_SF_EEENSH_IJSE_SG_EEENS0_18inequality_wrapperI22is_equal_div_10_uniqueIsEEEPmJSF_EEE10hipError_tPvRmT3_T4_T5_T6_T7_T9_mT8_P12ihipStream_tbDpT10_ENKUlT_T0_E_clISt17integral_constantIbLb0EES18_EEDaS13_S14_EUlS13_E_NS1_11comp_targetILNS1_3genE8ELNS1_11target_archE1030ELNS1_3gpuE2ELNS1_3repE0EEENS1_30default_config_static_selectorELNS0_4arch9wavefront6targetE0EEEvT1_.kd
    .uniform_work_group_size: 1
    .uses_dynamic_stack: false
    .vgpr_count:     0
    .vgpr_spill_count: 0
    .wavefront_size: 32
    .workgroup_processor_mode: 1
  - .args:
      - .offset:         0
        .size:           128
        .value_kind:     by_value
    .group_segment_fixed_size: 0
    .kernarg_segment_align: 8
    .kernarg_segment_size: 128
    .language:       OpenCL C
    .language_version:
      - 2
      - 0
    .max_flat_workgroup_size: 256
    .name:           _ZN7rocprim17ROCPRIM_400000_NS6detail17trampoline_kernelINS0_14default_configENS1_25partition_config_selectorILNS1_17partition_subalgoE9EssbEEZZNS1_14partition_implILS5_9ELb0ES3_jN6thrust23THRUST_200600_302600_NS6detail15normal_iteratorINS9_10device_ptrIsEEEESE_PNS0_10empty_typeENS0_5tupleIJSE_SF_EEENSH_IJSE_SG_EEENS0_18inequality_wrapperI22is_equal_div_10_uniqueIsEEEPmJSF_EEE10hipError_tPvRmT3_T4_T5_T6_T7_T9_mT8_P12ihipStream_tbDpT10_ENKUlT_T0_E_clISt17integral_constantIbLb1EES18_EEDaS13_S14_EUlS13_E_NS1_11comp_targetILNS1_3genE0ELNS1_11target_archE4294967295ELNS1_3gpuE0ELNS1_3repE0EEENS1_30default_config_static_selectorELNS0_4arch9wavefront6targetE0EEEvT1_
    .private_segment_fixed_size: 0
    .sgpr_count:     0
    .sgpr_spill_count: 0
    .symbol:         _ZN7rocprim17ROCPRIM_400000_NS6detail17trampoline_kernelINS0_14default_configENS1_25partition_config_selectorILNS1_17partition_subalgoE9EssbEEZZNS1_14partition_implILS5_9ELb0ES3_jN6thrust23THRUST_200600_302600_NS6detail15normal_iteratorINS9_10device_ptrIsEEEESE_PNS0_10empty_typeENS0_5tupleIJSE_SF_EEENSH_IJSE_SG_EEENS0_18inequality_wrapperI22is_equal_div_10_uniqueIsEEEPmJSF_EEE10hipError_tPvRmT3_T4_T5_T6_T7_T9_mT8_P12ihipStream_tbDpT10_ENKUlT_T0_E_clISt17integral_constantIbLb1EES18_EEDaS13_S14_EUlS13_E_NS1_11comp_targetILNS1_3genE0ELNS1_11target_archE4294967295ELNS1_3gpuE0ELNS1_3repE0EEENS1_30default_config_static_selectorELNS0_4arch9wavefront6targetE0EEEvT1_.kd
    .uniform_work_group_size: 1
    .uses_dynamic_stack: false
    .vgpr_count:     0
    .vgpr_spill_count: 0
    .wavefront_size: 32
    .workgroup_processor_mode: 1
  - .args:
      - .offset:         0
        .size:           128
        .value_kind:     by_value
    .group_segment_fixed_size: 0
    .kernarg_segment_align: 8
    .kernarg_segment_size: 128
    .language:       OpenCL C
    .language_version:
      - 2
      - 0
    .max_flat_workgroup_size: 512
    .name:           _ZN7rocprim17ROCPRIM_400000_NS6detail17trampoline_kernelINS0_14default_configENS1_25partition_config_selectorILNS1_17partition_subalgoE9EssbEEZZNS1_14partition_implILS5_9ELb0ES3_jN6thrust23THRUST_200600_302600_NS6detail15normal_iteratorINS9_10device_ptrIsEEEESE_PNS0_10empty_typeENS0_5tupleIJSE_SF_EEENSH_IJSE_SG_EEENS0_18inequality_wrapperI22is_equal_div_10_uniqueIsEEEPmJSF_EEE10hipError_tPvRmT3_T4_T5_T6_T7_T9_mT8_P12ihipStream_tbDpT10_ENKUlT_T0_E_clISt17integral_constantIbLb1EES18_EEDaS13_S14_EUlS13_E_NS1_11comp_targetILNS1_3genE5ELNS1_11target_archE942ELNS1_3gpuE9ELNS1_3repE0EEENS1_30default_config_static_selectorELNS0_4arch9wavefront6targetE0EEEvT1_
    .private_segment_fixed_size: 0
    .sgpr_count:     0
    .sgpr_spill_count: 0
    .symbol:         _ZN7rocprim17ROCPRIM_400000_NS6detail17trampoline_kernelINS0_14default_configENS1_25partition_config_selectorILNS1_17partition_subalgoE9EssbEEZZNS1_14partition_implILS5_9ELb0ES3_jN6thrust23THRUST_200600_302600_NS6detail15normal_iteratorINS9_10device_ptrIsEEEESE_PNS0_10empty_typeENS0_5tupleIJSE_SF_EEENSH_IJSE_SG_EEENS0_18inequality_wrapperI22is_equal_div_10_uniqueIsEEEPmJSF_EEE10hipError_tPvRmT3_T4_T5_T6_T7_T9_mT8_P12ihipStream_tbDpT10_ENKUlT_T0_E_clISt17integral_constantIbLb1EES18_EEDaS13_S14_EUlS13_E_NS1_11comp_targetILNS1_3genE5ELNS1_11target_archE942ELNS1_3gpuE9ELNS1_3repE0EEENS1_30default_config_static_selectorELNS0_4arch9wavefront6targetE0EEEvT1_.kd
    .uniform_work_group_size: 1
    .uses_dynamic_stack: false
    .vgpr_count:     0
    .vgpr_spill_count: 0
    .wavefront_size: 32
    .workgroup_processor_mode: 1
  - .args:
      - .offset:         0
        .size:           128
        .value_kind:     by_value
    .group_segment_fixed_size: 0
    .kernarg_segment_align: 8
    .kernarg_segment_size: 128
    .language:       OpenCL C
    .language_version:
      - 2
      - 0
    .max_flat_workgroup_size: 256
    .name:           _ZN7rocprim17ROCPRIM_400000_NS6detail17trampoline_kernelINS0_14default_configENS1_25partition_config_selectorILNS1_17partition_subalgoE9EssbEEZZNS1_14partition_implILS5_9ELb0ES3_jN6thrust23THRUST_200600_302600_NS6detail15normal_iteratorINS9_10device_ptrIsEEEESE_PNS0_10empty_typeENS0_5tupleIJSE_SF_EEENSH_IJSE_SG_EEENS0_18inequality_wrapperI22is_equal_div_10_uniqueIsEEEPmJSF_EEE10hipError_tPvRmT3_T4_T5_T6_T7_T9_mT8_P12ihipStream_tbDpT10_ENKUlT_T0_E_clISt17integral_constantIbLb1EES18_EEDaS13_S14_EUlS13_E_NS1_11comp_targetILNS1_3genE4ELNS1_11target_archE910ELNS1_3gpuE8ELNS1_3repE0EEENS1_30default_config_static_selectorELNS0_4arch9wavefront6targetE0EEEvT1_
    .private_segment_fixed_size: 0
    .sgpr_count:     0
    .sgpr_spill_count: 0
    .symbol:         _ZN7rocprim17ROCPRIM_400000_NS6detail17trampoline_kernelINS0_14default_configENS1_25partition_config_selectorILNS1_17partition_subalgoE9EssbEEZZNS1_14partition_implILS5_9ELb0ES3_jN6thrust23THRUST_200600_302600_NS6detail15normal_iteratorINS9_10device_ptrIsEEEESE_PNS0_10empty_typeENS0_5tupleIJSE_SF_EEENSH_IJSE_SG_EEENS0_18inequality_wrapperI22is_equal_div_10_uniqueIsEEEPmJSF_EEE10hipError_tPvRmT3_T4_T5_T6_T7_T9_mT8_P12ihipStream_tbDpT10_ENKUlT_T0_E_clISt17integral_constantIbLb1EES18_EEDaS13_S14_EUlS13_E_NS1_11comp_targetILNS1_3genE4ELNS1_11target_archE910ELNS1_3gpuE8ELNS1_3repE0EEENS1_30default_config_static_selectorELNS0_4arch9wavefront6targetE0EEEvT1_.kd
    .uniform_work_group_size: 1
    .uses_dynamic_stack: false
    .vgpr_count:     0
    .vgpr_spill_count: 0
    .wavefront_size: 32
    .workgroup_processor_mode: 1
  - .args:
      - .offset:         0
        .size:           128
        .value_kind:     by_value
    .group_segment_fixed_size: 0
    .kernarg_segment_align: 8
    .kernarg_segment_size: 128
    .language:       OpenCL C
    .language_version:
      - 2
      - 0
    .max_flat_workgroup_size: 256
    .name:           _ZN7rocprim17ROCPRIM_400000_NS6detail17trampoline_kernelINS0_14default_configENS1_25partition_config_selectorILNS1_17partition_subalgoE9EssbEEZZNS1_14partition_implILS5_9ELb0ES3_jN6thrust23THRUST_200600_302600_NS6detail15normal_iteratorINS9_10device_ptrIsEEEESE_PNS0_10empty_typeENS0_5tupleIJSE_SF_EEENSH_IJSE_SG_EEENS0_18inequality_wrapperI22is_equal_div_10_uniqueIsEEEPmJSF_EEE10hipError_tPvRmT3_T4_T5_T6_T7_T9_mT8_P12ihipStream_tbDpT10_ENKUlT_T0_E_clISt17integral_constantIbLb1EES18_EEDaS13_S14_EUlS13_E_NS1_11comp_targetILNS1_3genE3ELNS1_11target_archE908ELNS1_3gpuE7ELNS1_3repE0EEENS1_30default_config_static_selectorELNS0_4arch9wavefront6targetE0EEEvT1_
    .private_segment_fixed_size: 0
    .sgpr_count:     0
    .sgpr_spill_count: 0
    .symbol:         _ZN7rocprim17ROCPRIM_400000_NS6detail17trampoline_kernelINS0_14default_configENS1_25partition_config_selectorILNS1_17partition_subalgoE9EssbEEZZNS1_14partition_implILS5_9ELb0ES3_jN6thrust23THRUST_200600_302600_NS6detail15normal_iteratorINS9_10device_ptrIsEEEESE_PNS0_10empty_typeENS0_5tupleIJSE_SF_EEENSH_IJSE_SG_EEENS0_18inequality_wrapperI22is_equal_div_10_uniqueIsEEEPmJSF_EEE10hipError_tPvRmT3_T4_T5_T6_T7_T9_mT8_P12ihipStream_tbDpT10_ENKUlT_T0_E_clISt17integral_constantIbLb1EES18_EEDaS13_S14_EUlS13_E_NS1_11comp_targetILNS1_3genE3ELNS1_11target_archE908ELNS1_3gpuE7ELNS1_3repE0EEENS1_30default_config_static_selectorELNS0_4arch9wavefront6targetE0EEEvT1_.kd
    .uniform_work_group_size: 1
    .uses_dynamic_stack: false
    .vgpr_count:     0
    .vgpr_spill_count: 0
    .wavefront_size: 32
    .workgroup_processor_mode: 1
  - .args:
      - .offset:         0
        .size:           128
        .value_kind:     by_value
    .group_segment_fixed_size: 0
    .kernarg_segment_align: 8
    .kernarg_segment_size: 128
    .language:       OpenCL C
    .language_version:
      - 2
      - 0
    .max_flat_workgroup_size: 256
    .name:           _ZN7rocprim17ROCPRIM_400000_NS6detail17trampoline_kernelINS0_14default_configENS1_25partition_config_selectorILNS1_17partition_subalgoE9EssbEEZZNS1_14partition_implILS5_9ELb0ES3_jN6thrust23THRUST_200600_302600_NS6detail15normal_iteratorINS9_10device_ptrIsEEEESE_PNS0_10empty_typeENS0_5tupleIJSE_SF_EEENSH_IJSE_SG_EEENS0_18inequality_wrapperI22is_equal_div_10_uniqueIsEEEPmJSF_EEE10hipError_tPvRmT3_T4_T5_T6_T7_T9_mT8_P12ihipStream_tbDpT10_ENKUlT_T0_E_clISt17integral_constantIbLb1EES18_EEDaS13_S14_EUlS13_E_NS1_11comp_targetILNS1_3genE2ELNS1_11target_archE906ELNS1_3gpuE6ELNS1_3repE0EEENS1_30default_config_static_selectorELNS0_4arch9wavefront6targetE0EEEvT1_
    .private_segment_fixed_size: 0
    .sgpr_count:     0
    .sgpr_spill_count: 0
    .symbol:         _ZN7rocprim17ROCPRIM_400000_NS6detail17trampoline_kernelINS0_14default_configENS1_25partition_config_selectorILNS1_17partition_subalgoE9EssbEEZZNS1_14partition_implILS5_9ELb0ES3_jN6thrust23THRUST_200600_302600_NS6detail15normal_iteratorINS9_10device_ptrIsEEEESE_PNS0_10empty_typeENS0_5tupleIJSE_SF_EEENSH_IJSE_SG_EEENS0_18inequality_wrapperI22is_equal_div_10_uniqueIsEEEPmJSF_EEE10hipError_tPvRmT3_T4_T5_T6_T7_T9_mT8_P12ihipStream_tbDpT10_ENKUlT_T0_E_clISt17integral_constantIbLb1EES18_EEDaS13_S14_EUlS13_E_NS1_11comp_targetILNS1_3genE2ELNS1_11target_archE906ELNS1_3gpuE6ELNS1_3repE0EEENS1_30default_config_static_selectorELNS0_4arch9wavefront6targetE0EEEvT1_.kd
    .uniform_work_group_size: 1
    .uses_dynamic_stack: false
    .vgpr_count:     0
    .vgpr_spill_count: 0
    .wavefront_size: 32
    .workgroup_processor_mode: 1
  - .args:
      - .offset:         0
        .size:           128
        .value_kind:     by_value
    .group_segment_fixed_size: 0
    .kernarg_segment_align: 8
    .kernarg_segment_size: 128
    .language:       OpenCL C
    .language_version:
      - 2
      - 0
    .max_flat_workgroup_size: 512
    .name:           _ZN7rocprim17ROCPRIM_400000_NS6detail17trampoline_kernelINS0_14default_configENS1_25partition_config_selectorILNS1_17partition_subalgoE9EssbEEZZNS1_14partition_implILS5_9ELb0ES3_jN6thrust23THRUST_200600_302600_NS6detail15normal_iteratorINS9_10device_ptrIsEEEESE_PNS0_10empty_typeENS0_5tupleIJSE_SF_EEENSH_IJSE_SG_EEENS0_18inequality_wrapperI22is_equal_div_10_uniqueIsEEEPmJSF_EEE10hipError_tPvRmT3_T4_T5_T6_T7_T9_mT8_P12ihipStream_tbDpT10_ENKUlT_T0_E_clISt17integral_constantIbLb1EES18_EEDaS13_S14_EUlS13_E_NS1_11comp_targetILNS1_3genE10ELNS1_11target_archE1200ELNS1_3gpuE4ELNS1_3repE0EEENS1_30default_config_static_selectorELNS0_4arch9wavefront6targetE0EEEvT1_
    .private_segment_fixed_size: 0
    .sgpr_count:     0
    .sgpr_spill_count: 0
    .symbol:         _ZN7rocprim17ROCPRIM_400000_NS6detail17trampoline_kernelINS0_14default_configENS1_25partition_config_selectorILNS1_17partition_subalgoE9EssbEEZZNS1_14partition_implILS5_9ELb0ES3_jN6thrust23THRUST_200600_302600_NS6detail15normal_iteratorINS9_10device_ptrIsEEEESE_PNS0_10empty_typeENS0_5tupleIJSE_SF_EEENSH_IJSE_SG_EEENS0_18inequality_wrapperI22is_equal_div_10_uniqueIsEEEPmJSF_EEE10hipError_tPvRmT3_T4_T5_T6_T7_T9_mT8_P12ihipStream_tbDpT10_ENKUlT_T0_E_clISt17integral_constantIbLb1EES18_EEDaS13_S14_EUlS13_E_NS1_11comp_targetILNS1_3genE10ELNS1_11target_archE1200ELNS1_3gpuE4ELNS1_3repE0EEENS1_30default_config_static_selectorELNS0_4arch9wavefront6targetE0EEEvT1_.kd
    .uniform_work_group_size: 1
    .uses_dynamic_stack: false
    .vgpr_count:     0
    .vgpr_spill_count: 0
    .wavefront_size: 32
    .workgroup_processor_mode: 1
  - .args:
      - .offset:         0
        .size:           128
        .value_kind:     by_value
    .group_segment_fixed_size: 3080
    .kernarg_segment_align: 8
    .kernarg_segment_size: 128
    .language:       OpenCL C
    .language_version:
      - 2
      - 0
    .max_flat_workgroup_size: 128
    .name:           _ZN7rocprim17ROCPRIM_400000_NS6detail17trampoline_kernelINS0_14default_configENS1_25partition_config_selectorILNS1_17partition_subalgoE9EssbEEZZNS1_14partition_implILS5_9ELb0ES3_jN6thrust23THRUST_200600_302600_NS6detail15normal_iteratorINS9_10device_ptrIsEEEESE_PNS0_10empty_typeENS0_5tupleIJSE_SF_EEENSH_IJSE_SG_EEENS0_18inequality_wrapperI22is_equal_div_10_uniqueIsEEEPmJSF_EEE10hipError_tPvRmT3_T4_T5_T6_T7_T9_mT8_P12ihipStream_tbDpT10_ENKUlT_T0_E_clISt17integral_constantIbLb1EES18_EEDaS13_S14_EUlS13_E_NS1_11comp_targetILNS1_3genE9ELNS1_11target_archE1100ELNS1_3gpuE3ELNS1_3repE0EEENS1_30default_config_static_selectorELNS0_4arch9wavefront6targetE0EEEvT1_
    .private_segment_fixed_size: 0
    .sgpr_count:     33
    .sgpr_spill_count: 0
    .symbol:         _ZN7rocprim17ROCPRIM_400000_NS6detail17trampoline_kernelINS0_14default_configENS1_25partition_config_selectorILNS1_17partition_subalgoE9EssbEEZZNS1_14partition_implILS5_9ELb0ES3_jN6thrust23THRUST_200600_302600_NS6detail15normal_iteratorINS9_10device_ptrIsEEEESE_PNS0_10empty_typeENS0_5tupleIJSE_SF_EEENSH_IJSE_SG_EEENS0_18inequality_wrapperI22is_equal_div_10_uniqueIsEEEPmJSF_EEE10hipError_tPvRmT3_T4_T5_T6_T7_T9_mT8_P12ihipStream_tbDpT10_ENKUlT_T0_E_clISt17integral_constantIbLb1EES18_EEDaS13_S14_EUlS13_E_NS1_11comp_targetILNS1_3genE9ELNS1_11target_archE1100ELNS1_3gpuE3ELNS1_3repE0EEENS1_30default_config_static_selectorELNS0_4arch9wavefront6targetE0EEEvT1_.kd
    .uniform_work_group_size: 1
    .uses_dynamic_stack: false
    .vgpr_count:     81
    .vgpr_spill_count: 0
    .wavefront_size: 32
    .workgroup_processor_mode: 1
  - .args:
      - .offset:         0
        .size:           128
        .value_kind:     by_value
    .group_segment_fixed_size: 0
    .kernarg_segment_align: 8
    .kernarg_segment_size: 128
    .language:       OpenCL C
    .language_version:
      - 2
      - 0
    .max_flat_workgroup_size: 384
    .name:           _ZN7rocprim17ROCPRIM_400000_NS6detail17trampoline_kernelINS0_14default_configENS1_25partition_config_selectorILNS1_17partition_subalgoE9EssbEEZZNS1_14partition_implILS5_9ELb0ES3_jN6thrust23THRUST_200600_302600_NS6detail15normal_iteratorINS9_10device_ptrIsEEEESE_PNS0_10empty_typeENS0_5tupleIJSE_SF_EEENSH_IJSE_SG_EEENS0_18inequality_wrapperI22is_equal_div_10_uniqueIsEEEPmJSF_EEE10hipError_tPvRmT3_T4_T5_T6_T7_T9_mT8_P12ihipStream_tbDpT10_ENKUlT_T0_E_clISt17integral_constantIbLb1EES18_EEDaS13_S14_EUlS13_E_NS1_11comp_targetILNS1_3genE8ELNS1_11target_archE1030ELNS1_3gpuE2ELNS1_3repE0EEENS1_30default_config_static_selectorELNS0_4arch9wavefront6targetE0EEEvT1_
    .private_segment_fixed_size: 0
    .sgpr_count:     0
    .sgpr_spill_count: 0
    .symbol:         _ZN7rocprim17ROCPRIM_400000_NS6detail17trampoline_kernelINS0_14default_configENS1_25partition_config_selectorILNS1_17partition_subalgoE9EssbEEZZNS1_14partition_implILS5_9ELb0ES3_jN6thrust23THRUST_200600_302600_NS6detail15normal_iteratorINS9_10device_ptrIsEEEESE_PNS0_10empty_typeENS0_5tupleIJSE_SF_EEENSH_IJSE_SG_EEENS0_18inequality_wrapperI22is_equal_div_10_uniqueIsEEEPmJSF_EEE10hipError_tPvRmT3_T4_T5_T6_T7_T9_mT8_P12ihipStream_tbDpT10_ENKUlT_T0_E_clISt17integral_constantIbLb1EES18_EEDaS13_S14_EUlS13_E_NS1_11comp_targetILNS1_3genE8ELNS1_11target_archE1030ELNS1_3gpuE2ELNS1_3repE0EEENS1_30default_config_static_selectorELNS0_4arch9wavefront6targetE0EEEvT1_.kd
    .uniform_work_group_size: 1
    .uses_dynamic_stack: false
    .vgpr_count:     0
    .vgpr_spill_count: 0
    .wavefront_size: 32
    .workgroup_processor_mode: 1
  - .args:
      - .offset:         0
        .size:           112
        .value_kind:     by_value
    .group_segment_fixed_size: 0
    .kernarg_segment_align: 8
    .kernarg_segment_size: 112
    .language:       OpenCL C
    .language_version:
      - 2
      - 0
    .max_flat_workgroup_size: 256
    .name:           _ZN7rocprim17ROCPRIM_400000_NS6detail17trampoline_kernelINS0_14default_configENS1_25partition_config_selectorILNS1_17partition_subalgoE9EssbEEZZNS1_14partition_implILS5_9ELb0ES3_jN6thrust23THRUST_200600_302600_NS6detail15normal_iteratorINS9_10device_ptrIsEEEESE_PNS0_10empty_typeENS0_5tupleIJSE_SF_EEENSH_IJSE_SG_EEENS0_18inequality_wrapperI22is_equal_div_10_uniqueIsEEEPmJSF_EEE10hipError_tPvRmT3_T4_T5_T6_T7_T9_mT8_P12ihipStream_tbDpT10_ENKUlT_T0_E_clISt17integral_constantIbLb1EES17_IbLb0EEEEDaS13_S14_EUlS13_E_NS1_11comp_targetILNS1_3genE0ELNS1_11target_archE4294967295ELNS1_3gpuE0ELNS1_3repE0EEENS1_30default_config_static_selectorELNS0_4arch9wavefront6targetE0EEEvT1_
    .private_segment_fixed_size: 0
    .sgpr_count:     0
    .sgpr_spill_count: 0
    .symbol:         _ZN7rocprim17ROCPRIM_400000_NS6detail17trampoline_kernelINS0_14default_configENS1_25partition_config_selectorILNS1_17partition_subalgoE9EssbEEZZNS1_14partition_implILS5_9ELb0ES3_jN6thrust23THRUST_200600_302600_NS6detail15normal_iteratorINS9_10device_ptrIsEEEESE_PNS0_10empty_typeENS0_5tupleIJSE_SF_EEENSH_IJSE_SG_EEENS0_18inequality_wrapperI22is_equal_div_10_uniqueIsEEEPmJSF_EEE10hipError_tPvRmT3_T4_T5_T6_T7_T9_mT8_P12ihipStream_tbDpT10_ENKUlT_T0_E_clISt17integral_constantIbLb1EES17_IbLb0EEEEDaS13_S14_EUlS13_E_NS1_11comp_targetILNS1_3genE0ELNS1_11target_archE4294967295ELNS1_3gpuE0ELNS1_3repE0EEENS1_30default_config_static_selectorELNS0_4arch9wavefront6targetE0EEEvT1_.kd
    .uniform_work_group_size: 1
    .uses_dynamic_stack: false
    .vgpr_count:     0
    .vgpr_spill_count: 0
    .wavefront_size: 32
    .workgroup_processor_mode: 1
  - .args:
      - .offset:         0
        .size:           112
        .value_kind:     by_value
    .group_segment_fixed_size: 0
    .kernarg_segment_align: 8
    .kernarg_segment_size: 112
    .language:       OpenCL C
    .language_version:
      - 2
      - 0
    .max_flat_workgroup_size: 512
    .name:           _ZN7rocprim17ROCPRIM_400000_NS6detail17trampoline_kernelINS0_14default_configENS1_25partition_config_selectorILNS1_17partition_subalgoE9EssbEEZZNS1_14partition_implILS5_9ELb0ES3_jN6thrust23THRUST_200600_302600_NS6detail15normal_iteratorINS9_10device_ptrIsEEEESE_PNS0_10empty_typeENS0_5tupleIJSE_SF_EEENSH_IJSE_SG_EEENS0_18inequality_wrapperI22is_equal_div_10_uniqueIsEEEPmJSF_EEE10hipError_tPvRmT3_T4_T5_T6_T7_T9_mT8_P12ihipStream_tbDpT10_ENKUlT_T0_E_clISt17integral_constantIbLb1EES17_IbLb0EEEEDaS13_S14_EUlS13_E_NS1_11comp_targetILNS1_3genE5ELNS1_11target_archE942ELNS1_3gpuE9ELNS1_3repE0EEENS1_30default_config_static_selectorELNS0_4arch9wavefront6targetE0EEEvT1_
    .private_segment_fixed_size: 0
    .sgpr_count:     0
    .sgpr_spill_count: 0
    .symbol:         _ZN7rocprim17ROCPRIM_400000_NS6detail17trampoline_kernelINS0_14default_configENS1_25partition_config_selectorILNS1_17partition_subalgoE9EssbEEZZNS1_14partition_implILS5_9ELb0ES3_jN6thrust23THRUST_200600_302600_NS6detail15normal_iteratorINS9_10device_ptrIsEEEESE_PNS0_10empty_typeENS0_5tupleIJSE_SF_EEENSH_IJSE_SG_EEENS0_18inequality_wrapperI22is_equal_div_10_uniqueIsEEEPmJSF_EEE10hipError_tPvRmT3_T4_T5_T6_T7_T9_mT8_P12ihipStream_tbDpT10_ENKUlT_T0_E_clISt17integral_constantIbLb1EES17_IbLb0EEEEDaS13_S14_EUlS13_E_NS1_11comp_targetILNS1_3genE5ELNS1_11target_archE942ELNS1_3gpuE9ELNS1_3repE0EEENS1_30default_config_static_selectorELNS0_4arch9wavefront6targetE0EEEvT1_.kd
    .uniform_work_group_size: 1
    .uses_dynamic_stack: false
    .vgpr_count:     0
    .vgpr_spill_count: 0
    .wavefront_size: 32
    .workgroup_processor_mode: 1
  - .args:
      - .offset:         0
        .size:           112
        .value_kind:     by_value
    .group_segment_fixed_size: 0
    .kernarg_segment_align: 8
    .kernarg_segment_size: 112
    .language:       OpenCL C
    .language_version:
      - 2
      - 0
    .max_flat_workgroup_size: 256
    .name:           _ZN7rocprim17ROCPRIM_400000_NS6detail17trampoline_kernelINS0_14default_configENS1_25partition_config_selectorILNS1_17partition_subalgoE9EssbEEZZNS1_14partition_implILS5_9ELb0ES3_jN6thrust23THRUST_200600_302600_NS6detail15normal_iteratorINS9_10device_ptrIsEEEESE_PNS0_10empty_typeENS0_5tupleIJSE_SF_EEENSH_IJSE_SG_EEENS0_18inequality_wrapperI22is_equal_div_10_uniqueIsEEEPmJSF_EEE10hipError_tPvRmT3_T4_T5_T6_T7_T9_mT8_P12ihipStream_tbDpT10_ENKUlT_T0_E_clISt17integral_constantIbLb1EES17_IbLb0EEEEDaS13_S14_EUlS13_E_NS1_11comp_targetILNS1_3genE4ELNS1_11target_archE910ELNS1_3gpuE8ELNS1_3repE0EEENS1_30default_config_static_selectorELNS0_4arch9wavefront6targetE0EEEvT1_
    .private_segment_fixed_size: 0
    .sgpr_count:     0
    .sgpr_spill_count: 0
    .symbol:         _ZN7rocprim17ROCPRIM_400000_NS6detail17trampoline_kernelINS0_14default_configENS1_25partition_config_selectorILNS1_17partition_subalgoE9EssbEEZZNS1_14partition_implILS5_9ELb0ES3_jN6thrust23THRUST_200600_302600_NS6detail15normal_iteratorINS9_10device_ptrIsEEEESE_PNS0_10empty_typeENS0_5tupleIJSE_SF_EEENSH_IJSE_SG_EEENS0_18inequality_wrapperI22is_equal_div_10_uniqueIsEEEPmJSF_EEE10hipError_tPvRmT3_T4_T5_T6_T7_T9_mT8_P12ihipStream_tbDpT10_ENKUlT_T0_E_clISt17integral_constantIbLb1EES17_IbLb0EEEEDaS13_S14_EUlS13_E_NS1_11comp_targetILNS1_3genE4ELNS1_11target_archE910ELNS1_3gpuE8ELNS1_3repE0EEENS1_30default_config_static_selectorELNS0_4arch9wavefront6targetE0EEEvT1_.kd
    .uniform_work_group_size: 1
    .uses_dynamic_stack: false
    .vgpr_count:     0
    .vgpr_spill_count: 0
    .wavefront_size: 32
    .workgroup_processor_mode: 1
  - .args:
      - .offset:         0
        .size:           112
        .value_kind:     by_value
    .group_segment_fixed_size: 0
    .kernarg_segment_align: 8
    .kernarg_segment_size: 112
    .language:       OpenCL C
    .language_version:
      - 2
      - 0
    .max_flat_workgroup_size: 256
    .name:           _ZN7rocprim17ROCPRIM_400000_NS6detail17trampoline_kernelINS0_14default_configENS1_25partition_config_selectorILNS1_17partition_subalgoE9EssbEEZZNS1_14partition_implILS5_9ELb0ES3_jN6thrust23THRUST_200600_302600_NS6detail15normal_iteratorINS9_10device_ptrIsEEEESE_PNS0_10empty_typeENS0_5tupleIJSE_SF_EEENSH_IJSE_SG_EEENS0_18inequality_wrapperI22is_equal_div_10_uniqueIsEEEPmJSF_EEE10hipError_tPvRmT3_T4_T5_T6_T7_T9_mT8_P12ihipStream_tbDpT10_ENKUlT_T0_E_clISt17integral_constantIbLb1EES17_IbLb0EEEEDaS13_S14_EUlS13_E_NS1_11comp_targetILNS1_3genE3ELNS1_11target_archE908ELNS1_3gpuE7ELNS1_3repE0EEENS1_30default_config_static_selectorELNS0_4arch9wavefront6targetE0EEEvT1_
    .private_segment_fixed_size: 0
    .sgpr_count:     0
    .sgpr_spill_count: 0
    .symbol:         _ZN7rocprim17ROCPRIM_400000_NS6detail17trampoline_kernelINS0_14default_configENS1_25partition_config_selectorILNS1_17partition_subalgoE9EssbEEZZNS1_14partition_implILS5_9ELb0ES3_jN6thrust23THRUST_200600_302600_NS6detail15normal_iteratorINS9_10device_ptrIsEEEESE_PNS0_10empty_typeENS0_5tupleIJSE_SF_EEENSH_IJSE_SG_EEENS0_18inequality_wrapperI22is_equal_div_10_uniqueIsEEEPmJSF_EEE10hipError_tPvRmT3_T4_T5_T6_T7_T9_mT8_P12ihipStream_tbDpT10_ENKUlT_T0_E_clISt17integral_constantIbLb1EES17_IbLb0EEEEDaS13_S14_EUlS13_E_NS1_11comp_targetILNS1_3genE3ELNS1_11target_archE908ELNS1_3gpuE7ELNS1_3repE0EEENS1_30default_config_static_selectorELNS0_4arch9wavefront6targetE0EEEvT1_.kd
    .uniform_work_group_size: 1
    .uses_dynamic_stack: false
    .vgpr_count:     0
    .vgpr_spill_count: 0
    .wavefront_size: 32
    .workgroup_processor_mode: 1
  - .args:
      - .offset:         0
        .size:           112
        .value_kind:     by_value
    .group_segment_fixed_size: 0
    .kernarg_segment_align: 8
    .kernarg_segment_size: 112
    .language:       OpenCL C
    .language_version:
      - 2
      - 0
    .max_flat_workgroup_size: 256
    .name:           _ZN7rocprim17ROCPRIM_400000_NS6detail17trampoline_kernelINS0_14default_configENS1_25partition_config_selectorILNS1_17partition_subalgoE9EssbEEZZNS1_14partition_implILS5_9ELb0ES3_jN6thrust23THRUST_200600_302600_NS6detail15normal_iteratorINS9_10device_ptrIsEEEESE_PNS0_10empty_typeENS0_5tupleIJSE_SF_EEENSH_IJSE_SG_EEENS0_18inequality_wrapperI22is_equal_div_10_uniqueIsEEEPmJSF_EEE10hipError_tPvRmT3_T4_T5_T6_T7_T9_mT8_P12ihipStream_tbDpT10_ENKUlT_T0_E_clISt17integral_constantIbLb1EES17_IbLb0EEEEDaS13_S14_EUlS13_E_NS1_11comp_targetILNS1_3genE2ELNS1_11target_archE906ELNS1_3gpuE6ELNS1_3repE0EEENS1_30default_config_static_selectorELNS0_4arch9wavefront6targetE0EEEvT1_
    .private_segment_fixed_size: 0
    .sgpr_count:     0
    .sgpr_spill_count: 0
    .symbol:         _ZN7rocprim17ROCPRIM_400000_NS6detail17trampoline_kernelINS0_14default_configENS1_25partition_config_selectorILNS1_17partition_subalgoE9EssbEEZZNS1_14partition_implILS5_9ELb0ES3_jN6thrust23THRUST_200600_302600_NS6detail15normal_iteratorINS9_10device_ptrIsEEEESE_PNS0_10empty_typeENS0_5tupleIJSE_SF_EEENSH_IJSE_SG_EEENS0_18inequality_wrapperI22is_equal_div_10_uniqueIsEEEPmJSF_EEE10hipError_tPvRmT3_T4_T5_T6_T7_T9_mT8_P12ihipStream_tbDpT10_ENKUlT_T0_E_clISt17integral_constantIbLb1EES17_IbLb0EEEEDaS13_S14_EUlS13_E_NS1_11comp_targetILNS1_3genE2ELNS1_11target_archE906ELNS1_3gpuE6ELNS1_3repE0EEENS1_30default_config_static_selectorELNS0_4arch9wavefront6targetE0EEEvT1_.kd
    .uniform_work_group_size: 1
    .uses_dynamic_stack: false
    .vgpr_count:     0
    .vgpr_spill_count: 0
    .wavefront_size: 32
    .workgroup_processor_mode: 1
  - .args:
      - .offset:         0
        .size:           112
        .value_kind:     by_value
    .group_segment_fixed_size: 0
    .kernarg_segment_align: 8
    .kernarg_segment_size: 112
    .language:       OpenCL C
    .language_version:
      - 2
      - 0
    .max_flat_workgroup_size: 512
    .name:           _ZN7rocprim17ROCPRIM_400000_NS6detail17trampoline_kernelINS0_14default_configENS1_25partition_config_selectorILNS1_17partition_subalgoE9EssbEEZZNS1_14partition_implILS5_9ELb0ES3_jN6thrust23THRUST_200600_302600_NS6detail15normal_iteratorINS9_10device_ptrIsEEEESE_PNS0_10empty_typeENS0_5tupleIJSE_SF_EEENSH_IJSE_SG_EEENS0_18inequality_wrapperI22is_equal_div_10_uniqueIsEEEPmJSF_EEE10hipError_tPvRmT3_T4_T5_T6_T7_T9_mT8_P12ihipStream_tbDpT10_ENKUlT_T0_E_clISt17integral_constantIbLb1EES17_IbLb0EEEEDaS13_S14_EUlS13_E_NS1_11comp_targetILNS1_3genE10ELNS1_11target_archE1200ELNS1_3gpuE4ELNS1_3repE0EEENS1_30default_config_static_selectorELNS0_4arch9wavefront6targetE0EEEvT1_
    .private_segment_fixed_size: 0
    .sgpr_count:     0
    .sgpr_spill_count: 0
    .symbol:         _ZN7rocprim17ROCPRIM_400000_NS6detail17trampoline_kernelINS0_14default_configENS1_25partition_config_selectorILNS1_17partition_subalgoE9EssbEEZZNS1_14partition_implILS5_9ELb0ES3_jN6thrust23THRUST_200600_302600_NS6detail15normal_iteratorINS9_10device_ptrIsEEEESE_PNS0_10empty_typeENS0_5tupleIJSE_SF_EEENSH_IJSE_SG_EEENS0_18inequality_wrapperI22is_equal_div_10_uniqueIsEEEPmJSF_EEE10hipError_tPvRmT3_T4_T5_T6_T7_T9_mT8_P12ihipStream_tbDpT10_ENKUlT_T0_E_clISt17integral_constantIbLb1EES17_IbLb0EEEEDaS13_S14_EUlS13_E_NS1_11comp_targetILNS1_3genE10ELNS1_11target_archE1200ELNS1_3gpuE4ELNS1_3repE0EEENS1_30default_config_static_selectorELNS0_4arch9wavefront6targetE0EEEvT1_.kd
    .uniform_work_group_size: 1
    .uses_dynamic_stack: false
    .vgpr_count:     0
    .vgpr_spill_count: 0
    .wavefront_size: 32
    .workgroup_processor_mode: 1
  - .args:
      - .offset:         0
        .size:           112
        .value_kind:     by_value
    .group_segment_fixed_size: 3080
    .kernarg_segment_align: 8
    .kernarg_segment_size: 112
    .language:       OpenCL C
    .language_version:
      - 2
      - 0
    .max_flat_workgroup_size: 128
    .name:           _ZN7rocprim17ROCPRIM_400000_NS6detail17trampoline_kernelINS0_14default_configENS1_25partition_config_selectorILNS1_17partition_subalgoE9EssbEEZZNS1_14partition_implILS5_9ELb0ES3_jN6thrust23THRUST_200600_302600_NS6detail15normal_iteratorINS9_10device_ptrIsEEEESE_PNS0_10empty_typeENS0_5tupleIJSE_SF_EEENSH_IJSE_SG_EEENS0_18inequality_wrapperI22is_equal_div_10_uniqueIsEEEPmJSF_EEE10hipError_tPvRmT3_T4_T5_T6_T7_T9_mT8_P12ihipStream_tbDpT10_ENKUlT_T0_E_clISt17integral_constantIbLb1EES17_IbLb0EEEEDaS13_S14_EUlS13_E_NS1_11comp_targetILNS1_3genE9ELNS1_11target_archE1100ELNS1_3gpuE3ELNS1_3repE0EEENS1_30default_config_static_selectorELNS0_4arch9wavefront6targetE0EEEvT1_
    .private_segment_fixed_size: 0
    .sgpr_count:     27
    .sgpr_spill_count: 0
    .symbol:         _ZN7rocprim17ROCPRIM_400000_NS6detail17trampoline_kernelINS0_14default_configENS1_25partition_config_selectorILNS1_17partition_subalgoE9EssbEEZZNS1_14partition_implILS5_9ELb0ES3_jN6thrust23THRUST_200600_302600_NS6detail15normal_iteratorINS9_10device_ptrIsEEEESE_PNS0_10empty_typeENS0_5tupleIJSE_SF_EEENSH_IJSE_SG_EEENS0_18inequality_wrapperI22is_equal_div_10_uniqueIsEEEPmJSF_EEE10hipError_tPvRmT3_T4_T5_T6_T7_T9_mT8_P12ihipStream_tbDpT10_ENKUlT_T0_E_clISt17integral_constantIbLb1EES17_IbLb0EEEEDaS13_S14_EUlS13_E_NS1_11comp_targetILNS1_3genE9ELNS1_11target_archE1100ELNS1_3gpuE3ELNS1_3repE0EEENS1_30default_config_static_selectorELNS0_4arch9wavefront6targetE0EEEvT1_.kd
    .uniform_work_group_size: 1
    .uses_dynamic_stack: false
    .vgpr_count:     81
    .vgpr_spill_count: 0
    .wavefront_size: 32
    .workgroup_processor_mode: 1
  - .args:
      - .offset:         0
        .size:           112
        .value_kind:     by_value
    .group_segment_fixed_size: 0
    .kernarg_segment_align: 8
    .kernarg_segment_size: 112
    .language:       OpenCL C
    .language_version:
      - 2
      - 0
    .max_flat_workgroup_size: 384
    .name:           _ZN7rocprim17ROCPRIM_400000_NS6detail17trampoline_kernelINS0_14default_configENS1_25partition_config_selectorILNS1_17partition_subalgoE9EssbEEZZNS1_14partition_implILS5_9ELb0ES3_jN6thrust23THRUST_200600_302600_NS6detail15normal_iteratorINS9_10device_ptrIsEEEESE_PNS0_10empty_typeENS0_5tupleIJSE_SF_EEENSH_IJSE_SG_EEENS0_18inequality_wrapperI22is_equal_div_10_uniqueIsEEEPmJSF_EEE10hipError_tPvRmT3_T4_T5_T6_T7_T9_mT8_P12ihipStream_tbDpT10_ENKUlT_T0_E_clISt17integral_constantIbLb1EES17_IbLb0EEEEDaS13_S14_EUlS13_E_NS1_11comp_targetILNS1_3genE8ELNS1_11target_archE1030ELNS1_3gpuE2ELNS1_3repE0EEENS1_30default_config_static_selectorELNS0_4arch9wavefront6targetE0EEEvT1_
    .private_segment_fixed_size: 0
    .sgpr_count:     0
    .sgpr_spill_count: 0
    .symbol:         _ZN7rocprim17ROCPRIM_400000_NS6detail17trampoline_kernelINS0_14default_configENS1_25partition_config_selectorILNS1_17partition_subalgoE9EssbEEZZNS1_14partition_implILS5_9ELb0ES3_jN6thrust23THRUST_200600_302600_NS6detail15normal_iteratorINS9_10device_ptrIsEEEESE_PNS0_10empty_typeENS0_5tupleIJSE_SF_EEENSH_IJSE_SG_EEENS0_18inequality_wrapperI22is_equal_div_10_uniqueIsEEEPmJSF_EEE10hipError_tPvRmT3_T4_T5_T6_T7_T9_mT8_P12ihipStream_tbDpT10_ENKUlT_T0_E_clISt17integral_constantIbLb1EES17_IbLb0EEEEDaS13_S14_EUlS13_E_NS1_11comp_targetILNS1_3genE8ELNS1_11target_archE1030ELNS1_3gpuE2ELNS1_3repE0EEENS1_30default_config_static_selectorELNS0_4arch9wavefront6targetE0EEEvT1_.kd
    .uniform_work_group_size: 1
    .uses_dynamic_stack: false
    .vgpr_count:     0
    .vgpr_spill_count: 0
    .wavefront_size: 32
    .workgroup_processor_mode: 1
  - .args:
      - .offset:         0
        .size:           128
        .value_kind:     by_value
    .group_segment_fixed_size: 0
    .kernarg_segment_align: 8
    .kernarg_segment_size: 128
    .language:       OpenCL C
    .language_version:
      - 2
      - 0
    .max_flat_workgroup_size: 256
    .name:           _ZN7rocprim17ROCPRIM_400000_NS6detail17trampoline_kernelINS0_14default_configENS1_25partition_config_selectorILNS1_17partition_subalgoE9EssbEEZZNS1_14partition_implILS5_9ELb0ES3_jN6thrust23THRUST_200600_302600_NS6detail15normal_iteratorINS9_10device_ptrIsEEEESE_PNS0_10empty_typeENS0_5tupleIJSE_SF_EEENSH_IJSE_SG_EEENS0_18inequality_wrapperI22is_equal_div_10_uniqueIsEEEPmJSF_EEE10hipError_tPvRmT3_T4_T5_T6_T7_T9_mT8_P12ihipStream_tbDpT10_ENKUlT_T0_E_clISt17integral_constantIbLb0EES17_IbLb1EEEEDaS13_S14_EUlS13_E_NS1_11comp_targetILNS1_3genE0ELNS1_11target_archE4294967295ELNS1_3gpuE0ELNS1_3repE0EEENS1_30default_config_static_selectorELNS0_4arch9wavefront6targetE0EEEvT1_
    .private_segment_fixed_size: 0
    .sgpr_count:     0
    .sgpr_spill_count: 0
    .symbol:         _ZN7rocprim17ROCPRIM_400000_NS6detail17trampoline_kernelINS0_14default_configENS1_25partition_config_selectorILNS1_17partition_subalgoE9EssbEEZZNS1_14partition_implILS5_9ELb0ES3_jN6thrust23THRUST_200600_302600_NS6detail15normal_iteratorINS9_10device_ptrIsEEEESE_PNS0_10empty_typeENS0_5tupleIJSE_SF_EEENSH_IJSE_SG_EEENS0_18inequality_wrapperI22is_equal_div_10_uniqueIsEEEPmJSF_EEE10hipError_tPvRmT3_T4_T5_T6_T7_T9_mT8_P12ihipStream_tbDpT10_ENKUlT_T0_E_clISt17integral_constantIbLb0EES17_IbLb1EEEEDaS13_S14_EUlS13_E_NS1_11comp_targetILNS1_3genE0ELNS1_11target_archE4294967295ELNS1_3gpuE0ELNS1_3repE0EEENS1_30default_config_static_selectorELNS0_4arch9wavefront6targetE0EEEvT1_.kd
    .uniform_work_group_size: 1
    .uses_dynamic_stack: false
    .vgpr_count:     0
    .vgpr_spill_count: 0
    .wavefront_size: 32
    .workgroup_processor_mode: 1
  - .args:
      - .offset:         0
        .size:           128
        .value_kind:     by_value
    .group_segment_fixed_size: 0
    .kernarg_segment_align: 8
    .kernarg_segment_size: 128
    .language:       OpenCL C
    .language_version:
      - 2
      - 0
    .max_flat_workgroup_size: 512
    .name:           _ZN7rocprim17ROCPRIM_400000_NS6detail17trampoline_kernelINS0_14default_configENS1_25partition_config_selectorILNS1_17partition_subalgoE9EssbEEZZNS1_14partition_implILS5_9ELb0ES3_jN6thrust23THRUST_200600_302600_NS6detail15normal_iteratorINS9_10device_ptrIsEEEESE_PNS0_10empty_typeENS0_5tupleIJSE_SF_EEENSH_IJSE_SG_EEENS0_18inequality_wrapperI22is_equal_div_10_uniqueIsEEEPmJSF_EEE10hipError_tPvRmT3_T4_T5_T6_T7_T9_mT8_P12ihipStream_tbDpT10_ENKUlT_T0_E_clISt17integral_constantIbLb0EES17_IbLb1EEEEDaS13_S14_EUlS13_E_NS1_11comp_targetILNS1_3genE5ELNS1_11target_archE942ELNS1_3gpuE9ELNS1_3repE0EEENS1_30default_config_static_selectorELNS0_4arch9wavefront6targetE0EEEvT1_
    .private_segment_fixed_size: 0
    .sgpr_count:     0
    .sgpr_spill_count: 0
    .symbol:         _ZN7rocprim17ROCPRIM_400000_NS6detail17trampoline_kernelINS0_14default_configENS1_25partition_config_selectorILNS1_17partition_subalgoE9EssbEEZZNS1_14partition_implILS5_9ELb0ES3_jN6thrust23THRUST_200600_302600_NS6detail15normal_iteratorINS9_10device_ptrIsEEEESE_PNS0_10empty_typeENS0_5tupleIJSE_SF_EEENSH_IJSE_SG_EEENS0_18inequality_wrapperI22is_equal_div_10_uniqueIsEEEPmJSF_EEE10hipError_tPvRmT3_T4_T5_T6_T7_T9_mT8_P12ihipStream_tbDpT10_ENKUlT_T0_E_clISt17integral_constantIbLb0EES17_IbLb1EEEEDaS13_S14_EUlS13_E_NS1_11comp_targetILNS1_3genE5ELNS1_11target_archE942ELNS1_3gpuE9ELNS1_3repE0EEENS1_30default_config_static_selectorELNS0_4arch9wavefront6targetE0EEEvT1_.kd
    .uniform_work_group_size: 1
    .uses_dynamic_stack: false
    .vgpr_count:     0
    .vgpr_spill_count: 0
    .wavefront_size: 32
    .workgroup_processor_mode: 1
  - .args:
      - .offset:         0
        .size:           128
        .value_kind:     by_value
    .group_segment_fixed_size: 0
    .kernarg_segment_align: 8
    .kernarg_segment_size: 128
    .language:       OpenCL C
    .language_version:
      - 2
      - 0
    .max_flat_workgroup_size: 256
    .name:           _ZN7rocprim17ROCPRIM_400000_NS6detail17trampoline_kernelINS0_14default_configENS1_25partition_config_selectorILNS1_17partition_subalgoE9EssbEEZZNS1_14partition_implILS5_9ELb0ES3_jN6thrust23THRUST_200600_302600_NS6detail15normal_iteratorINS9_10device_ptrIsEEEESE_PNS0_10empty_typeENS0_5tupleIJSE_SF_EEENSH_IJSE_SG_EEENS0_18inequality_wrapperI22is_equal_div_10_uniqueIsEEEPmJSF_EEE10hipError_tPvRmT3_T4_T5_T6_T7_T9_mT8_P12ihipStream_tbDpT10_ENKUlT_T0_E_clISt17integral_constantIbLb0EES17_IbLb1EEEEDaS13_S14_EUlS13_E_NS1_11comp_targetILNS1_3genE4ELNS1_11target_archE910ELNS1_3gpuE8ELNS1_3repE0EEENS1_30default_config_static_selectorELNS0_4arch9wavefront6targetE0EEEvT1_
    .private_segment_fixed_size: 0
    .sgpr_count:     0
    .sgpr_spill_count: 0
    .symbol:         _ZN7rocprim17ROCPRIM_400000_NS6detail17trampoline_kernelINS0_14default_configENS1_25partition_config_selectorILNS1_17partition_subalgoE9EssbEEZZNS1_14partition_implILS5_9ELb0ES3_jN6thrust23THRUST_200600_302600_NS6detail15normal_iteratorINS9_10device_ptrIsEEEESE_PNS0_10empty_typeENS0_5tupleIJSE_SF_EEENSH_IJSE_SG_EEENS0_18inequality_wrapperI22is_equal_div_10_uniqueIsEEEPmJSF_EEE10hipError_tPvRmT3_T4_T5_T6_T7_T9_mT8_P12ihipStream_tbDpT10_ENKUlT_T0_E_clISt17integral_constantIbLb0EES17_IbLb1EEEEDaS13_S14_EUlS13_E_NS1_11comp_targetILNS1_3genE4ELNS1_11target_archE910ELNS1_3gpuE8ELNS1_3repE0EEENS1_30default_config_static_selectorELNS0_4arch9wavefront6targetE0EEEvT1_.kd
    .uniform_work_group_size: 1
    .uses_dynamic_stack: false
    .vgpr_count:     0
    .vgpr_spill_count: 0
    .wavefront_size: 32
    .workgroup_processor_mode: 1
  - .args:
      - .offset:         0
        .size:           128
        .value_kind:     by_value
    .group_segment_fixed_size: 0
    .kernarg_segment_align: 8
    .kernarg_segment_size: 128
    .language:       OpenCL C
    .language_version:
      - 2
      - 0
    .max_flat_workgroup_size: 256
    .name:           _ZN7rocprim17ROCPRIM_400000_NS6detail17trampoline_kernelINS0_14default_configENS1_25partition_config_selectorILNS1_17partition_subalgoE9EssbEEZZNS1_14partition_implILS5_9ELb0ES3_jN6thrust23THRUST_200600_302600_NS6detail15normal_iteratorINS9_10device_ptrIsEEEESE_PNS0_10empty_typeENS0_5tupleIJSE_SF_EEENSH_IJSE_SG_EEENS0_18inequality_wrapperI22is_equal_div_10_uniqueIsEEEPmJSF_EEE10hipError_tPvRmT3_T4_T5_T6_T7_T9_mT8_P12ihipStream_tbDpT10_ENKUlT_T0_E_clISt17integral_constantIbLb0EES17_IbLb1EEEEDaS13_S14_EUlS13_E_NS1_11comp_targetILNS1_3genE3ELNS1_11target_archE908ELNS1_3gpuE7ELNS1_3repE0EEENS1_30default_config_static_selectorELNS0_4arch9wavefront6targetE0EEEvT1_
    .private_segment_fixed_size: 0
    .sgpr_count:     0
    .sgpr_spill_count: 0
    .symbol:         _ZN7rocprim17ROCPRIM_400000_NS6detail17trampoline_kernelINS0_14default_configENS1_25partition_config_selectorILNS1_17partition_subalgoE9EssbEEZZNS1_14partition_implILS5_9ELb0ES3_jN6thrust23THRUST_200600_302600_NS6detail15normal_iteratorINS9_10device_ptrIsEEEESE_PNS0_10empty_typeENS0_5tupleIJSE_SF_EEENSH_IJSE_SG_EEENS0_18inequality_wrapperI22is_equal_div_10_uniqueIsEEEPmJSF_EEE10hipError_tPvRmT3_T4_T5_T6_T7_T9_mT8_P12ihipStream_tbDpT10_ENKUlT_T0_E_clISt17integral_constantIbLb0EES17_IbLb1EEEEDaS13_S14_EUlS13_E_NS1_11comp_targetILNS1_3genE3ELNS1_11target_archE908ELNS1_3gpuE7ELNS1_3repE0EEENS1_30default_config_static_selectorELNS0_4arch9wavefront6targetE0EEEvT1_.kd
    .uniform_work_group_size: 1
    .uses_dynamic_stack: false
    .vgpr_count:     0
    .vgpr_spill_count: 0
    .wavefront_size: 32
    .workgroup_processor_mode: 1
  - .args:
      - .offset:         0
        .size:           128
        .value_kind:     by_value
    .group_segment_fixed_size: 0
    .kernarg_segment_align: 8
    .kernarg_segment_size: 128
    .language:       OpenCL C
    .language_version:
      - 2
      - 0
    .max_flat_workgroup_size: 256
    .name:           _ZN7rocprim17ROCPRIM_400000_NS6detail17trampoline_kernelINS0_14default_configENS1_25partition_config_selectorILNS1_17partition_subalgoE9EssbEEZZNS1_14partition_implILS5_9ELb0ES3_jN6thrust23THRUST_200600_302600_NS6detail15normal_iteratorINS9_10device_ptrIsEEEESE_PNS0_10empty_typeENS0_5tupleIJSE_SF_EEENSH_IJSE_SG_EEENS0_18inequality_wrapperI22is_equal_div_10_uniqueIsEEEPmJSF_EEE10hipError_tPvRmT3_T4_T5_T6_T7_T9_mT8_P12ihipStream_tbDpT10_ENKUlT_T0_E_clISt17integral_constantIbLb0EES17_IbLb1EEEEDaS13_S14_EUlS13_E_NS1_11comp_targetILNS1_3genE2ELNS1_11target_archE906ELNS1_3gpuE6ELNS1_3repE0EEENS1_30default_config_static_selectorELNS0_4arch9wavefront6targetE0EEEvT1_
    .private_segment_fixed_size: 0
    .sgpr_count:     0
    .sgpr_spill_count: 0
    .symbol:         _ZN7rocprim17ROCPRIM_400000_NS6detail17trampoline_kernelINS0_14default_configENS1_25partition_config_selectorILNS1_17partition_subalgoE9EssbEEZZNS1_14partition_implILS5_9ELb0ES3_jN6thrust23THRUST_200600_302600_NS6detail15normal_iteratorINS9_10device_ptrIsEEEESE_PNS0_10empty_typeENS0_5tupleIJSE_SF_EEENSH_IJSE_SG_EEENS0_18inequality_wrapperI22is_equal_div_10_uniqueIsEEEPmJSF_EEE10hipError_tPvRmT3_T4_T5_T6_T7_T9_mT8_P12ihipStream_tbDpT10_ENKUlT_T0_E_clISt17integral_constantIbLb0EES17_IbLb1EEEEDaS13_S14_EUlS13_E_NS1_11comp_targetILNS1_3genE2ELNS1_11target_archE906ELNS1_3gpuE6ELNS1_3repE0EEENS1_30default_config_static_selectorELNS0_4arch9wavefront6targetE0EEEvT1_.kd
    .uniform_work_group_size: 1
    .uses_dynamic_stack: false
    .vgpr_count:     0
    .vgpr_spill_count: 0
    .wavefront_size: 32
    .workgroup_processor_mode: 1
  - .args:
      - .offset:         0
        .size:           128
        .value_kind:     by_value
    .group_segment_fixed_size: 0
    .kernarg_segment_align: 8
    .kernarg_segment_size: 128
    .language:       OpenCL C
    .language_version:
      - 2
      - 0
    .max_flat_workgroup_size: 512
    .name:           _ZN7rocprim17ROCPRIM_400000_NS6detail17trampoline_kernelINS0_14default_configENS1_25partition_config_selectorILNS1_17partition_subalgoE9EssbEEZZNS1_14partition_implILS5_9ELb0ES3_jN6thrust23THRUST_200600_302600_NS6detail15normal_iteratorINS9_10device_ptrIsEEEESE_PNS0_10empty_typeENS0_5tupleIJSE_SF_EEENSH_IJSE_SG_EEENS0_18inequality_wrapperI22is_equal_div_10_uniqueIsEEEPmJSF_EEE10hipError_tPvRmT3_T4_T5_T6_T7_T9_mT8_P12ihipStream_tbDpT10_ENKUlT_T0_E_clISt17integral_constantIbLb0EES17_IbLb1EEEEDaS13_S14_EUlS13_E_NS1_11comp_targetILNS1_3genE10ELNS1_11target_archE1200ELNS1_3gpuE4ELNS1_3repE0EEENS1_30default_config_static_selectorELNS0_4arch9wavefront6targetE0EEEvT1_
    .private_segment_fixed_size: 0
    .sgpr_count:     0
    .sgpr_spill_count: 0
    .symbol:         _ZN7rocprim17ROCPRIM_400000_NS6detail17trampoline_kernelINS0_14default_configENS1_25partition_config_selectorILNS1_17partition_subalgoE9EssbEEZZNS1_14partition_implILS5_9ELb0ES3_jN6thrust23THRUST_200600_302600_NS6detail15normal_iteratorINS9_10device_ptrIsEEEESE_PNS0_10empty_typeENS0_5tupleIJSE_SF_EEENSH_IJSE_SG_EEENS0_18inequality_wrapperI22is_equal_div_10_uniqueIsEEEPmJSF_EEE10hipError_tPvRmT3_T4_T5_T6_T7_T9_mT8_P12ihipStream_tbDpT10_ENKUlT_T0_E_clISt17integral_constantIbLb0EES17_IbLb1EEEEDaS13_S14_EUlS13_E_NS1_11comp_targetILNS1_3genE10ELNS1_11target_archE1200ELNS1_3gpuE4ELNS1_3repE0EEENS1_30default_config_static_selectorELNS0_4arch9wavefront6targetE0EEEvT1_.kd
    .uniform_work_group_size: 1
    .uses_dynamic_stack: false
    .vgpr_count:     0
    .vgpr_spill_count: 0
    .wavefront_size: 32
    .workgroup_processor_mode: 1
  - .args:
      - .offset:         0
        .size:           128
        .value_kind:     by_value
    .group_segment_fixed_size: 3080
    .kernarg_segment_align: 8
    .kernarg_segment_size: 128
    .language:       OpenCL C
    .language_version:
      - 2
      - 0
    .max_flat_workgroup_size: 128
    .name:           _ZN7rocprim17ROCPRIM_400000_NS6detail17trampoline_kernelINS0_14default_configENS1_25partition_config_selectorILNS1_17partition_subalgoE9EssbEEZZNS1_14partition_implILS5_9ELb0ES3_jN6thrust23THRUST_200600_302600_NS6detail15normal_iteratorINS9_10device_ptrIsEEEESE_PNS0_10empty_typeENS0_5tupleIJSE_SF_EEENSH_IJSE_SG_EEENS0_18inequality_wrapperI22is_equal_div_10_uniqueIsEEEPmJSF_EEE10hipError_tPvRmT3_T4_T5_T6_T7_T9_mT8_P12ihipStream_tbDpT10_ENKUlT_T0_E_clISt17integral_constantIbLb0EES17_IbLb1EEEEDaS13_S14_EUlS13_E_NS1_11comp_targetILNS1_3genE9ELNS1_11target_archE1100ELNS1_3gpuE3ELNS1_3repE0EEENS1_30default_config_static_selectorELNS0_4arch9wavefront6targetE0EEEvT1_
    .private_segment_fixed_size: 0
    .sgpr_count:     33
    .sgpr_spill_count: 0
    .symbol:         _ZN7rocprim17ROCPRIM_400000_NS6detail17trampoline_kernelINS0_14default_configENS1_25partition_config_selectorILNS1_17partition_subalgoE9EssbEEZZNS1_14partition_implILS5_9ELb0ES3_jN6thrust23THRUST_200600_302600_NS6detail15normal_iteratorINS9_10device_ptrIsEEEESE_PNS0_10empty_typeENS0_5tupleIJSE_SF_EEENSH_IJSE_SG_EEENS0_18inequality_wrapperI22is_equal_div_10_uniqueIsEEEPmJSF_EEE10hipError_tPvRmT3_T4_T5_T6_T7_T9_mT8_P12ihipStream_tbDpT10_ENKUlT_T0_E_clISt17integral_constantIbLb0EES17_IbLb1EEEEDaS13_S14_EUlS13_E_NS1_11comp_targetILNS1_3genE9ELNS1_11target_archE1100ELNS1_3gpuE3ELNS1_3repE0EEENS1_30default_config_static_selectorELNS0_4arch9wavefront6targetE0EEEvT1_.kd
    .uniform_work_group_size: 1
    .uses_dynamic_stack: false
    .vgpr_count:     81
    .vgpr_spill_count: 0
    .wavefront_size: 32
    .workgroup_processor_mode: 1
  - .args:
      - .offset:         0
        .size:           128
        .value_kind:     by_value
    .group_segment_fixed_size: 0
    .kernarg_segment_align: 8
    .kernarg_segment_size: 128
    .language:       OpenCL C
    .language_version:
      - 2
      - 0
    .max_flat_workgroup_size: 384
    .name:           _ZN7rocprim17ROCPRIM_400000_NS6detail17trampoline_kernelINS0_14default_configENS1_25partition_config_selectorILNS1_17partition_subalgoE9EssbEEZZNS1_14partition_implILS5_9ELb0ES3_jN6thrust23THRUST_200600_302600_NS6detail15normal_iteratorINS9_10device_ptrIsEEEESE_PNS0_10empty_typeENS0_5tupleIJSE_SF_EEENSH_IJSE_SG_EEENS0_18inequality_wrapperI22is_equal_div_10_uniqueIsEEEPmJSF_EEE10hipError_tPvRmT3_T4_T5_T6_T7_T9_mT8_P12ihipStream_tbDpT10_ENKUlT_T0_E_clISt17integral_constantIbLb0EES17_IbLb1EEEEDaS13_S14_EUlS13_E_NS1_11comp_targetILNS1_3genE8ELNS1_11target_archE1030ELNS1_3gpuE2ELNS1_3repE0EEENS1_30default_config_static_selectorELNS0_4arch9wavefront6targetE0EEEvT1_
    .private_segment_fixed_size: 0
    .sgpr_count:     0
    .sgpr_spill_count: 0
    .symbol:         _ZN7rocprim17ROCPRIM_400000_NS6detail17trampoline_kernelINS0_14default_configENS1_25partition_config_selectorILNS1_17partition_subalgoE9EssbEEZZNS1_14partition_implILS5_9ELb0ES3_jN6thrust23THRUST_200600_302600_NS6detail15normal_iteratorINS9_10device_ptrIsEEEESE_PNS0_10empty_typeENS0_5tupleIJSE_SF_EEENSH_IJSE_SG_EEENS0_18inequality_wrapperI22is_equal_div_10_uniqueIsEEEPmJSF_EEE10hipError_tPvRmT3_T4_T5_T6_T7_T9_mT8_P12ihipStream_tbDpT10_ENKUlT_T0_E_clISt17integral_constantIbLb0EES17_IbLb1EEEEDaS13_S14_EUlS13_E_NS1_11comp_targetILNS1_3genE8ELNS1_11target_archE1030ELNS1_3gpuE2ELNS1_3repE0EEENS1_30default_config_static_selectorELNS0_4arch9wavefront6targetE0EEEvT1_.kd
    .uniform_work_group_size: 1
    .uses_dynamic_stack: false
    .vgpr_count:     0
    .vgpr_spill_count: 0
    .wavefront_size: 32
    .workgroup_processor_mode: 1
  - .args:
      - .offset:         0
        .size:           112
        .value_kind:     by_value
    .group_segment_fixed_size: 0
    .kernarg_segment_align: 8
    .kernarg_segment_size: 112
    .language:       OpenCL C
    .language_version:
      - 2
      - 0
    .max_flat_workgroup_size: 128
    .name:           _ZN7rocprim17ROCPRIM_400000_NS6detail17trampoline_kernelINS0_14default_configENS1_25partition_config_selectorILNS1_17partition_subalgoE9EyjbEEZZNS1_14partition_implILS5_9ELb0ES3_jN6thrust23THRUST_200600_302600_NS6detail15normal_iteratorINS9_10device_ptrIyEEEENSB_INSC_IjEEEEPNS0_10empty_typeENS0_5tupleIJSE_SH_EEENSJ_IJSG_SI_EEENS0_18inequality_wrapperINS9_8equal_toIyEEEEPmJSH_EEE10hipError_tPvRmT3_T4_T5_T6_T7_T9_mT8_P12ihipStream_tbDpT10_ENKUlT_T0_E_clISt17integral_constantIbLb0EES1A_EEDaS15_S16_EUlS15_E_NS1_11comp_targetILNS1_3genE0ELNS1_11target_archE4294967295ELNS1_3gpuE0ELNS1_3repE0EEENS1_30default_config_static_selectorELNS0_4arch9wavefront6targetE0EEEvT1_
    .private_segment_fixed_size: 0
    .sgpr_count:     0
    .sgpr_spill_count: 0
    .symbol:         _ZN7rocprim17ROCPRIM_400000_NS6detail17trampoline_kernelINS0_14default_configENS1_25partition_config_selectorILNS1_17partition_subalgoE9EyjbEEZZNS1_14partition_implILS5_9ELb0ES3_jN6thrust23THRUST_200600_302600_NS6detail15normal_iteratorINS9_10device_ptrIyEEEENSB_INSC_IjEEEEPNS0_10empty_typeENS0_5tupleIJSE_SH_EEENSJ_IJSG_SI_EEENS0_18inequality_wrapperINS9_8equal_toIyEEEEPmJSH_EEE10hipError_tPvRmT3_T4_T5_T6_T7_T9_mT8_P12ihipStream_tbDpT10_ENKUlT_T0_E_clISt17integral_constantIbLb0EES1A_EEDaS15_S16_EUlS15_E_NS1_11comp_targetILNS1_3genE0ELNS1_11target_archE4294967295ELNS1_3gpuE0ELNS1_3repE0EEENS1_30default_config_static_selectorELNS0_4arch9wavefront6targetE0EEEvT1_.kd
    .uniform_work_group_size: 1
    .uses_dynamic_stack: false
    .vgpr_count:     0
    .vgpr_spill_count: 0
    .wavefront_size: 32
    .workgroup_processor_mode: 1
  - .args:
      - .offset:         0
        .size:           112
        .value_kind:     by_value
    .group_segment_fixed_size: 0
    .kernarg_segment_align: 8
    .kernarg_segment_size: 112
    .language:       OpenCL C
    .language_version:
      - 2
      - 0
    .max_flat_workgroup_size: 512
    .name:           _ZN7rocprim17ROCPRIM_400000_NS6detail17trampoline_kernelINS0_14default_configENS1_25partition_config_selectorILNS1_17partition_subalgoE9EyjbEEZZNS1_14partition_implILS5_9ELb0ES3_jN6thrust23THRUST_200600_302600_NS6detail15normal_iteratorINS9_10device_ptrIyEEEENSB_INSC_IjEEEEPNS0_10empty_typeENS0_5tupleIJSE_SH_EEENSJ_IJSG_SI_EEENS0_18inequality_wrapperINS9_8equal_toIyEEEEPmJSH_EEE10hipError_tPvRmT3_T4_T5_T6_T7_T9_mT8_P12ihipStream_tbDpT10_ENKUlT_T0_E_clISt17integral_constantIbLb0EES1A_EEDaS15_S16_EUlS15_E_NS1_11comp_targetILNS1_3genE5ELNS1_11target_archE942ELNS1_3gpuE9ELNS1_3repE0EEENS1_30default_config_static_selectorELNS0_4arch9wavefront6targetE0EEEvT1_
    .private_segment_fixed_size: 0
    .sgpr_count:     0
    .sgpr_spill_count: 0
    .symbol:         _ZN7rocprim17ROCPRIM_400000_NS6detail17trampoline_kernelINS0_14default_configENS1_25partition_config_selectorILNS1_17partition_subalgoE9EyjbEEZZNS1_14partition_implILS5_9ELb0ES3_jN6thrust23THRUST_200600_302600_NS6detail15normal_iteratorINS9_10device_ptrIyEEEENSB_INSC_IjEEEEPNS0_10empty_typeENS0_5tupleIJSE_SH_EEENSJ_IJSG_SI_EEENS0_18inequality_wrapperINS9_8equal_toIyEEEEPmJSH_EEE10hipError_tPvRmT3_T4_T5_T6_T7_T9_mT8_P12ihipStream_tbDpT10_ENKUlT_T0_E_clISt17integral_constantIbLb0EES1A_EEDaS15_S16_EUlS15_E_NS1_11comp_targetILNS1_3genE5ELNS1_11target_archE942ELNS1_3gpuE9ELNS1_3repE0EEENS1_30default_config_static_selectorELNS0_4arch9wavefront6targetE0EEEvT1_.kd
    .uniform_work_group_size: 1
    .uses_dynamic_stack: false
    .vgpr_count:     0
    .vgpr_spill_count: 0
    .wavefront_size: 32
    .workgroup_processor_mode: 1
  - .args:
      - .offset:         0
        .size:           112
        .value_kind:     by_value
    .group_segment_fixed_size: 0
    .kernarg_segment_align: 8
    .kernarg_segment_size: 112
    .language:       OpenCL C
    .language_version:
      - 2
      - 0
    .max_flat_workgroup_size: 192
    .name:           _ZN7rocprim17ROCPRIM_400000_NS6detail17trampoline_kernelINS0_14default_configENS1_25partition_config_selectorILNS1_17partition_subalgoE9EyjbEEZZNS1_14partition_implILS5_9ELb0ES3_jN6thrust23THRUST_200600_302600_NS6detail15normal_iteratorINS9_10device_ptrIyEEEENSB_INSC_IjEEEEPNS0_10empty_typeENS0_5tupleIJSE_SH_EEENSJ_IJSG_SI_EEENS0_18inequality_wrapperINS9_8equal_toIyEEEEPmJSH_EEE10hipError_tPvRmT3_T4_T5_T6_T7_T9_mT8_P12ihipStream_tbDpT10_ENKUlT_T0_E_clISt17integral_constantIbLb0EES1A_EEDaS15_S16_EUlS15_E_NS1_11comp_targetILNS1_3genE4ELNS1_11target_archE910ELNS1_3gpuE8ELNS1_3repE0EEENS1_30default_config_static_selectorELNS0_4arch9wavefront6targetE0EEEvT1_
    .private_segment_fixed_size: 0
    .sgpr_count:     0
    .sgpr_spill_count: 0
    .symbol:         _ZN7rocprim17ROCPRIM_400000_NS6detail17trampoline_kernelINS0_14default_configENS1_25partition_config_selectorILNS1_17partition_subalgoE9EyjbEEZZNS1_14partition_implILS5_9ELb0ES3_jN6thrust23THRUST_200600_302600_NS6detail15normal_iteratorINS9_10device_ptrIyEEEENSB_INSC_IjEEEEPNS0_10empty_typeENS0_5tupleIJSE_SH_EEENSJ_IJSG_SI_EEENS0_18inequality_wrapperINS9_8equal_toIyEEEEPmJSH_EEE10hipError_tPvRmT3_T4_T5_T6_T7_T9_mT8_P12ihipStream_tbDpT10_ENKUlT_T0_E_clISt17integral_constantIbLb0EES1A_EEDaS15_S16_EUlS15_E_NS1_11comp_targetILNS1_3genE4ELNS1_11target_archE910ELNS1_3gpuE8ELNS1_3repE0EEENS1_30default_config_static_selectorELNS0_4arch9wavefront6targetE0EEEvT1_.kd
    .uniform_work_group_size: 1
    .uses_dynamic_stack: false
    .vgpr_count:     0
    .vgpr_spill_count: 0
    .wavefront_size: 32
    .workgroup_processor_mode: 1
  - .args:
      - .offset:         0
        .size:           112
        .value_kind:     by_value
    .group_segment_fixed_size: 0
    .kernarg_segment_align: 8
    .kernarg_segment_size: 112
    .language:       OpenCL C
    .language_version:
      - 2
      - 0
    .max_flat_workgroup_size: 128
    .name:           _ZN7rocprim17ROCPRIM_400000_NS6detail17trampoline_kernelINS0_14default_configENS1_25partition_config_selectorILNS1_17partition_subalgoE9EyjbEEZZNS1_14partition_implILS5_9ELb0ES3_jN6thrust23THRUST_200600_302600_NS6detail15normal_iteratorINS9_10device_ptrIyEEEENSB_INSC_IjEEEEPNS0_10empty_typeENS0_5tupleIJSE_SH_EEENSJ_IJSG_SI_EEENS0_18inequality_wrapperINS9_8equal_toIyEEEEPmJSH_EEE10hipError_tPvRmT3_T4_T5_T6_T7_T9_mT8_P12ihipStream_tbDpT10_ENKUlT_T0_E_clISt17integral_constantIbLb0EES1A_EEDaS15_S16_EUlS15_E_NS1_11comp_targetILNS1_3genE3ELNS1_11target_archE908ELNS1_3gpuE7ELNS1_3repE0EEENS1_30default_config_static_selectorELNS0_4arch9wavefront6targetE0EEEvT1_
    .private_segment_fixed_size: 0
    .sgpr_count:     0
    .sgpr_spill_count: 0
    .symbol:         _ZN7rocprim17ROCPRIM_400000_NS6detail17trampoline_kernelINS0_14default_configENS1_25partition_config_selectorILNS1_17partition_subalgoE9EyjbEEZZNS1_14partition_implILS5_9ELb0ES3_jN6thrust23THRUST_200600_302600_NS6detail15normal_iteratorINS9_10device_ptrIyEEEENSB_INSC_IjEEEEPNS0_10empty_typeENS0_5tupleIJSE_SH_EEENSJ_IJSG_SI_EEENS0_18inequality_wrapperINS9_8equal_toIyEEEEPmJSH_EEE10hipError_tPvRmT3_T4_T5_T6_T7_T9_mT8_P12ihipStream_tbDpT10_ENKUlT_T0_E_clISt17integral_constantIbLb0EES1A_EEDaS15_S16_EUlS15_E_NS1_11comp_targetILNS1_3genE3ELNS1_11target_archE908ELNS1_3gpuE7ELNS1_3repE0EEENS1_30default_config_static_selectorELNS0_4arch9wavefront6targetE0EEEvT1_.kd
    .uniform_work_group_size: 1
    .uses_dynamic_stack: false
    .vgpr_count:     0
    .vgpr_spill_count: 0
    .wavefront_size: 32
    .workgroup_processor_mode: 1
  - .args:
      - .offset:         0
        .size:           112
        .value_kind:     by_value
    .group_segment_fixed_size: 0
    .kernarg_segment_align: 8
    .kernarg_segment_size: 112
    .language:       OpenCL C
    .language_version:
      - 2
      - 0
    .max_flat_workgroup_size: 256
    .name:           _ZN7rocprim17ROCPRIM_400000_NS6detail17trampoline_kernelINS0_14default_configENS1_25partition_config_selectorILNS1_17partition_subalgoE9EyjbEEZZNS1_14partition_implILS5_9ELb0ES3_jN6thrust23THRUST_200600_302600_NS6detail15normal_iteratorINS9_10device_ptrIyEEEENSB_INSC_IjEEEEPNS0_10empty_typeENS0_5tupleIJSE_SH_EEENSJ_IJSG_SI_EEENS0_18inequality_wrapperINS9_8equal_toIyEEEEPmJSH_EEE10hipError_tPvRmT3_T4_T5_T6_T7_T9_mT8_P12ihipStream_tbDpT10_ENKUlT_T0_E_clISt17integral_constantIbLb0EES1A_EEDaS15_S16_EUlS15_E_NS1_11comp_targetILNS1_3genE2ELNS1_11target_archE906ELNS1_3gpuE6ELNS1_3repE0EEENS1_30default_config_static_selectorELNS0_4arch9wavefront6targetE0EEEvT1_
    .private_segment_fixed_size: 0
    .sgpr_count:     0
    .sgpr_spill_count: 0
    .symbol:         _ZN7rocprim17ROCPRIM_400000_NS6detail17trampoline_kernelINS0_14default_configENS1_25partition_config_selectorILNS1_17partition_subalgoE9EyjbEEZZNS1_14partition_implILS5_9ELb0ES3_jN6thrust23THRUST_200600_302600_NS6detail15normal_iteratorINS9_10device_ptrIyEEEENSB_INSC_IjEEEEPNS0_10empty_typeENS0_5tupleIJSE_SH_EEENSJ_IJSG_SI_EEENS0_18inequality_wrapperINS9_8equal_toIyEEEEPmJSH_EEE10hipError_tPvRmT3_T4_T5_T6_T7_T9_mT8_P12ihipStream_tbDpT10_ENKUlT_T0_E_clISt17integral_constantIbLb0EES1A_EEDaS15_S16_EUlS15_E_NS1_11comp_targetILNS1_3genE2ELNS1_11target_archE906ELNS1_3gpuE6ELNS1_3repE0EEENS1_30default_config_static_selectorELNS0_4arch9wavefront6targetE0EEEvT1_.kd
    .uniform_work_group_size: 1
    .uses_dynamic_stack: false
    .vgpr_count:     0
    .vgpr_spill_count: 0
    .wavefront_size: 32
    .workgroup_processor_mode: 1
  - .args:
      - .offset:         0
        .size:           112
        .value_kind:     by_value
    .group_segment_fixed_size: 0
    .kernarg_segment_align: 8
    .kernarg_segment_size: 112
    .language:       OpenCL C
    .language_version:
      - 2
      - 0
    .max_flat_workgroup_size: 384
    .name:           _ZN7rocprim17ROCPRIM_400000_NS6detail17trampoline_kernelINS0_14default_configENS1_25partition_config_selectorILNS1_17partition_subalgoE9EyjbEEZZNS1_14partition_implILS5_9ELb0ES3_jN6thrust23THRUST_200600_302600_NS6detail15normal_iteratorINS9_10device_ptrIyEEEENSB_INSC_IjEEEEPNS0_10empty_typeENS0_5tupleIJSE_SH_EEENSJ_IJSG_SI_EEENS0_18inequality_wrapperINS9_8equal_toIyEEEEPmJSH_EEE10hipError_tPvRmT3_T4_T5_T6_T7_T9_mT8_P12ihipStream_tbDpT10_ENKUlT_T0_E_clISt17integral_constantIbLb0EES1A_EEDaS15_S16_EUlS15_E_NS1_11comp_targetILNS1_3genE10ELNS1_11target_archE1200ELNS1_3gpuE4ELNS1_3repE0EEENS1_30default_config_static_selectorELNS0_4arch9wavefront6targetE0EEEvT1_
    .private_segment_fixed_size: 0
    .sgpr_count:     0
    .sgpr_spill_count: 0
    .symbol:         _ZN7rocprim17ROCPRIM_400000_NS6detail17trampoline_kernelINS0_14default_configENS1_25partition_config_selectorILNS1_17partition_subalgoE9EyjbEEZZNS1_14partition_implILS5_9ELb0ES3_jN6thrust23THRUST_200600_302600_NS6detail15normal_iteratorINS9_10device_ptrIyEEEENSB_INSC_IjEEEEPNS0_10empty_typeENS0_5tupleIJSE_SH_EEENSJ_IJSG_SI_EEENS0_18inequality_wrapperINS9_8equal_toIyEEEEPmJSH_EEE10hipError_tPvRmT3_T4_T5_T6_T7_T9_mT8_P12ihipStream_tbDpT10_ENKUlT_T0_E_clISt17integral_constantIbLb0EES1A_EEDaS15_S16_EUlS15_E_NS1_11comp_targetILNS1_3genE10ELNS1_11target_archE1200ELNS1_3gpuE4ELNS1_3repE0EEENS1_30default_config_static_selectorELNS0_4arch9wavefront6targetE0EEEvT1_.kd
    .uniform_work_group_size: 1
    .uses_dynamic_stack: false
    .vgpr_count:     0
    .vgpr_spill_count: 0
    .wavefront_size: 32
    .workgroup_processor_mode: 1
  - .args:
      - .offset:         0
        .size:           112
        .value_kind:     by_value
    .group_segment_fixed_size: 33800
    .kernarg_segment_align: 8
    .kernarg_segment_size: 112
    .language:       OpenCL C
    .language_version:
      - 2
      - 0
    .max_flat_workgroup_size: 512
    .name:           _ZN7rocprim17ROCPRIM_400000_NS6detail17trampoline_kernelINS0_14default_configENS1_25partition_config_selectorILNS1_17partition_subalgoE9EyjbEEZZNS1_14partition_implILS5_9ELb0ES3_jN6thrust23THRUST_200600_302600_NS6detail15normal_iteratorINS9_10device_ptrIyEEEENSB_INSC_IjEEEEPNS0_10empty_typeENS0_5tupleIJSE_SH_EEENSJ_IJSG_SI_EEENS0_18inequality_wrapperINS9_8equal_toIyEEEEPmJSH_EEE10hipError_tPvRmT3_T4_T5_T6_T7_T9_mT8_P12ihipStream_tbDpT10_ENKUlT_T0_E_clISt17integral_constantIbLb0EES1A_EEDaS15_S16_EUlS15_E_NS1_11comp_targetILNS1_3genE9ELNS1_11target_archE1100ELNS1_3gpuE3ELNS1_3repE0EEENS1_30default_config_static_selectorELNS0_4arch9wavefront6targetE0EEEvT1_
    .private_segment_fixed_size: 0
    .sgpr_count:     26
    .sgpr_spill_count: 0
    .symbol:         _ZN7rocprim17ROCPRIM_400000_NS6detail17trampoline_kernelINS0_14default_configENS1_25partition_config_selectorILNS1_17partition_subalgoE9EyjbEEZZNS1_14partition_implILS5_9ELb0ES3_jN6thrust23THRUST_200600_302600_NS6detail15normal_iteratorINS9_10device_ptrIyEEEENSB_INSC_IjEEEEPNS0_10empty_typeENS0_5tupleIJSE_SH_EEENSJ_IJSG_SI_EEENS0_18inequality_wrapperINS9_8equal_toIyEEEEPmJSH_EEE10hipError_tPvRmT3_T4_T5_T6_T7_T9_mT8_P12ihipStream_tbDpT10_ENKUlT_T0_E_clISt17integral_constantIbLb0EES1A_EEDaS15_S16_EUlS15_E_NS1_11comp_targetILNS1_3genE9ELNS1_11target_archE1100ELNS1_3gpuE3ELNS1_3repE0EEENS1_30default_config_static_selectorELNS0_4arch9wavefront6targetE0EEEvT1_.kd
    .uniform_work_group_size: 1
    .uses_dynamic_stack: false
    .vgpr_count:     60
    .vgpr_spill_count: 0
    .wavefront_size: 32
    .workgroup_processor_mode: 1
  - .args:
      - .offset:         0
        .size:           112
        .value_kind:     by_value
    .group_segment_fixed_size: 0
    .kernarg_segment_align: 8
    .kernarg_segment_size: 112
    .language:       OpenCL C
    .language_version:
      - 2
      - 0
    .max_flat_workgroup_size: 512
    .name:           _ZN7rocprim17ROCPRIM_400000_NS6detail17trampoline_kernelINS0_14default_configENS1_25partition_config_selectorILNS1_17partition_subalgoE9EyjbEEZZNS1_14partition_implILS5_9ELb0ES3_jN6thrust23THRUST_200600_302600_NS6detail15normal_iteratorINS9_10device_ptrIyEEEENSB_INSC_IjEEEEPNS0_10empty_typeENS0_5tupleIJSE_SH_EEENSJ_IJSG_SI_EEENS0_18inequality_wrapperINS9_8equal_toIyEEEEPmJSH_EEE10hipError_tPvRmT3_T4_T5_T6_T7_T9_mT8_P12ihipStream_tbDpT10_ENKUlT_T0_E_clISt17integral_constantIbLb0EES1A_EEDaS15_S16_EUlS15_E_NS1_11comp_targetILNS1_3genE8ELNS1_11target_archE1030ELNS1_3gpuE2ELNS1_3repE0EEENS1_30default_config_static_selectorELNS0_4arch9wavefront6targetE0EEEvT1_
    .private_segment_fixed_size: 0
    .sgpr_count:     0
    .sgpr_spill_count: 0
    .symbol:         _ZN7rocprim17ROCPRIM_400000_NS6detail17trampoline_kernelINS0_14default_configENS1_25partition_config_selectorILNS1_17partition_subalgoE9EyjbEEZZNS1_14partition_implILS5_9ELb0ES3_jN6thrust23THRUST_200600_302600_NS6detail15normal_iteratorINS9_10device_ptrIyEEEENSB_INSC_IjEEEEPNS0_10empty_typeENS0_5tupleIJSE_SH_EEENSJ_IJSG_SI_EEENS0_18inequality_wrapperINS9_8equal_toIyEEEEPmJSH_EEE10hipError_tPvRmT3_T4_T5_T6_T7_T9_mT8_P12ihipStream_tbDpT10_ENKUlT_T0_E_clISt17integral_constantIbLb0EES1A_EEDaS15_S16_EUlS15_E_NS1_11comp_targetILNS1_3genE8ELNS1_11target_archE1030ELNS1_3gpuE2ELNS1_3repE0EEENS1_30default_config_static_selectorELNS0_4arch9wavefront6targetE0EEEvT1_.kd
    .uniform_work_group_size: 1
    .uses_dynamic_stack: false
    .vgpr_count:     0
    .vgpr_spill_count: 0
    .wavefront_size: 32
    .workgroup_processor_mode: 1
  - .args:
      - .offset:         0
        .size:           128
        .value_kind:     by_value
    .group_segment_fixed_size: 0
    .kernarg_segment_align: 8
    .kernarg_segment_size: 128
    .language:       OpenCL C
    .language_version:
      - 2
      - 0
    .max_flat_workgroup_size: 128
    .name:           _ZN7rocprim17ROCPRIM_400000_NS6detail17trampoline_kernelINS0_14default_configENS1_25partition_config_selectorILNS1_17partition_subalgoE9EyjbEEZZNS1_14partition_implILS5_9ELb0ES3_jN6thrust23THRUST_200600_302600_NS6detail15normal_iteratorINS9_10device_ptrIyEEEENSB_INSC_IjEEEEPNS0_10empty_typeENS0_5tupleIJSE_SH_EEENSJ_IJSG_SI_EEENS0_18inequality_wrapperINS9_8equal_toIyEEEEPmJSH_EEE10hipError_tPvRmT3_T4_T5_T6_T7_T9_mT8_P12ihipStream_tbDpT10_ENKUlT_T0_E_clISt17integral_constantIbLb1EES1A_EEDaS15_S16_EUlS15_E_NS1_11comp_targetILNS1_3genE0ELNS1_11target_archE4294967295ELNS1_3gpuE0ELNS1_3repE0EEENS1_30default_config_static_selectorELNS0_4arch9wavefront6targetE0EEEvT1_
    .private_segment_fixed_size: 0
    .sgpr_count:     0
    .sgpr_spill_count: 0
    .symbol:         _ZN7rocprim17ROCPRIM_400000_NS6detail17trampoline_kernelINS0_14default_configENS1_25partition_config_selectorILNS1_17partition_subalgoE9EyjbEEZZNS1_14partition_implILS5_9ELb0ES3_jN6thrust23THRUST_200600_302600_NS6detail15normal_iteratorINS9_10device_ptrIyEEEENSB_INSC_IjEEEEPNS0_10empty_typeENS0_5tupleIJSE_SH_EEENSJ_IJSG_SI_EEENS0_18inequality_wrapperINS9_8equal_toIyEEEEPmJSH_EEE10hipError_tPvRmT3_T4_T5_T6_T7_T9_mT8_P12ihipStream_tbDpT10_ENKUlT_T0_E_clISt17integral_constantIbLb1EES1A_EEDaS15_S16_EUlS15_E_NS1_11comp_targetILNS1_3genE0ELNS1_11target_archE4294967295ELNS1_3gpuE0ELNS1_3repE0EEENS1_30default_config_static_selectorELNS0_4arch9wavefront6targetE0EEEvT1_.kd
    .uniform_work_group_size: 1
    .uses_dynamic_stack: false
    .vgpr_count:     0
    .vgpr_spill_count: 0
    .wavefront_size: 32
    .workgroup_processor_mode: 1
  - .args:
      - .offset:         0
        .size:           128
        .value_kind:     by_value
    .group_segment_fixed_size: 0
    .kernarg_segment_align: 8
    .kernarg_segment_size: 128
    .language:       OpenCL C
    .language_version:
      - 2
      - 0
    .max_flat_workgroup_size: 512
    .name:           _ZN7rocprim17ROCPRIM_400000_NS6detail17trampoline_kernelINS0_14default_configENS1_25partition_config_selectorILNS1_17partition_subalgoE9EyjbEEZZNS1_14partition_implILS5_9ELb0ES3_jN6thrust23THRUST_200600_302600_NS6detail15normal_iteratorINS9_10device_ptrIyEEEENSB_INSC_IjEEEEPNS0_10empty_typeENS0_5tupleIJSE_SH_EEENSJ_IJSG_SI_EEENS0_18inequality_wrapperINS9_8equal_toIyEEEEPmJSH_EEE10hipError_tPvRmT3_T4_T5_T6_T7_T9_mT8_P12ihipStream_tbDpT10_ENKUlT_T0_E_clISt17integral_constantIbLb1EES1A_EEDaS15_S16_EUlS15_E_NS1_11comp_targetILNS1_3genE5ELNS1_11target_archE942ELNS1_3gpuE9ELNS1_3repE0EEENS1_30default_config_static_selectorELNS0_4arch9wavefront6targetE0EEEvT1_
    .private_segment_fixed_size: 0
    .sgpr_count:     0
    .sgpr_spill_count: 0
    .symbol:         _ZN7rocprim17ROCPRIM_400000_NS6detail17trampoline_kernelINS0_14default_configENS1_25partition_config_selectorILNS1_17partition_subalgoE9EyjbEEZZNS1_14partition_implILS5_9ELb0ES3_jN6thrust23THRUST_200600_302600_NS6detail15normal_iteratorINS9_10device_ptrIyEEEENSB_INSC_IjEEEEPNS0_10empty_typeENS0_5tupleIJSE_SH_EEENSJ_IJSG_SI_EEENS0_18inequality_wrapperINS9_8equal_toIyEEEEPmJSH_EEE10hipError_tPvRmT3_T4_T5_T6_T7_T9_mT8_P12ihipStream_tbDpT10_ENKUlT_T0_E_clISt17integral_constantIbLb1EES1A_EEDaS15_S16_EUlS15_E_NS1_11comp_targetILNS1_3genE5ELNS1_11target_archE942ELNS1_3gpuE9ELNS1_3repE0EEENS1_30default_config_static_selectorELNS0_4arch9wavefront6targetE0EEEvT1_.kd
    .uniform_work_group_size: 1
    .uses_dynamic_stack: false
    .vgpr_count:     0
    .vgpr_spill_count: 0
    .wavefront_size: 32
    .workgroup_processor_mode: 1
  - .args:
      - .offset:         0
        .size:           128
        .value_kind:     by_value
    .group_segment_fixed_size: 0
    .kernarg_segment_align: 8
    .kernarg_segment_size: 128
    .language:       OpenCL C
    .language_version:
      - 2
      - 0
    .max_flat_workgroup_size: 192
    .name:           _ZN7rocprim17ROCPRIM_400000_NS6detail17trampoline_kernelINS0_14default_configENS1_25partition_config_selectorILNS1_17partition_subalgoE9EyjbEEZZNS1_14partition_implILS5_9ELb0ES3_jN6thrust23THRUST_200600_302600_NS6detail15normal_iteratorINS9_10device_ptrIyEEEENSB_INSC_IjEEEEPNS0_10empty_typeENS0_5tupleIJSE_SH_EEENSJ_IJSG_SI_EEENS0_18inequality_wrapperINS9_8equal_toIyEEEEPmJSH_EEE10hipError_tPvRmT3_T4_T5_T6_T7_T9_mT8_P12ihipStream_tbDpT10_ENKUlT_T0_E_clISt17integral_constantIbLb1EES1A_EEDaS15_S16_EUlS15_E_NS1_11comp_targetILNS1_3genE4ELNS1_11target_archE910ELNS1_3gpuE8ELNS1_3repE0EEENS1_30default_config_static_selectorELNS0_4arch9wavefront6targetE0EEEvT1_
    .private_segment_fixed_size: 0
    .sgpr_count:     0
    .sgpr_spill_count: 0
    .symbol:         _ZN7rocprim17ROCPRIM_400000_NS6detail17trampoline_kernelINS0_14default_configENS1_25partition_config_selectorILNS1_17partition_subalgoE9EyjbEEZZNS1_14partition_implILS5_9ELb0ES3_jN6thrust23THRUST_200600_302600_NS6detail15normal_iteratorINS9_10device_ptrIyEEEENSB_INSC_IjEEEEPNS0_10empty_typeENS0_5tupleIJSE_SH_EEENSJ_IJSG_SI_EEENS0_18inequality_wrapperINS9_8equal_toIyEEEEPmJSH_EEE10hipError_tPvRmT3_T4_T5_T6_T7_T9_mT8_P12ihipStream_tbDpT10_ENKUlT_T0_E_clISt17integral_constantIbLb1EES1A_EEDaS15_S16_EUlS15_E_NS1_11comp_targetILNS1_3genE4ELNS1_11target_archE910ELNS1_3gpuE8ELNS1_3repE0EEENS1_30default_config_static_selectorELNS0_4arch9wavefront6targetE0EEEvT1_.kd
    .uniform_work_group_size: 1
    .uses_dynamic_stack: false
    .vgpr_count:     0
    .vgpr_spill_count: 0
    .wavefront_size: 32
    .workgroup_processor_mode: 1
  - .args:
      - .offset:         0
        .size:           128
        .value_kind:     by_value
    .group_segment_fixed_size: 0
    .kernarg_segment_align: 8
    .kernarg_segment_size: 128
    .language:       OpenCL C
    .language_version:
      - 2
      - 0
    .max_flat_workgroup_size: 128
    .name:           _ZN7rocprim17ROCPRIM_400000_NS6detail17trampoline_kernelINS0_14default_configENS1_25partition_config_selectorILNS1_17partition_subalgoE9EyjbEEZZNS1_14partition_implILS5_9ELb0ES3_jN6thrust23THRUST_200600_302600_NS6detail15normal_iteratorINS9_10device_ptrIyEEEENSB_INSC_IjEEEEPNS0_10empty_typeENS0_5tupleIJSE_SH_EEENSJ_IJSG_SI_EEENS0_18inequality_wrapperINS9_8equal_toIyEEEEPmJSH_EEE10hipError_tPvRmT3_T4_T5_T6_T7_T9_mT8_P12ihipStream_tbDpT10_ENKUlT_T0_E_clISt17integral_constantIbLb1EES1A_EEDaS15_S16_EUlS15_E_NS1_11comp_targetILNS1_3genE3ELNS1_11target_archE908ELNS1_3gpuE7ELNS1_3repE0EEENS1_30default_config_static_selectorELNS0_4arch9wavefront6targetE0EEEvT1_
    .private_segment_fixed_size: 0
    .sgpr_count:     0
    .sgpr_spill_count: 0
    .symbol:         _ZN7rocprim17ROCPRIM_400000_NS6detail17trampoline_kernelINS0_14default_configENS1_25partition_config_selectorILNS1_17partition_subalgoE9EyjbEEZZNS1_14partition_implILS5_9ELb0ES3_jN6thrust23THRUST_200600_302600_NS6detail15normal_iteratorINS9_10device_ptrIyEEEENSB_INSC_IjEEEEPNS0_10empty_typeENS0_5tupleIJSE_SH_EEENSJ_IJSG_SI_EEENS0_18inequality_wrapperINS9_8equal_toIyEEEEPmJSH_EEE10hipError_tPvRmT3_T4_T5_T6_T7_T9_mT8_P12ihipStream_tbDpT10_ENKUlT_T0_E_clISt17integral_constantIbLb1EES1A_EEDaS15_S16_EUlS15_E_NS1_11comp_targetILNS1_3genE3ELNS1_11target_archE908ELNS1_3gpuE7ELNS1_3repE0EEENS1_30default_config_static_selectorELNS0_4arch9wavefront6targetE0EEEvT1_.kd
    .uniform_work_group_size: 1
    .uses_dynamic_stack: false
    .vgpr_count:     0
    .vgpr_spill_count: 0
    .wavefront_size: 32
    .workgroup_processor_mode: 1
  - .args:
      - .offset:         0
        .size:           128
        .value_kind:     by_value
    .group_segment_fixed_size: 0
    .kernarg_segment_align: 8
    .kernarg_segment_size: 128
    .language:       OpenCL C
    .language_version:
      - 2
      - 0
    .max_flat_workgroup_size: 256
    .name:           _ZN7rocprim17ROCPRIM_400000_NS6detail17trampoline_kernelINS0_14default_configENS1_25partition_config_selectorILNS1_17partition_subalgoE9EyjbEEZZNS1_14partition_implILS5_9ELb0ES3_jN6thrust23THRUST_200600_302600_NS6detail15normal_iteratorINS9_10device_ptrIyEEEENSB_INSC_IjEEEEPNS0_10empty_typeENS0_5tupleIJSE_SH_EEENSJ_IJSG_SI_EEENS0_18inequality_wrapperINS9_8equal_toIyEEEEPmJSH_EEE10hipError_tPvRmT3_T4_T5_T6_T7_T9_mT8_P12ihipStream_tbDpT10_ENKUlT_T0_E_clISt17integral_constantIbLb1EES1A_EEDaS15_S16_EUlS15_E_NS1_11comp_targetILNS1_3genE2ELNS1_11target_archE906ELNS1_3gpuE6ELNS1_3repE0EEENS1_30default_config_static_selectorELNS0_4arch9wavefront6targetE0EEEvT1_
    .private_segment_fixed_size: 0
    .sgpr_count:     0
    .sgpr_spill_count: 0
    .symbol:         _ZN7rocprim17ROCPRIM_400000_NS6detail17trampoline_kernelINS0_14default_configENS1_25partition_config_selectorILNS1_17partition_subalgoE9EyjbEEZZNS1_14partition_implILS5_9ELb0ES3_jN6thrust23THRUST_200600_302600_NS6detail15normal_iteratorINS9_10device_ptrIyEEEENSB_INSC_IjEEEEPNS0_10empty_typeENS0_5tupleIJSE_SH_EEENSJ_IJSG_SI_EEENS0_18inequality_wrapperINS9_8equal_toIyEEEEPmJSH_EEE10hipError_tPvRmT3_T4_T5_T6_T7_T9_mT8_P12ihipStream_tbDpT10_ENKUlT_T0_E_clISt17integral_constantIbLb1EES1A_EEDaS15_S16_EUlS15_E_NS1_11comp_targetILNS1_3genE2ELNS1_11target_archE906ELNS1_3gpuE6ELNS1_3repE0EEENS1_30default_config_static_selectorELNS0_4arch9wavefront6targetE0EEEvT1_.kd
    .uniform_work_group_size: 1
    .uses_dynamic_stack: false
    .vgpr_count:     0
    .vgpr_spill_count: 0
    .wavefront_size: 32
    .workgroup_processor_mode: 1
  - .args:
      - .offset:         0
        .size:           128
        .value_kind:     by_value
    .group_segment_fixed_size: 0
    .kernarg_segment_align: 8
    .kernarg_segment_size: 128
    .language:       OpenCL C
    .language_version:
      - 2
      - 0
    .max_flat_workgroup_size: 384
    .name:           _ZN7rocprim17ROCPRIM_400000_NS6detail17trampoline_kernelINS0_14default_configENS1_25partition_config_selectorILNS1_17partition_subalgoE9EyjbEEZZNS1_14partition_implILS5_9ELb0ES3_jN6thrust23THRUST_200600_302600_NS6detail15normal_iteratorINS9_10device_ptrIyEEEENSB_INSC_IjEEEEPNS0_10empty_typeENS0_5tupleIJSE_SH_EEENSJ_IJSG_SI_EEENS0_18inequality_wrapperINS9_8equal_toIyEEEEPmJSH_EEE10hipError_tPvRmT3_T4_T5_T6_T7_T9_mT8_P12ihipStream_tbDpT10_ENKUlT_T0_E_clISt17integral_constantIbLb1EES1A_EEDaS15_S16_EUlS15_E_NS1_11comp_targetILNS1_3genE10ELNS1_11target_archE1200ELNS1_3gpuE4ELNS1_3repE0EEENS1_30default_config_static_selectorELNS0_4arch9wavefront6targetE0EEEvT1_
    .private_segment_fixed_size: 0
    .sgpr_count:     0
    .sgpr_spill_count: 0
    .symbol:         _ZN7rocprim17ROCPRIM_400000_NS6detail17trampoline_kernelINS0_14default_configENS1_25partition_config_selectorILNS1_17partition_subalgoE9EyjbEEZZNS1_14partition_implILS5_9ELb0ES3_jN6thrust23THRUST_200600_302600_NS6detail15normal_iteratorINS9_10device_ptrIyEEEENSB_INSC_IjEEEEPNS0_10empty_typeENS0_5tupleIJSE_SH_EEENSJ_IJSG_SI_EEENS0_18inequality_wrapperINS9_8equal_toIyEEEEPmJSH_EEE10hipError_tPvRmT3_T4_T5_T6_T7_T9_mT8_P12ihipStream_tbDpT10_ENKUlT_T0_E_clISt17integral_constantIbLb1EES1A_EEDaS15_S16_EUlS15_E_NS1_11comp_targetILNS1_3genE10ELNS1_11target_archE1200ELNS1_3gpuE4ELNS1_3repE0EEENS1_30default_config_static_selectorELNS0_4arch9wavefront6targetE0EEEvT1_.kd
    .uniform_work_group_size: 1
    .uses_dynamic_stack: false
    .vgpr_count:     0
    .vgpr_spill_count: 0
    .wavefront_size: 32
    .workgroup_processor_mode: 1
  - .args:
      - .offset:         0
        .size:           128
        .value_kind:     by_value
    .group_segment_fixed_size: 33800
    .kernarg_segment_align: 8
    .kernarg_segment_size: 128
    .language:       OpenCL C
    .language_version:
      - 2
      - 0
    .max_flat_workgroup_size: 512
    .name:           _ZN7rocprim17ROCPRIM_400000_NS6detail17trampoline_kernelINS0_14default_configENS1_25partition_config_selectorILNS1_17partition_subalgoE9EyjbEEZZNS1_14partition_implILS5_9ELb0ES3_jN6thrust23THRUST_200600_302600_NS6detail15normal_iteratorINS9_10device_ptrIyEEEENSB_INSC_IjEEEEPNS0_10empty_typeENS0_5tupleIJSE_SH_EEENSJ_IJSG_SI_EEENS0_18inequality_wrapperINS9_8equal_toIyEEEEPmJSH_EEE10hipError_tPvRmT3_T4_T5_T6_T7_T9_mT8_P12ihipStream_tbDpT10_ENKUlT_T0_E_clISt17integral_constantIbLb1EES1A_EEDaS15_S16_EUlS15_E_NS1_11comp_targetILNS1_3genE9ELNS1_11target_archE1100ELNS1_3gpuE3ELNS1_3repE0EEENS1_30default_config_static_selectorELNS0_4arch9wavefront6targetE0EEEvT1_
    .private_segment_fixed_size: 0
    .sgpr_count:     32
    .sgpr_spill_count: 0
    .symbol:         _ZN7rocprim17ROCPRIM_400000_NS6detail17trampoline_kernelINS0_14default_configENS1_25partition_config_selectorILNS1_17partition_subalgoE9EyjbEEZZNS1_14partition_implILS5_9ELb0ES3_jN6thrust23THRUST_200600_302600_NS6detail15normal_iteratorINS9_10device_ptrIyEEEENSB_INSC_IjEEEEPNS0_10empty_typeENS0_5tupleIJSE_SH_EEENSJ_IJSG_SI_EEENS0_18inequality_wrapperINS9_8equal_toIyEEEEPmJSH_EEE10hipError_tPvRmT3_T4_T5_T6_T7_T9_mT8_P12ihipStream_tbDpT10_ENKUlT_T0_E_clISt17integral_constantIbLb1EES1A_EEDaS15_S16_EUlS15_E_NS1_11comp_targetILNS1_3genE9ELNS1_11target_archE1100ELNS1_3gpuE3ELNS1_3repE0EEENS1_30default_config_static_selectorELNS0_4arch9wavefront6targetE0EEEvT1_.kd
    .uniform_work_group_size: 1
    .uses_dynamic_stack: false
    .vgpr_count:     60
    .vgpr_spill_count: 0
    .wavefront_size: 32
    .workgroup_processor_mode: 1
  - .args:
      - .offset:         0
        .size:           128
        .value_kind:     by_value
    .group_segment_fixed_size: 0
    .kernarg_segment_align: 8
    .kernarg_segment_size: 128
    .language:       OpenCL C
    .language_version:
      - 2
      - 0
    .max_flat_workgroup_size: 512
    .name:           _ZN7rocprim17ROCPRIM_400000_NS6detail17trampoline_kernelINS0_14default_configENS1_25partition_config_selectorILNS1_17partition_subalgoE9EyjbEEZZNS1_14partition_implILS5_9ELb0ES3_jN6thrust23THRUST_200600_302600_NS6detail15normal_iteratorINS9_10device_ptrIyEEEENSB_INSC_IjEEEEPNS0_10empty_typeENS0_5tupleIJSE_SH_EEENSJ_IJSG_SI_EEENS0_18inequality_wrapperINS9_8equal_toIyEEEEPmJSH_EEE10hipError_tPvRmT3_T4_T5_T6_T7_T9_mT8_P12ihipStream_tbDpT10_ENKUlT_T0_E_clISt17integral_constantIbLb1EES1A_EEDaS15_S16_EUlS15_E_NS1_11comp_targetILNS1_3genE8ELNS1_11target_archE1030ELNS1_3gpuE2ELNS1_3repE0EEENS1_30default_config_static_selectorELNS0_4arch9wavefront6targetE0EEEvT1_
    .private_segment_fixed_size: 0
    .sgpr_count:     0
    .sgpr_spill_count: 0
    .symbol:         _ZN7rocprim17ROCPRIM_400000_NS6detail17trampoline_kernelINS0_14default_configENS1_25partition_config_selectorILNS1_17partition_subalgoE9EyjbEEZZNS1_14partition_implILS5_9ELb0ES3_jN6thrust23THRUST_200600_302600_NS6detail15normal_iteratorINS9_10device_ptrIyEEEENSB_INSC_IjEEEEPNS0_10empty_typeENS0_5tupleIJSE_SH_EEENSJ_IJSG_SI_EEENS0_18inequality_wrapperINS9_8equal_toIyEEEEPmJSH_EEE10hipError_tPvRmT3_T4_T5_T6_T7_T9_mT8_P12ihipStream_tbDpT10_ENKUlT_T0_E_clISt17integral_constantIbLb1EES1A_EEDaS15_S16_EUlS15_E_NS1_11comp_targetILNS1_3genE8ELNS1_11target_archE1030ELNS1_3gpuE2ELNS1_3repE0EEENS1_30default_config_static_selectorELNS0_4arch9wavefront6targetE0EEEvT1_.kd
    .uniform_work_group_size: 1
    .uses_dynamic_stack: false
    .vgpr_count:     0
    .vgpr_spill_count: 0
    .wavefront_size: 32
    .workgroup_processor_mode: 1
  - .args:
      - .offset:         0
        .size:           112
        .value_kind:     by_value
    .group_segment_fixed_size: 0
    .kernarg_segment_align: 8
    .kernarg_segment_size: 112
    .language:       OpenCL C
    .language_version:
      - 2
      - 0
    .max_flat_workgroup_size: 128
    .name:           _ZN7rocprim17ROCPRIM_400000_NS6detail17trampoline_kernelINS0_14default_configENS1_25partition_config_selectorILNS1_17partition_subalgoE9EyjbEEZZNS1_14partition_implILS5_9ELb0ES3_jN6thrust23THRUST_200600_302600_NS6detail15normal_iteratorINS9_10device_ptrIyEEEENSB_INSC_IjEEEEPNS0_10empty_typeENS0_5tupleIJSE_SH_EEENSJ_IJSG_SI_EEENS0_18inequality_wrapperINS9_8equal_toIyEEEEPmJSH_EEE10hipError_tPvRmT3_T4_T5_T6_T7_T9_mT8_P12ihipStream_tbDpT10_ENKUlT_T0_E_clISt17integral_constantIbLb1EES19_IbLb0EEEEDaS15_S16_EUlS15_E_NS1_11comp_targetILNS1_3genE0ELNS1_11target_archE4294967295ELNS1_3gpuE0ELNS1_3repE0EEENS1_30default_config_static_selectorELNS0_4arch9wavefront6targetE0EEEvT1_
    .private_segment_fixed_size: 0
    .sgpr_count:     0
    .sgpr_spill_count: 0
    .symbol:         _ZN7rocprim17ROCPRIM_400000_NS6detail17trampoline_kernelINS0_14default_configENS1_25partition_config_selectorILNS1_17partition_subalgoE9EyjbEEZZNS1_14partition_implILS5_9ELb0ES3_jN6thrust23THRUST_200600_302600_NS6detail15normal_iteratorINS9_10device_ptrIyEEEENSB_INSC_IjEEEEPNS0_10empty_typeENS0_5tupleIJSE_SH_EEENSJ_IJSG_SI_EEENS0_18inequality_wrapperINS9_8equal_toIyEEEEPmJSH_EEE10hipError_tPvRmT3_T4_T5_T6_T7_T9_mT8_P12ihipStream_tbDpT10_ENKUlT_T0_E_clISt17integral_constantIbLb1EES19_IbLb0EEEEDaS15_S16_EUlS15_E_NS1_11comp_targetILNS1_3genE0ELNS1_11target_archE4294967295ELNS1_3gpuE0ELNS1_3repE0EEENS1_30default_config_static_selectorELNS0_4arch9wavefront6targetE0EEEvT1_.kd
    .uniform_work_group_size: 1
    .uses_dynamic_stack: false
    .vgpr_count:     0
    .vgpr_spill_count: 0
    .wavefront_size: 32
    .workgroup_processor_mode: 1
  - .args:
      - .offset:         0
        .size:           112
        .value_kind:     by_value
    .group_segment_fixed_size: 0
    .kernarg_segment_align: 8
    .kernarg_segment_size: 112
    .language:       OpenCL C
    .language_version:
      - 2
      - 0
    .max_flat_workgroup_size: 512
    .name:           _ZN7rocprim17ROCPRIM_400000_NS6detail17trampoline_kernelINS0_14default_configENS1_25partition_config_selectorILNS1_17partition_subalgoE9EyjbEEZZNS1_14partition_implILS5_9ELb0ES3_jN6thrust23THRUST_200600_302600_NS6detail15normal_iteratorINS9_10device_ptrIyEEEENSB_INSC_IjEEEEPNS0_10empty_typeENS0_5tupleIJSE_SH_EEENSJ_IJSG_SI_EEENS0_18inequality_wrapperINS9_8equal_toIyEEEEPmJSH_EEE10hipError_tPvRmT3_T4_T5_T6_T7_T9_mT8_P12ihipStream_tbDpT10_ENKUlT_T0_E_clISt17integral_constantIbLb1EES19_IbLb0EEEEDaS15_S16_EUlS15_E_NS1_11comp_targetILNS1_3genE5ELNS1_11target_archE942ELNS1_3gpuE9ELNS1_3repE0EEENS1_30default_config_static_selectorELNS0_4arch9wavefront6targetE0EEEvT1_
    .private_segment_fixed_size: 0
    .sgpr_count:     0
    .sgpr_spill_count: 0
    .symbol:         _ZN7rocprim17ROCPRIM_400000_NS6detail17trampoline_kernelINS0_14default_configENS1_25partition_config_selectorILNS1_17partition_subalgoE9EyjbEEZZNS1_14partition_implILS5_9ELb0ES3_jN6thrust23THRUST_200600_302600_NS6detail15normal_iteratorINS9_10device_ptrIyEEEENSB_INSC_IjEEEEPNS0_10empty_typeENS0_5tupleIJSE_SH_EEENSJ_IJSG_SI_EEENS0_18inequality_wrapperINS9_8equal_toIyEEEEPmJSH_EEE10hipError_tPvRmT3_T4_T5_T6_T7_T9_mT8_P12ihipStream_tbDpT10_ENKUlT_T0_E_clISt17integral_constantIbLb1EES19_IbLb0EEEEDaS15_S16_EUlS15_E_NS1_11comp_targetILNS1_3genE5ELNS1_11target_archE942ELNS1_3gpuE9ELNS1_3repE0EEENS1_30default_config_static_selectorELNS0_4arch9wavefront6targetE0EEEvT1_.kd
    .uniform_work_group_size: 1
    .uses_dynamic_stack: false
    .vgpr_count:     0
    .vgpr_spill_count: 0
    .wavefront_size: 32
    .workgroup_processor_mode: 1
  - .args:
      - .offset:         0
        .size:           112
        .value_kind:     by_value
    .group_segment_fixed_size: 0
    .kernarg_segment_align: 8
    .kernarg_segment_size: 112
    .language:       OpenCL C
    .language_version:
      - 2
      - 0
    .max_flat_workgroup_size: 192
    .name:           _ZN7rocprim17ROCPRIM_400000_NS6detail17trampoline_kernelINS0_14default_configENS1_25partition_config_selectorILNS1_17partition_subalgoE9EyjbEEZZNS1_14partition_implILS5_9ELb0ES3_jN6thrust23THRUST_200600_302600_NS6detail15normal_iteratorINS9_10device_ptrIyEEEENSB_INSC_IjEEEEPNS0_10empty_typeENS0_5tupleIJSE_SH_EEENSJ_IJSG_SI_EEENS0_18inequality_wrapperINS9_8equal_toIyEEEEPmJSH_EEE10hipError_tPvRmT3_T4_T5_T6_T7_T9_mT8_P12ihipStream_tbDpT10_ENKUlT_T0_E_clISt17integral_constantIbLb1EES19_IbLb0EEEEDaS15_S16_EUlS15_E_NS1_11comp_targetILNS1_3genE4ELNS1_11target_archE910ELNS1_3gpuE8ELNS1_3repE0EEENS1_30default_config_static_selectorELNS0_4arch9wavefront6targetE0EEEvT1_
    .private_segment_fixed_size: 0
    .sgpr_count:     0
    .sgpr_spill_count: 0
    .symbol:         _ZN7rocprim17ROCPRIM_400000_NS6detail17trampoline_kernelINS0_14default_configENS1_25partition_config_selectorILNS1_17partition_subalgoE9EyjbEEZZNS1_14partition_implILS5_9ELb0ES3_jN6thrust23THRUST_200600_302600_NS6detail15normal_iteratorINS9_10device_ptrIyEEEENSB_INSC_IjEEEEPNS0_10empty_typeENS0_5tupleIJSE_SH_EEENSJ_IJSG_SI_EEENS0_18inequality_wrapperINS9_8equal_toIyEEEEPmJSH_EEE10hipError_tPvRmT3_T4_T5_T6_T7_T9_mT8_P12ihipStream_tbDpT10_ENKUlT_T0_E_clISt17integral_constantIbLb1EES19_IbLb0EEEEDaS15_S16_EUlS15_E_NS1_11comp_targetILNS1_3genE4ELNS1_11target_archE910ELNS1_3gpuE8ELNS1_3repE0EEENS1_30default_config_static_selectorELNS0_4arch9wavefront6targetE0EEEvT1_.kd
    .uniform_work_group_size: 1
    .uses_dynamic_stack: false
    .vgpr_count:     0
    .vgpr_spill_count: 0
    .wavefront_size: 32
    .workgroup_processor_mode: 1
  - .args:
      - .offset:         0
        .size:           112
        .value_kind:     by_value
    .group_segment_fixed_size: 0
    .kernarg_segment_align: 8
    .kernarg_segment_size: 112
    .language:       OpenCL C
    .language_version:
      - 2
      - 0
    .max_flat_workgroup_size: 128
    .name:           _ZN7rocprim17ROCPRIM_400000_NS6detail17trampoline_kernelINS0_14default_configENS1_25partition_config_selectorILNS1_17partition_subalgoE9EyjbEEZZNS1_14partition_implILS5_9ELb0ES3_jN6thrust23THRUST_200600_302600_NS6detail15normal_iteratorINS9_10device_ptrIyEEEENSB_INSC_IjEEEEPNS0_10empty_typeENS0_5tupleIJSE_SH_EEENSJ_IJSG_SI_EEENS0_18inequality_wrapperINS9_8equal_toIyEEEEPmJSH_EEE10hipError_tPvRmT3_T4_T5_T6_T7_T9_mT8_P12ihipStream_tbDpT10_ENKUlT_T0_E_clISt17integral_constantIbLb1EES19_IbLb0EEEEDaS15_S16_EUlS15_E_NS1_11comp_targetILNS1_3genE3ELNS1_11target_archE908ELNS1_3gpuE7ELNS1_3repE0EEENS1_30default_config_static_selectorELNS0_4arch9wavefront6targetE0EEEvT1_
    .private_segment_fixed_size: 0
    .sgpr_count:     0
    .sgpr_spill_count: 0
    .symbol:         _ZN7rocprim17ROCPRIM_400000_NS6detail17trampoline_kernelINS0_14default_configENS1_25partition_config_selectorILNS1_17partition_subalgoE9EyjbEEZZNS1_14partition_implILS5_9ELb0ES3_jN6thrust23THRUST_200600_302600_NS6detail15normal_iteratorINS9_10device_ptrIyEEEENSB_INSC_IjEEEEPNS0_10empty_typeENS0_5tupleIJSE_SH_EEENSJ_IJSG_SI_EEENS0_18inequality_wrapperINS9_8equal_toIyEEEEPmJSH_EEE10hipError_tPvRmT3_T4_T5_T6_T7_T9_mT8_P12ihipStream_tbDpT10_ENKUlT_T0_E_clISt17integral_constantIbLb1EES19_IbLb0EEEEDaS15_S16_EUlS15_E_NS1_11comp_targetILNS1_3genE3ELNS1_11target_archE908ELNS1_3gpuE7ELNS1_3repE0EEENS1_30default_config_static_selectorELNS0_4arch9wavefront6targetE0EEEvT1_.kd
    .uniform_work_group_size: 1
    .uses_dynamic_stack: false
    .vgpr_count:     0
    .vgpr_spill_count: 0
    .wavefront_size: 32
    .workgroup_processor_mode: 1
  - .args:
      - .offset:         0
        .size:           112
        .value_kind:     by_value
    .group_segment_fixed_size: 0
    .kernarg_segment_align: 8
    .kernarg_segment_size: 112
    .language:       OpenCL C
    .language_version:
      - 2
      - 0
    .max_flat_workgroup_size: 256
    .name:           _ZN7rocprim17ROCPRIM_400000_NS6detail17trampoline_kernelINS0_14default_configENS1_25partition_config_selectorILNS1_17partition_subalgoE9EyjbEEZZNS1_14partition_implILS5_9ELb0ES3_jN6thrust23THRUST_200600_302600_NS6detail15normal_iteratorINS9_10device_ptrIyEEEENSB_INSC_IjEEEEPNS0_10empty_typeENS0_5tupleIJSE_SH_EEENSJ_IJSG_SI_EEENS0_18inequality_wrapperINS9_8equal_toIyEEEEPmJSH_EEE10hipError_tPvRmT3_T4_T5_T6_T7_T9_mT8_P12ihipStream_tbDpT10_ENKUlT_T0_E_clISt17integral_constantIbLb1EES19_IbLb0EEEEDaS15_S16_EUlS15_E_NS1_11comp_targetILNS1_3genE2ELNS1_11target_archE906ELNS1_3gpuE6ELNS1_3repE0EEENS1_30default_config_static_selectorELNS0_4arch9wavefront6targetE0EEEvT1_
    .private_segment_fixed_size: 0
    .sgpr_count:     0
    .sgpr_spill_count: 0
    .symbol:         _ZN7rocprim17ROCPRIM_400000_NS6detail17trampoline_kernelINS0_14default_configENS1_25partition_config_selectorILNS1_17partition_subalgoE9EyjbEEZZNS1_14partition_implILS5_9ELb0ES3_jN6thrust23THRUST_200600_302600_NS6detail15normal_iteratorINS9_10device_ptrIyEEEENSB_INSC_IjEEEEPNS0_10empty_typeENS0_5tupleIJSE_SH_EEENSJ_IJSG_SI_EEENS0_18inequality_wrapperINS9_8equal_toIyEEEEPmJSH_EEE10hipError_tPvRmT3_T4_T5_T6_T7_T9_mT8_P12ihipStream_tbDpT10_ENKUlT_T0_E_clISt17integral_constantIbLb1EES19_IbLb0EEEEDaS15_S16_EUlS15_E_NS1_11comp_targetILNS1_3genE2ELNS1_11target_archE906ELNS1_3gpuE6ELNS1_3repE0EEENS1_30default_config_static_selectorELNS0_4arch9wavefront6targetE0EEEvT1_.kd
    .uniform_work_group_size: 1
    .uses_dynamic_stack: false
    .vgpr_count:     0
    .vgpr_spill_count: 0
    .wavefront_size: 32
    .workgroup_processor_mode: 1
  - .args:
      - .offset:         0
        .size:           112
        .value_kind:     by_value
    .group_segment_fixed_size: 0
    .kernarg_segment_align: 8
    .kernarg_segment_size: 112
    .language:       OpenCL C
    .language_version:
      - 2
      - 0
    .max_flat_workgroup_size: 384
    .name:           _ZN7rocprim17ROCPRIM_400000_NS6detail17trampoline_kernelINS0_14default_configENS1_25partition_config_selectorILNS1_17partition_subalgoE9EyjbEEZZNS1_14partition_implILS5_9ELb0ES3_jN6thrust23THRUST_200600_302600_NS6detail15normal_iteratorINS9_10device_ptrIyEEEENSB_INSC_IjEEEEPNS0_10empty_typeENS0_5tupleIJSE_SH_EEENSJ_IJSG_SI_EEENS0_18inequality_wrapperINS9_8equal_toIyEEEEPmJSH_EEE10hipError_tPvRmT3_T4_T5_T6_T7_T9_mT8_P12ihipStream_tbDpT10_ENKUlT_T0_E_clISt17integral_constantIbLb1EES19_IbLb0EEEEDaS15_S16_EUlS15_E_NS1_11comp_targetILNS1_3genE10ELNS1_11target_archE1200ELNS1_3gpuE4ELNS1_3repE0EEENS1_30default_config_static_selectorELNS0_4arch9wavefront6targetE0EEEvT1_
    .private_segment_fixed_size: 0
    .sgpr_count:     0
    .sgpr_spill_count: 0
    .symbol:         _ZN7rocprim17ROCPRIM_400000_NS6detail17trampoline_kernelINS0_14default_configENS1_25partition_config_selectorILNS1_17partition_subalgoE9EyjbEEZZNS1_14partition_implILS5_9ELb0ES3_jN6thrust23THRUST_200600_302600_NS6detail15normal_iteratorINS9_10device_ptrIyEEEENSB_INSC_IjEEEEPNS0_10empty_typeENS0_5tupleIJSE_SH_EEENSJ_IJSG_SI_EEENS0_18inequality_wrapperINS9_8equal_toIyEEEEPmJSH_EEE10hipError_tPvRmT3_T4_T5_T6_T7_T9_mT8_P12ihipStream_tbDpT10_ENKUlT_T0_E_clISt17integral_constantIbLb1EES19_IbLb0EEEEDaS15_S16_EUlS15_E_NS1_11comp_targetILNS1_3genE10ELNS1_11target_archE1200ELNS1_3gpuE4ELNS1_3repE0EEENS1_30default_config_static_selectorELNS0_4arch9wavefront6targetE0EEEvT1_.kd
    .uniform_work_group_size: 1
    .uses_dynamic_stack: false
    .vgpr_count:     0
    .vgpr_spill_count: 0
    .wavefront_size: 32
    .workgroup_processor_mode: 1
  - .args:
      - .offset:         0
        .size:           112
        .value_kind:     by_value
    .group_segment_fixed_size: 33800
    .kernarg_segment_align: 8
    .kernarg_segment_size: 112
    .language:       OpenCL C
    .language_version:
      - 2
      - 0
    .max_flat_workgroup_size: 512
    .name:           _ZN7rocprim17ROCPRIM_400000_NS6detail17trampoline_kernelINS0_14default_configENS1_25partition_config_selectorILNS1_17partition_subalgoE9EyjbEEZZNS1_14partition_implILS5_9ELb0ES3_jN6thrust23THRUST_200600_302600_NS6detail15normal_iteratorINS9_10device_ptrIyEEEENSB_INSC_IjEEEEPNS0_10empty_typeENS0_5tupleIJSE_SH_EEENSJ_IJSG_SI_EEENS0_18inequality_wrapperINS9_8equal_toIyEEEEPmJSH_EEE10hipError_tPvRmT3_T4_T5_T6_T7_T9_mT8_P12ihipStream_tbDpT10_ENKUlT_T0_E_clISt17integral_constantIbLb1EES19_IbLb0EEEEDaS15_S16_EUlS15_E_NS1_11comp_targetILNS1_3genE9ELNS1_11target_archE1100ELNS1_3gpuE3ELNS1_3repE0EEENS1_30default_config_static_selectorELNS0_4arch9wavefront6targetE0EEEvT1_
    .private_segment_fixed_size: 0
    .sgpr_count:     26
    .sgpr_spill_count: 0
    .symbol:         _ZN7rocprim17ROCPRIM_400000_NS6detail17trampoline_kernelINS0_14default_configENS1_25partition_config_selectorILNS1_17partition_subalgoE9EyjbEEZZNS1_14partition_implILS5_9ELb0ES3_jN6thrust23THRUST_200600_302600_NS6detail15normal_iteratorINS9_10device_ptrIyEEEENSB_INSC_IjEEEEPNS0_10empty_typeENS0_5tupleIJSE_SH_EEENSJ_IJSG_SI_EEENS0_18inequality_wrapperINS9_8equal_toIyEEEEPmJSH_EEE10hipError_tPvRmT3_T4_T5_T6_T7_T9_mT8_P12ihipStream_tbDpT10_ENKUlT_T0_E_clISt17integral_constantIbLb1EES19_IbLb0EEEEDaS15_S16_EUlS15_E_NS1_11comp_targetILNS1_3genE9ELNS1_11target_archE1100ELNS1_3gpuE3ELNS1_3repE0EEENS1_30default_config_static_selectorELNS0_4arch9wavefront6targetE0EEEvT1_.kd
    .uniform_work_group_size: 1
    .uses_dynamic_stack: false
    .vgpr_count:     60
    .vgpr_spill_count: 0
    .wavefront_size: 32
    .workgroup_processor_mode: 1
  - .args:
      - .offset:         0
        .size:           112
        .value_kind:     by_value
    .group_segment_fixed_size: 0
    .kernarg_segment_align: 8
    .kernarg_segment_size: 112
    .language:       OpenCL C
    .language_version:
      - 2
      - 0
    .max_flat_workgroup_size: 512
    .name:           _ZN7rocprim17ROCPRIM_400000_NS6detail17trampoline_kernelINS0_14default_configENS1_25partition_config_selectorILNS1_17partition_subalgoE9EyjbEEZZNS1_14partition_implILS5_9ELb0ES3_jN6thrust23THRUST_200600_302600_NS6detail15normal_iteratorINS9_10device_ptrIyEEEENSB_INSC_IjEEEEPNS0_10empty_typeENS0_5tupleIJSE_SH_EEENSJ_IJSG_SI_EEENS0_18inequality_wrapperINS9_8equal_toIyEEEEPmJSH_EEE10hipError_tPvRmT3_T4_T5_T6_T7_T9_mT8_P12ihipStream_tbDpT10_ENKUlT_T0_E_clISt17integral_constantIbLb1EES19_IbLb0EEEEDaS15_S16_EUlS15_E_NS1_11comp_targetILNS1_3genE8ELNS1_11target_archE1030ELNS1_3gpuE2ELNS1_3repE0EEENS1_30default_config_static_selectorELNS0_4arch9wavefront6targetE0EEEvT1_
    .private_segment_fixed_size: 0
    .sgpr_count:     0
    .sgpr_spill_count: 0
    .symbol:         _ZN7rocprim17ROCPRIM_400000_NS6detail17trampoline_kernelINS0_14default_configENS1_25partition_config_selectorILNS1_17partition_subalgoE9EyjbEEZZNS1_14partition_implILS5_9ELb0ES3_jN6thrust23THRUST_200600_302600_NS6detail15normal_iteratorINS9_10device_ptrIyEEEENSB_INSC_IjEEEEPNS0_10empty_typeENS0_5tupleIJSE_SH_EEENSJ_IJSG_SI_EEENS0_18inequality_wrapperINS9_8equal_toIyEEEEPmJSH_EEE10hipError_tPvRmT3_T4_T5_T6_T7_T9_mT8_P12ihipStream_tbDpT10_ENKUlT_T0_E_clISt17integral_constantIbLb1EES19_IbLb0EEEEDaS15_S16_EUlS15_E_NS1_11comp_targetILNS1_3genE8ELNS1_11target_archE1030ELNS1_3gpuE2ELNS1_3repE0EEENS1_30default_config_static_selectorELNS0_4arch9wavefront6targetE0EEEvT1_.kd
    .uniform_work_group_size: 1
    .uses_dynamic_stack: false
    .vgpr_count:     0
    .vgpr_spill_count: 0
    .wavefront_size: 32
    .workgroup_processor_mode: 1
  - .args:
      - .offset:         0
        .size:           128
        .value_kind:     by_value
    .group_segment_fixed_size: 0
    .kernarg_segment_align: 8
    .kernarg_segment_size: 128
    .language:       OpenCL C
    .language_version:
      - 2
      - 0
    .max_flat_workgroup_size: 128
    .name:           _ZN7rocprim17ROCPRIM_400000_NS6detail17trampoline_kernelINS0_14default_configENS1_25partition_config_selectorILNS1_17partition_subalgoE9EyjbEEZZNS1_14partition_implILS5_9ELb0ES3_jN6thrust23THRUST_200600_302600_NS6detail15normal_iteratorINS9_10device_ptrIyEEEENSB_INSC_IjEEEEPNS0_10empty_typeENS0_5tupleIJSE_SH_EEENSJ_IJSG_SI_EEENS0_18inequality_wrapperINS9_8equal_toIyEEEEPmJSH_EEE10hipError_tPvRmT3_T4_T5_T6_T7_T9_mT8_P12ihipStream_tbDpT10_ENKUlT_T0_E_clISt17integral_constantIbLb0EES19_IbLb1EEEEDaS15_S16_EUlS15_E_NS1_11comp_targetILNS1_3genE0ELNS1_11target_archE4294967295ELNS1_3gpuE0ELNS1_3repE0EEENS1_30default_config_static_selectorELNS0_4arch9wavefront6targetE0EEEvT1_
    .private_segment_fixed_size: 0
    .sgpr_count:     0
    .sgpr_spill_count: 0
    .symbol:         _ZN7rocprim17ROCPRIM_400000_NS6detail17trampoline_kernelINS0_14default_configENS1_25partition_config_selectorILNS1_17partition_subalgoE9EyjbEEZZNS1_14partition_implILS5_9ELb0ES3_jN6thrust23THRUST_200600_302600_NS6detail15normal_iteratorINS9_10device_ptrIyEEEENSB_INSC_IjEEEEPNS0_10empty_typeENS0_5tupleIJSE_SH_EEENSJ_IJSG_SI_EEENS0_18inequality_wrapperINS9_8equal_toIyEEEEPmJSH_EEE10hipError_tPvRmT3_T4_T5_T6_T7_T9_mT8_P12ihipStream_tbDpT10_ENKUlT_T0_E_clISt17integral_constantIbLb0EES19_IbLb1EEEEDaS15_S16_EUlS15_E_NS1_11comp_targetILNS1_3genE0ELNS1_11target_archE4294967295ELNS1_3gpuE0ELNS1_3repE0EEENS1_30default_config_static_selectorELNS0_4arch9wavefront6targetE0EEEvT1_.kd
    .uniform_work_group_size: 1
    .uses_dynamic_stack: false
    .vgpr_count:     0
    .vgpr_spill_count: 0
    .wavefront_size: 32
    .workgroup_processor_mode: 1
  - .args:
      - .offset:         0
        .size:           128
        .value_kind:     by_value
    .group_segment_fixed_size: 0
    .kernarg_segment_align: 8
    .kernarg_segment_size: 128
    .language:       OpenCL C
    .language_version:
      - 2
      - 0
    .max_flat_workgroup_size: 512
    .name:           _ZN7rocprim17ROCPRIM_400000_NS6detail17trampoline_kernelINS0_14default_configENS1_25partition_config_selectorILNS1_17partition_subalgoE9EyjbEEZZNS1_14partition_implILS5_9ELb0ES3_jN6thrust23THRUST_200600_302600_NS6detail15normal_iteratorINS9_10device_ptrIyEEEENSB_INSC_IjEEEEPNS0_10empty_typeENS0_5tupleIJSE_SH_EEENSJ_IJSG_SI_EEENS0_18inequality_wrapperINS9_8equal_toIyEEEEPmJSH_EEE10hipError_tPvRmT3_T4_T5_T6_T7_T9_mT8_P12ihipStream_tbDpT10_ENKUlT_T0_E_clISt17integral_constantIbLb0EES19_IbLb1EEEEDaS15_S16_EUlS15_E_NS1_11comp_targetILNS1_3genE5ELNS1_11target_archE942ELNS1_3gpuE9ELNS1_3repE0EEENS1_30default_config_static_selectorELNS0_4arch9wavefront6targetE0EEEvT1_
    .private_segment_fixed_size: 0
    .sgpr_count:     0
    .sgpr_spill_count: 0
    .symbol:         _ZN7rocprim17ROCPRIM_400000_NS6detail17trampoline_kernelINS0_14default_configENS1_25partition_config_selectorILNS1_17partition_subalgoE9EyjbEEZZNS1_14partition_implILS5_9ELb0ES3_jN6thrust23THRUST_200600_302600_NS6detail15normal_iteratorINS9_10device_ptrIyEEEENSB_INSC_IjEEEEPNS0_10empty_typeENS0_5tupleIJSE_SH_EEENSJ_IJSG_SI_EEENS0_18inequality_wrapperINS9_8equal_toIyEEEEPmJSH_EEE10hipError_tPvRmT3_T4_T5_T6_T7_T9_mT8_P12ihipStream_tbDpT10_ENKUlT_T0_E_clISt17integral_constantIbLb0EES19_IbLb1EEEEDaS15_S16_EUlS15_E_NS1_11comp_targetILNS1_3genE5ELNS1_11target_archE942ELNS1_3gpuE9ELNS1_3repE0EEENS1_30default_config_static_selectorELNS0_4arch9wavefront6targetE0EEEvT1_.kd
    .uniform_work_group_size: 1
    .uses_dynamic_stack: false
    .vgpr_count:     0
    .vgpr_spill_count: 0
    .wavefront_size: 32
    .workgroup_processor_mode: 1
  - .args:
      - .offset:         0
        .size:           128
        .value_kind:     by_value
    .group_segment_fixed_size: 0
    .kernarg_segment_align: 8
    .kernarg_segment_size: 128
    .language:       OpenCL C
    .language_version:
      - 2
      - 0
    .max_flat_workgroup_size: 192
    .name:           _ZN7rocprim17ROCPRIM_400000_NS6detail17trampoline_kernelINS0_14default_configENS1_25partition_config_selectorILNS1_17partition_subalgoE9EyjbEEZZNS1_14partition_implILS5_9ELb0ES3_jN6thrust23THRUST_200600_302600_NS6detail15normal_iteratorINS9_10device_ptrIyEEEENSB_INSC_IjEEEEPNS0_10empty_typeENS0_5tupleIJSE_SH_EEENSJ_IJSG_SI_EEENS0_18inequality_wrapperINS9_8equal_toIyEEEEPmJSH_EEE10hipError_tPvRmT3_T4_T5_T6_T7_T9_mT8_P12ihipStream_tbDpT10_ENKUlT_T0_E_clISt17integral_constantIbLb0EES19_IbLb1EEEEDaS15_S16_EUlS15_E_NS1_11comp_targetILNS1_3genE4ELNS1_11target_archE910ELNS1_3gpuE8ELNS1_3repE0EEENS1_30default_config_static_selectorELNS0_4arch9wavefront6targetE0EEEvT1_
    .private_segment_fixed_size: 0
    .sgpr_count:     0
    .sgpr_spill_count: 0
    .symbol:         _ZN7rocprim17ROCPRIM_400000_NS6detail17trampoline_kernelINS0_14default_configENS1_25partition_config_selectorILNS1_17partition_subalgoE9EyjbEEZZNS1_14partition_implILS5_9ELb0ES3_jN6thrust23THRUST_200600_302600_NS6detail15normal_iteratorINS9_10device_ptrIyEEEENSB_INSC_IjEEEEPNS0_10empty_typeENS0_5tupleIJSE_SH_EEENSJ_IJSG_SI_EEENS0_18inequality_wrapperINS9_8equal_toIyEEEEPmJSH_EEE10hipError_tPvRmT3_T4_T5_T6_T7_T9_mT8_P12ihipStream_tbDpT10_ENKUlT_T0_E_clISt17integral_constantIbLb0EES19_IbLb1EEEEDaS15_S16_EUlS15_E_NS1_11comp_targetILNS1_3genE4ELNS1_11target_archE910ELNS1_3gpuE8ELNS1_3repE0EEENS1_30default_config_static_selectorELNS0_4arch9wavefront6targetE0EEEvT1_.kd
    .uniform_work_group_size: 1
    .uses_dynamic_stack: false
    .vgpr_count:     0
    .vgpr_spill_count: 0
    .wavefront_size: 32
    .workgroup_processor_mode: 1
  - .args:
      - .offset:         0
        .size:           128
        .value_kind:     by_value
    .group_segment_fixed_size: 0
    .kernarg_segment_align: 8
    .kernarg_segment_size: 128
    .language:       OpenCL C
    .language_version:
      - 2
      - 0
    .max_flat_workgroup_size: 128
    .name:           _ZN7rocprim17ROCPRIM_400000_NS6detail17trampoline_kernelINS0_14default_configENS1_25partition_config_selectorILNS1_17partition_subalgoE9EyjbEEZZNS1_14partition_implILS5_9ELb0ES3_jN6thrust23THRUST_200600_302600_NS6detail15normal_iteratorINS9_10device_ptrIyEEEENSB_INSC_IjEEEEPNS0_10empty_typeENS0_5tupleIJSE_SH_EEENSJ_IJSG_SI_EEENS0_18inequality_wrapperINS9_8equal_toIyEEEEPmJSH_EEE10hipError_tPvRmT3_T4_T5_T6_T7_T9_mT8_P12ihipStream_tbDpT10_ENKUlT_T0_E_clISt17integral_constantIbLb0EES19_IbLb1EEEEDaS15_S16_EUlS15_E_NS1_11comp_targetILNS1_3genE3ELNS1_11target_archE908ELNS1_3gpuE7ELNS1_3repE0EEENS1_30default_config_static_selectorELNS0_4arch9wavefront6targetE0EEEvT1_
    .private_segment_fixed_size: 0
    .sgpr_count:     0
    .sgpr_spill_count: 0
    .symbol:         _ZN7rocprim17ROCPRIM_400000_NS6detail17trampoline_kernelINS0_14default_configENS1_25partition_config_selectorILNS1_17partition_subalgoE9EyjbEEZZNS1_14partition_implILS5_9ELb0ES3_jN6thrust23THRUST_200600_302600_NS6detail15normal_iteratorINS9_10device_ptrIyEEEENSB_INSC_IjEEEEPNS0_10empty_typeENS0_5tupleIJSE_SH_EEENSJ_IJSG_SI_EEENS0_18inequality_wrapperINS9_8equal_toIyEEEEPmJSH_EEE10hipError_tPvRmT3_T4_T5_T6_T7_T9_mT8_P12ihipStream_tbDpT10_ENKUlT_T0_E_clISt17integral_constantIbLb0EES19_IbLb1EEEEDaS15_S16_EUlS15_E_NS1_11comp_targetILNS1_3genE3ELNS1_11target_archE908ELNS1_3gpuE7ELNS1_3repE0EEENS1_30default_config_static_selectorELNS0_4arch9wavefront6targetE0EEEvT1_.kd
    .uniform_work_group_size: 1
    .uses_dynamic_stack: false
    .vgpr_count:     0
    .vgpr_spill_count: 0
    .wavefront_size: 32
    .workgroup_processor_mode: 1
  - .args:
      - .offset:         0
        .size:           128
        .value_kind:     by_value
    .group_segment_fixed_size: 0
    .kernarg_segment_align: 8
    .kernarg_segment_size: 128
    .language:       OpenCL C
    .language_version:
      - 2
      - 0
    .max_flat_workgroup_size: 256
    .name:           _ZN7rocprim17ROCPRIM_400000_NS6detail17trampoline_kernelINS0_14default_configENS1_25partition_config_selectorILNS1_17partition_subalgoE9EyjbEEZZNS1_14partition_implILS5_9ELb0ES3_jN6thrust23THRUST_200600_302600_NS6detail15normal_iteratorINS9_10device_ptrIyEEEENSB_INSC_IjEEEEPNS0_10empty_typeENS0_5tupleIJSE_SH_EEENSJ_IJSG_SI_EEENS0_18inequality_wrapperINS9_8equal_toIyEEEEPmJSH_EEE10hipError_tPvRmT3_T4_T5_T6_T7_T9_mT8_P12ihipStream_tbDpT10_ENKUlT_T0_E_clISt17integral_constantIbLb0EES19_IbLb1EEEEDaS15_S16_EUlS15_E_NS1_11comp_targetILNS1_3genE2ELNS1_11target_archE906ELNS1_3gpuE6ELNS1_3repE0EEENS1_30default_config_static_selectorELNS0_4arch9wavefront6targetE0EEEvT1_
    .private_segment_fixed_size: 0
    .sgpr_count:     0
    .sgpr_spill_count: 0
    .symbol:         _ZN7rocprim17ROCPRIM_400000_NS6detail17trampoline_kernelINS0_14default_configENS1_25partition_config_selectorILNS1_17partition_subalgoE9EyjbEEZZNS1_14partition_implILS5_9ELb0ES3_jN6thrust23THRUST_200600_302600_NS6detail15normal_iteratorINS9_10device_ptrIyEEEENSB_INSC_IjEEEEPNS0_10empty_typeENS0_5tupleIJSE_SH_EEENSJ_IJSG_SI_EEENS0_18inequality_wrapperINS9_8equal_toIyEEEEPmJSH_EEE10hipError_tPvRmT3_T4_T5_T6_T7_T9_mT8_P12ihipStream_tbDpT10_ENKUlT_T0_E_clISt17integral_constantIbLb0EES19_IbLb1EEEEDaS15_S16_EUlS15_E_NS1_11comp_targetILNS1_3genE2ELNS1_11target_archE906ELNS1_3gpuE6ELNS1_3repE0EEENS1_30default_config_static_selectorELNS0_4arch9wavefront6targetE0EEEvT1_.kd
    .uniform_work_group_size: 1
    .uses_dynamic_stack: false
    .vgpr_count:     0
    .vgpr_spill_count: 0
    .wavefront_size: 32
    .workgroup_processor_mode: 1
  - .args:
      - .offset:         0
        .size:           128
        .value_kind:     by_value
    .group_segment_fixed_size: 0
    .kernarg_segment_align: 8
    .kernarg_segment_size: 128
    .language:       OpenCL C
    .language_version:
      - 2
      - 0
    .max_flat_workgroup_size: 384
    .name:           _ZN7rocprim17ROCPRIM_400000_NS6detail17trampoline_kernelINS0_14default_configENS1_25partition_config_selectorILNS1_17partition_subalgoE9EyjbEEZZNS1_14partition_implILS5_9ELb0ES3_jN6thrust23THRUST_200600_302600_NS6detail15normal_iteratorINS9_10device_ptrIyEEEENSB_INSC_IjEEEEPNS0_10empty_typeENS0_5tupleIJSE_SH_EEENSJ_IJSG_SI_EEENS0_18inequality_wrapperINS9_8equal_toIyEEEEPmJSH_EEE10hipError_tPvRmT3_T4_T5_T6_T7_T9_mT8_P12ihipStream_tbDpT10_ENKUlT_T0_E_clISt17integral_constantIbLb0EES19_IbLb1EEEEDaS15_S16_EUlS15_E_NS1_11comp_targetILNS1_3genE10ELNS1_11target_archE1200ELNS1_3gpuE4ELNS1_3repE0EEENS1_30default_config_static_selectorELNS0_4arch9wavefront6targetE0EEEvT1_
    .private_segment_fixed_size: 0
    .sgpr_count:     0
    .sgpr_spill_count: 0
    .symbol:         _ZN7rocprim17ROCPRIM_400000_NS6detail17trampoline_kernelINS0_14default_configENS1_25partition_config_selectorILNS1_17partition_subalgoE9EyjbEEZZNS1_14partition_implILS5_9ELb0ES3_jN6thrust23THRUST_200600_302600_NS6detail15normal_iteratorINS9_10device_ptrIyEEEENSB_INSC_IjEEEEPNS0_10empty_typeENS0_5tupleIJSE_SH_EEENSJ_IJSG_SI_EEENS0_18inequality_wrapperINS9_8equal_toIyEEEEPmJSH_EEE10hipError_tPvRmT3_T4_T5_T6_T7_T9_mT8_P12ihipStream_tbDpT10_ENKUlT_T0_E_clISt17integral_constantIbLb0EES19_IbLb1EEEEDaS15_S16_EUlS15_E_NS1_11comp_targetILNS1_3genE10ELNS1_11target_archE1200ELNS1_3gpuE4ELNS1_3repE0EEENS1_30default_config_static_selectorELNS0_4arch9wavefront6targetE0EEEvT1_.kd
    .uniform_work_group_size: 1
    .uses_dynamic_stack: false
    .vgpr_count:     0
    .vgpr_spill_count: 0
    .wavefront_size: 32
    .workgroup_processor_mode: 1
  - .args:
      - .offset:         0
        .size:           128
        .value_kind:     by_value
    .group_segment_fixed_size: 33800
    .kernarg_segment_align: 8
    .kernarg_segment_size: 128
    .language:       OpenCL C
    .language_version:
      - 2
      - 0
    .max_flat_workgroup_size: 512
    .name:           _ZN7rocprim17ROCPRIM_400000_NS6detail17trampoline_kernelINS0_14default_configENS1_25partition_config_selectorILNS1_17partition_subalgoE9EyjbEEZZNS1_14partition_implILS5_9ELb0ES3_jN6thrust23THRUST_200600_302600_NS6detail15normal_iteratorINS9_10device_ptrIyEEEENSB_INSC_IjEEEEPNS0_10empty_typeENS0_5tupleIJSE_SH_EEENSJ_IJSG_SI_EEENS0_18inequality_wrapperINS9_8equal_toIyEEEEPmJSH_EEE10hipError_tPvRmT3_T4_T5_T6_T7_T9_mT8_P12ihipStream_tbDpT10_ENKUlT_T0_E_clISt17integral_constantIbLb0EES19_IbLb1EEEEDaS15_S16_EUlS15_E_NS1_11comp_targetILNS1_3genE9ELNS1_11target_archE1100ELNS1_3gpuE3ELNS1_3repE0EEENS1_30default_config_static_selectorELNS0_4arch9wavefront6targetE0EEEvT1_
    .private_segment_fixed_size: 0
    .sgpr_count:     32
    .sgpr_spill_count: 0
    .symbol:         _ZN7rocprim17ROCPRIM_400000_NS6detail17trampoline_kernelINS0_14default_configENS1_25partition_config_selectorILNS1_17partition_subalgoE9EyjbEEZZNS1_14partition_implILS5_9ELb0ES3_jN6thrust23THRUST_200600_302600_NS6detail15normal_iteratorINS9_10device_ptrIyEEEENSB_INSC_IjEEEEPNS0_10empty_typeENS0_5tupleIJSE_SH_EEENSJ_IJSG_SI_EEENS0_18inequality_wrapperINS9_8equal_toIyEEEEPmJSH_EEE10hipError_tPvRmT3_T4_T5_T6_T7_T9_mT8_P12ihipStream_tbDpT10_ENKUlT_T0_E_clISt17integral_constantIbLb0EES19_IbLb1EEEEDaS15_S16_EUlS15_E_NS1_11comp_targetILNS1_3genE9ELNS1_11target_archE1100ELNS1_3gpuE3ELNS1_3repE0EEENS1_30default_config_static_selectorELNS0_4arch9wavefront6targetE0EEEvT1_.kd
    .uniform_work_group_size: 1
    .uses_dynamic_stack: false
    .vgpr_count:     60
    .vgpr_spill_count: 0
    .wavefront_size: 32
    .workgroup_processor_mode: 1
  - .args:
      - .offset:         0
        .size:           128
        .value_kind:     by_value
    .group_segment_fixed_size: 0
    .kernarg_segment_align: 8
    .kernarg_segment_size: 128
    .language:       OpenCL C
    .language_version:
      - 2
      - 0
    .max_flat_workgroup_size: 512
    .name:           _ZN7rocprim17ROCPRIM_400000_NS6detail17trampoline_kernelINS0_14default_configENS1_25partition_config_selectorILNS1_17partition_subalgoE9EyjbEEZZNS1_14partition_implILS5_9ELb0ES3_jN6thrust23THRUST_200600_302600_NS6detail15normal_iteratorINS9_10device_ptrIyEEEENSB_INSC_IjEEEEPNS0_10empty_typeENS0_5tupleIJSE_SH_EEENSJ_IJSG_SI_EEENS0_18inequality_wrapperINS9_8equal_toIyEEEEPmJSH_EEE10hipError_tPvRmT3_T4_T5_T6_T7_T9_mT8_P12ihipStream_tbDpT10_ENKUlT_T0_E_clISt17integral_constantIbLb0EES19_IbLb1EEEEDaS15_S16_EUlS15_E_NS1_11comp_targetILNS1_3genE8ELNS1_11target_archE1030ELNS1_3gpuE2ELNS1_3repE0EEENS1_30default_config_static_selectorELNS0_4arch9wavefront6targetE0EEEvT1_
    .private_segment_fixed_size: 0
    .sgpr_count:     0
    .sgpr_spill_count: 0
    .symbol:         _ZN7rocprim17ROCPRIM_400000_NS6detail17trampoline_kernelINS0_14default_configENS1_25partition_config_selectorILNS1_17partition_subalgoE9EyjbEEZZNS1_14partition_implILS5_9ELb0ES3_jN6thrust23THRUST_200600_302600_NS6detail15normal_iteratorINS9_10device_ptrIyEEEENSB_INSC_IjEEEEPNS0_10empty_typeENS0_5tupleIJSE_SH_EEENSJ_IJSG_SI_EEENS0_18inequality_wrapperINS9_8equal_toIyEEEEPmJSH_EEE10hipError_tPvRmT3_T4_T5_T6_T7_T9_mT8_P12ihipStream_tbDpT10_ENKUlT_T0_E_clISt17integral_constantIbLb0EES19_IbLb1EEEEDaS15_S16_EUlS15_E_NS1_11comp_targetILNS1_3genE8ELNS1_11target_archE1030ELNS1_3gpuE2ELNS1_3repE0EEENS1_30default_config_static_selectorELNS0_4arch9wavefront6targetE0EEEvT1_.kd
    .uniform_work_group_size: 1
    .uses_dynamic_stack: false
    .vgpr_count:     0
    .vgpr_spill_count: 0
    .wavefront_size: 32
    .workgroup_processor_mode: 1
  - .args:
      - .offset:         0
        .size:           112
        .value_kind:     by_value
    .group_segment_fixed_size: 0
    .kernarg_segment_align: 8
    .kernarg_segment_size: 112
    .language:       OpenCL C
    .language_version:
      - 2
      - 0
    .max_flat_workgroup_size: 256
    .name:           _ZN7rocprim17ROCPRIM_400000_NS6detail17trampoline_kernelINS0_14default_configENS1_25partition_config_selectorILNS1_17partition_subalgoE9EtjbEEZZNS1_14partition_implILS5_9ELb0ES3_jN6thrust23THRUST_200600_302600_NS6detail15normal_iteratorINS9_10device_ptrItEEEENSB_INSC_IjEEEEPNS0_10empty_typeENS0_5tupleIJSE_SH_EEENSJ_IJSG_SI_EEENS0_18inequality_wrapperINS9_8equal_toItEEEEPmJSH_EEE10hipError_tPvRmT3_T4_T5_T6_T7_T9_mT8_P12ihipStream_tbDpT10_ENKUlT_T0_E_clISt17integral_constantIbLb0EES1A_EEDaS15_S16_EUlS15_E_NS1_11comp_targetILNS1_3genE0ELNS1_11target_archE4294967295ELNS1_3gpuE0ELNS1_3repE0EEENS1_30default_config_static_selectorELNS0_4arch9wavefront6targetE0EEEvT1_
    .private_segment_fixed_size: 0
    .sgpr_count:     0
    .sgpr_spill_count: 0
    .symbol:         _ZN7rocprim17ROCPRIM_400000_NS6detail17trampoline_kernelINS0_14default_configENS1_25partition_config_selectorILNS1_17partition_subalgoE9EtjbEEZZNS1_14partition_implILS5_9ELb0ES3_jN6thrust23THRUST_200600_302600_NS6detail15normal_iteratorINS9_10device_ptrItEEEENSB_INSC_IjEEEEPNS0_10empty_typeENS0_5tupleIJSE_SH_EEENSJ_IJSG_SI_EEENS0_18inequality_wrapperINS9_8equal_toItEEEEPmJSH_EEE10hipError_tPvRmT3_T4_T5_T6_T7_T9_mT8_P12ihipStream_tbDpT10_ENKUlT_T0_E_clISt17integral_constantIbLb0EES1A_EEDaS15_S16_EUlS15_E_NS1_11comp_targetILNS1_3genE0ELNS1_11target_archE4294967295ELNS1_3gpuE0ELNS1_3repE0EEENS1_30default_config_static_selectorELNS0_4arch9wavefront6targetE0EEEvT1_.kd
    .uniform_work_group_size: 1
    .uses_dynamic_stack: false
    .vgpr_count:     0
    .vgpr_spill_count: 0
    .wavefront_size: 32
    .workgroup_processor_mode: 1
  - .args:
      - .offset:         0
        .size:           112
        .value_kind:     by_value
    .group_segment_fixed_size: 0
    .kernarg_segment_align: 8
    .kernarg_segment_size: 112
    .language:       OpenCL C
    .language_version:
      - 2
      - 0
    .max_flat_workgroup_size: 512
    .name:           _ZN7rocprim17ROCPRIM_400000_NS6detail17trampoline_kernelINS0_14default_configENS1_25partition_config_selectorILNS1_17partition_subalgoE9EtjbEEZZNS1_14partition_implILS5_9ELb0ES3_jN6thrust23THRUST_200600_302600_NS6detail15normal_iteratorINS9_10device_ptrItEEEENSB_INSC_IjEEEEPNS0_10empty_typeENS0_5tupleIJSE_SH_EEENSJ_IJSG_SI_EEENS0_18inequality_wrapperINS9_8equal_toItEEEEPmJSH_EEE10hipError_tPvRmT3_T4_T5_T6_T7_T9_mT8_P12ihipStream_tbDpT10_ENKUlT_T0_E_clISt17integral_constantIbLb0EES1A_EEDaS15_S16_EUlS15_E_NS1_11comp_targetILNS1_3genE5ELNS1_11target_archE942ELNS1_3gpuE9ELNS1_3repE0EEENS1_30default_config_static_selectorELNS0_4arch9wavefront6targetE0EEEvT1_
    .private_segment_fixed_size: 0
    .sgpr_count:     0
    .sgpr_spill_count: 0
    .symbol:         _ZN7rocprim17ROCPRIM_400000_NS6detail17trampoline_kernelINS0_14default_configENS1_25partition_config_selectorILNS1_17partition_subalgoE9EtjbEEZZNS1_14partition_implILS5_9ELb0ES3_jN6thrust23THRUST_200600_302600_NS6detail15normal_iteratorINS9_10device_ptrItEEEENSB_INSC_IjEEEEPNS0_10empty_typeENS0_5tupleIJSE_SH_EEENSJ_IJSG_SI_EEENS0_18inequality_wrapperINS9_8equal_toItEEEEPmJSH_EEE10hipError_tPvRmT3_T4_T5_T6_T7_T9_mT8_P12ihipStream_tbDpT10_ENKUlT_T0_E_clISt17integral_constantIbLb0EES1A_EEDaS15_S16_EUlS15_E_NS1_11comp_targetILNS1_3genE5ELNS1_11target_archE942ELNS1_3gpuE9ELNS1_3repE0EEENS1_30default_config_static_selectorELNS0_4arch9wavefront6targetE0EEEvT1_.kd
    .uniform_work_group_size: 1
    .uses_dynamic_stack: false
    .vgpr_count:     0
    .vgpr_spill_count: 0
    .wavefront_size: 32
    .workgroup_processor_mode: 1
  - .args:
      - .offset:         0
        .size:           112
        .value_kind:     by_value
    .group_segment_fixed_size: 0
    .kernarg_segment_align: 8
    .kernarg_segment_size: 112
    .language:       OpenCL C
    .language_version:
      - 2
      - 0
    .max_flat_workgroup_size: 192
    .name:           _ZN7rocprim17ROCPRIM_400000_NS6detail17trampoline_kernelINS0_14default_configENS1_25partition_config_selectorILNS1_17partition_subalgoE9EtjbEEZZNS1_14partition_implILS5_9ELb0ES3_jN6thrust23THRUST_200600_302600_NS6detail15normal_iteratorINS9_10device_ptrItEEEENSB_INSC_IjEEEEPNS0_10empty_typeENS0_5tupleIJSE_SH_EEENSJ_IJSG_SI_EEENS0_18inequality_wrapperINS9_8equal_toItEEEEPmJSH_EEE10hipError_tPvRmT3_T4_T5_T6_T7_T9_mT8_P12ihipStream_tbDpT10_ENKUlT_T0_E_clISt17integral_constantIbLb0EES1A_EEDaS15_S16_EUlS15_E_NS1_11comp_targetILNS1_3genE4ELNS1_11target_archE910ELNS1_3gpuE8ELNS1_3repE0EEENS1_30default_config_static_selectorELNS0_4arch9wavefront6targetE0EEEvT1_
    .private_segment_fixed_size: 0
    .sgpr_count:     0
    .sgpr_spill_count: 0
    .symbol:         _ZN7rocprim17ROCPRIM_400000_NS6detail17trampoline_kernelINS0_14default_configENS1_25partition_config_selectorILNS1_17partition_subalgoE9EtjbEEZZNS1_14partition_implILS5_9ELb0ES3_jN6thrust23THRUST_200600_302600_NS6detail15normal_iteratorINS9_10device_ptrItEEEENSB_INSC_IjEEEEPNS0_10empty_typeENS0_5tupleIJSE_SH_EEENSJ_IJSG_SI_EEENS0_18inequality_wrapperINS9_8equal_toItEEEEPmJSH_EEE10hipError_tPvRmT3_T4_T5_T6_T7_T9_mT8_P12ihipStream_tbDpT10_ENKUlT_T0_E_clISt17integral_constantIbLb0EES1A_EEDaS15_S16_EUlS15_E_NS1_11comp_targetILNS1_3genE4ELNS1_11target_archE910ELNS1_3gpuE8ELNS1_3repE0EEENS1_30default_config_static_selectorELNS0_4arch9wavefront6targetE0EEEvT1_.kd
    .uniform_work_group_size: 1
    .uses_dynamic_stack: false
    .vgpr_count:     0
    .vgpr_spill_count: 0
    .wavefront_size: 32
    .workgroup_processor_mode: 1
  - .args:
      - .offset:         0
        .size:           112
        .value_kind:     by_value
    .group_segment_fixed_size: 0
    .kernarg_segment_align: 8
    .kernarg_segment_size: 112
    .language:       OpenCL C
    .language_version:
      - 2
      - 0
    .max_flat_workgroup_size: 256
    .name:           _ZN7rocprim17ROCPRIM_400000_NS6detail17trampoline_kernelINS0_14default_configENS1_25partition_config_selectorILNS1_17partition_subalgoE9EtjbEEZZNS1_14partition_implILS5_9ELb0ES3_jN6thrust23THRUST_200600_302600_NS6detail15normal_iteratorINS9_10device_ptrItEEEENSB_INSC_IjEEEEPNS0_10empty_typeENS0_5tupleIJSE_SH_EEENSJ_IJSG_SI_EEENS0_18inequality_wrapperINS9_8equal_toItEEEEPmJSH_EEE10hipError_tPvRmT3_T4_T5_T6_T7_T9_mT8_P12ihipStream_tbDpT10_ENKUlT_T0_E_clISt17integral_constantIbLb0EES1A_EEDaS15_S16_EUlS15_E_NS1_11comp_targetILNS1_3genE3ELNS1_11target_archE908ELNS1_3gpuE7ELNS1_3repE0EEENS1_30default_config_static_selectorELNS0_4arch9wavefront6targetE0EEEvT1_
    .private_segment_fixed_size: 0
    .sgpr_count:     0
    .sgpr_spill_count: 0
    .symbol:         _ZN7rocprim17ROCPRIM_400000_NS6detail17trampoline_kernelINS0_14default_configENS1_25partition_config_selectorILNS1_17partition_subalgoE9EtjbEEZZNS1_14partition_implILS5_9ELb0ES3_jN6thrust23THRUST_200600_302600_NS6detail15normal_iteratorINS9_10device_ptrItEEEENSB_INSC_IjEEEEPNS0_10empty_typeENS0_5tupleIJSE_SH_EEENSJ_IJSG_SI_EEENS0_18inequality_wrapperINS9_8equal_toItEEEEPmJSH_EEE10hipError_tPvRmT3_T4_T5_T6_T7_T9_mT8_P12ihipStream_tbDpT10_ENKUlT_T0_E_clISt17integral_constantIbLb0EES1A_EEDaS15_S16_EUlS15_E_NS1_11comp_targetILNS1_3genE3ELNS1_11target_archE908ELNS1_3gpuE7ELNS1_3repE0EEENS1_30default_config_static_selectorELNS0_4arch9wavefront6targetE0EEEvT1_.kd
    .uniform_work_group_size: 1
    .uses_dynamic_stack: false
    .vgpr_count:     0
    .vgpr_spill_count: 0
    .wavefront_size: 32
    .workgroup_processor_mode: 1
  - .args:
      - .offset:         0
        .size:           112
        .value_kind:     by_value
    .group_segment_fixed_size: 0
    .kernarg_segment_align: 8
    .kernarg_segment_size: 112
    .language:       OpenCL C
    .language_version:
      - 2
      - 0
    .max_flat_workgroup_size: 256
    .name:           _ZN7rocprim17ROCPRIM_400000_NS6detail17trampoline_kernelINS0_14default_configENS1_25partition_config_selectorILNS1_17partition_subalgoE9EtjbEEZZNS1_14partition_implILS5_9ELb0ES3_jN6thrust23THRUST_200600_302600_NS6detail15normal_iteratorINS9_10device_ptrItEEEENSB_INSC_IjEEEEPNS0_10empty_typeENS0_5tupleIJSE_SH_EEENSJ_IJSG_SI_EEENS0_18inequality_wrapperINS9_8equal_toItEEEEPmJSH_EEE10hipError_tPvRmT3_T4_T5_T6_T7_T9_mT8_P12ihipStream_tbDpT10_ENKUlT_T0_E_clISt17integral_constantIbLb0EES1A_EEDaS15_S16_EUlS15_E_NS1_11comp_targetILNS1_3genE2ELNS1_11target_archE906ELNS1_3gpuE6ELNS1_3repE0EEENS1_30default_config_static_selectorELNS0_4arch9wavefront6targetE0EEEvT1_
    .private_segment_fixed_size: 0
    .sgpr_count:     0
    .sgpr_spill_count: 0
    .symbol:         _ZN7rocprim17ROCPRIM_400000_NS6detail17trampoline_kernelINS0_14default_configENS1_25partition_config_selectorILNS1_17partition_subalgoE9EtjbEEZZNS1_14partition_implILS5_9ELb0ES3_jN6thrust23THRUST_200600_302600_NS6detail15normal_iteratorINS9_10device_ptrItEEEENSB_INSC_IjEEEEPNS0_10empty_typeENS0_5tupleIJSE_SH_EEENSJ_IJSG_SI_EEENS0_18inequality_wrapperINS9_8equal_toItEEEEPmJSH_EEE10hipError_tPvRmT3_T4_T5_T6_T7_T9_mT8_P12ihipStream_tbDpT10_ENKUlT_T0_E_clISt17integral_constantIbLb0EES1A_EEDaS15_S16_EUlS15_E_NS1_11comp_targetILNS1_3genE2ELNS1_11target_archE906ELNS1_3gpuE6ELNS1_3repE0EEENS1_30default_config_static_selectorELNS0_4arch9wavefront6targetE0EEEvT1_.kd
    .uniform_work_group_size: 1
    .uses_dynamic_stack: false
    .vgpr_count:     0
    .vgpr_spill_count: 0
    .wavefront_size: 32
    .workgroup_processor_mode: 1
  - .args:
      - .offset:         0
        .size:           112
        .value_kind:     by_value
    .group_segment_fixed_size: 0
    .kernarg_segment_align: 8
    .kernarg_segment_size: 112
    .language:       OpenCL C
    .language_version:
      - 2
      - 0
    .max_flat_workgroup_size: 512
    .name:           _ZN7rocprim17ROCPRIM_400000_NS6detail17trampoline_kernelINS0_14default_configENS1_25partition_config_selectorILNS1_17partition_subalgoE9EtjbEEZZNS1_14partition_implILS5_9ELb0ES3_jN6thrust23THRUST_200600_302600_NS6detail15normal_iteratorINS9_10device_ptrItEEEENSB_INSC_IjEEEEPNS0_10empty_typeENS0_5tupleIJSE_SH_EEENSJ_IJSG_SI_EEENS0_18inequality_wrapperINS9_8equal_toItEEEEPmJSH_EEE10hipError_tPvRmT3_T4_T5_T6_T7_T9_mT8_P12ihipStream_tbDpT10_ENKUlT_T0_E_clISt17integral_constantIbLb0EES1A_EEDaS15_S16_EUlS15_E_NS1_11comp_targetILNS1_3genE10ELNS1_11target_archE1200ELNS1_3gpuE4ELNS1_3repE0EEENS1_30default_config_static_selectorELNS0_4arch9wavefront6targetE0EEEvT1_
    .private_segment_fixed_size: 0
    .sgpr_count:     0
    .sgpr_spill_count: 0
    .symbol:         _ZN7rocprim17ROCPRIM_400000_NS6detail17trampoline_kernelINS0_14default_configENS1_25partition_config_selectorILNS1_17partition_subalgoE9EtjbEEZZNS1_14partition_implILS5_9ELb0ES3_jN6thrust23THRUST_200600_302600_NS6detail15normal_iteratorINS9_10device_ptrItEEEENSB_INSC_IjEEEEPNS0_10empty_typeENS0_5tupleIJSE_SH_EEENSJ_IJSG_SI_EEENS0_18inequality_wrapperINS9_8equal_toItEEEEPmJSH_EEE10hipError_tPvRmT3_T4_T5_T6_T7_T9_mT8_P12ihipStream_tbDpT10_ENKUlT_T0_E_clISt17integral_constantIbLb0EES1A_EEDaS15_S16_EUlS15_E_NS1_11comp_targetILNS1_3genE10ELNS1_11target_archE1200ELNS1_3gpuE4ELNS1_3repE0EEENS1_30default_config_static_selectorELNS0_4arch9wavefront6targetE0EEEvT1_.kd
    .uniform_work_group_size: 1
    .uses_dynamic_stack: false
    .vgpr_count:     0
    .vgpr_spill_count: 0
    .wavefront_size: 32
    .workgroup_processor_mode: 1
  - .args:
      - .offset:         0
        .size:           112
        .value_kind:     by_value
    .group_segment_fixed_size: 5640
    .kernarg_segment_align: 8
    .kernarg_segment_size: 112
    .language:       OpenCL C
    .language_version:
      - 2
      - 0
    .max_flat_workgroup_size: 128
    .name:           _ZN7rocprim17ROCPRIM_400000_NS6detail17trampoline_kernelINS0_14default_configENS1_25partition_config_selectorILNS1_17partition_subalgoE9EtjbEEZZNS1_14partition_implILS5_9ELb0ES3_jN6thrust23THRUST_200600_302600_NS6detail15normal_iteratorINS9_10device_ptrItEEEENSB_INSC_IjEEEEPNS0_10empty_typeENS0_5tupleIJSE_SH_EEENSJ_IJSG_SI_EEENS0_18inequality_wrapperINS9_8equal_toItEEEEPmJSH_EEE10hipError_tPvRmT3_T4_T5_T6_T7_T9_mT8_P12ihipStream_tbDpT10_ENKUlT_T0_E_clISt17integral_constantIbLb0EES1A_EEDaS15_S16_EUlS15_E_NS1_11comp_targetILNS1_3genE9ELNS1_11target_archE1100ELNS1_3gpuE3ELNS1_3repE0EEENS1_30default_config_static_selectorELNS0_4arch9wavefront6targetE0EEEvT1_
    .private_segment_fixed_size: 0
    .sgpr_count:     26
    .sgpr_spill_count: 0
    .symbol:         _ZN7rocprim17ROCPRIM_400000_NS6detail17trampoline_kernelINS0_14default_configENS1_25partition_config_selectorILNS1_17partition_subalgoE9EtjbEEZZNS1_14partition_implILS5_9ELb0ES3_jN6thrust23THRUST_200600_302600_NS6detail15normal_iteratorINS9_10device_ptrItEEEENSB_INSC_IjEEEEPNS0_10empty_typeENS0_5tupleIJSE_SH_EEENSJ_IJSG_SI_EEENS0_18inequality_wrapperINS9_8equal_toItEEEEPmJSH_EEE10hipError_tPvRmT3_T4_T5_T6_T7_T9_mT8_P12ihipStream_tbDpT10_ENKUlT_T0_E_clISt17integral_constantIbLb0EES1A_EEDaS15_S16_EUlS15_E_NS1_11comp_targetILNS1_3genE9ELNS1_11target_archE1100ELNS1_3gpuE3ELNS1_3repE0EEENS1_30default_config_static_selectorELNS0_4arch9wavefront6targetE0EEEvT1_.kd
    .uniform_work_group_size: 1
    .uses_dynamic_stack: false
    .vgpr_count:     85
    .vgpr_spill_count: 0
    .wavefront_size: 32
    .workgroup_processor_mode: 1
  - .args:
      - .offset:         0
        .size:           112
        .value_kind:     by_value
    .group_segment_fixed_size: 0
    .kernarg_segment_align: 8
    .kernarg_segment_size: 112
    .language:       OpenCL C
    .language_version:
      - 2
      - 0
    .max_flat_workgroup_size: 512
    .name:           _ZN7rocprim17ROCPRIM_400000_NS6detail17trampoline_kernelINS0_14default_configENS1_25partition_config_selectorILNS1_17partition_subalgoE9EtjbEEZZNS1_14partition_implILS5_9ELb0ES3_jN6thrust23THRUST_200600_302600_NS6detail15normal_iteratorINS9_10device_ptrItEEEENSB_INSC_IjEEEEPNS0_10empty_typeENS0_5tupleIJSE_SH_EEENSJ_IJSG_SI_EEENS0_18inequality_wrapperINS9_8equal_toItEEEEPmJSH_EEE10hipError_tPvRmT3_T4_T5_T6_T7_T9_mT8_P12ihipStream_tbDpT10_ENKUlT_T0_E_clISt17integral_constantIbLb0EES1A_EEDaS15_S16_EUlS15_E_NS1_11comp_targetILNS1_3genE8ELNS1_11target_archE1030ELNS1_3gpuE2ELNS1_3repE0EEENS1_30default_config_static_selectorELNS0_4arch9wavefront6targetE0EEEvT1_
    .private_segment_fixed_size: 0
    .sgpr_count:     0
    .sgpr_spill_count: 0
    .symbol:         _ZN7rocprim17ROCPRIM_400000_NS6detail17trampoline_kernelINS0_14default_configENS1_25partition_config_selectorILNS1_17partition_subalgoE9EtjbEEZZNS1_14partition_implILS5_9ELb0ES3_jN6thrust23THRUST_200600_302600_NS6detail15normal_iteratorINS9_10device_ptrItEEEENSB_INSC_IjEEEEPNS0_10empty_typeENS0_5tupleIJSE_SH_EEENSJ_IJSG_SI_EEENS0_18inequality_wrapperINS9_8equal_toItEEEEPmJSH_EEE10hipError_tPvRmT3_T4_T5_T6_T7_T9_mT8_P12ihipStream_tbDpT10_ENKUlT_T0_E_clISt17integral_constantIbLb0EES1A_EEDaS15_S16_EUlS15_E_NS1_11comp_targetILNS1_3genE8ELNS1_11target_archE1030ELNS1_3gpuE2ELNS1_3repE0EEENS1_30default_config_static_selectorELNS0_4arch9wavefront6targetE0EEEvT1_.kd
    .uniform_work_group_size: 1
    .uses_dynamic_stack: false
    .vgpr_count:     0
    .vgpr_spill_count: 0
    .wavefront_size: 32
    .workgroup_processor_mode: 1
  - .args:
      - .offset:         0
        .size:           128
        .value_kind:     by_value
    .group_segment_fixed_size: 0
    .kernarg_segment_align: 8
    .kernarg_segment_size: 128
    .language:       OpenCL C
    .language_version:
      - 2
      - 0
    .max_flat_workgroup_size: 256
    .name:           _ZN7rocprim17ROCPRIM_400000_NS6detail17trampoline_kernelINS0_14default_configENS1_25partition_config_selectorILNS1_17partition_subalgoE9EtjbEEZZNS1_14partition_implILS5_9ELb0ES3_jN6thrust23THRUST_200600_302600_NS6detail15normal_iteratorINS9_10device_ptrItEEEENSB_INSC_IjEEEEPNS0_10empty_typeENS0_5tupleIJSE_SH_EEENSJ_IJSG_SI_EEENS0_18inequality_wrapperINS9_8equal_toItEEEEPmJSH_EEE10hipError_tPvRmT3_T4_T5_T6_T7_T9_mT8_P12ihipStream_tbDpT10_ENKUlT_T0_E_clISt17integral_constantIbLb1EES1A_EEDaS15_S16_EUlS15_E_NS1_11comp_targetILNS1_3genE0ELNS1_11target_archE4294967295ELNS1_3gpuE0ELNS1_3repE0EEENS1_30default_config_static_selectorELNS0_4arch9wavefront6targetE0EEEvT1_
    .private_segment_fixed_size: 0
    .sgpr_count:     0
    .sgpr_spill_count: 0
    .symbol:         _ZN7rocprim17ROCPRIM_400000_NS6detail17trampoline_kernelINS0_14default_configENS1_25partition_config_selectorILNS1_17partition_subalgoE9EtjbEEZZNS1_14partition_implILS5_9ELb0ES3_jN6thrust23THRUST_200600_302600_NS6detail15normal_iteratorINS9_10device_ptrItEEEENSB_INSC_IjEEEEPNS0_10empty_typeENS0_5tupleIJSE_SH_EEENSJ_IJSG_SI_EEENS0_18inequality_wrapperINS9_8equal_toItEEEEPmJSH_EEE10hipError_tPvRmT3_T4_T5_T6_T7_T9_mT8_P12ihipStream_tbDpT10_ENKUlT_T0_E_clISt17integral_constantIbLb1EES1A_EEDaS15_S16_EUlS15_E_NS1_11comp_targetILNS1_3genE0ELNS1_11target_archE4294967295ELNS1_3gpuE0ELNS1_3repE0EEENS1_30default_config_static_selectorELNS0_4arch9wavefront6targetE0EEEvT1_.kd
    .uniform_work_group_size: 1
    .uses_dynamic_stack: false
    .vgpr_count:     0
    .vgpr_spill_count: 0
    .wavefront_size: 32
    .workgroup_processor_mode: 1
  - .args:
      - .offset:         0
        .size:           128
        .value_kind:     by_value
    .group_segment_fixed_size: 0
    .kernarg_segment_align: 8
    .kernarg_segment_size: 128
    .language:       OpenCL C
    .language_version:
      - 2
      - 0
    .max_flat_workgroup_size: 512
    .name:           _ZN7rocprim17ROCPRIM_400000_NS6detail17trampoline_kernelINS0_14default_configENS1_25partition_config_selectorILNS1_17partition_subalgoE9EtjbEEZZNS1_14partition_implILS5_9ELb0ES3_jN6thrust23THRUST_200600_302600_NS6detail15normal_iteratorINS9_10device_ptrItEEEENSB_INSC_IjEEEEPNS0_10empty_typeENS0_5tupleIJSE_SH_EEENSJ_IJSG_SI_EEENS0_18inequality_wrapperINS9_8equal_toItEEEEPmJSH_EEE10hipError_tPvRmT3_T4_T5_T6_T7_T9_mT8_P12ihipStream_tbDpT10_ENKUlT_T0_E_clISt17integral_constantIbLb1EES1A_EEDaS15_S16_EUlS15_E_NS1_11comp_targetILNS1_3genE5ELNS1_11target_archE942ELNS1_3gpuE9ELNS1_3repE0EEENS1_30default_config_static_selectorELNS0_4arch9wavefront6targetE0EEEvT1_
    .private_segment_fixed_size: 0
    .sgpr_count:     0
    .sgpr_spill_count: 0
    .symbol:         _ZN7rocprim17ROCPRIM_400000_NS6detail17trampoline_kernelINS0_14default_configENS1_25partition_config_selectorILNS1_17partition_subalgoE9EtjbEEZZNS1_14partition_implILS5_9ELb0ES3_jN6thrust23THRUST_200600_302600_NS6detail15normal_iteratorINS9_10device_ptrItEEEENSB_INSC_IjEEEEPNS0_10empty_typeENS0_5tupleIJSE_SH_EEENSJ_IJSG_SI_EEENS0_18inequality_wrapperINS9_8equal_toItEEEEPmJSH_EEE10hipError_tPvRmT3_T4_T5_T6_T7_T9_mT8_P12ihipStream_tbDpT10_ENKUlT_T0_E_clISt17integral_constantIbLb1EES1A_EEDaS15_S16_EUlS15_E_NS1_11comp_targetILNS1_3genE5ELNS1_11target_archE942ELNS1_3gpuE9ELNS1_3repE0EEENS1_30default_config_static_selectorELNS0_4arch9wavefront6targetE0EEEvT1_.kd
    .uniform_work_group_size: 1
    .uses_dynamic_stack: false
    .vgpr_count:     0
    .vgpr_spill_count: 0
    .wavefront_size: 32
    .workgroup_processor_mode: 1
  - .args:
      - .offset:         0
        .size:           128
        .value_kind:     by_value
    .group_segment_fixed_size: 0
    .kernarg_segment_align: 8
    .kernarg_segment_size: 128
    .language:       OpenCL C
    .language_version:
      - 2
      - 0
    .max_flat_workgroup_size: 192
    .name:           _ZN7rocprim17ROCPRIM_400000_NS6detail17trampoline_kernelINS0_14default_configENS1_25partition_config_selectorILNS1_17partition_subalgoE9EtjbEEZZNS1_14partition_implILS5_9ELb0ES3_jN6thrust23THRUST_200600_302600_NS6detail15normal_iteratorINS9_10device_ptrItEEEENSB_INSC_IjEEEEPNS0_10empty_typeENS0_5tupleIJSE_SH_EEENSJ_IJSG_SI_EEENS0_18inequality_wrapperINS9_8equal_toItEEEEPmJSH_EEE10hipError_tPvRmT3_T4_T5_T6_T7_T9_mT8_P12ihipStream_tbDpT10_ENKUlT_T0_E_clISt17integral_constantIbLb1EES1A_EEDaS15_S16_EUlS15_E_NS1_11comp_targetILNS1_3genE4ELNS1_11target_archE910ELNS1_3gpuE8ELNS1_3repE0EEENS1_30default_config_static_selectorELNS0_4arch9wavefront6targetE0EEEvT1_
    .private_segment_fixed_size: 0
    .sgpr_count:     0
    .sgpr_spill_count: 0
    .symbol:         _ZN7rocprim17ROCPRIM_400000_NS6detail17trampoline_kernelINS0_14default_configENS1_25partition_config_selectorILNS1_17partition_subalgoE9EtjbEEZZNS1_14partition_implILS5_9ELb0ES3_jN6thrust23THRUST_200600_302600_NS6detail15normal_iteratorINS9_10device_ptrItEEEENSB_INSC_IjEEEEPNS0_10empty_typeENS0_5tupleIJSE_SH_EEENSJ_IJSG_SI_EEENS0_18inequality_wrapperINS9_8equal_toItEEEEPmJSH_EEE10hipError_tPvRmT3_T4_T5_T6_T7_T9_mT8_P12ihipStream_tbDpT10_ENKUlT_T0_E_clISt17integral_constantIbLb1EES1A_EEDaS15_S16_EUlS15_E_NS1_11comp_targetILNS1_3genE4ELNS1_11target_archE910ELNS1_3gpuE8ELNS1_3repE0EEENS1_30default_config_static_selectorELNS0_4arch9wavefront6targetE0EEEvT1_.kd
    .uniform_work_group_size: 1
    .uses_dynamic_stack: false
    .vgpr_count:     0
    .vgpr_spill_count: 0
    .wavefront_size: 32
    .workgroup_processor_mode: 1
  - .args:
      - .offset:         0
        .size:           128
        .value_kind:     by_value
    .group_segment_fixed_size: 0
    .kernarg_segment_align: 8
    .kernarg_segment_size: 128
    .language:       OpenCL C
    .language_version:
      - 2
      - 0
    .max_flat_workgroup_size: 256
    .name:           _ZN7rocprim17ROCPRIM_400000_NS6detail17trampoline_kernelINS0_14default_configENS1_25partition_config_selectorILNS1_17partition_subalgoE9EtjbEEZZNS1_14partition_implILS5_9ELb0ES3_jN6thrust23THRUST_200600_302600_NS6detail15normal_iteratorINS9_10device_ptrItEEEENSB_INSC_IjEEEEPNS0_10empty_typeENS0_5tupleIJSE_SH_EEENSJ_IJSG_SI_EEENS0_18inequality_wrapperINS9_8equal_toItEEEEPmJSH_EEE10hipError_tPvRmT3_T4_T5_T6_T7_T9_mT8_P12ihipStream_tbDpT10_ENKUlT_T0_E_clISt17integral_constantIbLb1EES1A_EEDaS15_S16_EUlS15_E_NS1_11comp_targetILNS1_3genE3ELNS1_11target_archE908ELNS1_3gpuE7ELNS1_3repE0EEENS1_30default_config_static_selectorELNS0_4arch9wavefront6targetE0EEEvT1_
    .private_segment_fixed_size: 0
    .sgpr_count:     0
    .sgpr_spill_count: 0
    .symbol:         _ZN7rocprim17ROCPRIM_400000_NS6detail17trampoline_kernelINS0_14default_configENS1_25partition_config_selectorILNS1_17partition_subalgoE9EtjbEEZZNS1_14partition_implILS5_9ELb0ES3_jN6thrust23THRUST_200600_302600_NS6detail15normal_iteratorINS9_10device_ptrItEEEENSB_INSC_IjEEEEPNS0_10empty_typeENS0_5tupleIJSE_SH_EEENSJ_IJSG_SI_EEENS0_18inequality_wrapperINS9_8equal_toItEEEEPmJSH_EEE10hipError_tPvRmT3_T4_T5_T6_T7_T9_mT8_P12ihipStream_tbDpT10_ENKUlT_T0_E_clISt17integral_constantIbLb1EES1A_EEDaS15_S16_EUlS15_E_NS1_11comp_targetILNS1_3genE3ELNS1_11target_archE908ELNS1_3gpuE7ELNS1_3repE0EEENS1_30default_config_static_selectorELNS0_4arch9wavefront6targetE0EEEvT1_.kd
    .uniform_work_group_size: 1
    .uses_dynamic_stack: false
    .vgpr_count:     0
    .vgpr_spill_count: 0
    .wavefront_size: 32
    .workgroup_processor_mode: 1
  - .args:
      - .offset:         0
        .size:           128
        .value_kind:     by_value
    .group_segment_fixed_size: 0
    .kernarg_segment_align: 8
    .kernarg_segment_size: 128
    .language:       OpenCL C
    .language_version:
      - 2
      - 0
    .max_flat_workgroup_size: 256
    .name:           _ZN7rocprim17ROCPRIM_400000_NS6detail17trampoline_kernelINS0_14default_configENS1_25partition_config_selectorILNS1_17partition_subalgoE9EtjbEEZZNS1_14partition_implILS5_9ELb0ES3_jN6thrust23THRUST_200600_302600_NS6detail15normal_iteratorINS9_10device_ptrItEEEENSB_INSC_IjEEEEPNS0_10empty_typeENS0_5tupleIJSE_SH_EEENSJ_IJSG_SI_EEENS0_18inequality_wrapperINS9_8equal_toItEEEEPmJSH_EEE10hipError_tPvRmT3_T4_T5_T6_T7_T9_mT8_P12ihipStream_tbDpT10_ENKUlT_T0_E_clISt17integral_constantIbLb1EES1A_EEDaS15_S16_EUlS15_E_NS1_11comp_targetILNS1_3genE2ELNS1_11target_archE906ELNS1_3gpuE6ELNS1_3repE0EEENS1_30default_config_static_selectorELNS0_4arch9wavefront6targetE0EEEvT1_
    .private_segment_fixed_size: 0
    .sgpr_count:     0
    .sgpr_spill_count: 0
    .symbol:         _ZN7rocprim17ROCPRIM_400000_NS6detail17trampoline_kernelINS0_14default_configENS1_25partition_config_selectorILNS1_17partition_subalgoE9EtjbEEZZNS1_14partition_implILS5_9ELb0ES3_jN6thrust23THRUST_200600_302600_NS6detail15normal_iteratorINS9_10device_ptrItEEEENSB_INSC_IjEEEEPNS0_10empty_typeENS0_5tupleIJSE_SH_EEENSJ_IJSG_SI_EEENS0_18inequality_wrapperINS9_8equal_toItEEEEPmJSH_EEE10hipError_tPvRmT3_T4_T5_T6_T7_T9_mT8_P12ihipStream_tbDpT10_ENKUlT_T0_E_clISt17integral_constantIbLb1EES1A_EEDaS15_S16_EUlS15_E_NS1_11comp_targetILNS1_3genE2ELNS1_11target_archE906ELNS1_3gpuE6ELNS1_3repE0EEENS1_30default_config_static_selectorELNS0_4arch9wavefront6targetE0EEEvT1_.kd
    .uniform_work_group_size: 1
    .uses_dynamic_stack: false
    .vgpr_count:     0
    .vgpr_spill_count: 0
    .wavefront_size: 32
    .workgroup_processor_mode: 1
  - .args:
      - .offset:         0
        .size:           128
        .value_kind:     by_value
    .group_segment_fixed_size: 0
    .kernarg_segment_align: 8
    .kernarg_segment_size: 128
    .language:       OpenCL C
    .language_version:
      - 2
      - 0
    .max_flat_workgroup_size: 512
    .name:           _ZN7rocprim17ROCPRIM_400000_NS6detail17trampoline_kernelINS0_14default_configENS1_25partition_config_selectorILNS1_17partition_subalgoE9EtjbEEZZNS1_14partition_implILS5_9ELb0ES3_jN6thrust23THRUST_200600_302600_NS6detail15normal_iteratorINS9_10device_ptrItEEEENSB_INSC_IjEEEEPNS0_10empty_typeENS0_5tupleIJSE_SH_EEENSJ_IJSG_SI_EEENS0_18inequality_wrapperINS9_8equal_toItEEEEPmJSH_EEE10hipError_tPvRmT3_T4_T5_T6_T7_T9_mT8_P12ihipStream_tbDpT10_ENKUlT_T0_E_clISt17integral_constantIbLb1EES1A_EEDaS15_S16_EUlS15_E_NS1_11comp_targetILNS1_3genE10ELNS1_11target_archE1200ELNS1_3gpuE4ELNS1_3repE0EEENS1_30default_config_static_selectorELNS0_4arch9wavefront6targetE0EEEvT1_
    .private_segment_fixed_size: 0
    .sgpr_count:     0
    .sgpr_spill_count: 0
    .symbol:         _ZN7rocprim17ROCPRIM_400000_NS6detail17trampoline_kernelINS0_14default_configENS1_25partition_config_selectorILNS1_17partition_subalgoE9EtjbEEZZNS1_14partition_implILS5_9ELb0ES3_jN6thrust23THRUST_200600_302600_NS6detail15normal_iteratorINS9_10device_ptrItEEEENSB_INSC_IjEEEEPNS0_10empty_typeENS0_5tupleIJSE_SH_EEENSJ_IJSG_SI_EEENS0_18inequality_wrapperINS9_8equal_toItEEEEPmJSH_EEE10hipError_tPvRmT3_T4_T5_T6_T7_T9_mT8_P12ihipStream_tbDpT10_ENKUlT_T0_E_clISt17integral_constantIbLb1EES1A_EEDaS15_S16_EUlS15_E_NS1_11comp_targetILNS1_3genE10ELNS1_11target_archE1200ELNS1_3gpuE4ELNS1_3repE0EEENS1_30default_config_static_selectorELNS0_4arch9wavefront6targetE0EEEvT1_.kd
    .uniform_work_group_size: 1
    .uses_dynamic_stack: false
    .vgpr_count:     0
    .vgpr_spill_count: 0
    .wavefront_size: 32
    .workgroup_processor_mode: 1
  - .args:
      - .offset:         0
        .size:           128
        .value_kind:     by_value
    .group_segment_fixed_size: 5640
    .kernarg_segment_align: 8
    .kernarg_segment_size: 128
    .language:       OpenCL C
    .language_version:
      - 2
      - 0
    .max_flat_workgroup_size: 128
    .name:           _ZN7rocprim17ROCPRIM_400000_NS6detail17trampoline_kernelINS0_14default_configENS1_25partition_config_selectorILNS1_17partition_subalgoE9EtjbEEZZNS1_14partition_implILS5_9ELb0ES3_jN6thrust23THRUST_200600_302600_NS6detail15normal_iteratorINS9_10device_ptrItEEEENSB_INSC_IjEEEEPNS0_10empty_typeENS0_5tupleIJSE_SH_EEENSJ_IJSG_SI_EEENS0_18inequality_wrapperINS9_8equal_toItEEEEPmJSH_EEE10hipError_tPvRmT3_T4_T5_T6_T7_T9_mT8_P12ihipStream_tbDpT10_ENKUlT_T0_E_clISt17integral_constantIbLb1EES1A_EEDaS15_S16_EUlS15_E_NS1_11comp_targetILNS1_3genE9ELNS1_11target_archE1100ELNS1_3gpuE3ELNS1_3repE0EEENS1_30default_config_static_selectorELNS0_4arch9wavefront6targetE0EEEvT1_
    .private_segment_fixed_size: 0
    .sgpr_count:     32
    .sgpr_spill_count: 0
    .symbol:         _ZN7rocprim17ROCPRIM_400000_NS6detail17trampoline_kernelINS0_14default_configENS1_25partition_config_selectorILNS1_17partition_subalgoE9EtjbEEZZNS1_14partition_implILS5_9ELb0ES3_jN6thrust23THRUST_200600_302600_NS6detail15normal_iteratorINS9_10device_ptrItEEEENSB_INSC_IjEEEEPNS0_10empty_typeENS0_5tupleIJSE_SH_EEENSJ_IJSG_SI_EEENS0_18inequality_wrapperINS9_8equal_toItEEEEPmJSH_EEE10hipError_tPvRmT3_T4_T5_T6_T7_T9_mT8_P12ihipStream_tbDpT10_ENKUlT_T0_E_clISt17integral_constantIbLb1EES1A_EEDaS15_S16_EUlS15_E_NS1_11comp_targetILNS1_3genE9ELNS1_11target_archE1100ELNS1_3gpuE3ELNS1_3repE0EEENS1_30default_config_static_selectorELNS0_4arch9wavefront6targetE0EEEvT1_.kd
    .uniform_work_group_size: 1
    .uses_dynamic_stack: false
    .vgpr_count:     85
    .vgpr_spill_count: 0
    .wavefront_size: 32
    .workgroup_processor_mode: 1
  - .args:
      - .offset:         0
        .size:           128
        .value_kind:     by_value
    .group_segment_fixed_size: 0
    .kernarg_segment_align: 8
    .kernarg_segment_size: 128
    .language:       OpenCL C
    .language_version:
      - 2
      - 0
    .max_flat_workgroup_size: 512
    .name:           _ZN7rocprim17ROCPRIM_400000_NS6detail17trampoline_kernelINS0_14default_configENS1_25partition_config_selectorILNS1_17partition_subalgoE9EtjbEEZZNS1_14partition_implILS5_9ELb0ES3_jN6thrust23THRUST_200600_302600_NS6detail15normal_iteratorINS9_10device_ptrItEEEENSB_INSC_IjEEEEPNS0_10empty_typeENS0_5tupleIJSE_SH_EEENSJ_IJSG_SI_EEENS0_18inequality_wrapperINS9_8equal_toItEEEEPmJSH_EEE10hipError_tPvRmT3_T4_T5_T6_T7_T9_mT8_P12ihipStream_tbDpT10_ENKUlT_T0_E_clISt17integral_constantIbLb1EES1A_EEDaS15_S16_EUlS15_E_NS1_11comp_targetILNS1_3genE8ELNS1_11target_archE1030ELNS1_3gpuE2ELNS1_3repE0EEENS1_30default_config_static_selectorELNS0_4arch9wavefront6targetE0EEEvT1_
    .private_segment_fixed_size: 0
    .sgpr_count:     0
    .sgpr_spill_count: 0
    .symbol:         _ZN7rocprim17ROCPRIM_400000_NS6detail17trampoline_kernelINS0_14default_configENS1_25partition_config_selectorILNS1_17partition_subalgoE9EtjbEEZZNS1_14partition_implILS5_9ELb0ES3_jN6thrust23THRUST_200600_302600_NS6detail15normal_iteratorINS9_10device_ptrItEEEENSB_INSC_IjEEEEPNS0_10empty_typeENS0_5tupleIJSE_SH_EEENSJ_IJSG_SI_EEENS0_18inequality_wrapperINS9_8equal_toItEEEEPmJSH_EEE10hipError_tPvRmT3_T4_T5_T6_T7_T9_mT8_P12ihipStream_tbDpT10_ENKUlT_T0_E_clISt17integral_constantIbLb1EES1A_EEDaS15_S16_EUlS15_E_NS1_11comp_targetILNS1_3genE8ELNS1_11target_archE1030ELNS1_3gpuE2ELNS1_3repE0EEENS1_30default_config_static_selectorELNS0_4arch9wavefront6targetE0EEEvT1_.kd
    .uniform_work_group_size: 1
    .uses_dynamic_stack: false
    .vgpr_count:     0
    .vgpr_spill_count: 0
    .wavefront_size: 32
    .workgroup_processor_mode: 1
  - .args:
      - .offset:         0
        .size:           112
        .value_kind:     by_value
    .group_segment_fixed_size: 0
    .kernarg_segment_align: 8
    .kernarg_segment_size: 112
    .language:       OpenCL C
    .language_version:
      - 2
      - 0
    .max_flat_workgroup_size: 256
    .name:           _ZN7rocprim17ROCPRIM_400000_NS6detail17trampoline_kernelINS0_14default_configENS1_25partition_config_selectorILNS1_17partition_subalgoE9EtjbEEZZNS1_14partition_implILS5_9ELb0ES3_jN6thrust23THRUST_200600_302600_NS6detail15normal_iteratorINS9_10device_ptrItEEEENSB_INSC_IjEEEEPNS0_10empty_typeENS0_5tupleIJSE_SH_EEENSJ_IJSG_SI_EEENS0_18inequality_wrapperINS9_8equal_toItEEEEPmJSH_EEE10hipError_tPvRmT3_T4_T5_T6_T7_T9_mT8_P12ihipStream_tbDpT10_ENKUlT_T0_E_clISt17integral_constantIbLb1EES19_IbLb0EEEEDaS15_S16_EUlS15_E_NS1_11comp_targetILNS1_3genE0ELNS1_11target_archE4294967295ELNS1_3gpuE0ELNS1_3repE0EEENS1_30default_config_static_selectorELNS0_4arch9wavefront6targetE0EEEvT1_
    .private_segment_fixed_size: 0
    .sgpr_count:     0
    .sgpr_spill_count: 0
    .symbol:         _ZN7rocprim17ROCPRIM_400000_NS6detail17trampoline_kernelINS0_14default_configENS1_25partition_config_selectorILNS1_17partition_subalgoE9EtjbEEZZNS1_14partition_implILS5_9ELb0ES3_jN6thrust23THRUST_200600_302600_NS6detail15normal_iteratorINS9_10device_ptrItEEEENSB_INSC_IjEEEEPNS0_10empty_typeENS0_5tupleIJSE_SH_EEENSJ_IJSG_SI_EEENS0_18inequality_wrapperINS9_8equal_toItEEEEPmJSH_EEE10hipError_tPvRmT3_T4_T5_T6_T7_T9_mT8_P12ihipStream_tbDpT10_ENKUlT_T0_E_clISt17integral_constantIbLb1EES19_IbLb0EEEEDaS15_S16_EUlS15_E_NS1_11comp_targetILNS1_3genE0ELNS1_11target_archE4294967295ELNS1_3gpuE0ELNS1_3repE0EEENS1_30default_config_static_selectorELNS0_4arch9wavefront6targetE0EEEvT1_.kd
    .uniform_work_group_size: 1
    .uses_dynamic_stack: false
    .vgpr_count:     0
    .vgpr_spill_count: 0
    .wavefront_size: 32
    .workgroup_processor_mode: 1
  - .args:
      - .offset:         0
        .size:           112
        .value_kind:     by_value
    .group_segment_fixed_size: 0
    .kernarg_segment_align: 8
    .kernarg_segment_size: 112
    .language:       OpenCL C
    .language_version:
      - 2
      - 0
    .max_flat_workgroup_size: 512
    .name:           _ZN7rocprim17ROCPRIM_400000_NS6detail17trampoline_kernelINS0_14default_configENS1_25partition_config_selectorILNS1_17partition_subalgoE9EtjbEEZZNS1_14partition_implILS5_9ELb0ES3_jN6thrust23THRUST_200600_302600_NS6detail15normal_iteratorINS9_10device_ptrItEEEENSB_INSC_IjEEEEPNS0_10empty_typeENS0_5tupleIJSE_SH_EEENSJ_IJSG_SI_EEENS0_18inequality_wrapperINS9_8equal_toItEEEEPmJSH_EEE10hipError_tPvRmT3_T4_T5_T6_T7_T9_mT8_P12ihipStream_tbDpT10_ENKUlT_T0_E_clISt17integral_constantIbLb1EES19_IbLb0EEEEDaS15_S16_EUlS15_E_NS1_11comp_targetILNS1_3genE5ELNS1_11target_archE942ELNS1_3gpuE9ELNS1_3repE0EEENS1_30default_config_static_selectorELNS0_4arch9wavefront6targetE0EEEvT1_
    .private_segment_fixed_size: 0
    .sgpr_count:     0
    .sgpr_spill_count: 0
    .symbol:         _ZN7rocprim17ROCPRIM_400000_NS6detail17trampoline_kernelINS0_14default_configENS1_25partition_config_selectorILNS1_17partition_subalgoE9EtjbEEZZNS1_14partition_implILS5_9ELb0ES3_jN6thrust23THRUST_200600_302600_NS6detail15normal_iteratorINS9_10device_ptrItEEEENSB_INSC_IjEEEEPNS0_10empty_typeENS0_5tupleIJSE_SH_EEENSJ_IJSG_SI_EEENS0_18inequality_wrapperINS9_8equal_toItEEEEPmJSH_EEE10hipError_tPvRmT3_T4_T5_T6_T7_T9_mT8_P12ihipStream_tbDpT10_ENKUlT_T0_E_clISt17integral_constantIbLb1EES19_IbLb0EEEEDaS15_S16_EUlS15_E_NS1_11comp_targetILNS1_3genE5ELNS1_11target_archE942ELNS1_3gpuE9ELNS1_3repE0EEENS1_30default_config_static_selectorELNS0_4arch9wavefront6targetE0EEEvT1_.kd
    .uniform_work_group_size: 1
    .uses_dynamic_stack: false
    .vgpr_count:     0
    .vgpr_spill_count: 0
    .wavefront_size: 32
    .workgroup_processor_mode: 1
  - .args:
      - .offset:         0
        .size:           112
        .value_kind:     by_value
    .group_segment_fixed_size: 0
    .kernarg_segment_align: 8
    .kernarg_segment_size: 112
    .language:       OpenCL C
    .language_version:
      - 2
      - 0
    .max_flat_workgroup_size: 192
    .name:           _ZN7rocprim17ROCPRIM_400000_NS6detail17trampoline_kernelINS0_14default_configENS1_25partition_config_selectorILNS1_17partition_subalgoE9EtjbEEZZNS1_14partition_implILS5_9ELb0ES3_jN6thrust23THRUST_200600_302600_NS6detail15normal_iteratorINS9_10device_ptrItEEEENSB_INSC_IjEEEEPNS0_10empty_typeENS0_5tupleIJSE_SH_EEENSJ_IJSG_SI_EEENS0_18inequality_wrapperINS9_8equal_toItEEEEPmJSH_EEE10hipError_tPvRmT3_T4_T5_T6_T7_T9_mT8_P12ihipStream_tbDpT10_ENKUlT_T0_E_clISt17integral_constantIbLb1EES19_IbLb0EEEEDaS15_S16_EUlS15_E_NS1_11comp_targetILNS1_3genE4ELNS1_11target_archE910ELNS1_3gpuE8ELNS1_3repE0EEENS1_30default_config_static_selectorELNS0_4arch9wavefront6targetE0EEEvT1_
    .private_segment_fixed_size: 0
    .sgpr_count:     0
    .sgpr_spill_count: 0
    .symbol:         _ZN7rocprim17ROCPRIM_400000_NS6detail17trampoline_kernelINS0_14default_configENS1_25partition_config_selectorILNS1_17partition_subalgoE9EtjbEEZZNS1_14partition_implILS5_9ELb0ES3_jN6thrust23THRUST_200600_302600_NS6detail15normal_iteratorINS9_10device_ptrItEEEENSB_INSC_IjEEEEPNS0_10empty_typeENS0_5tupleIJSE_SH_EEENSJ_IJSG_SI_EEENS0_18inequality_wrapperINS9_8equal_toItEEEEPmJSH_EEE10hipError_tPvRmT3_T4_T5_T6_T7_T9_mT8_P12ihipStream_tbDpT10_ENKUlT_T0_E_clISt17integral_constantIbLb1EES19_IbLb0EEEEDaS15_S16_EUlS15_E_NS1_11comp_targetILNS1_3genE4ELNS1_11target_archE910ELNS1_3gpuE8ELNS1_3repE0EEENS1_30default_config_static_selectorELNS0_4arch9wavefront6targetE0EEEvT1_.kd
    .uniform_work_group_size: 1
    .uses_dynamic_stack: false
    .vgpr_count:     0
    .vgpr_spill_count: 0
    .wavefront_size: 32
    .workgroup_processor_mode: 1
  - .args:
      - .offset:         0
        .size:           112
        .value_kind:     by_value
    .group_segment_fixed_size: 0
    .kernarg_segment_align: 8
    .kernarg_segment_size: 112
    .language:       OpenCL C
    .language_version:
      - 2
      - 0
    .max_flat_workgroup_size: 256
    .name:           _ZN7rocprim17ROCPRIM_400000_NS6detail17trampoline_kernelINS0_14default_configENS1_25partition_config_selectorILNS1_17partition_subalgoE9EtjbEEZZNS1_14partition_implILS5_9ELb0ES3_jN6thrust23THRUST_200600_302600_NS6detail15normal_iteratorINS9_10device_ptrItEEEENSB_INSC_IjEEEEPNS0_10empty_typeENS0_5tupleIJSE_SH_EEENSJ_IJSG_SI_EEENS0_18inequality_wrapperINS9_8equal_toItEEEEPmJSH_EEE10hipError_tPvRmT3_T4_T5_T6_T7_T9_mT8_P12ihipStream_tbDpT10_ENKUlT_T0_E_clISt17integral_constantIbLb1EES19_IbLb0EEEEDaS15_S16_EUlS15_E_NS1_11comp_targetILNS1_3genE3ELNS1_11target_archE908ELNS1_3gpuE7ELNS1_3repE0EEENS1_30default_config_static_selectorELNS0_4arch9wavefront6targetE0EEEvT1_
    .private_segment_fixed_size: 0
    .sgpr_count:     0
    .sgpr_spill_count: 0
    .symbol:         _ZN7rocprim17ROCPRIM_400000_NS6detail17trampoline_kernelINS0_14default_configENS1_25partition_config_selectorILNS1_17partition_subalgoE9EtjbEEZZNS1_14partition_implILS5_9ELb0ES3_jN6thrust23THRUST_200600_302600_NS6detail15normal_iteratorINS9_10device_ptrItEEEENSB_INSC_IjEEEEPNS0_10empty_typeENS0_5tupleIJSE_SH_EEENSJ_IJSG_SI_EEENS0_18inequality_wrapperINS9_8equal_toItEEEEPmJSH_EEE10hipError_tPvRmT3_T4_T5_T6_T7_T9_mT8_P12ihipStream_tbDpT10_ENKUlT_T0_E_clISt17integral_constantIbLb1EES19_IbLb0EEEEDaS15_S16_EUlS15_E_NS1_11comp_targetILNS1_3genE3ELNS1_11target_archE908ELNS1_3gpuE7ELNS1_3repE0EEENS1_30default_config_static_selectorELNS0_4arch9wavefront6targetE0EEEvT1_.kd
    .uniform_work_group_size: 1
    .uses_dynamic_stack: false
    .vgpr_count:     0
    .vgpr_spill_count: 0
    .wavefront_size: 32
    .workgroup_processor_mode: 1
  - .args:
      - .offset:         0
        .size:           112
        .value_kind:     by_value
    .group_segment_fixed_size: 0
    .kernarg_segment_align: 8
    .kernarg_segment_size: 112
    .language:       OpenCL C
    .language_version:
      - 2
      - 0
    .max_flat_workgroup_size: 256
    .name:           _ZN7rocprim17ROCPRIM_400000_NS6detail17trampoline_kernelINS0_14default_configENS1_25partition_config_selectorILNS1_17partition_subalgoE9EtjbEEZZNS1_14partition_implILS5_9ELb0ES3_jN6thrust23THRUST_200600_302600_NS6detail15normal_iteratorINS9_10device_ptrItEEEENSB_INSC_IjEEEEPNS0_10empty_typeENS0_5tupleIJSE_SH_EEENSJ_IJSG_SI_EEENS0_18inequality_wrapperINS9_8equal_toItEEEEPmJSH_EEE10hipError_tPvRmT3_T4_T5_T6_T7_T9_mT8_P12ihipStream_tbDpT10_ENKUlT_T0_E_clISt17integral_constantIbLb1EES19_IbLb0EEEEDaS15_S16_EUlS15_E_NS1_11comp_targetILNS1_3genE2ELNS1_11target_archE906ELNS1_3gpuE6ELNS1_3repE0EEENS1_30default_config_static_selectorELNS0_4arch9wavefront6targetE0EEEvT1_
    .private_segment_fixed_size: 0
    .sgpr_count:     0
    .sgpr_spill_count: 0
    .symbol:         _ZN7rocprim17ROCPRIM_400000_NS6detail17trampoline_kernelINS0_14default_configENS1_25partition_config_selectorILNS1_17partition_subalgoE9EtjbEEZZNS1_14partition_implILS5_9ELb0ES3_jN6thrust23THRUST_200600_302600_NS6detail15normal_iteratorINS9_10device_ptrItEEEENSB_INSC_IjEEEEPNS0_10empty_typeENS0_5tupleIJSE_SH_EEENSJ_IJSG_SI_EEENS0_18inequality_wrapperINS9_8equal_toItEEEEPmJSH_EEE10hipError_tPvRmT3_T4_T5_T6_T7_T9_mT8_P12ihipStream_tbDpT10_ENKUlT_T0_E_clISt17integral_constantIbLb1EES19_IbLb0EEEEDaS15_S16_EUlS15_E_NS1_11comp_targetILNS1_3genE2ELNS1_11target_archE906ELNS1_3gpuE6ELNS1_3repE0EEENS1_30default_config_static_selectorELNS0_4arch9wavefront6targetE0EEEvT1_.kd
    .uniform_work_group_size: 1
    .uses_dynamic_stack: false
    .vgpr_count:     0
    .vgpr_spill_count: 0
    .wavefront_size: 32
    .workgroup_processor_mode: 1
  - .args:
      - .offset:         0
        .size:           112
        .value_kind:     by_value
    .group_segment_fixed_size: 0
    .kernarg_segment_align: 8
    .kernarg_segment_size: 112
    .language:       OpenCL C
    .language_version:
      - 2
      - 0
    .max_flat_workgroup_size: 512
    .name:           _ZN7rocprim17ROCPRIM_400000_NS6detail17trampoline_kernelINS0_14default_configENS1_25partition_config_selectorILNS1_17partition_subalgoE9EtjbEEZZNS1_14partition_implILS5_9ELb0ES3_jN6thrust23THRUST_200600_302600_NS6detail15normal_iteratorINS9_10device_ptrItEEEENSB_INSC_IjEEEEPNS0_10empty_typeENS0_5tupleIJSE_SH_EEENSJ_IJSG_SI_EEENS0_18inequality_wrapperINS9_8equal_toItEEEEPmJSH_EEE10hipError_tPvRmT3_T4_T5_T6_T7_T9_mT8_P12ihipStream_tbDpT10_ENKUlT_T0_E_clISt17integral_constantIbLb1EES19_IbLb0EEEEDaS15_S16_EUlS15_E_NS1_11comp_targetILNS1_3genE10ELNS1_11target_archE1200ELNS1_3gpuE4ELNS1_3repE0EEENS1_30default_config_static_selectorELNS0_4arch9wavefront6targetE0EEEvT1_
    .private_segment_fixed_size: 0
    .sgpr_count:     0
    .sgpr_spill_count: 0
    .symbol:         _ZN7rocprim17ROCPRIM_400000_NS6detail17trampoline_kernelINS0_14default_configENS1_25partition_config_selectorILNS1_17partition_subalgoE9EtjbEEZZNS1_14partition_implILS5_9ELb0ES3_jN6thrust23THRUST_200600_302600_NS6detail15normal_iteratorINS9_10device_ptrItEEEENSB_INSC_IjEEEEPNS0_10empty_typeENS0_5tupleIJSE_SH_EEENSJ_IJSG_SI_EEENS0_18inequality_wrapperINS9_8equal_toItEEEEPmJSH_EEE10hipError_tPvRmT3_T4_T5_T6_T7_T9_mT8_P12ihipStream_tbDpT10_ENKUlT_T0_E_clISt17integral_constantIbLb1EES19_IbLb0EEEEDaS15_S16_EUlS15_E_NS1_11comp_targetILNS1_3genE10ELNS1_11target_archE1200ELNS1_3gpuE4ELNS1_3repE0EEENS1_30default_config_static_selectorELNS0_4arch9wavefront6targetE0EEEvT1_.kd
    .uniform_work_group_size: 1
    .uses_dynamic_stack: false
    .vgpr_count:     0
    .vgpr_spill_count: 0
    .wavefront_size: 32
    .workgroup_processor_mode: 1
  - .args:
      - .offset:         0
        .size:           112
        .value_kind:     by_value
    .group_segment_fixed_size: 5640
    .kernarg_segment_align: 8
    .kernarg_segment_size: 112
    .language:       OpenCL C
    .language_version:
      - 2
      - 0
    .max_flat_workgroup_size: 128
    .name:           _ZN7rocprim17ROCPRIM_400000_NS6detail17trampoline_kernelINS0_14default_configENS1_25partition_config_selectorILNS1_17partition_subalgoE9EtjbEEZZNS1_14partition_implILS5_9ELb0ES3_jN6thrust23THRUST_200600_302600_NS6detail15normal_iteratorINS9_10device_ptrItEEEENSB_INSC_IjEEEEPNS0_10empty_typeENS0_5tupleIJSE_SH_EEENSJ_IJSG_SI_EEENS0_18inequality_wrapperINS9_8equal_toItEEEEPmJSH_EEE10hipError_tPvRmT3_T4_T5_T6_T7_T9_mT8_P12ihipStream_tbDpT10_ENKUlT_T0_E_clISt17integral_constantIbLb1EES19_IbLb0EEEEDaS15_S16_EUlS15_E_NS1_11comp_targetILNS1_3genE9ELNS1_11target_archE1100ELNS1_3gpuE3ELNS1_3repE0EEENS1_30default_config_static_selectorELNS0_4arch9wavefront6targetE0EEEvT1_
    .private_segment_fixed_size: 0
    .sgpr_count:     26
    .sgpr_spill_count: 0
    .symbol:         _ZN7rocprim17ROCPRIM_400000_NS6detail17trampoline_kernelINS0_14default_configENS1_25partition_config_selectorILNS1_17partition_subalgoE9EtjbEEZZNS1_14partition_implILS5_9ELb0ES3_jN6thrust23THRUST_200600_302600_NS6detail15normal_iteratorINS9_10device_ptrItEEEENSB_INSC_IjEEEEPNS0_10empty_typeENS0_5tupleIJSE_SH_EEENSJ_IJSG_SI_EEENS0_18inequality_wrapperINS9_8equal_toItEEEEPmJSH_EEE10hipError_tPvRmT3_T4_T5_T6_T7_T9_mT8_P12ihipStream_tbDpT10_ENKUlT_T0_E_clISt17integral_constantIbLb1EES19_IbLb0EEEEDaS15_S16_EUlS15_E_NS1_11comp_targetILNS1_3genE9ELNS1_11target_archE1100ELNS1_3gpuE3ELNS1_3repE0EEENS1_30default_config_static_selectorELNS0_4arch9wavefront6targetE0EEEvT1_.kd
    .uniform_work_group_size: 1
    .uses_dynamic_stack: false
    .vgpr_count:     85
    .vgpr_spill_count: 0
    .wavefront_size: 32
    .workgroup_processor_mode: 1
  - .args:
      - .offset:         0
        .size:           112
        .value_kind:     by_value
    .group_segment_fixed_size: 0
    .kernarg_segment_align: 8
    .kernarg_segment_size: 112
    .language:       OpenCL C
    .language_version:
      - 2
      - 0
    .max_flat_workgroup_size: 512
    .name:           _ZN7rocprim17ROCPRIM_400000_NS6detail17trampoline_kernelINS0_14default_configENS1_25partition_config_selectorILNS1_17partition_subalgoE9EtjbEEZZNS1_14partition_implILS5_9ELb0ES3_jN6thrust23THRUST_200600_302600_NS6detail15normal_iteratorINS9_10device_ptrItEEEENSB_INSC_IjEEEEPNS0_10empty_typeENS0_5tupleIJSE_SH_EEENSJ_IJSG_SI_EEENS0_18inequality_wrapperINS9_8equal_toItEEEEPmJSH_EEE10hipError_tPvRmT3_T4_T5_T6_T7_T9_mT8_P12ihipStream_tbDpT10_ENKUlT_T0_E_clISt17integral_constantIbLb1EES19_IbLb0EEEEDaS15_S16_EUlS15_E_NS1_11comp_targetILNS1_3genE8ELNS1_11target_archE1030ELNS1_3gpuE2ELNS1_3repE0EEENS1_30default_config_static_selectorELNS0_4arch9wavefront6targetE0EEEvT1_
    .private_segment_fixed_size: 0
    .sgpr_count:     0
    .sgpr_spill_count: 0
    .symbol:         _ZN7rocprim17ROCPRIM_400000_NS6detail17trampoline_kernelINS0_14default_configENS1_25partition_config_selectorILNS1_17partition_subalgoE9EtjbEEZZNS1_14partition_implILS5_9ELb0ES3_jN6thrust23THRUST_200600_302600_NS6detail15normal_iteratorINS9_10device_ptrItEEEENSB_INSC_IjEEEEPNS0_10empty_typeENS0_5tupleIJSE_SH_EEENSJ_IJSG_SI_EEENS0_18inequality_wrapperINS9_8equal_toItEEEEPmJSH_EEE10hipError_tPvRmT3_T4_T5_T6_T7_T9_mT8_P12ihipStream_tbDpT10_ENKUlT_T0_E_clISt17integral_constantIbLb1EES19_IbLb0EEEEDaS15_S16_EUlS15_E_NS1_11comp_targetILNS1_3genE8ELNS1_11target_archE1030ELNS1_3gpuE2ELNS1_3repE0EEENS1_30default_config_static_selectorELNS0_4arch9wavefront6targetE0EEEvT1_.kd
    .uniform_work_group_size: 1
    .uses_dynamic_stack: false
    .vgpr_count:     0
    .vgpr_spill_count: 0
    .wavefront_size: 32
    .workgroup_processor_mode: 1
  - .args:
      - .offset:         0
        .size:           128
        .value_kind:     by_value
    .group_segment_fixed_size: 0
    .kernarg_segment_align: 8
    .kernarg_segment_size: 128
    .language:       OpenCL C
    .language_version:
      - 2
      - 0
    .max_flat_workgroup_size: 256
    .name:           _ZN7rocprim17ROCPRIM_400000_NS6detail17trampoline_kernelINS0_14default_configENS1_25partition_config_selectorILNS1_17partition_subalgoE9EtjbEEZZNS1_14partition_implILS5_9ELb0ES3_jN6thrust23THRUST_200600_302600_NS6detail15normal_iteratorINS9_10device_ptrItEEEENSB_INSC_IjEEEEPNS0_10empty_typeENS0_5tupleIJSE_SH_EEENSJ_IJSG_SI_EEENS0_18inequality_wrapperINS9_8equal_toItEEEEPmJSH_EEE10hipError_tPvRmT3_T4_T5_T6_T7_T9_mT8_P12ihipStream_tbDpT10_ENKUlT_T0_E_clISt17integral_constantIbLb0EES19_IbLb1EEEEDaS15_S16_EUlS15_E_NS1_11comp_targetILNS1_3genE0ELNS1_11target_archE4294967295ELNS1_3gpuE0ELNS1_3repE0EEENS1_30default_config_static_selectorELNS0_4arch9wavefront6targetE0EEEvT1_
    .private_segment_fixed_size: 0
    .sgpr_count:     0
    .sgpr_spill_count: 0
    .symbol:         _ZN7rocprim17ROCPRIM_400000_NS6detail17trampoline_kernelINS0_14default_configENS1_25partition_config_selectorILNS1_17partition_subalgoE9EtjbEEZZNS1_14partition_implILS5_9ELb0ES3_jN6thrust23THRUST_200600_302600_NS6detail15normal_iteratorINS9_10device_ptrItEEEENSB_INSC_IjEEEEPNS0_10empty_typeENS0_5tupleIJSE_SH_EEENSJ_IJSG_SI_EEENS0_18inequality_wrapperINS9_8equal_toItEEEEPmJSH_EEE10hipError_tPvRmT3_T4_T5_T6_T7_T9_mT8_P12ihipStream_tbDpT10_ENKUlT_T0_E_clISt17integral_constantIbLb0EES19_IbLb1EEEEDaS15_S16_EUlS15_E_NS1_11comp_targetILNS1_3genE0ELNS1_11target_archE4294967295ELNS1_3gpuE0ELNS1_3repE0EEENS1_30default_config_static_selectorELNS0_4arch9wavefront6targetE0EEEvT1_.kd
    .uniform_work_group_size: 1
    .uses_dynamic_stack: false
    .vgpr_count:     0
    .vgpr_spill_count: 0
    .wavefront_size: 32
    .workgroup_processor_mode: 1
  - .args:
      - .offset:         0
        .size:           128
        .value_kind:     by_value
    .group_segment_fixed_size: 0
    .kernarg_segment_align: 8
    .kernarg_segment_size: 128
    .language:       OpenCL C
    .language_version:
      - 2
      - 0
    .max_flat_workgroup_size: 512
    .name:           _ZN7rocprim17ROCPRIM_400000_NS6detail17trampoline_kernelINS0_14default_configENS1_25partition_config_selectorILNS1_17partition_subalgoE9EtjbEEZZNS1_14partition_implILS5_9ELb0ES3_jN6thrust23THRUST_200600_302600_NS6detail15normal_iteratorINS9_10device_ptrItEEEENSB_INSC_IjEEEEPNS0_10empty_typeENS0_5tupleIJSE_SH_EEENSJ_IJSG_SI_EEENS0_18inequality_wrapperINS9_8equal_toItEEEEPmJSH_EEE10hipError_tPvRmT3_T4_T5_T6_T7_T9_mT8_P12ihipStream_tbDpT10_ENKUlT_T0_E_clISt17integral_constantIbLb0EES19_IbLb1EEEEDaS15_S16_EUlS15_E_NS1_11comp_targetILNS1_3genE5ELNS1_11target_archE942ELNS1_3gpuE9ELNS1_3repE0EEENS1_30default_config_static_selectorELNS0_4arch9wavefront6targetE0EEEvT1_
    .private_segment_fixed_size: 0
    .sgpr_count:     0
    .sgpr_spill_count: 0
    .symbol:         _ZN7rocprim17ROCPRIM_400000_NS6detail17trampoline_kernelINS0_14default_configENS1_25partition_config_selectorILNS1_17partition_subalgoE9EtjbEEZZNS1_14partition_implILS5_9ELb0ES3_jN6thrust23THRUST_200600_302600_NS6detail15normal_iteratorINS9_10device_ptrItEEEENSB_INSC_IjEEEEPNS0_10empty_typeENS0_5tupleIJSE_SH_EEENSJ_IJSG_SI_EEENS0_18inequality_wrapperINS9_8equal_toItEEEEPmJSH_EEE10hipError_tPvRmT3_T4_T5_T6_T7_T9_mT8_P12ihipStream_tbDpT10_ENKUlT_T0_E_clISt17integral_constantIbLb0EES19_IbLb1EEEEDaS15_S16_EUlS15_E_NS1_11comp_targetILNS1_3genE5ELNS1_11target_archE942ELNS1_3gpuE9ELNS1_3repE0EEENS1_30default_config_static_selectorELNS0_4arch9wavefront6targetE0EEEvT1_.kd
    .uniform_work_group_size: 1
    .uses_dynamic_stack: false
    .vgpr_count:     0
    .vgpr_spill_count: 0
    .wavefront_size: 32
    .workgroup_processor_mode: 1
  - .args:
      - .offset:         0
        .size:           128
        .value_kind:     by_value
    .group_segment_fixed_size: 0
    .kernarg_segment_align: 8
    .kernarg_segment_size: 128
    .language:       OpenCL C
    .language_version:
      - 2
      - 0
    .max_flat_workgroup_size: 192
    .name:           _ZN7rocprim17ROCPRIM_400000_NS6detail17trampoline_kernelINS0_14default_configENS1_25partition_config_selectorILNS1_17partition_subalgoE9EtjbEEZZNS1_14partition_implILS5_9ELb0ES3_jN6thrust23THRUST_200600_302600_NS6detail15normal_iteratorINS9_10device_ptrItEEEENSB_INSC_IjEEEEPNS0_10empty_typeENS0_5tupleIJSE_SH_EEENSJ_IJSG_SI_EEENS0_18inequality_wrapperINS9_8equal_toItEEEEPmJSH_EEE10hipError_tPvRmT3_T4_T5_T6_T7_T9_mT8_P12ihipStream_tbDpT10_ENKUlT_T0_E_clISt17integral_constantIbLb0EES19_IbLb1EEEEDaS15_S16_EUlS15_E_NS1_11comp_targetILNS1_3genE4ELNS1_11target_archE910ELNS1_3gpuE8ELNS1_3repE0EEENS1_30default_config_static_selectorELNS0_4arch9wavefront6targetE0EEEvT1_
    .private_segment_fixed_size: 0
    .sgpr_count:     0
    .sgpr_spill_count: 0
    .symbol:         _ZN7rocprim17ROCPRIM_400000_NS6detail17trampoline_kernelINS0_14default_configENS1_25partition_config_selectorILNS1_17partition_subalgoE9EtjbEEZZNS1_14partition_implILS5_9ELb0ES3_jN6thrust23THRUST_200600_302600_NS6detail15normal_iteratorINS9_10device_ptrItEEEENSB_INSC_IjEEEEPNS0_10empty_typeENS0_5tupleIJSE_SH_EEENSJ_IJSG_SI_EEENS0_18inequality_wrapperINS9_8equal_toItEEEEPmJSH_EEE10hipError_tPvRmT3_T4_T5_T6_T7_T9_mT8_P12ihipStream_tbDpT10_ENKUlT_T0_E_clISt17integral_constantIbLb0EES19_IbLb1EEEEDaS15_S16_EUlS15_E_NS1_11comp_targetILNS1_3genE4ELNS1_11target_archE910ELNS1_3gpuE8ELNS1_3repE0EEENS1_30default_config_static_selectorELNS0_4arch9wavefront6targetE0EEEvT1_.kd
    .uniform_work_group_size: 1
    .uses_dynamic_stack: false
    .vgpr_count:     0
    .vgpr_spill_count: 0
    .wavefront_size: 32
    .workgroup_processor_mode: 1
  - .args:
      - .offset:         0
        .size:           128
        .value_kind:     by_value
    .group_segment_fixed_size: 0
    .kernarg_segment_align: 8
    .kernarg_segment_size: 128
    .language:       OpenCL C
    .language_version:
      - 2
      - 0
    .max_flat_workgroup_size: 256
    .name:           _ZN7rocprim17ROCPRIM_400000_NS6detail17trampoline_kernelINS0_14default_configENS1_25partition_config_selectorILNS1_17partition_subalgoE9EtjbEEZZNS1_14partition_implILS5_9ELb0ES3_jN6thrust23THRUST_200600_302600_NS6detail15normal_iteratorINS9_10device_ptrItEEEENSB_INSC_IjEEEEPNS0_10empty_typeENS0_5tupleIJSE_SH_EEENSJ_IJSG_SI_EEENS0_18inequality_wrapperINS9_8equal_toItEEEEPmJSH_EEE10hipError_tPvRmT3_T4_T5_T6_T7_T9_mT8_P12ihipStream_tbDpT10_ENKUlT_T0_E_clISt17integral_constantIbLb0EES19_IbLb1EEEEDaS15_S16_EUlS15_E_NS1_11comp_targetILNS1_3genE3ELNS1_11target_archE908ELNS1_3gpuE7ELNS1_3repE0EEENS1_30default_config_static_selectorELNS0_4arch9wavefront6targetE0EEEvT1_
    .private_segment_fixed_size: 0
    .sgpr_count:     0
    .sgpr_spill_count: 0
    .symbol:         _ZN7rocprim17ROCPRIM_400000_NS6detail17trampoline_kernelINS0_14default_configENS1_25partition_config_selectorILNS1_17partition_subalgoE9EtjbEEZZNS1_14partition_implILS5_9ELb0ES3_jN6thrust23THRUST_200600_302600_NS6detail15normal_iteratorINS9_10device_ptrItEEEENSB_INSC_IjEEEEPNS0_10empty_typeENS0_5tupleIJSE_SH_EEENSJ_IJSG_SI_EEENS0_18inequality_wrapperINS9_8equal_toItEEEEPmJSH_EEE10hipError_tPvRmT3_T4_T5_T6_T7_T9_mT8_P12ihipStream_tbDpT10_ENKUlT_T0_E_clISt17integral_constantIbLb0EES19_IbLb1EEEEDaS15_S16_EUlS15_E_NS1_11comp_targetILNS1_3genE3ELNS1_11target_archE908ELNS1_3gpuE7ELNS1_3repE0EEENS1_30default_config_static_selectorELNS0_4arch9wavefront6targetE0EEEvT1_.kd
    .uniform_work_group_size: 1
    .uses_dynamic_stack: false
    .vgpr_count:     0
    .vgpr_spill_count: 0
    .wavefront_size: 32
    .workgroup_processor_mode: 1
  - .args:
      - .offset:         0
        .size:           128
        .value_kind:     by_value
    .group_segment_fixed_size: 0
    .kernarg_segment_align: 8
    .kernarg_segment_size: 128
    .language:       OpenCL C
    .language_version:
      - 2
      - 0
    .max_flat_workgroup_size: 256
    .name:           _ZN7rocprim17ROCPRIM_400000_NS6detail17trampoline_kernelINS0_14default_configENS1_25partition_config_selectorILNS1_17partition_subalgoE9EtjbEEZZNS1_14partition_implILS5_9ELb0ES3_jN6thrust23THRUST_200600_302600_NS6detail15normal_iteratorINS9_10device_ptrItEEEENSB_INSC_IjEEEEPNS0_10empty_typeENS0_5tupleIJSE_SH_EEENSJ_IJSG_SI_EEENS0_18inequality_wrapperINS9_8equal_toItEEEEPmJSH_EEE10hipError_tPvRmT3_T4_T5_T6_T7_T9_mT8_P12ihipStream_tbDpT10_ENKUlT_T0_E_clISt17integral_constantIbLb0EES19_IbLb1EEEEDaS15_S16_EUlS15_E_NS1_11comp_targetILNS1_3genE2ELNS1_11target_archE906ELNS1_3gpuE6ELNS1_3repE0EEENS1_30default_config_static_selectorELNS0_4arch9wavefront6targetE0EEEvT1_
    .private_segment_fixed_size: 0
    .sgpr_count:     0
    .sgpr_spill_count: 0
    .symbol:         _ZN7rocprim17ROCPRIM_400000_NS6detail17trampoline_kernelINS0_14default_configENS1_25partition_config_selectorILNS1_17partition_subalgoE9EtjbEEZZNS1_14partition_implILS5_9ELb0ES3_jN6thrust23THRUST_200600_302600_NS6detail15normal_iteratorINS9_10device_ptrItEEEENSB_INSC_IjEEEEPNS0_10empty_typeENS0_5tupleIJSE_SH_EEENSJ_IJSG_SI_EEENS0_18inequality_wrapperINS9_8equal_toItEEEEPmJSH_EEE10hipError_tPvRmT3_T4_T5_T6_T7_T9_mT8_P12ihipStream_tbDpT10_ENKUlT_T0_E_clISt17integral_constantIbLb0EES19_IbLb1EEEEDaS15_S16_EUlS15_E_NS1_11comp_targetILNS1_3genE2ELNS1_11target_archE906ELNS1_3gpuE6ELNS1_3repE0EEENS1_30default_config_static_selectorELNS0_4arch9wavefront6targetE0EEEvT1_.kd
    .uniform_work_group_size: 1
    .uses_dynamic_stack: false
    .vgpr_count:     0
    .vgpr_spill_count: 0
    .wavefront_size: 32
    .workgroup_processor_mode: 1
  - .args:
      - .offset:         0
        .size:           128
        .value_kind:     by_value
    .group_segment_fixed_size: 0
    .kernarg_segment_align: 8
    .kernarg_segment_size: 128
    .language:       OpenCL C
    .language_version:
      - 2
      - 0
    .max_flat_workgroup_size: 512
    .name:           _ZN7rocprim17ROCPRIM_400000_NS6detail17trampoline_kernelINS0_14default_configENS1_25partition_config_selectorILNS1_17partition_subalgoE9EtjbEEZZNS1_14partition_implILS5_9ELb0ES3_jN6thrust23THRUST_200600_302600_NS6detail15normal_iteratorINS9_10device_ptrItEEEENSB_INSC_IjEEEEPNS0_10empty_typeENS0_5tupleIJSE_SH_EEENSJ_IJSG_SI_EEENS0_18inequality_wrapperINS9_8equal_toItEEEEPmJSH_EEE10hipError_tPvRmT3_T4_T5_T6_T7_T9_mT8_P12ihipStream_tbDpT10_ENKUlT_T0_E_clISt17integral_constantIbLb0EES19_IbLb1EEEEDaS15_S16_EUlS15_E_NS1_11comp_targetILNS1_3genE10ELNS1_11target_archE1200ELNS1_3gpuE4ELNS1_3repE0EEENS1_30default_config_static_selectorELNS0_4arch9wavefront6targetE0EEEvT1_
    .private_segment_fixed_size: 0
    .sgpr_count:     0
    .sgpr_spill_count: 0
    .symbol:         _ZN7rocprim17ROCPRIM_400000_NS6detail17trampoline_kernelINS0_14default_configENS1_25partition_config_selectorILNS1_17partition_subalgoE9EtjbEEZZNS1_14partition_implILS5_9ELb0ES3_jN6thrust23THRUST_200600_302600_NS6detail15normal_iteratorINS9_10device_ptrItEEEENSB_INSC_IjEEEEPNS0_10empty_typeENS0_5tupleIJSE_SH_EEENSJ_IJSG_SI_EEENS0_18inequality_wrapperINS9_8equal_toItEEEEPmJSH_EEE10hipError_tPvRmT3_T4_T5_T6_T7_T9_mT8_P12ihipStream_tbDpT10_ENKUlT_T0_E_clISt17integral_constantIbLb0EES19_IbLb1EEEEDaS15_S16_EUlS15_E_NS1_11comp_targetILNS1_3genE10ELNS1_11target_archE1200ELNS1_3gpuE4ELNS1_3repE0EEENS1_30default_config_static_selectorELNS0_4arch9wavefront6targetE0EEEvT1_.kd
    .uniform_work_group_size: 1
    .uses_dynamic_stack: false
    .vgpr_count:     0
    .vgpr_spill_count: 0
    .wavefront_size: 32
    .workgroup_processor_mode: 1
  - .args:
      - .offset:         0
        .size:           128
        .value_kind:     by_value
    .group_segment_fixed_size: 5640
    .kernarg_segment_align: 8
    .kernarg_segment_size: 128
    .language:       OpenCL C
    .language_version:
      - 2
      - 0
    .max_flat_workgroup_size: 128
    .name:           _ZN7rocprim17ROCPRIM_400000_NS6detail17trampoline_kernelINS0_14default_configENS1_25partition_config_selectorILNS1_17partition_subalgoE9EtjbEEZZNS1_14partition_implILS5_9ELb0ES3_jN6thrust23THRUST_200600_302600_NS6detail15normal_iteratorINS9_10device_ptrItEEEENSB_INSC_IjEEEEPNS0_10empty_typeENS0_5tupleIJSE_SH_EEENSJ_IJSG_SI_EEENS0_18inequality_wrapperINS9_8equal_toItEEEEPmJSH_EEE10hipError_tPvRmT3_T4_T5_T6_T7_T9_mT8_P12ihipStream_tbDpT10_ENKUlT_T0_E_clISt17integral_constantIbLb0EES19_IbLb1EEEEDaS15_S16_EUlS15_E_NS1_11comp_targetILNS1_3genE9ELNS1_11target_archE1100ELNS1_3gpuE3ELNS1_3repE0EEENS1_30default_config_static_selectorELNS0_4arch9wavefront6targetE0EEEvT1_
    .private_segment_fixed_size: 0
    .sgpr_count:     32
    .sgpr_spill_count: 0
    .symbol:         _ZN7rocprim17ROCPRIM_400000_NS6detail17trampoline_kernelINS0_14default_configENS1_25partition_config_selectorILNS1_17partition_subalgoE9EtjbEEZZNS1_14partition_implILS5_9ELb0ES3_jN6thrust23THRUST_200600_302600_NS6detail15normal_iteratorINS9_10device_ptrItEEEENSB_INSC_IjEEEEPNS0_10empty_typeENS0_5tupleIJSE_SH_EEENSJ_IJSG_SI_EEENS0_18inequality_wrapperINS9_8equal_toItEEEEPmJSH_EEE10hipError_tPvRmT3_T4_T5_T6_T7_T9_mT8_P12ihipStream_tbDpT10_ENKUlT_T0_E_clISt17integral_constantIbLb0EES19_IbLb1EEEEDaS15_S16_EUlS15_E_NS1_11comp_targetILNS1_3genE9ELNS1_11target_archE1100ELNS1_3gpuE3ELNS1_3repE0EEENS1_30default_config_static_selectorELNS0_4arch9wavefront6targetE0EEEvT1_.kd
    .uniform_work_group_size: 1
    .uses_dynamic_stack: false
    .vgpr_count:     85
    .vgpr_spill_count: 0
    .wavefront_size: 32
    .workgroup_processor_mode: 1
  - .args:
      - .offset:         0
        .size:           128
        .value_kind:     by_value
    .group_segment_fixed_size: 0
    .kernarg_segment_align: 8
    .kernarg_segment_size: 128
    .language:       OpenCL C
    .language_version:
      - 2
      - 0
    .max_flat_workgroup_size: 512
    .name:           _ZN7rocprim17ROCPRIM_400000_NS6detail17trampoline_kernelINS0_14default_configENS1_25partition_config_selectorILNS1_17partition_subalgoE9EtjbEEZZNS1_14partition_implILS5_9ELb0ES3_jN6thrust23THRUST_200600_302600_NS6detail15normal_iteratorINS9_10device_ptrItEEEENSB_INSC_IjEEEEPNS0_10empty_typeENS0_5tupleIJSE_SH_EEENSJ_IJSG_SI_EEENS0_18inequality_wrapperINS9_8equal_toItEEEEPmJSH_EEE10hipError_tPvRmT3_T4_T5_T6_T7_T9_mT8_P12ihipStream_tbDpT10_ENKUlT_T0_E_clISt17integral_constantIbLb0EES19_IbLb1EEEEDaS15_S16_EUlS15_E_NS1_11comp_targetILNS1_3genE8ELNS1_11target_archE1030ELNS1_3gpuE2ELNS1_3repE0EEENS1_30default_config_static_selectorELNS0_4arch9wavefront6targetE0EEEvT1_
    .private_segment_fixed_size: 0
    .sgpr_count:     0
    .sgpr_spill_count: 0
    .symbol:         _ZN7rocprim17ROCPRIM_400000_NS6detail17trampoline_kernelINS0_14default_configENS1_25partition_config_selectorILNS1_17partition_subalgoE9EtjbEEZZNS1_14partition_implILS5_9ELb0ES3_jN6thrust23THRUST_200600_302600_NS6detail15normal_iteratorINS9_10device_ptrItEEEENSB_INSC_IjEEEEPNS0_10empty_typeENS0_5tupleIJSE_SH_EEENSJ_IJSG_SI_EEENS0_18inequality_wrapperINS9_8equal_toItEEEEPmJSH_EEE10hipError_tPvRmT3_T4_T5_T6_T7_T9_mT8_P12ihipStream_tbDpT10_ENKUlT_T0_E_clISt17integral_constantIbLb0EES19_IbLb1EEEEDaS15_S16_EUlS15_E_NS1_11comp_targetILNS1_3genE8ELNS1_11target_archE1030ELNS1_3gpuE2ELNS1_3repE0EEENS1_30default_config_static_selectorELNS0_4arch9wavefront6targetE0EEEvT1_.kd
    .uniform_work_group_size: 1
    .uses_dynamic_stack: false
    .vgpr_count:     0
    .vgpr_spill_count: 0
    .wavefront_size: 32
    .workgroup_processor_mode: 1
  - .args:
      - .offset:         0
        .size:           112
        .value_kind:     by_value
    .group_segment_fixed_size: 0
    .kernarg_segment_align: 8
    .kernarg_segment_size: 112
    .language:       OpenCL C
    .language_version:
      - 2
      - 0
    .max_flat_workgroup_size: 128
    .name:           _ZN7rocprim17ROCPRIM_400000_NS6detail17trampoline_kernelINS0_14default_configENS1_25partition_config_selectorILNS1_17partition_subalgoE9ExjbEEZZNS1_14partition_implILS5_9ELb0ES3_jN6thrust23THRUST_200600_302600_NS6detail15normal_iteratorINS9_10device_ptrIxEEEENSB_INSC_IjEEEEPNS0_10empty_typeENS0_5tupleIJSE_SH_EEENSJ_IJSG_SI_EEENS0_18inequality_wrapperINS9_8equal_toIxEEEEPmJSH_EEE10hipError_tPvRmT3_T4_T5_T6_T7_T9_mT8_P12ihipStream_tbDpT10_ENKUlT_T0_E_clISt17integral_constantIbLb0EES1A_EEDaS15_S16_EUlS15_E_NS1_11comp_targetILNS1_3genE0ELNS1_11target_archE4294967295ELNS1_3gpuE0ELNS1_3repE0EEENS1_30default_config_static_selectorELNS0_4arch9wavefront6targetE0EEEvT1_
    .private_segment_fixed_size: 0
    .sgpr_count:     0
    .sgpr_spill_count: 0
    .symbol:         _ZN7rocprim17ROCPRIM_400000_NS6detail17trampoline_kernelINS0_14default_configENS1_25partition_config_selectorILNS1_17partition_subalgoE9ExjbEEZZNS1_14partition_implILS5_9ELb0ES3_jN6thrust23THRUST_200600_302600_NS6detail15normal_iteratorINS9_10device_ptrIxEEEENSB_INSC_IjEEEEPNS0_10empty_typeENS0_5tupleIJSE_SH_EEENSJ_IJSG_SI_EEENS0_18inequality_wrapperINS9_8equal_toIxEEEEPmJSH_EEE10hipError_tPvRmT3_T4_T5_T6_T7_T9_mT8_P12ihipStream_tbDpT10_ENKUlT_T0_E_clISt17integral_constantIbLb0EES1A_EEDaS15_S16_EUlS15_E_NS1_11comp_targetILNS1_3genE0ELNS1_11target_archE4294967295ELNS1_3gpuE0ELNS1_3repE0EEENS1_30default_config_static_selectorELNS0_4arch9wavefront6targetE0EEEvT1_.kd
    .uniform_work_group_size: 1
    .uses_dynamic_stack: false
    .vgpr_count:     0
    .vgpr_spill_count: 0
    .wavefront_size: 32
    .workgroup_processor_mode: 1
  - .args:
      - .offset:         0
        .size:           112
        .value_kind:     by_value
    .group_segment_fixed_size: 0
    .kernarg_segment_align: 8
    .kernarg_segment_size: 112
    .language:       OpenCL C
    .language_version:
      - 2
      - 0
    .max_flat_workgroup_size: 512
    .name:           _ZN7rocprim17ROCPRIM_400000_NS6detail17trampoline_kernelINS0_14default_configENS1_25partition_config_selectorILNS1_17partition_subalgoE9ExjbEEZZNS1_14partition_implILS5_9ELb0ES3_jN6thrust23THRUST_200600_302600_NS6detail15normal_iteratorINS9_10device_ptrIxEEEENSB_INSC_IjEEEEPNS0_10empty_typeENS0_5tupleIJSE_SH_EEENSJ_IJSG_SI_EEENS0_18inequality_wrapperINS9_8equal_toIxEEEEPmJSH_EEE10hipError_tPvRmT3_T4_T5_T6_T7_T9_mT8_P12ihipStream_tbDpT10_ENKUlT_T0_E_clISt17integral_constantIbLb0EES1A_EEDaS15_S16_EUlS15_E_NS1_11comp_targetILNS1_3genE5ELNS1_11target_archE942ELNS1_3gpuE9ELNS1_3repE0EEENS1_30default_config_static_selectorELNS0_4arch9wavefront6targetE0EEEvT1_
    .private_segment_fixed_size: 0
    .sgpr_count:     0
    .sgpr_spill_count: 0
    .symbol:         _ZN7rocprim17ROCPRIM_400000_NS6detail17trampoline_kernelINS0_14default_configENS1_25partition_config_selectorILNS1_17partition_subalgoE9ExjbEEZZNS1_14partition_implILS5_9ELb0ES3_jN6thrust23THRUST_200600_302600_NS6detail15normal_iteratorINS9_10device_ptrIxEEEENSB_INSC_IjEEEEPNS0_10empty_typeENS0_5tupleIJSE_SH_EEENSJ_IJSG_SI_EEENS0_18inequality_wrapperINS9_8equal_toIxEEEEPmJSH_EEE10hipError_tPvRmT3_T4_T5_T6_T7_T9_mT8_P12ihipStream_tbDpT10_ENKUlT_T0_E_clISt17integral_constantIbLb0EES1A_EEDaS15_S16_EUlS15_E_NS1_11comp_targetILNS1_3genE5ELNS1_11target_archE942ELNS1_3gpuE9ELNS1_3repE0EEENS1_30default_config_static_selectorELNS0_4arch9wavefront6targetE0EEEvT1_.kd
    .uniform_work_group_size: 1
    .uses_dynamic_stack: false
    .vgpr_count:     0
    .vgpr_spill_count: 0
    .wavefront_size: 32
    .workgroup_processor_mode: 1
  - .args:
      - .offset:         0
        .size:           112
        .value_kind:     by_value
    .group_segment_fixed_size: 0
    .kernarg_segment_align: 8
    .kernarg_segment_size: 112
    .language:       OpenCL C
    .language_version:
      - 2
      - 0
    .max_flat_workgroup_size: 192
    .name:           _ZN7rocprim17ROCPRIM_400000_NS6detail17trampoline_kernelINS0_14default_configENS1_25partition_config_selectorILNS1_17partition_subalgoE9ExjbEEZZNS1_14partition_implILS5_9ELb0ES3_jN6thrust23THRUST_200600_302600_NS6detail15normal_iteratorINS9_10device_ptrIxEEEENSB_INSC_IjEEEEPNS0_10empty_typeENS0_5tupleIJSE_SH_EEENSJ_IJSG_SI_EEENS0_18inequality_wrapperINS9_8equal_toIxEEEEPmJSH_EEE10hipError_tPvRmT3_T4_T5_T6_T7_T9_mT8_P12ihipStream_tbDpT10_ENKUlT_T0_E_clISt17integral_constantIbLb0EES1A_EEDaS15_S16_EUlS15_E_NS1_11comp_targetILNS1_3genE4ELNS1_11target_archE910ELNS1_3gpuE8ELNS1_3repE0EEENS1_30default_config_static_selectorELNS0_4arch9wavefront6targetE0EEEvT1_
    .private_segment_fixed_size: 0
    .sgpr_count:     0
    .sgpr_spill_count: 0
    .symbol:         _ZN7rocprim17ROCPRIM_400000_NS6detail17trampoline_kernelINS0_14default_configENS1_25partition_config_selectorILNS1_17partition_subalgoE9ExjbEEZZNS1_14partition_implILS5_9ELb0ES3_jN6thrust23THRUST_200600_302600_NS6detail15normal_iteratorINS9_10device_ptrIxEEEENSB_INSC_IjEEEEPNS0_10empty_typeENS0_5tupleIJSE_SH_EEENSJ_IJSG_SI_EEENS0_18inequality_wrapperINS9_8equal_toIxEEEEPmJSH_EEE10hipError_tPvRmT3_T4_T5_T6_T7_T9_mT8_P12ihipStream_tbDpT10_ENKUlT_T0_E_clISt17integral_constantIbLb0EES1A_EEDaS15_S16_EUlS15_E_NS1_11comp_targetILNS1_3genE4ELNS1_11target_archE910ELNS1_3gpuE8ELNS1_3repE0EEENS1_30default_config_static_selectorELNS0_4arch9wavefront6targetE0EEEvT1_.kd
    .uniform_work_group_size: 1
    .uses_dynamic_stack: false
    .vgpr_count:     0
    .vgpr_spill_count: 0
    .wavefront_size: 32
    .workgroup_processor_mode: 1
  - .args:
      - .offset:         0
        .size:           112
        .value_kind:     by_value
    .group_segment_fixed_size: 0
    .kernarg_segment_align: 8
    .kernarg_segment_size: 112
    .language:       OpenCL C
    .language_version:
      - 2
      - 0
    .max_flat_workgroup_size: 128
    .name:           _ZN7rocprim17ROCPRIM_400000_NS6detail17trampoline_kernelINS0_14default_configENS1_25partition_config_selectorILNS1_17partition_subalgoE9ExjbEEZZNS1_14partition_implILS5_9ELb0ES3_jN6thrust23THRUST_200600_302600_NS6detail15normal_iteratorINS9_10device_ptrIxEEEENSB_INSC_IjEEEEPNS0_10empty_typeENS0_5tupleIJSE_SH_EEENSJ_IJSG_SI_EEENS0_18inequality_wrapperINS9_8equal_toIxEEEEPmJSH_EEE10hipError_tPvRmT3_T4_T5_T6_T7_T9_mT8_P12ihipStream_tbDpT10_ENKUlT_T0_E_clISt17integral_constantIbLb0EES1A_EEDaS15_S16_EUlS15_E_NS1_11comp_targetILNS1_3genE3ELNS1_11target_archE908ELNS1_3gpuE7ELNS1_3repE0EEENS1_30default_config_static_selectorELNS0_4arch9wavefront6targetE0EEEvT1_
    .private_segment_fixed_size: 0
    .sgpr_count:     0
    .sgpr_spill_count: 0
    .symbol:         _ZN7rocprim17ROCPRIM_400000_NS6detail17trampoline_kernelINS0_14default_configENS1_25partition_config_selectorILNS1_17partition_subalgoE9ExjbEEZZNS1_14partition_implILS5_9ELb0ES3_jN6thrust23THRUST_200600_302600_NS6detail15normal_iteratorINS9_10device_ptrIxEEEENSB_INSC_IjEEEEPNS0_10empty_typeENS0_5tupleIJSE_SH_EEENSJ_IJSG_SI_EEENS0_18inequality_wrapperINS9_8equal_toIxEEEEPmJSH_EEE10hipError_tPvRmT3_T4_T5_T6_T7_T9_mT8_P12ihipStream_tbDpT10_ENKUlT_T0_E_clISt17integral_constantIbLb0EES1A_EEDaS15_S16_EUlS15_E_NS1_11comp_targetILNS1_3genE3ELNS1_11target_archE908ELNS1_3gpuE7ELNS1_3repE0EEENS1_30default_config_static_selectorELNS0_4arch9wavefront6targetE0EEEvT1_.kd
    .uniform_work_group_size: 1
    .uses_dynamic_stack: false
    .vgpr_count:     0
    .vgpr_spill_count: 0
    .wavefront_size: 32
    .workgroup_processor_mode: 1
  - .args:
      - .offset:         0
        .size:           112
        .value_kind:     by_value
    .group_segment_fixed_size: 0
    .kernarg_segment_align: 8
    .kernarg_segment_size: 112
    .language:       OpenCL C
    .language_version:
      - 2
      - 0
    .max_flat_workgroup_size: 256
    .name:           _ZN7rocprim17ROCPRIM_400000_NS6detail17trampoline_kernelINS0_14default_configENS1_25partition_config_selectorILNS1_17partition_subalgoE9ExjbEEZZNS1_14partition_implILS5_9ELb0ES3_jN6thrust23THRUST_200600_302600_NS6detail15normal_iteratorINS9_10device_ptrIxEEEENSB_INSC_IjEEEEPNS0_10empty_typeENS0_5tupleIJSE_SH_EEENSJ_IJSG_SI_EEENS0_18inequality_wrapperINS9_8equal_toIxEEEEPmJSH_EEE10hipError_tPvRmT3_T4_T5_T6_T7_T9_mT8_P12ihipStream_tbDpT10_ENKUlT_T0_E_clISt17integral_constantIbLb0EES1A_EEDaS15_S16_EUlS15_E_NS1_11comp_targetILNS1_3genE2ELNS1_11target_archE906ELNS1_3gpuE6ELNS1_3repE0EEENS1_30default_config_static_selectorELNS0_4arch9wavefront6targetE0EEEvT1_
    .private_segment_fixed_size: 0
    .sgpr_count:     0
    .sgpr_spill_count: 0
    .symbol:         _ZN7rocprim17ROCPRIM_400000_NS6detail17trampoline_kernelINS0_14default_configENS1_25partition_config_selectorILNS1_17partition_subalgoE9ExjbEEZZNS1_14partition_implILS5_9ELb0ES3_jN6thrust23THRUST_200600_302600_NS6detail15normal_iteratorINS9_10device_ptrIxEEEENSB_INSC_IjEEEEPNS0_10empty_typeENS0_5tupleIJSE_SH_EEENSJ_IJSG_SI_EEENS0_18inequality_wrapperINS9_8equal_toIxEEEEPmJSH_EEE10hipError_tPvRmT3_T4_T5_T6_T7_T9_mT8_P12ihipStream_tbDpT10_ENKUlT_T0_E_clISt17integral_constantIbLb0EES1A_EEDaS15_S16_EUlS15_E_NS1_11comp_targetILNS1_3genE2ELNS1_11target_archE906ELNS1_3gpuE6ELNS1_3repE0EEENS1_30default_config_static_selectorELNS0_4arch9wavefront6targetE0EEEvT1_.kd
    .uniform_work_group_size: 1
    .uses_dynamic_stack: false
    .vgpr_count:     0
    .vgpr_spill_count: 0
    .wavefront_size: 32
    .workgroup_processor_mode: 1
  - .args:
      - .offset:         0
        .size:           112
        .value_kind:     by_value
    .group_segment_fixed_size: 0
    .kernarg_segment_align: 8
    .kernarg_segment_size: 112
    .language:       OpenCL C
    .language_version:
      - 2
      - 0
    .max_flat_workgroup_size: 384
    .name:           _ZN7rocprim17ROCPRIM_400000_NS6detail17trampoline_kernelINS0_14default_configENS1_25partition_config_selectorILNS1_17partition_subalgoE9ExjbEEZZNS1_14partition_implILS5_9ELb0ES3_jN6thrust23THRUST_200600_302600_NS6detail15normal_iteratorINS9_10device_ptrIxEEEENSB_INSC_IjEEEEPNS0_10empty_typeENS0_5tupleIJSE_SH_EEENSJ_IJSG_SI_EEENS0_18inequality_wrapperINS9_8equal_toIxEEEEPmJSH_EEE10hipError_tPvRmT3_T4_T5_T6_T7_T9_mT8_P12ihipStream_tbDpT10_ENKUlT_T0_E_clISt17integral_constantIbLb0EES1A_EEDaS15_S16_EUlS15_E_NS1_11comp_targetILNS1_3genE10ELNS1_11target_archE1200ELNS1_3gpuE4ELNS1_3repE0EEENS1_30default_config_static_selectorELNS0_4arch9wavefront6targetE0EEEvT1_
    .private_segment_fixed_size: 0
    .sgpr_count:     0
    .sgpr_spill_count: 0
    .symbol:         _ZN7rocprim17ROCPRIM_400000_NS6detail17trampoline_kernelINS0_14default_configENS1_25partition_config_selectorILNS1_17partition_subalgoE9ExjbEEZZNS1_14partition_implILS5_9ELb0ES3_jN6thrust23THRUST_200600_302600_NS6detail15normal_iteratorINS9_10device_ptrIxEEEENSB_INSC_IjEEEEPNS0_10empty_typeENS0_5tupleIJSE_SH_EEENSJ_IJSG_SI_EEENS0_18inequality_wrapperINS9_8equal_toIxEEEEPmJSH_EEE10hipError_tPvRmT3_T4_T5_T6_T7_T9_mT8_P12ihipStream_tbDpT10_ENKUlT_T0_E_clISt17integral_constantIbLb0EES1A_EEDaS15_S16_EUlS15_E_NS1_11comp_targetILNS1_3genE10ELNS1_11target_archE1200ELNS1_3gpuE4ELNS1_3repE0EEENS1_30default_config_static_selectorELNS0_4arch9wavefront6targetE0EEEvT1_.kd
    .uniform_work_group_size: 1
    .uses_dynamic_stack: false
    .vgpr_count:     0
    .vgpr_spill_count: 0
    .wavefront_size: 32
    .workgroup_processor_mode: 1
  - .args:
      - .offset:         0
        .size:           112
        .value_kind:     by_value
    .group_segment_fixed_size: 33800
    .kernarg_segment_align: 8
    .kernarg_segment_size: 112
    .language:       OpenCL C
    .language_version:
      - 2
      - 0
    .max_flat_workgroup_size: 512
    .name:           _ZN7rocprim17ROCPRIM_400000_NS6detail17trampoline_kernelINS0_14default_configENS1_25partition_config_selectorILNS1_17partition_subalgoE9ExjbEEZZNS1_14partition_implILS5_9ELb0ES3_jN6thrust23THRUST_200600_302600_NS6detail15normal_iteratorINS9_10device_ptrIxEEEENSB_INSC_IjEEEEPNS0_10empty_typeENS0_5tupleIJSE_SH_EEENSJ_IJSG_SI_EEENS0_18inequality_wrapperINS9_8equal_toIxEEEEPmJSH_EEE10hipError_tPvRmT3_T4_T5_T6_T7_T9_mT8_P12ihipStream_tbDpT10_ENKUlT_T0_E_clISt17integral_constantIbLb0EES1A_EEDaS15_S16_EUlS15_E_NS1_11comp_targetILNS1_3genE9ELNS1_11target_archE1100ELNS1_3gpuE3ELNS1_3repE0EEENS1_30default_config_static_selectorELNS0_4arch9wavefront6targetE0EEEvT1_
    .private_segment_fixed_size: 0
    .sgpr_count:     26
    .sgpr_spill_count: 0
    .symbol:         _ZN7rocprim17ROCPRIM_400000_NS6detail17trampoline_kernelINS0_14default_configENS1_25partition_config_selectorILNS1_17partition_subalgoE9ExjbEEZZNS1_14partition_implILS5_9ELb0ES3_jN6thrust23THRUST_200600_302600_NS6detail15normal_iteratorINS9_10device_ptrIxEEEENSB_INSC_IjEEEEPNS0_10empty_typeENS0_5tupleIJSE_SH_EEENSJ_IJSG_SI_EEENS0_18inequality_wrapperINS9_8equal_toIxEEEEPmJSH_EEE10hipError_tPvRmT3_T4_T5_T6_T7_T9_mT8_P12ihipStream_tbDpT10_ENKUlT_T0_E_clISt17integral_constantIbLb0EES1A_EEDaS15_S16_EUlS15_E_NS1_11comp_targetILNS1_3genE9ELNS1_11target_archE1100ELNS1_3gpuE3ELNS1_3repE0EEENS1_30default_config_static_selectorELNS0_4arch9wavefront6targetE0EEEvT1_.kd
    .uniform_work_group_size: 1
    .uses_dynamic_stack: false
    .vgpr_count:     60
    .vgpr_spill_count: 0
    .wavefront_size: 32
    .workgroup_processor_mode: 1
  - .args:
      - .offset:         0
        .size:           112
        .value_kind:     by_value
    .group_segment_fixed_size: 0
    .kernarg_segment_align: 8
    .kernarg_segment_size: 112
    .language:       OpenCL C
    .language_version:
      - 2
      - 0
    .max_flat_workgroup_size: 512
    .name:           _ZN7rocprim17ROCPRIM_400000_NS6detail17trampoline_kernelINS0_14default_configENS1_25partition_config_selectorILNS1_17partition_subalgoE9ExjbEEZZNS1_14partition_implILS5_9ELb0ES3_jN6thrust23THRUST_200600_302600_NS6detail15normal_iteratorINS9_10device_ptrIxEEEENSB_INSC_IjEEEEPNS0_10empty_typeENS0_5tupleIJSE_SH_EEENSJ_IJSG_SI_EEENS0_18inequality_wrapperINS9_8equal_toIxEEEEPmJSH_EEE10hipError_tPvRmT3_T4_T5_T6_T7_T9_mT8_P12ihipStream_tbDpT10_ENKUlT_T0_E_clISt17integral_constantIbLb0EES1A_EEDaS15_S16_EUlS15_E_NS1_11comp_targetILNS1_3genE8ELNS1_11target_archE1030ELNS1_3gpuE2ELNS1_3repE0EEENS1_30default_config_static_selectorELNS0_4arch9wavefront6targetE0EEEvT1_
    .private_segment_fixed_size: 0
    .sgpr_count:     0
    .sgpr_spill_count: 0
    .symbol:         _ZN7rocprim17ROCPRIM_400000_NS6detail17trampoline_kernelINS0_14default_configENS1_25partition_config_selectorILNS1_17partition_subalgoE9ExjbEEZZNS1_14partition_implILS5_9ELb0ES3_jN6thrust23THRUST_200600_302600_NS6detail15normal_iteratorINS9_10device_ptrIxEEEENSB_INSC_IjEEEEPNS0_10empty_typeENS0_5tupleIJSE_SH_EEENSJ_IJSG_SI_EEENS0_18inequality_wrapperINS9_8equal_toIxEEEEPmJSH_EEE10hipError_tPvRmT3_T4_T5_T6_T7_T9_mT8_P12ihipStream_tbDpT10_ENKUlT_T0_E_clISt17integral_constantIbLb0EES1A_EEDaS15_S16_EUlS15_E_NS1_11comp_targetILNS1_3genE8ELNS1_11target_archE1030ELNS1_3gpuE2ELNS1_3repE0EEENS1_30default_config_static_selectorELNS0_4arch9wavefront6targetE0EEEvT1_.kd
    .uniform_work_group_size: 1
    .uses_dynamic_stack: false
    .vgpr_count:     0
    .vgpr_spill_count: 0
    .wavefront_size: 32
    .workgroup_processor_mode: 1
  - .args:
      - .offset:         0
        .size:           128
        .value_kind:     by_value
    .group_segment_fixed_size: 0
    .kernarg_segment_align: 8
    .kernarg_segment_size: 128
    .language:       OpenCL C
    .language_version:
      - 2
      - 0
    .max_flat_workgroup_size: 128
    .name:           _ZN7rocprim17ROCPRIM_400000_NS6detail17trampoline_kernelINS0_14default_configENS1_25partition_config_selectorILNS1_17partition_subalgoE9ExjbEEZZNS1_14partition_implILS5_9ELb0ES3_jN6thrust23THRUST_200600_302600_NS6detail15normal_iteratorINS9_10device_ptrIxEEEENSB_INSC_IjEEEEPNS0_10empty_typeENS0_5tupleIJSE_SH_EEENSJ_IJSG_SI_EEENS0_18inequality_wrapperINS9_8equal_toIxEEEEPmJSH_EEE10hipError_tPvRmT3_T4_T5_T6_T7_T9_mT8_P12ihipStream_tbDpT10_ENKUlT_T0_E_clISt17integral_constantIbLb1EES1A_EEDaS15_S16_EUlS15_E_NS1_11comp_targetILNS1_3genE0ELNS1_11target_archE4294967295ELNS1_3gpuE0ELNS1_3repE0EEENS1_30default_config_static_selectorELNS0_4arch9wavefront6targetE0EEEvT1_
    .private_segment_fixed_size: 0
    .sgpr_count:     0
    .sgpr_spill_count: 0
    .symbol:         _ZN7rocprim17ROCPRIM_400000_NS6detail17trampoline_kernelINS0_14default_configENS1_25partition_config_selectorILNS1_17partition_subalgoE9ExjbEEZZNS1_14partition_implILS5_9ELb0ES3_jN6thrust23THRUST_200600_302600_NS6detail15normal_iteratorINS9_10device_ptrIxEEEENSB_INSC_IjEEEEPNS0_10empty_typeENS0_5tupleIJSE_SH_EEENSJ_IJSG_SI_EEENS0_18inequality_wrapperINS9_8equal_toIxEEEEPmJSH_EEE10hipError_tPvRmT3_T4_T5_T6_T7_T9_mT8_P12ihipStream_tbDpT10_ENKUlT_T0_E_clISt17integral_constantIbLb1EES1A_EEDaS15_S16_EUlS15_E_NS1_11comp_targetILNS1_3genE0ELNS1_11target_archE4294967295ELNS1_3gpuE0ELNS1_3repE0EEENS1_30default_config_static_selectorELNS0_4arch9wavefront6targetE0EEEvT1_.kd
    .uniform_work_group_size: 1
    .uses_dynamic_stack: false
    .vgpr_count:     0
    .vgpr_spill_count: 0
    .wavefront_size: 32
    .workgroup_processor_mode: 1
  - .args:
      - .offset:         0
        .size:           128
        .value_kind:     by_value
    .group_segment_fixed_size: 0
    .kernarg_segment_align: 8
    .kernarg_segment_size: 128
    .language:       OpenCL C
    .language_version:
      - 2
      - 0
    .max_flat_workgroup_size: 512
    .name:           _ZN7rocprim17ROCPRIM_400000_NS6detail17trampoline_kernelINS0_14default_configENS1_25partition_config_selectorILNS1_17partition_subalgoE9ExjbEEZZNS1_14partition_implILS5_9ELb0ES3_jN6thrust23THRUST_200600_302600_NS6detail15normal_iteratorINS9_10device_ptrIxEEEENSB_INSC_IjEEEEPNS0_10empty_typeENS0_5tupleIJSE_SH_EEENSJ_IJSG_SI_EEENS0_18inequality_wrapperINS9_8equal_toIxEEEEPmJSH_EEE10hipError_tPvRmT3_T4_T5_T6_T7_T9_mT8_P12ihipStream_tbDpT10_ENKUlT_T0_E_clISt17integral_constantIbLb1EES1A_EEDaS15_S16_EUlS15_E_NS1_11comp_targetILNS1_3genE5ELNS1_11target_archE942ELNS1_3gpuE9ELNS1_3repE0EEENS1_30default_config_static_selectorELNS0_4arch9wavefront6targetE0EEEvT1_
    .private_segment_fixed_size: 0
    .sgpr_count:     0
    .sgpr_spill_count: 0
    .symbol:         _ZN7rocprim17ROCPRIM_400000_NS6detail17trampoline_kernelINS0_14default_configENS1_25partition_config_selectorILNS1_17partition_subalgoE9ExjbEEZZNS1_14partition_implILS5_9ELb0ES3_jN6thrust23THRUST_200600_302600_NS6detail15normal_iteratorINS9_10device_ptrIxEEEENSB_INSC_IjEEEEPNS0_10empty_typeENS0_5tupleIJSE_SH_EEENSJ_IJSG_SI_EEENS0_18inequality_wrapperINS9_8equal_toIxEEEEPmJSH_EEE10hipError_tPvRmT3_T4_T5_T6_T7_T9_mT8_P12ihipStream_tbDpT10_ENKUlT_T0_E_clISt17integral_constantIbLb1EES1A_EEDaS15_S16_EUlS15_E_NS1_11comp_targetILNS1_3genE5ELNS1_11target_archE942ELNS1_3gpuE9ELNS1_3repE0EEENS1_30default_config_static_selectorELNS0_4arch9wavefront6targetE0EEEvT1_.kd
    .uniform_work_group_size: 1
    .uses_dynamic_stack: false
    .vgpr_count:     0
    .vgpr_spill_count: 0
    .wavefront_size: 32
    .workgroup_processor_mode: 1
  - .args:
      - .offset:         0
        .size:           128
        .value_kind:     by_value
    .group_segment_fixed_size: 0
    .kernarg_segment_align: 8
    .kernarg_segment_size: 128
    .language:       OpenCL C
    .language_version:
      - 2
      - 0
    .max_flat_workgroup_size: 192
    .name:           _ZN7rocprim17ROCPRIM_400000_NS6detail17trampoline_kernelINS0_14default_configENS1_25partition_config_selectorILNS1_17partition_subalgoE9ExjbEEZZNS1_14partition_implILS5_9ELb0ES3_jN6thrust23THRUST_200600_302600_NS6detail15normal_iteratorINS9_10device_ptrIxEEEENSB_INSC_IjEEEEPNS0_10empty_typeENS0_5tupleIJSE_SH_EEENSJ_IJSG_SI_EEENS0_18inequality_wrapperINS9_8equal_toIxEEEEPmJSH_EEE10hipError_tPvRmT3_T4_T5_T6_T7_T9_mT8_P12ihipStream_tbDpT10_ENKUlT_T0_E_clISt17integral_constantIbLb1EES1A_EEDaS15_S16_EUlS15_E_NS1_11comp_targetILNS1_3genE4ELNS1_11target_archE910ELNS1_3gpuE8ELNS1_3repE0EEENS1_30default_config_static_selectorELNS0_4arch9wavefront6targetE0EEEvT1_
    .private_segment_fixed_size: 0
    .sgpr_count:     0
    .sgpr_spill_count: 0
    .symbol:         _ZN7rocprim17ROCPRIM_400000_NS6detail17trampoline_kernelINS0_14default_configENS1_25partition_config_selectorILNS1_17partition_subalgoE9ExjbEEZZNS1_14partition_implILS5_9ELb0ES3_jN6thrust23THRUST_200600_302600_NS6detail15normal_iteratorINS9_10device_ptrIxEEEENSB_INSC_IjEEEEPNS0_10empty_typeENS0_5tupleIJSE_SH_EEENSJ_IJSG_SI_EEENS0_18inequality_wrapperINS9_8equal_toIxEEEEPmJSH_EEE10hipError_tPvRmT3_T4_T5_T6_T7_T9_mT8_P12ihipStream_tbDpT10_ENKUlT_T0_E_clISt17integral_constantIbLb1EES1A_EEDaS15_S16_EUlS15_E_NS1_11comp_targetILNS1_3genE4ELNS1_11target_archE910ELNS1_3gpuE8ELNS1_3repE0EEENS1_30default_config_static_selectorELNS0_4arch9wavefront6targetE0EEEvT1_.kd
    .uniform_work_group_size: 1
    .uses_dynamic_stack: false
    .vgpr_count:     0
    .vgpr_spill_count: 0
    .wavefront_size: 32
    .workgroup_processor_mode: 1
  - .args:
      - .offset:         0
        .size:           128
        .value_kind:     by_value
    .group_segment_fixed_size: 0
    .kernarg_segment_align: 8
    .kernarg_segment_size: 128
    .language:       OpenCL C
    .language_version:
      - 2
      - 0
    .max_flat_workgroup_size: 128
    .name:           _ZN7rocprim17ROCPRIM_400000_NS6detail17trampoline_kernelINS0_14default_configENS1_25partition_config_selectorILNS1_17partition_subalgoE9ExjbEEZZNS1_14partition_implILS5_9ELb0ES3_jN6thrust23THRUST_200600_302600_NS6detail15normal_iteratorINS9_10device_ptrIxEEEENSB_INSC_IjEEEEPNS0_10empty_typeENS0_5tupleIJSE_SH_EEENSJ_IJSG_SI_EEENS0_18inequality_wrapperINS9_8equal_toIxEEEEPmJSH_EEE10hipError_tPvRmT3_T4_T5_T6_T7_T9_mT8_P12ihipStream_tbDpT10_ENKUlT_T0_E_clISt17integral_constantIbLb1EES1A_EEDaS15_S16_EUlS15_E_NS1_11comp_targetILNS1_3genE3ELNS1_11target_archE908ELNS1_3gpuE7ELNS1_3repE0EEENS1_30default_config_static_selectorELNS0_4arch9wavefront6targetE0EEEvT1_
    .private_segment_fixed_size: 0
    .sgpr_count:     0
    .sgpr_spill_count: 0
    .symbol:         _ZN7rocprim17ROCPRIM_400000_NS6detail17trampoline_kernelINS0_14default_configENS1_25partition_config_selectorILNS1_17partition_subalgoE9ExjbEEZZNS1_14partition_implILS5_9ELb0ES3_jN6thrust23THRUST_200600_302600_NS6detail15normal_iteratorINS9_10device_ptrIxEEEENSB_INSC_IjEEEEPNS0_10empty_typeENS0_5tupleIJSE_SH_EEENSJ_IJSG_SI_EEENS0_18inequality_wrapperINS9_8equal_toIxEEEEPmJSH_EEE10hipError_tPvRmT3_T4_T5_T6_T7_T9_mT8_P12ihipStream_tbDpT10_ENKUlT_T0_E_clISt17integral_constantIbLb1EES1A_EEDaS15_S16_EUlS15_E_NS1_11comp_targetILNS1_3genE3ELNS1_11target_archE908ELNS1_3gpuE7ELNS1_3repE0EEENS1_30default_config_static_selectorELNS0_4arch9wavefront6targetE0EEEvT1_.kd
    .uniform_work_group_size: 1
    .uses_dynamic_stack: false
    .vgpr_count:     0
    .vgpr_spill_count: 0
    .wavefront_size: 32
    .workgroup_processor_mode: 1
  - .args:
      - .offset:         0
        .size:           128
        .value_kind:     by_value
    .group_segment_fixed_size: 0
    .kernarg_segment_align: 8
    .kernarg_segment_size: 128
    .language:       OpenCL C
    .language_version:
      - 2
      - 0
    .max_flat_workgroup_size: 256
    .name:           _ZN7rocprim17ROCPRIM_400000_NS6detail17trampoline_kernelINS0_14default_configENS1_25partition_config_selectorILNS1_17partition_subalgoE9ExjbEEZZNS1_14partition_implILS5_9ELb0ES3_jN6thrust23THRUST_200600_302600_NS6detail15normal_iteratorINS9_10device_ptrIxEEEENSB_INSC_IjEEEEPNS0_10empty_typeENS0_5tupleIJSE_SH_EEENSJ_IJSG_SI_EEENS0_18inequality_wrapperINS9_8equal_toIxEEEEPmJSH_EEE10hipError_tPvRmT3_T4_T5_T6_T7_T9_mT8_P12ihipStream_tbDpT10_ENKUlT_T0_E_clISt17integral_constantIbLb1EES1A_EEDaS15_S16_EUlS15_E_NS1_11comp_targetILNS1_3genE2ELNS1_11target_archE906ELNS1_3gpuE6ELNS1_3repE0EEENS1_30default_config_static_selectorELNS0_4arch9wavefront6targetE0EEEvT1_
    .private_segment_fixed_size: 0
    .sgpr_count:     0
    .sgpr_spill_count: 0
    .symbol:         _ZN7rocprim17ROCPRIM_400000_NS6detail17trampoline_kernelINS0_14default_configENS1_25partition_config_selectorILNS1_17partition_subalgoE9ExjbEEZZNS1_14partition_implILS5_9ELb0ES3_jN6thrust23THRUST_200600_302600_NS6detail15normal_iteratorINS9_10device_ptrIxEEEENSB_INSC_IjEEEEPNS0_10empty_typeENS0_5tupleIJSE_SH_EEENSJ_IJSG_SI_EEENS0_18inequality_wrapperINS9_8equal_toIxEEEEPmJSH_EEE10hipError_tPvRmT3_T4_T5_T6_T7_T9_mT8_P12ihipStream_tbDpT10_ENKUlT_T0_E_clISt17integral_constantIbLb1EES1A_EEDaS15_S16_EUlS15_E_NS1_11comp_targetILNS1_3genE2ELNS1_11target_archE906ELNS1_3gpuE6ELNS1_3repE0EEENS1_30default_config_static_selectorELNS0_4arch9wavefront6targetE0EEEvT1_.kd
    .uniform_work_group_size: 1
    .uses_dynamic_stack: false
    .vgpr_count:     0
    .vgpr_spill_count: 0
    .wavefront_size: 32
    .workgroup_processor_mode: 1
  - .args:
      - .offset:         0
        .size:           128
        .value_kind:     by_value
    .group_segment_fixed_size: 0
    .kernarg_segment_align: 8
    .kernarg_segment_size: 128
    .language:       OpenCL C
    .language_version:
      - 2
      - 0
    .max_flat_workgroup_size: 384
    .name:           _ZN7rocprim17ROCPRIM_400000_NS6detail17trampoline_kernelINS0_14default_configENS1_25partition_config_selectorILNS1_17partition_subalgoE9ExjbEEZZNS1_14partition_implILS5_9ELb0ES3_jN6thrust23THRUST_200600_302600_NS6detail15normal_iteratorINS9_10device_ptrIxEEEENSB_INSC_IjEEEEPNS0_10empty_typeENS0_5tupleIJSE_SH_EEENSJ_IJSG_SI_EEENS0_18inequality_wrapperINS9_8equal_toIxEEEEPmJSH_EEE10hipError_tPvRmT3_T4_T5_T6_T7_T9_mT8_P12ihipStream_tbDpT10_ENKUlT_T0_E_clISt17integral_constantIbLb1EES1A_EEDaS15_S16_EUlS15_E_NS1_11comp_targetILNS1_3genE10ELNS1_11target_archE1200ELNS1_3gpuE4ELNS1_3repE0EEENS1_30default_config_static_selectorELNS0_4arch9wavefront6targetE0EEEvT1_
    .private_segment_fixed_size: 0
    .sgpr_count:     0
    .sgpr_spill_count: 0
    .symbol:         _ZN7rocprim17ROCPRIM_400000_NS6detail17trampoline_kernelINS0_14default_configENS1_25partition_config_selectorILNS1_17partition_subalgoE9ExjbEEZZNS1_14partition_implILS5_9ELb0ES3_jN6thrust23THRUST_200600_302600_NS6detail15normal_iteratorINS9_10device_ptrIxEEEENSB_INSC_IjEEEEPNS0_10empty_typeENS0_5tupleIJSE_SH_EEENSJ_IJSG_SI_EEENS0_18inequality_wrapperINS9_8equal_toIxEEEEPmJSH_EEE10hipError_tPvRmT3_T4_T5_T6_T7_T9_mT8_P12ihipStream_tbDpT10_ENKUlT_T0_E_clISt17integral_constantIbLb1EES1A_EEDaS15_S16_EUlS15_E_NS1_11comp_targetILNS1_3genE10ELNS1_11target_archE1200ELNS1_3gpuE4ELNS1_3repE0EEENS1_30default_config_static_selectorELNS0_4arch9wavefront6targetE0EEEvT1_.kd
    .uniform_work_group_size: 1
    .uses_dynamic_stack: false
    .vgpr_count:     0
    .vgpr_spill_count: 0
    .wavefront_size: 32
    .workgroup_processor_mode: 1
  - .args:
      - .offset:         0
        .size:           128
        .value_kind:     by_value
    .group_segment_fixed_size: 33800
    .kernarg_segment_align: 8
    .kernarg_segment_size: 128
    .language:       OpenCL C
    .language_version:
      - 2
      - 0
    .max_flat_workgroup_size: 512
    .name:           _ZN7rocprim17ROCPRIM_400000_NS6detail17trampoline_kernelINS0_14default_configENS1_25partition_config_selectorILNS1_17partition_subalgoE9ExjbEEZZNS1_14partition_implILS5_9ELb0ES3_jN6thrust23THRUST_200600_302600_NS6detail15normal_iteratorINS9_10device_ptrIxEEEENSB_INSC_IjEEEEPNS0_10empty_typeENS0_5tupleIJSE_SH_EEENSJ_IJSG_SI_EEENS0_18inequality_wrapperINS9_8equal_toIxEEEEPmJSH_EEE10hipError_tPvRmT3_T4_T5_T6_T7_T9_mT8_P12ihipStream_tbDpT10_ENKUlT_T0_E_clISt17integral_constantIbLb1EES1A_EEDaS15_S16_EUlS15_E_NS1_11comp_targetILNS1_3genE9ELNS1_11target_archE1100ELNS1_3gpuE3ELNS1_3repE0EEENS1_30default_config_static_selectorELNS0_4arch9wavefront6targetE0EEEvT1_
    .private_segment_fixed_size: 0
    .sgpr_count:     32
    .sgpr_spill_count: 0
    .symbol:         _ZN7rocprim17ROCPRIM_400000_NS6detail17trampoline_kernelINS0_14default_configENS1_25partition_config_selectorILNS1_17partition_subalgoE9ExjbEEZZNS1_14partition_implILS5_9ELb0ES3_jN6thrust23THRUST_200600_302600_NS6detail15normal_iteratorINS9_10device_ptrIxEEEENSB_INSC_IjEEEEPNS0_10empty_typeENS0_5tupleIJSE_SH_EEENSJ_IJSG_SI_EEENS0_18inequality_wrapperINS9_8equal_toIxEEEEPmJSH_EEE10hipError_tPvRmT3_T4_T5_T6_T7_T9_mT8_P12ihipStream_tbDpT10_ENKUlT_T0_E_clISt17integral_constantIbLb1EES1A_EEDaS15_S16_EUlS15_E_NS1_11comp_targetILNS1_3genE9ELNS1_11target_archE1100ELNS1_3gpuE3ELNS1_3repE0EEENS1_30default_config_static_selectorELNS0_4arch9wavefront6targetE0EEEvT1_.kd
    .uniform_work_group_size: 1
    .uses_dynamic_stack: false
    .vgpr_count:     60
    .vgpr_spill_count: 0
    .wavefront_size: 32
    .workgroup_processor_mode: 1
  - .args:
      - .offset:         0
        .size:           128
        .value_kind:     by_value
    .group_segment_fixed_size: 0
    .kernarg_segment_align: 8
    .kernarg_segment_size: 128
    .language:       OpenCL C
    .language_version:
      - 2
      - 0
    .max_flat_workgroup_size: 512
    .name:           _ZN7rocprim17ROCPRIM_400000_NS6detail17trampoline_kernelINS0_14default_configENS1_25partition_config_selectorILNS1_17partition_subalgoE9ExjbEEZZNS1_14partition_implILS5_9ELb0ES3_jN6thrust23THRUST_200600_302600_NS6detail15normal_iteratorINS9_10device_ptrIxEEEENSB_INSC_IjEEEEPNS0_10empty_typeENS0_5tupleIJSE_SH_EEENSJ_IJSG_SI_EEENS0_18inequality_wrapperINS9_8equal_toIxEEEEPmJSH_EEE10hipError_tPvRmT3_T4_T5_T6_T7_T9_mT8_P12ihipStream_tbDpT10_ENKUlT_T0_E_clISt17integral_constantIbLb1EES1A_EEDaS15_S16_EUlS15_E_NS1_11comp_targetILNS1_3genE8ELNS1_11target_archE1030ELNS1_3gpuE2ELNS1_3repE0EEENS1_30default_config_static_selectorELNS0_4arch9wavefront6targetE0EEEvT1_
    .private_segment_fixed_size: 0
    .sgpr_count:     0
    .sgpr_spill_count: 0
    .symbol:         _ZN7rocprim17ROCPRIM_400000_NS6detail17trampoline_kernelINS0_14default_configENS1_25partition_config_selectorILNS1_17partition_subalgoE9ExjbEEZZNS1_14partition_implILS5_9ELb0ES3_jN6thrust23THRUST_200600_302600_NS6detail15normal_iteratorINS9_10device_ptrIxEEEENSB_INSC_IjEEEEPNS0_10empty_typeENS0_5tupleIJSE_SH_EEENSJ_IJSG_SI_EEENS0_18inequality_wrapperINS9_8equal_toIxEEEEPmJSH_EEE10hipError_tPvRmT3_T4_T5_T6_T7_T9_mT8_P12ihipStream_tbDpT10_ENKUlT_T0_E_clISt17integral_constantIbLb1EES1A_EEDaS15_S16_EUlS15_E_NS1_11comp_targetILNS1_3genE8ELNS1_11target_archE1030ELNS1_3gpuE2ELNS1_3repE0EEENS1_30default_config_static_selectorELNS0_4arch9wavefront6targetE0EEEvT1_.kd
    .uniform_work_group_size: 1
    .uses_dynamic_stack: false
    .vgpr_count:     0
    .vgpr_spill_count: 0
    .wavefront_size: 32
    .workgroup_processor_mode: 1
  - .args:
      - .offset:         0
        .size:           112
        .value_kind:     by_value
    .group_segment_fixed_size: 0
    .kernarg_segment_align: 8
    .kernarg_segment_size: 112
    .language:       OpenCL C
    .language_version:
      - 2
      - 0
    .max_flat_workgroup_size: 128
    .name:           _ZN7rocprim17ROCPRIM_400000_NS6detail17trampoline_kernelINS0_14default_configENS1_25partition_config_selectorILNS1_17partition_subalgoE9ExjbEEZZNS1_14partition_implILS5_9ELb0ES3_jN6thrust23THRUST_200600_302600_NS6detail15normal_iteratorINS9_10device_ptrIxEEEENSB_INSC_IjEEEEPNS0_10empty_typeENS0_5tupleIJSE_SH_EEENSJ_IJSG_SI_EEENS0_18inequality_wrapperINS9_8equal_toIxEEEEPmJSH_EEE10hipError_tPvRmT3_T4_T5_T6_T7_T9_mT8_P12ihipStream_tbDpT10_ENKUlT_T0_E_clISt17integral_constantIbLb1EES19_IbLb0EEEEDaS15_S16_EUlS15_E_NS1_11comp_targetILNS1_3genE0ELNS1_11target_archE4294967295ELNS1_3gpuE0ELNS1_3repE0EEENS1_30default_config_static_selectorELNS0_4arch9wavefront6targetE0EEEvT1_
    .private_segment_fixed_size: 0
    .sgpr_count:     0
    .sgpr_spill_count: 0
    .symbol:         _ZN7rocprim17ROCPRIM_400000_NS6detail17trampoline_kernelINS0_14default_configENS1_25partition_config_selectorILNS1_17partition_subalgoE9ExjbEEZZNS1_14partition_implILS5_9ELb0ES3_jN6thrust23THRUST_200600_302600_NS6detail15normal_iteratorINS9_10device_ptrIxEEEENSB_INSC_IjEEEEPNS0_10empty_typeENS0_5tupleIJSE_SH_EEENSJ_IJSG_SI_EEENS0_18inequality_wrapperINS9_8equal_toIxEEEEPmJSH_EEE10hipError_tPvRmT3_T4_T5_T6_T7_T9_mT8_P12ihipStream_tbDpT10_ENKUlT_T0_E_clISt17integral_constantIbLb1EES19_IbLb0EEEEDaS15_S16_EUlS15_E_NS1_11comp_targetILNS1_3genE0ELNS1_11target_archE4294967295ELNS1_3gpuE0ELNS1_3repE0EEENS1_30default_config_static_selectorELNS0_4arch9wavefront6targetE0EEEvT1_.kd
    .uniform_work_group_size: 1
    .uses_dynamic_stack: false
    .vgpr_count:     0
    .vgpr_spill_count: 0
    .wavefront_size: 32
    .workgroup_processor_mode: 1
  - .args:
      - .offset:         0
        .size:           112
        .value_kind:     by_value
    .group_segment_fixed_size: 0
    .kernarg_segment_align: 8
    .kernarg_segment_size: 112
    .language:       OpenCL C
    .language_version:
      - 2
      - 0
    .max_flat_workgroup_size: 512
    .name:           _ZN7rocprim17ROCPRIM_400000_NS6detail17trampoline_kernelINS0_14default_configENS1_25partition_config_selectorILNS1_17partition_subalgoE9ExjbEEZZNS1_14partition_implILS5_9ELb0ES3_jN6thrust23THRUST_200600_302600_NS6detail15normal_iteratorINS9_10device_ptrIxEEEENSB_INSC_IjEEEEPNS0_10empty_typeENS0_5tupleIJSE_SH_EEENSJ_IJSG_SI_EEENS0_18inequality_wrapperINS9_8equal_toIxEEEEPmJSH_EEE10hipError_tPvRmT3_T4_T5_T6_T7_T9_mT8_P12ihipStream_tbDpT10_ENKUlT_T0_E_clISt17integral_constantIbLb1EES19_IbLb0EEEEDaS15_S16_EUlS15_E_NS1_11comp_targetILNS1_3genE5ELNS1_11target_archE942ELNS1_3gpuE9ELNS1_3repE0EEENS1_30default_config_static_selectorELNS0_4arch9wavefront6targetE0EEEvT1_
    .private_segment_fixed_size: 0
    .sgpr_count:     0
    .sgpr_spill_count: 0
    .symbol:         _ZN7rocprim17ROCPRIM_400000_NS6detail17trampoline_kernelINS0_14default_configENS1_25partition_config_selectorILNS1_17partition_subalgoE9ExjbEEZZNS1_14partition_implILS5_9ELb0ES3_jN6thrust23THRUST_200600_302600_NS6detail15normal_iteratorINS9_10device_ptrIxEEEENSB_INSC_IjEEEEPNS0_10empty_typeENS0_5tupleIJSE_SH_EEENSJ_IJSG_SI_EEENS0_18inequality_wrapperINS9_8equal_toIxEEEEPmJSH_EEE10hipError_tPvRmT3_T4_T5_T6_T7_T9_mT8_P12ihipStream_tbDpT10_ENKUlT_T0_E_clISt17integral_constantIbLb1EES19_IbLb0EEEEDaS15_S16_EUlS15_E_NS1_11comp_targetILNS1_3genE5ELNS1_11target_archE942ELNS1_3gpuE9ELNS1_3repE0EEENS1_30default_config_static_selectorELNS0_4arch9wavefront6targetE0EEEvT1_.kd
    .uniform_work_group_size: 1
    .uses_dynamic_stack: false
    .vgpr_count:     0
    .vgpr_spill_count: 0
    .wavefront_size: 32
    .workgroup_processor_mode: 1
  - .args:
      - .offset:         0
        .size:           112
        .value_kind:     by_value
    .group_segment_fixed_size: 0
    .kernarg_segment_align: 8
    .kernarg_segment_size: 112
    .language:       OpenCL C
    .language_version:
      - 2
      - 0
    .max_flat_workgroup_size: 192
    .name:           _ZN7rocprim17ROCPRIM_400000_NS6detail17trampoline_kernelINS0_14default_configENS1_25partition_config_selectorILNS1_17partition_subalgoE9ExjbEEZZNS1_14partition_implILS5_9ELb0ES3_jN6thrust23THRUST_200600_302600_NS6detail15normal_iteratorINS9_10device_ptrIxEEEENSB_INSC_IjEEEEPNS0_10empty_typeENS0_5tupleIJSE_SH_EEENSJ_IJSG_SI_EEENS0_18inequality_wrapperINS9_8equal_toIxEEEEPmJSH_EEE10hipError_tPvRmT3_T4_T5_T6_T7_T9_mT8_P12ihipStream_tbDpT10_ENKUlT_T0_E_clISt17integral_constantIbLb1EES19_IbLb0EEEEDaS15_S16_EUlS15_E_NS1_11comp_targetILNS1_3genE4ELNS1_11target_archE910ELNS1_3gpuE8ELNS1_3repE0EEENS1_30default_config_static_selectorELNS0_4arch9wavefront6targetE0EEEvT1_
    .private_segment_fixed_size: 0
    .sgpr_count:     0
    .sgpr_spill_count: 0
    .symbol:         _ZN7rocprim17ROCPRIM_400000_NS6detail17trampoline_kernelINS0_14default_configENS1_25partition_config_selectorILNS1_17partition_subalgoE9ExjbEEZZNS1_14partition_implILS5_9ELb0ES3_jN6thrust23THRUST_200600_302600_NS6detail15normal_iteratorINS9_10device_ptrIxEEEENSB_INSC_IjEEEEPNS0_10empty_typeENS0_5tupleIJSE_SH_EEENSJ_IJSG_SI_EEENS0_18inequality_wrapperINS9_8equal_toIxEEEEPmJSH_EEE10hipError_tPvRmT3_T4_T5_T6_T7_T9_mT8_P12ihipStream_tbDpT10_ENKUlT_T0_E_clISt17integral_constantIbLb1EES19_IbLb0EEEEDaS15_S16_EUlS15_E_NS1_11comp_targetILNS1_3genE4ELNS1_11target_archE910ELNS1_3gpuE8ELNS1_3repE0EEENS1_30default_config_static_selectorELNS0_4arch9wavefront6targetE0EEEvT1_.kd
    .uniform_work_group_size: 1
    .uses_dynamic_stack: false
    .vgpr_count:     0
    .vgpr_spill_count: 0
    .wavefront_size: 32
    .workgroup_processor_mode: 1
  - .args:
      - .offset:         0
        .size:           112
        .value_kind:     by_value
    .group_segment_fixed_size: 0
    .kernarg_segment_align: 8
    .kernarg_segment_size: 112
    .language:       OpenCL C
    .language_version:
      - 2
      - 0
    .max_flat_workgroup_size: 128
    .name:           _ZN7rocprim17ROCPRIM_400000_NS6detail17trampoline_kernelINS0_14default_configENS1_25partition_config_selectorILNS1_17partition_subalgoE9ExjbEEZZNS1_14partition_implILS5_9ELb0ES3_jN6thrust23THRUST_200600_302600_NS6detail15normal_iteratorINS9_10device_ptrIxEEEENSB_INSC_IjEEEEPNS0_10empty_typeENS0_5tupleIJSE_SH_EEENSJ_IJSG_SI_EEENS0_18inequality_wrapperINS9_8equal_toIxEEEEPmJSH_EEE10hipError_tPvRmT3_T4_T5_T6_T7_T9_mT8_P12ihipStream_tbDpT10_ENKUlT_T0_E_clISt17integral_constantIbLb1EES19_IbLb0EEEEDaS15_S16_EUlS15_E_NS1_11comp_targetILNS1_3genE3ELNS1_11target_archE908ELNS1_3gpuE7ELNS1_3repE0EEENS1_30default_config_static_selectorELNS0_4arch9wavefront6targetE0EEEvT1_
    .private_segment_fixed_size: 0
    .sgpr_count:     0
    .sgpr_spill_count: 0
    .symbol:         _ZN7rocprim17ROCPRIM_400000_NS6detail17trampoline_kernelINS0_14default_configENS1_25partition_config_selectorILNS1_17partition_subalgoE9ExjbEEZZNS1_14partition_implILS5_9ELb0ES3_jN6thrust23THRUST_200600_302600_NS6detail15normal_iteratorINS9_10device_ptrIxEEEENSB_INSC_IjEEEEPNS0_10empty_typeENS0_5tupleIJSE_SH_EEENSJ_IJSG_SI_EEENS0_18inequality_wrapperINS9_8equal_toIxEEEEPmJSH_EEE10hipError_tPvRmT3_T4_T5_T6_T7_T9_mT8_P12ihipStream_tbDpT10_ENKUlT_T0_E_clISt17integral_constantIbLb1EES19_IbLb0EEEEDaS15_S16_EUlS15_E_NS1_11comp_targetILNS1_3genE3ELNS1_11target_archE908ELNS1_3gpuE7ELNS1_3repE0EEENS1_30default_config_static_selectorELNS0_4arch9wavefront6targetE0EEEvT1_.kd
    .uniform_work_group_size: 1
    .uses_dynamic_stack: false
    .vgpr_count:     0
    .vgpr_spill_count: 0
    .wavefront_size: 32
    .workgroup_processor_mode: 1
  - .args:
      - .offset:         0
        .size:           112
        .value_kind:     by_value
    .group_segment_fixed_size: 0
    .kernarg_segment_align: 8
    .kernarg_segment_size: 112
    .language:       OpenCL C
    .language_version:
      - 2
      - 0
    .max_flat_workgroup_size: 256
    .name:           _ZN7rocprim17ROCPRIM_400000_NS6detail17trampoline_kernelINS0_14default_configENS1_25partition_config_selectorILNS1_17partition_subalgoE9ExjbEEZZNS1_14partition_implILS5_9ELb0ES3_jN6thrust23THRUST_200600_302600_NS6detail15normal_iteratorINS9_10device_ptrIxEEEENSB_INSC_IjEEEEPNS0_10empty_typeENS0_5tupleIJSE_SH_EEENSJ_IJSG_SI_EEENS0_18inequality_wrapperINS9_8equal_toIxEEEEPmJSH_EEE10hipError_tPvRmT3_T4_T5_T6_T7_T9_mT8_P12ihipStream_tbDpT10_ENKUlT_T0_E_clISt17integral_constantIbLb1EES19_IbLb0EEEEDaS15_S16_EUlS15_E_NS1_11comp_targetILNS1_3genE2ELNS1_11target_archE906ELNS1_3gpuE6ELNS1_3repE0EEENS1_30default_config_static_selectorELNS0_4arch9wavefront6targetE0EEEvT1_
    .private_segment_fixed_size: 0
    .sgpr_count:     0
    .sgpr_spill_count: 0
    .symbol:         _ZN7rocprim17ROCPRIM_400000_NS6detail17trampoline_kernelINS0_14default_configENS1_25partition_config_selectorILNS1_17partition_subalgoE9ExjbEEZZNS1_14partition_implILS5_9ELb0ES3_jN6thrust23THRUST_200600_302600_NS6detail15normal_iteratorINS9_10device_ptrIxEEEENSB_INSC_IjEEEEPNS0_10empty_typeENS0_5tupleIJSE_SH_EEENSJ_IJSG_SI_EEENS0_18inequality_wrapperINS9_8equal_toIxEEEEPmJSH_EEE10hipError_tPvRmT3_T4_T5_T6_T7_T9_mT8_P12ihipStream_tbDpT10_ENKUlT_T0_E_clISt17integral_constantIbLb1EES19_IbLb0EEEEDaS15_S16_EUlS15_E_NS1_11comp_targetILNS1_3genE2ELNS1_11target_archE906ELNS1_3gpuE6ELNS1_3repE0EEENS1_30default_config_static_selectorELNS0_4arch9wavefront6targetE0EEEvT1_.kd
    .uniform_work_group_size: 1
    .uses_dynamic_stack: false
    .vgpr_count:     0
    .vgpr_spill_count: 0
    .wavefront_size: 32
    .workgroup_processor_mode: 1
  - .args:
      - .offset:         0
        .size:           112
        .value_kind:     by_value
    .group_segment_fixed_size: 0
    .kernarg_segment_align: 8
    .kernarg_segment_size: 112
    .language:       OpenCL C
    .language_version:
      - 2
      - 0
    .max_flat_workgroup_size: 384
    .name:           _ZN7rocprim17ROCPRIM_400000_NS6detail17trampoline_kernelINS0_14default_configENS1_25partition_config_selectorILNS1_17partition_subalgoE9ExjbEEZZNS1_14partition_implILS5_9ELb0ES3_jN6thrust23THRUST_200600_302600_NS6detail15normal_iteratorINS9_10device_ptrIxEEEENSB_INSC_IjEEEEPNS0_10empty_typeENS0_5tupleIJSE_SH_EEENSJ_IJSG_SI_EEENS0_18inequality_wrapperINS9_8equal_toIxEEEEPmJSH_EEE10hipError_tPvRmT3_T4_T5_T6_T7_T9_mT8_P12ihipStream_tbDpT10_ENKUlT_T0_E_clISt17integral_constantIbLb1EES19_IbLb0EEEEDaS15_S16_EUlS15_E_NS1_11comp_targetILNS1_3genE10ELNS1_11target_archE1200ELNS1_3gpuE4ELNS1_3repE0EEENS1_30default_config_static_selectorELNS0_4arch9wavefront6targetE0EEEvT1_
    .private_segment_fixed_size: 0
    .sgpr_count:     0
    .sgpr_spill_count: 0
    .symbol:         _ZN7rocprim17ROCPRIM_400000_NS6detail17trampoline_kernelINS0_14default_configENS1_25partition_config_selectorILNS1_17partition_subalgoE9ExjbEEZZNS1_14partition_implILS5_9ELb0ES3_jN6thrust23THRUST_200600_302600_NS6detail15normal_iteratorINS9_10device_ptrIxEEEENSB_INSC_IjEEEEPNS0_10empty_typeENS0_5tupleIJSE_SH_EEENSJ_IJSG_SI_EEENS0_18inequality_wrapperINS9_8equal_toIxEEEEPmJSH_EEE10hipError_tPvRmT3_T4_T5_T6_T7_T9_mT8_P12ihipStream_tbDpT10_ENKUlT_T0_E_clISt17integral_constantIbLb1EES19_IbLb0EEEEDaS15_S16_EUlS15_E_NS1_11comp_targetILNS1_3genE10ELNS1_11target_archE1200ELNS1_3gpuE4ELNS1_3repE0EEENS1_30default_config_static_selectorELNS0_4arch9wavefront6targetE0EEEvT1_.kd
    .uniform_work_group_size: 1
    .uses_dynamic_stack: false
    .vgpr_count:     0
    .vgpr_spill_count: 0
    .wavefront_size: 32
    .workgroup_processor_mode: 1
  - .args:
      - .offset:         0
        .size:           112
        .value_kind:     by_value
    .group_segment_fixed_size: 33800
    .kernarg_segment_align: 8
    .kernarg_segment_size: 112
    .language:       OpenCL C
    .language_version:
      - 2
      - 0
    .max_flat_workgroup_size: 512
    .name:           _ZN7rocprim17ROCPRIM_400000_NS6detail17trampoline_kernelINS0_14default_configENS1_25partition_config_selectorILNS1_17partition_subalgoE9ExjbEEZZNS1_14partition_implILS5_9ELb0ES3_jN6thrust23THRUST_200600_302600_NS6detail15normal_iteratorINS9_10device_ptrIxEEEENSB_INSC_IjEEEEPNS0_10empty_typeENS0_5tupleIJSE_SH_EEENSJ_IJSG_SI_EEENS0_18inequality_wrapperINS9_8equal_toIxEEEEPmJSH_EEE10hipError_tPvRmT3_T4_T5_T6_T7_T9_mT8_P12ihipStream_tbDpT10_ENKUlT_T0_E_clISt17integral_constantIbLb1EES19_IbLb0EEEEDaS15_S16_EUlS15_E_NS1_11comp_targetILNS1_3genE9ELNS1_11target_archE1100ELNS1_3gpuE3ELNS1_3repE0EEENS1_30default_config_static_selectorELNS0_4arch9wavefront6targetE0EEEvT1_
    .private_segment_fixed_size: 0
    .sgpr_count:     26
    .sgpr_spill_count: 0
    .symbol:         _ZN7rocprim17ROCPRIM_400000_NS6detail17trampoline_kernelINS0_14default_configENS1_25partition_config_selectorILNS1_17partition_subalgoE9ExjbEEZZNS1_14partition_implILS5_9ELb0ES3_jN6thrust23THRUST_200600_302600_NS6detail15normal_iteratorINS9_10device_ptrIxEEEENSB_INSC_IjEEEEPNS0_10empty_typeENS0_5tupleIJSE_SH_EEENSJ_IJSG_SI_EEENS0_18inequality_wrapperINS9_8equal_toIxEEEEPmJSH_EEE10hipError_tPvRmT3_T4_T5_T6_T7_T9_mT8_P12ihipStream_tbDpT10_ENKUlT_T0_E_clISt17integral_constantIbLb1EES19_IbLb0EEEEDaS15_S16_EUlS15_E_NS1_11comp_targetILNS1_3genE9ELNS1_11target_archE1100ELNS1_3gpuE3ELNS1_3repE0EEENS1_30default_config_static_selectorELNS0_4arch9wavefront6targetE0EEEvT1_.kd
    .uniform_work_group_size: 1
    .uses_dynamic_stack: false
    .vgpr_count:     60
    .vgpr_spill_count: 0
    .wavefront_size: 32
    .workgroup_processor_mode: 1
  - .args:
      - .offset:         0
        .size:           112
        .value_kind:     by_value
    .group_segment_fixed_size: 0
    .kernarg_segment_align: 8
    .kernarg_segment_size: 112
    .language:       OpenCL C
    .language_version:
      - 2
      - 0
    .max_flat_workgroup_size: 512
    .name:           _ZN7rocprim17ROCPRIM_400000_NS6detail17trampoline_kernelINS0_14default_configENS1_25partition_config_selectorILNS1_17partition_subalgoE9ExjbEEZZNS1_14partition_implILS5_9ELb0ES3_jN6thrust23THRUST_200600_302600_NS6detail15normal_iteratorINS9_10device_ptrIxEEEENSB_INSC_IjEEEEPNS0_10empty_typeENS0_5tupleIJSE_SH_EEENSJ_IJSG_SI_EEENS0_18inequality_wrapperINS9_8equal_toIxEEEEPmJSH_EEE10hipError_tPvRmT3_T4_T5_T6_T7_T9_mT8_P12ihipStream_tbDpT10_ENKUlT_T0_E_clISt17integral_constantIbLb1EES19_IbLb0EEEEDaS15_S16_EUlS15_E_NS1_11comp_targetILNS1_3genE8ELNS1_11target_archE1030ELNS1_3gpuE2ELNS1_3repE0EEENS1_30default_config_static_selectorELNS0_4arch9wavefront6targetE0EEEvT1_
    .private_segment_fixed_size: 0
    .sgpr_count:     0
    .sgpr_spill_count: 0
    .symbol:         _ZN7rocprim17ROCPRIM_400000_NS6detail17trampoline_kernelINS0_14default_configENS1_25partition_config_selectorILNS1_17partition_subalgoE9ExjbEEZZNS1_14partition_implILS5_9ELb0ES3_jN6thrust23THRUST_200600_302600_NS6detail15normal_iteratorINS9_10device_ptrIxEEEENSB_INSC_IjEEEEPNS0_10empty_typeENS0_5tupleIJSE_SH_EEENSJ_IJSG_SI_EEENS0_18inequality_wrapperINS9_8equal_toIxEEEEPmJSH_EEE10hipError_tPvRmT3_T4_T5_T6_T7_T9_mT8_P12ihipStream_tbDpT10_ENKUlT_T0_E_clISt17integral_constantIbLb1EES19_IbLb0EEEEDaS15_S16_EUlS15_E_NS1_11comp_targetILNS1_3genE8ELNS1_11target_archE1030ELNS1_3gpuE2ELNS1_3repE0EEENS1_30default_config_static_selectorELNS0_4arch9wavefront6targetE0EEEvT1_.kd
    .uniform_work_group_size: 1
    .uses_dynamic_stack: false
    .vgpr_count:     0
    .vgpr_spill_count: 0
    .wavefront_size: 32
    .workgroup_processor_mode: 1
  - .args:
      - .offset:         0
        .size:           128
        .value_kind:     by_value
    .group_segment_fixed_size: 0
    .kernarg_segment_align: 8
    .kernarg_segment_size: 128
    .language:       OpenCL C
    .language_version:
      - 2
      - 0
    .max_flat_workgroup_size: 128
    .name:           _ZN7rocprim17ROCPRIM_400000_NS6detail17trampoline_kernelINS0_14default_configENS1_25partition_config_selectorILNS1_17partition_subalgoE9ExjbEEZZNS1_14partition_implILS5_9ELb0ES3_jN6thrust23THRUST_200600_302600_NS6detail15normal_iteratorINS9_10device_ptrIxEEEENSB_INSC_IjEEEEPNS0_10empty_typeENS0_5tupleIJSE_SH_EEENSJ_IJSG_SI_EEENS0_18inequality_wrapperINS9_8equal_toIxEEEEPmJSH_EEE10hipError_tPvRmT3_T4_T5_T6_T7_T9_mT8_P12ihipStream_tbDpT10_ENKUlT_T0_E_clISt17integral_constantIbLb0EES19_IbLb1EEEEDaS15_S16_EUlS15_E_NS1_11comp_targetILNS1_3genE0ELNS1_11target_archE4294967295ELNS1_3gpuE0ELNS1_3repE0EEENS1_30default_config_static_selectorELNS0_4arch9wavefront6targetE0EEEvT1_
    .private_segment_fixed_size: 0
    .sgpr_count:     0
    .sgpr_spill_count: 0
    .symbol:         _ZN7rocprim17ROCPRIM_400000_NS6detail17trampoline_kernelINS0_14default_configENS1_25partition_config_selectorILNS1_17partition_subalgoE9ExjbEEZZNS1_14partition_implILS5_9ELb0ES3_jN6thrust23THRUST_200600_302600_NS6detail15normal_iteratorINS9_10device_ptrIxEEEENSB_INSC_IjEEEEPNS0_10empty_typeENS0_5tupleIJSE_SH_EEENSJ_IJSG_SI_EEENS0_18inequality_wrapperINS9_8equal_toIxEEEEPmJSH_EEE10hipError_tPvRmT3_T4_T5_T6_T7_T9_mT8_P12ihipStream_tbDpT10_ENKUlT_T0_E_clISt17integral_constantIbLb0EES19_IbLb1EEEEDaS15_S16_EUlS15_E_NS1_11comp_targetILNS1_3genE0ELNS1_11target_archE4294967295ELNS1_3gpuE0ELNS1_3repE0EEENS1_30default_config_static_selectorELNS0_4arch9wavefront6targetE0EEEvT1_.kd
    .uniform_work_group_size: 1
    .uses_dynamic_stack: false
    .vgpr_count:     0
    .vgpr_spill_count: 0
    .wavefront_size: 32
    .workgroup_processor_mode: 1
  - .args:
      - .offset:         0
        .size:           128
        .value_kind:     by_value
    .group_segment_fixed_size: 0
    .kernarg_segment_align: 8
    .kernarg_segment_size: 128
    .language:       OpenCL C
    .language_version:
      - 2
      - 0
    .max_flat_workgroup_size: 512
    .name:           _ZN7rocprim17ROCPRIM_400000_NS6detail17trampoline_kernelINS0_14default_configENS1_25partition_config_selectorILNS1_17partition_subalgoE9ExjbEEZZNS1_14partition_implILS5_9ELb0ES3_jN6thrust23THRUST_200600_302600_NS6detail15normal_iteratorINS9_10device_ptrIxEEEENSB_INSC_IjEEEEPNS0_10empty_typeENS0_5tupleIJSE_SH_EEENSJ_IJSG_SI_EEENS0_18inequality_wrapperINS9_8equal_toIxEEEEPmJSH_EEE10hipError_tPvRmT3_T4_T5_T6_T7_T9_mT8_P12ihipStream_tbDpT10_ENKUlT_T0_E_clISt17integral_constantIbLb0EES19_IbLb1EEEEDaS15_S16_EUlS15_E_NS1_11comp_targetILNS1_3genE5ELNS1_11target_archE942ELNS1_3gpuE9ELNS1_3repE0EEENS1_30default_config_static_selectorELNS0_4arch9wavefront6targetE0EEEvT1_
    .private_segment_fixed_size: 0
    .sgpr_count:     0
    .sgpr_spill_count: 0
    .symbol:         _ZN7rocprim17ROCPRIM_400000_NS6detail17trampoline_kernelINS0_14default_configENS1_25partition_config_selectorILNS1_17partition_subalgoE9ExjbEEZZNS1_14partition_implILS5_9ELb0ES3_jN6thrust23THRUST_200600_302600_NS6detail15normal_iteratorINS9_10device_ptrIxEEEENSB_INSC_IjEEEEPNS0_10empty_typeENS0_5tupleIJSE_SH_EEENSJ_IJSG_SI_EEENS0_18inequality_wrapperINS9_8equal_toIxEEEEPmJSH_EEE10hipError_tPvRmT3_T4_T5_T6_T7_T9_mT8_P12ihipStream_tbDpT10_ENKUlT_T0_E_clISt17integral_constantIbLb0EES19_IbLb1EEEEDaS15_S16_EUlS15_E_NS1_11comp_targetILNS1_3genE5ELNS1_11target_archE942ELNS1_3gpuE9ELNS1_3repE0EEENS1_30default_config_static_selectorELNS0_4arch9wavefront6targetE0EEEvT1_.kd
    .uniform_work_group_size: 1
    .uses_dynamic_stack: false
    .vgpr_count:     0
    .vgpr_spill_count: 0
    .wavefront_size: 32
    .workgroup_processor_mode: 1
  - .args:
      - .offset:         0
        .size:           128
        .value_kind:     by_value
    .group_segment_fixed_size: 0
    .kernarg_segment_align: 8
    .kernarg_segment_size: 128
    .language:       OpenCL C
    .language_version:
      - 2
      - 0
    .max_flat_workgroup_size: 192
    .name:           _ZN7rocprim17ROCPRIM_400000_NS6detail17trampoline_kernelINS0_14default_configENS1_25partition_config_selectorILNS1_17partition_subalgoE9ExjbEEZZNS1_14partition_implILS5_9ELb0ES3_jN6thrust23THRUST_200600_302600_NS6detail15normal_iteratorINS9_10device_ptrIxEEEENSB_INSC_IjEEEEPNS0_10empty_typeENS0_5tupleIJSE_SH_EEENSJ_IJSG_SI_EEENS0_18inequality_wrapperINS9_8equal_toIxEEEEPmJSH_EEE10hipError_tPvRmT3_T4_T5_T6_T7_T9_mT8_P12ihipStream_tbDpT10_ENKUlT_T0_E_clISt17integral_constantIbLb0EES19_IbLb1EEEEDaS15_S16_EUlS15_E_NS1_11comp_targetILNS1_3genE4ELNS1_11target_archE910ELNS1_3gpuE8ELNS1_3repE0EEENS1_30default_config_static_selectorELNS0_4arch9wavefront6targetE0EEEvT1_
    .private_segment_fixed_size: 0
    .sgpr_count:     0
    .sgpr_spill_count: 0
    .symbol:         _ZN7rocprim17ROCPRIM_400000_NS6detail17trampoline_kernelINS0_14default_configENS1_25partition_config_selectorILNS1_17partition_subalgoE9ExjbEEZZNS1_14partition_implILS5_9ELb0ES3_jN6thrust23THRUST_200600_302600_NS6detail15normal_iteratorINS9_10device_ptrIxEEEENSB_INSC_IjEEEEPNS0_10empty_typeENS0_5tupleIJSE_SH_EEENSJ_IJSG_SI_EEENS0_18inequality_wrapperINS9_8equal_toIxEEEEPmJSH_EEE10hipError_tPvRmT3_T4_T5_T6_T7_T9_mT8_P12ihipStream_tbDpT10_ENKUlT_T0_E_clISt17integral_constantIbLb0EES19_IbLb1EEEEDaS15_S16_EUlS15_E_NS1_11comp_targetILNS1_3genE4ELNS1_11target_archE910ELNS1_3gpuE8ELNS1_3repE0EEENS1_30default_config_static_selectorELNS0_4arch9wavefront6targetE0EEEvT1_.kd
    .uniform_work_group_size: 1
    .uses_dynamic_stack: false
    .vgpr_count:     0
    .vgpr_spill_count: 0
    .wavefront_size: 32
    .workgroup_processor_mode: 1
  - .args:
      - .offset:         0
        .size:           128
        .value_kind:     by_value
    .group_segment_fixed_size: 0
    .kernarg_segment_align: 8
    .kernarg_segment_size: 128
    .language:       OpenCL C
    .language_version:
      - 2
      - 0
    .max_flat_workgroup_size: 128
    .name:           _ZN7rocprim17ROCPRIM_400000_NS6detail17trampoline_kernelINS0_14default_configENS1_25partition_config_selectorILNS1_17partition_subalgoE9ExjbEEZZNS1_14partition_implILS5_9ELb0ES3_jN6thrust23THRUST_200600_302600_NS6detail15normal_iteratorINS9_10device_ptrIxEEEENSB_INSC_IjEEEEPNS0_10empty_typeENS0_5tupleIJSE_SH_EEENSJ_IJSG_SI_EEENS0_18inequality_wrapperINS9_8equal_toIxEEEEPmJSH_EEE10hipError_tPvRmT3_T4_T5_T6_T7_T9_mT8_P12ihipStream_tbDpT10_ENKUlT_T0_E_clISt17integral_constantIbLb0EES19_IbLb1EEEEDaS15_S16_EUlS15_E_NS1_11comp_targetILNS1_3genE3ELNS1_11target_archE908ELNS1_3gpuE7ELNS1_3repE0EEENS1_30default_config_static_selectorELNS0_4arch9wavefront6targetE0EEEvT1_
    .private_segment_fixed_size: 0
    .sgpr_count:     0
    .sgpr_spill_count: 0
    .symbol:         _ZN7rocprim17ROCPRIM_400000_NS6detail17trampoline_kernelINS0_14default_configENS1_25partition_config_selectorILNS1_17partition_subalgoE9ExjbEEZZNS1_14partition_implILS5_9ELb0ES3_jN6thrust23THRUST_200600_302600_NS6detail15normal_iteratorINS9_10device_ptrIxEEEENSB_INSC_IjEEEEPNS0_10empty_typeENS0_5tupleIJSE_SH_EEENSJ_IJSG_SI_EEENS0_18inequality_wrapperINS9_8equal_toIxEEEEPmJSH_EEE10hipError_tPvRmT3_T4_T5_T6_T7_T9_mT8_P12ihipStream_tbDpT10_ENKUlT_T0_E_clISt17integral_constantIbLb0EES19_IbLb1EEEEDaS15_S16_EUlS15_E_NS1_11comp_targetILNS1_3genE3ELNS1_11target_archE908ELNS1_3gpuE7ELNS1_3repE0EEENS1_30default_config_static_selectorELNS0_4arch9wavefront6targetE0EEEvT1_.kd
    .uniform_work_group_size: 1
    .uses_dynamic_stack: false
    .vgpr_count:     0
    .vgpr_spill_count: 0
    .wavefront_size: 32
    .workgroup_processor_mode: 1
  - .args:
      - .offset:         0
        .size:           128
        .value_kind:     by_value
    .group_segment_fixed_size: 0
    .kernarg_segment_align: 8
    .kernarg_segment_size: 128
    .language:       OpenCL C
    .language_version:
      - 2
      - 0
    .max_flat_workgroup_size: 256
    .name:           _ZN7rocprim17ROCPRIM_400000_NS6detail17trampoline_kernelINS0_14default_configENS1_25partition_config_selectorILNS1_17partition_subalgoE9ExjbEEZZNS1_14partition_implILS5_9ELb0ES3_jN6thrust23THRUST_200600_302600_NS6detail15normal_iteratorINS9_10device_ptrIxEEEENSB_INSC_IjEEEEPNS0_10empty_typeENS0_5tupleIJSE_SH_EEENSJ_IJSG_SI_EEENS0_18inequality_wrapperINS9_8equal_toIxEEEEPmJSH_EEE10hipError_tPvRmT3_T4_T5_T6_T7_T9_mT8_P12ihipStream_tbDpT10_ENKUlT_T0_E_clISt17integral_constantIbLb0EES19_IbLb1EEEEDaS15_S16_EUlS15_E_NS1_11comp_targetILNS1_3genE2ELNS1_11target_archE906ELNS1_3gpuE6ELNS1_3repE0EEENS1_30default_config_static_selectorELNS0_4arch9wavefront6targetE0EEEvT1_
    .private_segment_fixed_size: 0
    .sgpr_count:     0
    .sgpr_spill_count: 0
    .symbol:         _ZN7rocprim17ROCPRIM_400000_NS6detail17trampoline_kernelINS0_14default_configENS1_25partition_config_selectorILNS1_17partition_subalgoE9ExjbEEZZNS1_14partition_implILS5_9ELb0ES3_jN6thrust23THRUST_200600_302600_NS6detail15normal_iteratorINS9_10device_ptrIxEEEENSB_INSC_IjEEEEPNS0_10empty_typeENS0_5tupleIJSE_SH_EEENSJ_IJSG_SI_EEENS0_18inequality_wrapperINS9_8equal_toIxEEEEPmJSH_EEE10hipError_tPvRmT3_T4_T5_T6_T7_T9_mT8_P12ihipStream_tbDpT10_ENKUlT_T0_E_clISt17integral_constantIbLb0EES19_IbLb1EEEEDaS15_S16_EUlS15_E_NS1_11comp_targetILNS1_3genE2ELNS1_11target_archE906ELNS1_3gpuE6ELNS1_3repE0EEENS1_30default_config_static_selectorELNS0_4arch9wavefront6targetE0EEEvT1_.kd
    .uniform_work_group_size: 1
    .uses_dynamic_stack: false
    .vgpr_count:     0
    .vgpr_spill_count: 0
    .wavefront_size: 32
    .workgroup_processor_mode: 1
  - .args:
      - .offset:         0
        .size:           128
        .value_kind:     by_value
    .group_segment_fixed_size: 0
    .kernarg_segment_align: 8
    .kernarg_segment_size: 128
    .language:       OpenCL C
    .language_version:
      - 2
      - 0
    .max_flat_workgroup_size: 384
    .name:           _ZN7rocprim17ROCPRIM_400000_NS6detail17trampoline_kernelINS0_14default_configENS1_25partition_config_selectorILNS1_17partition_subalgoE9ExjbEEZZNS1_14partition_implILS5_9ELb0ES3_jN6thrust23THRUST_200600_302600_NS6detail15normal_iteratorINS9_10device_ptrIxEEEENSB_INSC_IjEEEEPNS0_10empty_typeENS0_5tupleIJSE_SH_EEENSJ_IJSG_SI_EEENS0_18inequality_wrapperINS9_8equal_toIxEEEEPmJSH_EEE10hipError_tPvRmT3_T4_T5_T6_T7_T9_mT8_P12ihipStream_tbDpT10_ENKUlT_T0_E_clISt17integral_constantIbLb0EES19_IbLb1EEEEDaS15_S16_EUlS15_E_NS1_11comp_targetILNS1_3genE10ELNS1_11target_archE1200ELNS1_3gpuE4ELNS1_3repE0EEENS1_30default_config_static_selectorELNS0_4arch9wavefront6targetE0EEEvT1_
    .private_segment_fixed_size: 0
    .sgpr_count:     0
    .sgpr_spill_count: 0
    .symbol:         _ZN7rocprim17ROCPRIM_400000_NS6detail17trampoline_kernelINS0_14default_configENS1_25partition_config_selectorILNS1_17partition_subalgoE9ExjbEEZZNS1_14partition_implILS5_9ELb0ES3_jN6thrust23THRUST_200600_302600_NS6detail15normal_iteratorINS9_10device_ptrIxEEEENSB_INSC_IjEEEEPNS0_10empty_typeENS0_5tupleIJSE_SH_EEENSJ_IJSG_SI_EEENS0_18inequality_wrapperINS9_8equal_toIxEEEEPmJSH_EEE10hipError_tPvRmT3_T4_T5_T6_T7_T9_mT8_P12ihipStream_tbDpT10_ENKUlT_T0_E_clISt17integral_constantIbLb0EES19_IbLb1EEEEDaS15_S16_EUlS15_E_NS1_11comp_targetILNS1_3genE10ELNS1_11target_archE1200ELNS1_3gpuE4ELNS1_3repE0EEENS1_30default_config_static_selectorELNS0_4arch9wavefront6targetE0EEEvT1_.kd
    .uniform_work_group_size: 1
    .uses_dynamic_stack: false
    .vgpr_count:     0
    .vgpr_spill_count: 0
    .wavefront_size: 32
    .workgroup_processor_mode: 1
  - .args:
      - .offset:         0
        .size:           128
        .value_kind:     by_value
    .group_segment_fixed_size: 33800
    .kernarg_segment_align: 8
    .kernarg_segment_size: 128
    .language:       OpenCL C
    .language_version:
      - 2
      - 0
    .max_flat_workgroup_size: 512
    .name:           _ZN7rocprim17ROCPRIM_400000_NS6detail17trampoline_kernelINS0_14default_configENS1_25partition_config_selectorILNS1_17partition_subalgoE9ExjbEEZZNS1_14partition_implILS5_9ELb0ES3_jN6thrust23THRUST_200600_302600_NS6detail15normal_iteratorINS9_10device_ptrIxEEEENSB_INSC_IjEEEEPNS0_10empty_typeENS0_5tupleIJSE_SH_EEENSJ_IJSG_SI_EEENS0_18inequality_wrapperINS9_8equal_toIxEEEEPmJSH_EEE10hipError_tPvRmT3_T4_T5_T6_T7_T9_mT8_P12ihipStream_tbDpT10_ENKUlT_T0_E_clISt17integral_constantIbLb0EES19_IbLb1EEEEDaS15_S16_EUlS15_E_NS1_11comp_targetILNS1_3genE9ELNS1_11target_archE1100ELNS1_3gpuE3ELNS1_3repE0EEENS1_30default_config_static_selectorELNS0_4arch9wavefront6targetE0EEEvT1_
    .private_segment_fixed_size: 0
    .sgpr_count:     32
    .sgpr_spill_count: 0
    .symbol:         _ZN7rocprim17ROCPRIM_400000_NS6detail17trampoline_kernelINS0_14default_configENS1_25partition_config_selectorILNS1_17partition_subalgoE9ExjbEEZZNS1_14partition_implILS5_9ELb0ES3_jN6thrust23THRUST_200600_302600_NS6detail15normal_iteratorINS9_10device_ptrIxEEEENSB_INSC_IjEEEEPNS0_10empty_typeENS0_5tupleIJSE_SH_EEENSJ_IJSG_SI_EEENS0_18inequality_wrapperINS9_8equal_toIxEEEEPmJSH_EEE10hipError_tPvRmT3_T4_T5_T6_T7_T9_mT8_P12ihipStream_tbDpT10_ENKUlT_T0_E_clISt17integral_constantIbLb0EES19_IbLb1EEEEDaS15_S16_EUlS15_E_NS1_11comp_targetILNS1_3genE9ELNS1_11target_archE1100ELNS1_3gpuE3ELNS1_3repE0EEENS1_30default_config_static_selectorELNS0_4arch9wavefront6targetE0EEEvT1_.kd
    .uniform_work_group_size: 1
    .uses_dynamic_stack: false
    .vgpr_count:     60
    .vgpr_spill_count: 0
    .wavefront_size: 32
    .workgroup_processor_mode: 1
  - .args:
      - .offset:         0
        .size:           128
        .value_kind:     by_value
    .group_segment_fixed_size: 0
    .kernarg_segment_align: 8
    .kernarg_segment_size: 128
    .language:       OpenCL C
    .language_version:
      - 2
      - 0
    .max_flat_workgroup_size: 512
    .name:           _ZN7rocprim17ROCPRIM_400000_NS6detail17trampoline_kernelINS0_14default_configENS1_25partition_config_selectorILNS1_17partition_subalgoE9ExjbEEZZNS1_14partition_implILS5_9ELb0ES3_jN6thrust23THRUST_200600_302600_NS6detail15normal_iteratorINS9_10device_ptrIxEEEENSB_INSC_IjEEEEPNS0_10empty_typeENS0_5tupleIJSE_SH_EEENSJ_IJSG_SI_EEENS0_18inequality_wrapperINS9_8equal_toIxEEEEPmJSH_EEE10hipError_tPvRmT3_T4_T5_T6_T7_T9_mT8_P12ihipStream_tbDpT10_ENKUlT_T0_E_clISt17integral_constantIbLb0EES19_IbLb1EEEEDaS15_S16_EUlS15_E_NS1_11comp_targetILNS1_3genE8ELNS1_11target_archE1030ELNS1_3gpuE2ELNS1_3repE0EEENS1_30default_config_static_selectorELNS0_4arch9wavefront6targetE0EEEvT1_
    .private_segment_fixed_size: 0
    .sgpr_count:     0
    .sgpr_spill_count: 0
    .symbol:         _ZN7rocprim17ROCPRIM_400000_NS6detail17trampoline_kernelINS0_14default_configENS1_25partition_config_selectorILNS1_17partition_subalgoE9ExjbEEZZNS1_14partition_implILS5_9ELb0ES3_jN6thrust23THRUST_200600_302600_NS6detail15normal_iteratorINS9_10device_ptrIxEEEENSB_INSC_IjEEEEPNS0_10empty_typeENS0_5tupleIJSE_SH_EEENSJ_IJSG_SI_EEENS0_18inequality_wrapperINS9_8equal_toIxEEEEPmJSH_EEE10hipError_tPvRmT3_T4_T5_T6_T7_T9_mT8_P12ihipStream_tbDpT10_ENKUlT_T0_E_clISt17integral_constantIbLb0EES19_IbLb1EEEEDaS15_S16_EUlS15_E_NS1_11comp_targetILNS1_3genE8ELNS1_11target_archE1030ELNS1_3gpuE2ELNS1_3repE0EEENS1_30default_config_static_selectorELNS0_4arch9wavefront6targetE0EEEvT1_.kd
    .uniform_work_group_size: 1
    .uses_dynamic_stack: false
    .vgpr_count:     0
    .vgpr_spill_count: 0
    .wavefront_size: 32
    .workgroup_processor_mode: 1
  - .args:
      - .offset:         0
        .size:           112
        .value_kind:     by_value
    .group_segment_fixed_size: 0
    .kernarg_segment_align: 8
    .kernarg_segment_size: 112
    .language:       OpenCL C
    .language_version:
      - 2
      - 0
    .max_flat_workgroup_size: 256
    .name:           _ZN7rocprim17ROCPRIM_400000_NS6detail17trampoline_kernelINS0_14default_configENS1_25partition_config_selectorILNS1_17partition_subalgoE9EijbEEZZNS1_14partition_implILS5_9ELb0ES3_jN6thrust23THRUST_200600_302600_NS6detail15normal_iteratorINS9_10device_ptrIiEEEENSB_INSC_IjEEEEPNS0_10empty_typeENS0_5tupleIJSE_SH_EEENSJ_IJSG_SI_EEENS0_18inequality_wrapperINS9_8equal_toIiEEEEPmJSH_EEE10hipError_tPvRmT3_T4_T5_T6_T7_T9_mT8_P12ihipStream_tbDpT10_ENKUlT_T0_E_clISt17integral_constantIbLb0EES1A_EEDaS15_S16_EUlS15_E_NS1_11comp_targetILNS1_3genE0ELNS1_11target_archE4294967295ELNS1_3gpuE0ELNS1_3repE0EEENS1_30default_config_static_selectorELNS0_4arch9wavefront6targetE0EEEvT1_
    .private_segment_fixed_size: 0
    .sgpr_count:     0
    .sgpr_spill_count: 0
    .symbol:         _ZN7rocprim17ROCPRIM_400000_NS6detail17trampoline_kernelINS0_14default_configENS1_25partition_config_selectorILNS1_17partition_subalgoE9EijbEEZZNS1_14partition_implILS5_9ELb0ES3_jN6thrust23THRUST_200600_302600_NS6detail15normal_iteratorINS9_10device_ptrIiEEEENSB_INSC_IjEEEEPNS0_10empty_typeENS0_5tupleIJSE_SH_EEENSJ_IJSG_SI_EEENS0_18inequality_wrapperINS9_8equal_toIiEEEEPmJSH_EEE10hipError_tPvRmT3_T4_T5_T6_T7_T9_mT8_P12ihipStream_tbDpT10_ENKUlT_T0_E_clISt17integral_constantIbLb0EES1A_EEDaS15_S16_EUlS15_E_NS1_11comp_targetILNS1_3genE0ELNS1_11target_archE4294967295ELNS1_3gpuE0ELNS1_3repE0EEENS1_30default_config_static_selectorELNS0_4arch9wavefront6targetE0EEEvT1_.kd
    .uniform_work_group_size: 1
    .uses_dynamic_stack: false
    .vgpr_count:     0
    .vgpr_spill_count: 0
    .wavefront_size: 32
    .workgroup_processor_mode: 1
  - .args:
      - .offset:         0
        .size:           112
        .value_kind:     by_value
    .group_segment_fixed_size: 0
    .kernarg_segment_align: 8
    .kernarg_segment_size: 112
    .language:       OpenCL C
    .language_version:
      - 2
      - 0
    .max_flat_workgroup_size: 512
    .name:           _ZN7rocprim17ROCPRIM_400000_NS6detail17trampoline_kernelINS0_14default_configENS1_25partition_config_selectorILNS1_17partition_subalgoE9EijbEEZZNS1_14partition_implILS5_9ELb0ES3_jN6thrust23THRUST_200600_302600_NS6detail15normal_iteratorINS9_10device_ptrIiEEEENSB_INSC_IjEEEEPNS0_10empty_typeENS0_5tupleIJSE_SH_EEENSJ_IJSG_SI_EEENS0_18inequality_wrapperINS9_8equal_toIiEEEEPmJSH_EEE10hipError_tPvRmT3_T4_T5_T6_T7_T9_mT8_P12ihipStream_tbDpT10_ENKUlT_T0_E_clISt17integral_constantIbLb0EES1A_EEDaS15_S16_EUlS15_E_NS1_11comp_targetILNS1_3genE5ELNS1_11target_archE942ELNS1_3gpuE9ELNS1_3repE0EEENS1_30default_config_static_selectorELNS0_4arch9wavefront6targetE0EEEvT1_
    .private_segment_fixed_size: 0
    .sgpr_count:     0
    .sgpr_spill_count: 0
    .symbol:         _ZN7rocprim17ROCPRIM_400000_NS6detail17trampoline_kernelINS0_14default_configENS1_25partition_config_selectorILNS1_17partition_subalgoE9EijbEEZZNS1_14partition_implILS5_9ELb0ES3_jN6thrust23THRUST_200600_302600_NS6detail15normal_iteratorINS9_10device_ptrIiEEEENSB_INSC_IjEEEEPNS0_10empty_typeENS0_5tupleIJSE_SH_EEENSJ_IJSG_SI_EEENS0_18inequality_wrapperINS9_8equal_toIiEEEEPmJSH_EEE10hipError_tPvRmT3_T4_T5_T6_T7_T9_mT8_P12ihipStream_tbDpT10_ENKUlT_T0_E_clISt17integral_constantIbLb0EES1A_EEDaS15_S16_EUlS15_E_NS1_11comp_targetILNS1_3genE5ELNS1_11target_archE942ELNS1_3gpuE9ELNS1_3repE0EEENS1_30default_config_static_selectorELNS0_4arch9wavefront6targetE0EEEvT1_.kd
    .uniform_work_group_size: 1
    .uses_dynamic_stack: false
    .vgpr_count:     0
    .vgpr_spill_count: 0
    .wavefront_size: 32
    .workgroup_processor_mode: 1
  - .args:
      - .offset:         0
        .size:           112
        .value_kind:     by_value
    .group_segment_fixed_size: 0
    .kernarg_segment_align: 8
    .kernarg_segment_size: 112
    .language:       OpenCL C
    .language_version:
      - 2
      - 0
    .max_flat_workgroup_size: 192
    .name:           _ZN7rocprim17ROCPRIM_400000_NS6detail17trampoline_kernelINS0_14default_configENS1_25partition_config_selectorILNS1_17partition_subalgoE9EijbEEZZNS1_14partition_implILS5_9ELb0ES3_jN6thrust23THRUST_200600_302600_NS6detail15normal_iteratorINS9_10device_ptrIiEEEENSB_INSC_IjEEEEPNS0_10empty_typeENS0_5tupleIJSE_SH_EEENSJ_IJSG_SI_EEENS0_18inequality_wrapperINS9_8equal_toIiEEEEPmJSH_EEE10hipError_tPvRmT3_T4_T5_T6_T7_T9_mT8_P12ihipStream_tbDpT10_ENKUlT_T0_E_clISt17integral_constantIbLb0EES1A_EEDaS15_S16_EUlS15_E_NS1_11comp_targetILNS1_3genE4ELNS1_11target_archE910ELNS1_3gpuE8ELNS1_3repE0EEENS1_30default_config_static_selectorELNS0_4arch9wavefront6targetE0EEEvT1_
    .private_segment_fixed_size: 0
    .sgpr_count:     0
    .sgpr_spill_count: 0
    .symbol:         _ZN7rocprim17ROCPRIM_400000_NS6detail17trampoline_kernelINS0_14default_configENS1_25partition_config_selectorILNS1_17partition_subalgoE9EijbEEZZNS1_14partition_implILS5_9ELb0ES3_jN6thrust23THRUST_200600_302600_NS6detail15normal_iteratorINS9_10device_ptrIiEEEENSB_INSC_IjEEEEPNS0_10empty_typeENS0_5tupleIJSE_SH_EEENSJ_IJSG_SI_EEENS0_18inequality_wrapperINS9_8equal_toIiEEEEPmJSH_EEE10hipError_tPvRmT3_T4_T5_T6_T7_T9_mT8_P12ihipStream_tbDpT10_ENKUlT_T0_E_clISt17integral_constantIbLb0EES1A_EEDaS15_S16_EUlS15_E_NS1_11comp_targetILNS1_3genE4ELNS1_11target_archE910ELNS1_3gpuE8ELNS1_3repE0EEENS1_30default_config_static_selectorELNS0_4arch9wavefront6targetE0EEEvT1_.kd
    .uniform_work_group_size: 1
    .uses_dynamic_stack: false
    .vgpr_count:     0
    .vgpr_spill_count: 0
    .wavefront_size: 32
    .workgroup_processor_mode: 1
  - .args:
      - .offset:         0
        .size:           112
        .value_kind:     by_value
    .group_segment_fixed_size: 0
    .kernarg_segment_align: 8
    .kernarg_segment_size: 112
    .language:       OpenCL C
    .language_version:
      - 2
      - 0
    .max_flat_workgroup_size: 256
    .name:           _ZN7rocprim17ROCPRIM_400000_NS6detail17trampoline_kernelINS0_14default_configENS1_25partition_config_selectorILNS1_17partition_subalgoE9EijbEEZZNS1_14partition_implILS5_9ELb0ES3_jN6thrust23THRUST_200600_302600_NS6detail15normal_iteratorINS9_10device_ptrIiEEEENSB_INSC_IjEEEEPNS0_10empty_typeENS0_5tupleIJSE_SH_EEENSJ_IJSG_SI_EEENS0_18inequality_wrapperINS9_8equal_toIiEEEEPmJSH_EEE10hipError_tPvRmT3_T4_T5_T6_T7_T9_mT8_P12ihipStream_tbDpT10_ENKUlT_T0_E_clISt17integral_constantIbLb0EES1A_EEDaS15_S16_EUlS15_E_NS1_11comp_targetILNS1_3genE3ELNS1_11target_archE908ELNS1_3gpuE7ELNS1_3repE0EEENS1_30default_config_static_selectorELNS0_4arch9wavefront6targetE0EEEvT1_
    .private_segment_fixed_size: 0
    .sgpr_count:     0
    .sgpr_spill_count: 0
    .symbol:         _ZN7rocprim17ROCPRIM_400000_NS6detail17trampoline_kernelINS0_14default_configENS1_25partition_config_selectorILNS1_17partition_subalgoE9EijbEEZZNS1_14partition_implILS5_9ELb0ES3_jN6thrust23THRUST_200600_302600_NS6detail15normal_iteratorINS9_10device_ptrIiEEEENSB_INSC_IjEEEEPNS0_10empty_typeENS0_5tupleIJSE_SH_EEENSJ_IJSG_SI_EEENS0_18inequality_wrapperINS9_8equal_toIiEEEEPmJSH_EEE10hipError_tPvRmT3_T4_T5_T6_T7_T9_mT8_P12ihipStream_tbDpT10_ENKUlT_T0_E_clISt17integral_constantIbLb0EES1A_EEDaS15_S16_EUlS15_E_NS1_11comp_targetILNS1_3genE3ELNS1_11target_archE908ELNS1_3gpuE7ELNS1_3repE0EEENS1_30default_config_static_selectorELNS0_4arch9wavefront6targetE0EEEvT1_.kd
    .uniform_work_group_size: 1
    .uses_dynamic_stack: false
    .vgpr_count:     0
    .vgpr_spill_count: 0
    .wavefront_size: 32
    .workgroup_processor_mode: 1
  - .args:
      - .offset:         0
        .size:           112
        .value_kind:     by_value
    .group_segment_fixed_size: 0
    .kernarg_segment_align: 8
    .kernarg_segment_size: 112
    .language:       OpenCL C
    .language_version:
      - 2
      - 0
    .max_flat_workgroup_size: 256
    .name:           _ZN7rocprim17ROCPRIM_400000_NS6detail17trampoline_kernelINS0_14default_configENS1_25partition_config_selectorILNS1_17partition_subalgoE9EijbEEZZNS1_14partition_implILS5_9ELb0ES3_jN6thrust23THRUST_200600_302600_NS6detail15normal_iteratorINS9_10device_ptrIiEEEENSB_INSC_IjEEEEPNS0_10empty_typeENS0_5tupleIJSE_SH_EEENSJ_IJSG_SI_EEENS0_18inequality_wrapperINS9_8equal_toIiEEEEPmJSH_EEE10hipError_tPvRmT3_T4_T5_T6_T7_T9_mT8_P12ihipStream_tbDpT10_ENKUlT_T0_E_clISt17integral_constantIbLb0EES1A_EEDaS15_S16_EUlS15_E_NS1_11comp_targetILNS1_3genE2ELNS1_11target_archE906ELNS1_3gpuE6ELNS1_3repE0EEENS1_30default_config_static_selectorELNS0_4arch9wavefront6targetE0EEEvT1_
    .private_segment_fixed_size: 0
    .sgpr_count:     0
    .sgpr_spill_count: 0
    .symbol:         _ZN7rocprim17ROCPRIM_400000_NS6detail17trampoline_kernelINS0_14default_configENS1_25partition_config_selectorILNS1_17partition_subalgoE9EijbEEZZNS1_14partition_implILS5_9ELb0ES3_jN6thrust23THRUST_200600_302600_NS6detail15normal_iteratorINS9_10device_ptrIiEEEENSB_INSC_IjEEEEPNS0_10empty_typeENS0_5tupleIJSE_SH_EEENSJ_IJSG_SI_EEENS0_18inequality_wrapperINS9_8equal_toIiEEEEPmJSH_EEE10hipError_tPvRmT3_T4_T5_T6_T7_T9_mT8_P12ihipStream_tbDpT10_ENKUlT_T0_E_clISt17integral_constantIbLb0EES1A_EEDaS15_S16_EUlS15_E_NS1_11comp_targetILNS1_3genE2ELNS1_11target_archE906ELNS1_3gpuE6ELNS1_3repE0EEENS1_30default_config_static_selectorELNS0_4arch9wavefront6targetE0EEEvT1_.kd
    .uniform_work_group_size: 1
    .uses_dynamic_stack: false
    .vgpr_count:     0
    .vgpr_spill_count: 0
    .wavefront_size: 32
    .workgroup_processor_mode: 1
  - .args:
      - .offset:         0
        .size:           112
        .value_kind:     by_value
    .group_segment_fixed_size: 0
    .kernarg_segment_align: 8
    .kernarg_segment_size: 112
    .language:       OpenCL C
    .language_version:
      - 2
      - 0
    .max_flat_workgroup_size: 384
    .name:           _ZN7rocprim17ROCPRIM_400000_NS6detail17trampoline_kernelINS0_14default_configENS1_25partition_config_selectorILNS1_17partition_subalgoE9EijbEEZZNS1_14partition_implILS5_9ELb0ES3_jN6thrust23THRUST_200600_302600_NS6detail15normal_iteratorINS9_10device_ptrIiEEEENSB_INSC_IjEEEEPNS0_10empty_typeENS0_5tupleIJSE_SH_EEENSJ_IJSG_SI_EEENS0_18inequality_wrapperINS9_8equal_toIiEEEEPmJSH_EEE10hipError_tPvRmT3_T4_T5_T6_T7_T9_mT8_P12ihipStream_tbDpT10_ENKUlT_T0_E_clISt17integral_constantIbLb0EES1A_EEDaS15_S16_EUlS15_E_NS1_11comp_targetILNS1_3genE10ELNS1_11target_archE1200ELNS1_3gpuE4ELNS1_3repE0EEENS1_30default_config_static_selectorELNS0_4arch9wavefront6targetE0EEEvT1_
    .private_segment_fixed_size: 0
    .sgpr_count:     0
    .sgpr_spill_count: 0
    .symbol:         _ZN7rocprim17ROCPRIM_400000_NS6detail17trampoline_kernelINS0_14default_configENS1_25partition_config_selectorILNS1_17partition_subalgoE9EijbEEZZNS1_14partition_implILS5_9ELb0ES3_jN6thrust23THRUST_200600_302600_NS6detail15normal_iteratorINS9_10device_ptrIiEEEENSB_INSC_IjEEEEPNS0_10empty_typeENS0_5tupleIJSE_SH_EEENSJ_IJSG_SI_EEENS0_18inequality_wrapperINS9_8equal_toIiEEEEPmJSH_EEE10hipError_tPvRmT3_T4_T5_T6_T7_T9_mT8_P12ihipStream_tbDpT10_ENKUlT_T0_E_clISt17integral_constantIbLb0EES1A_EEDaS15_S16_EUlS15_E_NS1_11comp_targetILNS1_3genE10ELNS1_11target_archE1200ELNS1_3gpuE4ELNS1_3repE0EEENS1_30default_config_static_selectorELNS0_4arch9wavefront6targetE0EEEvT1_.kd
    .uniform_work_group_size: 1
    .uses_dynamic_stack: false
    .vgpr_count:     0
    .vgpr_spill_count: 0
    .wavefront_size: 32
    .workgroup_processor_mode: 1
  - .args:
      - .offset:         0
        .size:           112
        .value_kind:     by_value
    .group_segment_fixed_size: 12680
    .kernarg_segment_align: 8
    .kernarg_segment_size: 112
    .language:       OpenCL C
    .language_version:
      - 2
      - 0
    .max_flat_workgroup_size: 384
    .name:           _ZN7rocprim17ROCPRIM_400000_NS6detail17trampoline_kernelINS0_14default_configENS1_25partition_config_selectorILNS1_17partition_subalgoE9EijbEEZZNS1_14partition_implILS5_9ELb0ES3_jN6thrust23THRUST_200600_302600_NS6detail15normal_iteratorINS9_10device_ptrIiEEEENSB_INSC_IjEEEEPNS0_10empty_typeENS0_5tupleIJSE_SH_EEENSJ_IJSG_SI_EEENS0_18inequality_wrapperINS9_8equal_toIiEEEEPmJSH_EEE10hipError_tPvRmT3_T4_T5_T6_T7_T9_mT8_P12ihipStream_tbDpT10_ENKUlT_T0_E_clISt17integral_constantIbLb0EES1A_EEDaS15_S16_EUlS15_E_NS1_11comp_targetILNS1_3genE9ELNS1_11target_archE1100ELNS1_3gpuE3ELNS1_3repE0EEENS1_30default_config_static_selectorELNS0_4arch9wavefront6targetE0EEEvT1_
    .private_segment_fixed_size: 0
    .sgpr_count:     27
    .sgpr_spill_count: 0
    .symbol:         _ZN7rocprim17ROCPRIM_400000_NS6detail17trampoline_kernelINS0_14default_configENS1_25partition_config_selectorILNS1_17partition_subalgoE9EijbEEZZNS1_14partition_implILS5_9ELb0ES3_jN6thrust23THRUST_200600_302600_NS6detail15normal_iteratorINS9_10device_ptrIiEEEENSB_INSC_IjEEEEPNS0_10empty_typeENS0_5tupleIJSE_SH_EEENSJ_IJSG_SI_EEENS0_18inequality_wrapperINS9_8equal_toIiEEEEPmJSH_EEE10hipError_tPvRmT3_T4_T5_T6_T7_T9_mT8_P12ihipStream_tbDpT10_ENKUlT_T0_E_clISt17integral_constantIbLb0EES1A_EEDaS15_S16_EUlS15_E_NS1_11comp_targetILNS1_3genE9ELNS1_11target_archE1100ELNS1_3gpuE3ELNS1_3repE0EEENS1_30default_config_static_selectorELNS0_4arch9wavefront6targetE0EEEvT1_.kd
    .uniform_work_group_size: 1
    .uses_dynamic_stack: false
    .vgpr_count:     51
    .vgpr_spill_count: 0
    .wavefront_size: 32
    .workgroup_processor_mode: 1
  - .args:
      - .offset:         0
        .size:           112
        .value_kind:     by_value
    .group_segment_fixed_size: 0
    .kernarg_segment_align: 8
    .kernarg_segment_size: 112
    .language:       OpenCL C
    .language_version:
      - 2
      - 0
    .max_flat_workgroup_size: 512
    .name:           _ZN7rocprim17ROCPRIM_400000_NS6detail17trampoline_kernelINS0_14default_configENS1_25partition_config_selectorILNS1_17partition_subalgoE9EijbEEZZNS1_14partition_implILS5_9ELb0ES3_jN6thrust23THRUST_200600_302600_NS6detail15normal_iteratorINS9_10device_ptrIiEEEENSB_INSC_IjEEEEPNS0_10empty_typeENS0_5tupleIJSE_SH_EEENSJ_IJSG_SI_EEENS0_18inequality_wrapperINS9_8equal_toIiEEEEPmJSH_EEE10hipError_tPvRmT3_T4_T5_T6_T7_T9_mT8_P12ihipStream_tbDpT10_ENKUlT_T0_E_clISt17integral_constantIbLb0EES1A_EEDaS15_S16_EUlS15_E_NS1_11comp_targetILNS1_3genE8ELNS1_11target_archE1030ELNS1_3gpuE2ELNS1_3repE0EEENS1_30default_config_static_selectorELNS0_4arch9wavefront6targetE0EEEvT1_
    .private_segment_fixed_size: 0
    .sgpr_count:     0
    .sgpr_spill_count: 0
    .symbol:         _ZN7rocprim17ROCPRIM_400000_NS6detail17trampoline_kernelINS0_14default_configENS1_25partition_config_selectorILNS1_17partition_subalgoE9EijbEEZZNS1_14partition_implILS5_9ELb0ES3_jN6thrust23THRUST_200600_302600_NS6detail15normal_iteratorINS9_10device_ptrIiEEEENSB_INSC_IjEEEEPNS0_10empty_typeENS0_5tupleIJSE_SH_EEENSJ_IJSG_SI_EEENS0_18inequality_wrapperINS9_8equal_toIiEEEEPmJSH_EEE10hipError_tPvRmT3_T4_T5_T6_T7_T9_mT8_P12ihipStream_tbDpT10_ENKUlT_T0_E_clISt17integral_constantIbLb0EES1A_EEDaS15_S16_EUlS15_E_NS1_11comp_targetILNS1_3genE8ELNS1_11target_archE1030ELNS1_3gpuE2ELNS1_3repE0EEENS1_30default_config_static_selectorELNS0_4arch9wavefront6targetE0EEEvT1_.kd
    .uniform_work_group_size: 1
    .uses_dynamic_stack: false
    .vgpr_count:     0
    .vgpr_spill_count: 0
    .wavefront_size: 32
    .workgroup_processor_mode: 1
  - .args:
      - .offset:         0
        .size:           128
        .value_kind:     by_value
    .group_segment_fixed_size: 0
    .kernarg_segment_align: 8
    .kernarg_segment_size: 128
    .language:       OpenCL C
    .language_version:
      - 2
      - 0
    .max_flat_workgroup_size: 256
    .name:           _ZN7rocprim17ROCPRIM_400000_NS6detail17trampoline_kernelINS0_14default_configENS1_25partition_config_selectorILNS1_17partition_subalgoE9EijbEEZZNS1_14partition_implILS5_9ELb0ES3_jN6thrust23THRUST_200600_302600_NS6detail15normal_iteratorINS9_10device_ptrIiEEEENSB_INSC_IjEEEEPNS0_10empty_typeENS0_5tupleIJSE_SH_EEENSJ_IJSG_SI_EEENS0_18inequality_wrapperINS9_8equal_toIiEEEEPmJSH_EEE10hipError_tPvRmT3_T4_T5_T6_T7_T9_mT8_P12ihipStream_tbDpT10_ENKUlT_T0_E_clISt17integral_constantIbLb1EES1A_EEDaS15_S16_EUlS15_E_NS1_11comp_targetILNS1_3genE0ELNS1_11target_archE4294967295ELNS1_3gpuE0ELNS1_3repE0EEENS1_30default_config_static_selectorELNS0_4arch9wavefront6targetE0EEEvT1_
    .private_segment_fixed_size: 0
    .sgpr_count:     0
    .sgpr_spill_count: 0
    .symbol:         _ZN7rocprim17ROCPRIM_400000_NS6detail17trampoline_kernelINS0_14default_configENS1_25partition_config_selectorILNS1_17partition_subalgoE9EijbEEZZNS1_14partition_implILS5_9ELb0ES3_jN6thrust23THRUST_200600_302600_NS6detail15normal_iteratorINS9_10device_ptrIiEEEENSB_INSC_IjEEEEPNS0_10empty_typeENS0_5tupleIJSE_SH_EEENSJ_IJSG_SI_EEENS0_18inequality_wrapperINS9_8equal_toIiEEEEPmJSH_EEE10hipError_tPvRmT3_T4_T5_T6_T7_T9_mT8_P12ihipStream_tbDpT10_ENKUlT_T0_E_clISt17integral_constantIbLb1EES1A_EEDaS15_S16_EUlS15_E_NS1_11comp_targetILNS1_3genE0ELNS1_11target_archE4294967295ELNS1_3gpuE0ELNS1_3repE0EEENS1_30default_config_static_selectorELNS0_4arch9wavefront6targetE0EEEvT1_.kd
    .uniform_work_group_size: 1
    .uses_dynamic_stack: false
    .vgpr_count:     0
    .vgpr_spill_count: 0
    .wavefront_size: 32
    .workgroup_processor_mode: 1
  - .args:
      - .offset:         0
        .size:           128
        .value_kind:     by_value
    .group_segment_fixed_size: 0
    .kernarg_segment_align: 8
    .kernarg_segment_size: 128
    .language:       OpenCL C
    .language_version:
      - 2
      - 0
    .max_flat_workgroup_size: 512
    .name:           _ZN7rocprim17ROCPRIM_400000_NS6detail17trampoline_kernelINS0_14default_configENS1_25partition_config_selectorILNS1_17partition_subalgoE9EijbEEZZNS1_14partition_implILS5_9ELb0ES3_jN6thrust23THRUST_200600_302600_NS6detail15normal_iteratorINS9_10device_ptrIiEEEENSB_INSC_IjEEEEPNS0_10empty_typeENS0_5tupleIJSE_SH_EEENSJ_IJSG_SI_EEENS0_18inequality_wrapperINS9_8equal_toIiEEEEPmJSH_EEE10hipError_tPvRmT3_T4_T5_T6_T7_T9_mT8_P12ihipStream_tbDpT10_ENKUlT_T0_E_clISt17integral_constantIbLb1EES1A_EEDaS15_S16_EUlS15_E_NS1_11comp_targetILNS1_3genE5ELNS1_11target_archE942ELNS1_3gpuE9ELNS1_3repE0EEENS1_30default_config_static_selectorELNS0_4arch9wavefront6targetE0EEEvT1_
    .private_segment_fixed_size: 0
    .sgpr_count:     0
    .sgpr_spill_count: 0
    .symbol:         _ZN7rocprim17ROCPRIM_400000_NS6detail17trampoline_kernelINS0_14default_configENS1_25partition_config_selectorILNS1_17partition_subalgoE9EijbEEZZNS1_14partition_implILS5_9ELb0ES3_jN6thrust23THRUST_200600_302600_NS6detail15normal_iteratorINS9_10device_ptrIiEEEENSB_INSC_IjEEEEPNS0_10empty_typeENS0_5tupleIJSE_SH_EEENSJ_IJSG_SI_EEENS0_18inequality_wrapperINS9_8equal_toIiEEEEPmJSH_EEE10hipError_tPvRmT3_T4_T5_T6_T7_T9_mT8_P12ihipStream_tbDpT10_ENKUlT_T0_E_clISt17integral_constantIbLb1EES1A_EEDaS15_S16_EUlS15_E_NS1_11comp_targetILNS1_3genE5ELNS1_11target_archE942ELNS1_3gpuE9ELNS1_3repE0EEENS1_30default_config_static_selectorELNS0_4arch9wavefront6targetE0EEEvT1_.kd
    .uniform_work_group_size: 1
    .uses_dynamic_stack: false
    .vgpr_count:     0
    .vgpr_spill_count: 0
    .wavefront_size: 32
    .workgroup_processor_mode: 1
  - .args:
      - .offset:         0
        .size:           128
        .value_kind:     by_value
    .group_segment_fixed_size: 0
    .kernarg_segment_align: 8
    .kernarg_segment_size: 128
    .language:       OpenCL C
    .language_version:
      - 2
      - 0
    .max_flat_workgroup_size: 192
    .name:           _ZN7rocprim17ROCPRIM_400000_NS6detail17trampoline_kernelINS0_14default_configENS1_25partition_config_selectorILNS1_17partition_subalgoE9EijbEEZZNS1_14partition_implILS5_9ELb0ES3_jN6thrust23THRUST_200600_302600_NS6detail15normal_iteratorINS9_10device_ptrIiEEEENSB_INSC_IjEEEEPNS0_10empty_typeENS0_5tupleIJSE_SH_EEENSJ_IJSG_SI_EEENS0_18inequality_wrapperINS9_8equal_toIiEEEEPmJSH_EEE10hipError_tPvRmT3_T4_T5_T6_T7_T9_mT8_P12ihipStream_tbDpT10_ENKUlT_T0_E_clISt17integral_constantIbLb1EES1A_EEDaS15_S16_EUlS15_E_NS1_11comp_targetILNS1_3genE4ELNS1_11target_archE910ELNS1_3gpuE8ELNS1_3repE0EEENS1_30default_config_static_selectorELNS0_4arch9wavefront6targetE0EEEvT1_
    .private_segment_fixed_size: 0
    .sgpr_count:     0
    .sgpr_spill_count: 0
    .symbol:         _ZN7rocprim17ROCPRIM_400000_NS6detail17trampoline_kernelINS0_14default_configENS1_25partition_config_selectorILNS1_17partition_subalgoE9EijbEEZZNS1_14partition_implILS5_9ELb0ES3_jN6thrust23THRUST_200600_302600_NS6detail15normal_iteratorINS9_10device_ptrIiEEEENSB_INSC_IjEEEEPNS0_10empty_typeENS0_5tupleIJSE_SH_EEENSJ_IJSG_SI_EEENS0_18inequality_wrapperINS9_8equal_toIiEEEEPmJSH_EEE10hipError_tPvRmT3_T4_T5_T6_T7_T9_mT8_P12ihipStream_tbDpT10_ENKUlT_T0_E_clISt17integral_constantIbLb1EES1A_EEDaS15_S16_EUlS15_E_NS1_11comp_targetILNS1_3genE4ELNS1_11target_archE910ELNS1_3gpuE8ELNS1_3repE0EEENS1_30default_config_static_selectorELNS0_4arch9wavefront6targetE0EEEvT1_.kd
    .uniform_work_group_size: 1
    .uses_dynamic_stack: false
    .vgpr_count:     0
    .vgpr_spill_count: 0
    .wavefront_size: 32
    .workgroup_processor_mode: 1
  - .args:
      - .offset:         0
        .size:           128
        .value_kind:     by_value
    .group_segment_fixed_size: 0
    .kernarg_segment_align: 8
    .kernarg_segment_size: 128
    .language:       OpenCL C
    .language_version:
      - 2
      - 0
    .max_flat_workgroup_size: 256
    .name:           _ZN7rocprim17ROCPRIM_400000_NS6detail17trampoline_kernelINS0_14default_configENS1_25partition_config_selectorILNS1_17partition_subalgoE9EijbEEZZNS1_14partition_implILS5_9ELb0ES3_jN6thrust23THRUST_200600_302600_NS6detail15normal_iteratorINS9_10device_ptrIiEEEENSB_INSC_IjEEEEPNS0_10empty_typeENS0_5tupleIJSE_SH_EEENSJ_IJSG_SI_EEENS0_18inequality_wrapperINS9_8equal_toIiEEEEPmJSH_EEE10hipError_tPvRmT3_T4_T5_T6_T7_T9_mT8_P12ihipStream_tbDpT10_ENKUlT_T0_E_clISt17integral_constantIbLb1EES1A_EEDaS15_S16_EUlS15_E_NS1_11comp_targetILNS1_3genE3ELNS1_11target_archE908ELNS1_3gpuE7ELNS1_3repE0EEENS1_30default_config_static_selectorELNS0_4arch9wavefront6targetE0EEEvT1_
    .private_segment_fixed_size: 0
    .sgpr_count:     0
    .sgpr_spill_count: 0
    .symbol:         _ZN7rocprim17ROCPRIM_400000_NS6detail17trampoline_kernelINS0_14default_configENS1_25partition_config_selectorILNS1_17partition_subalgoE9EijbEEZZNS1_14partition_implILS5_9ELb0ES3_jN6thrust23THRUST_200600_302600_NS6detail15normal_iteratorINS9_10device_ptrIiEEEENSB_INSC_IjEEEEPNS0_10empty_typeENS0_5tupleIJSE_SH_EEENSJ_IJSG_SI_EEENS0_18inequality_wrapperINS9_8equal_toIiEEEEPmJSH_EEE10hipError_tPvRmT3_T4_T5_T6_T7_T9_mT8_P12ihipStream_tbDpT10_ENKUlT_T0_E_clISt17integral_constantIbLb1EES1A_EEDaS15_S16_EUlS15_E_NS1_11comp_targetILNS1_3genE3ELNS1_11target_archE908ELNS1_3gpuE7ELNS1_3repE0EEENS1_30default_config_static_selectorELNS0_4arch9wavefront6targetE0EEEvT1_.kd
    .uniform_work_group_size: 1
    .uses_dynamic_stack: false
    .vgpr_count:     0
    .vgpr_spill_count: 0
    .wavefront_size: 32
    .workgroup_processor_mode: 1
  - .args:
      - .offset:         0
        .size:           128
        .value_kind:     by_value
    .group_segment_fixed_size: 0
    .kernarg_segment_align: 8
    .kernarg_segment_size: 128
    .language:       OpenCL C
    .language_version:
      - 2
      - 0
    .max_flat_workgroup_size: 256
    .name:           _ZN7rocprim17ROCPRIM_400000_NS6detail17trampoline_kernelINS0_14default_configENS1_25partition_config_selectorILNS1_17partition_subalgoE9EijbEEZZNS1_14partition_implILS5_9ELb0ES3_jN6thrust23THRUST_200600_302600_NS6detail15normal_iteratorINS9_10device_ptrIiEEEENSB_INSC_IjEEEEPNS0_10empty_typeENS0_5tupleIJSE_SH_EEENSJ_IJSG_SI_EEENS0_18inequality_wrapperINS9_8equal_toIiEEEEPmJSH_EEE10hipError_tPvRmT3_T4_T5_T6_T7_T9_mT8_P12ihipStream_tbDpT10_ENKUlT_T0_E_clISt17integral_constantIbLb1EES1A_EEDaS15_S16_EUlS15_E_NS1_11comp_targetILNS1_3genE2ELNS1_11target_archE906ELNS1_3gpuE6ELNS1_3repE0EEENS1_30default_config_static_selectorELNS0_4arch9wavefront6targetE0EEEvT1_
    .private_segment_fixed_size: 0
    .sgpr_count:     0
    .sgpr_spill_count: 0
    .symbol:         _ZN7rocprim17ROCPRIM_400000_NS6detail17trampoline_kernelINS0_14default_configENS1_25partition_config_selectorILNS1_17partition_subalgoE9EijbEEZZNS1_14partition_implILS5_9ELb0ES3_jN6thrust23THRUST_200600_302600_NS6detail15normal_iteratorINS9_10device_ptrIiEEEENSB_INSC_IjEEEEPNS0_10empty_typeENS0_5tupleIJSE_SH_EEENSJ_IJSG_SI_EEENS0_18inequality_wrapperINS9_8equal_toIiEEEEPmJSH_EEE10hipError_tPvRmT3_T4_T5_T6_T7_T9_mT8_P12ihipStream_tbDpT10_ENKUlT_T0_E_clISt17integral_constantIbLb1EES1A_EEDaS15_S16_EUlS15_E_NS1_11comp_targetILNS1_3genE2ELNS1_11target_archE906ELNS1_3gpuE6ELNS1_3repE0EEENS1_30default_config_static_selectorELNS0_4arch9wavefront6targetE0EEEvT1_.kd
    .uniform_work_group_size: 1
    .uses_dynamic_stack: false
    .vgpr_count:     0
    .vgpr_spill_count: 0
    .wavefront_size: 32
    .workgroup_processor_mode: 1
  - .args:
      - .offset:         0
        .size:           128
        .value_kind:     by_value
    .group_segment_fixed_size: 0
    .kernarg_segment_align: 8
    .kernarg_segment_size: 128
    .language:       OpenCL C
    .language_version:
      - 2
      - 0
    .max_flat_workgroup_size: 384
    .name:           _ZN7rocprim17ROCPRIM_400000_NS6detail17trampoline_kernelINS0_14default_configENS1_25partition_config_selectorILNS1_17partition_subalgoE9EijbEEZZNS1_14partition_implILS5_9ELb0ES3_jN6thrust23THRUST_200600_302600_NS6detail15normal_iteratorINS9_10device_ptrIiEEEENSB_INSC_IjEEEEPNS0_10empty_typeENS0_5tupleIJSE_SH_EEENSJ_IJSG_SI_EEENS0_18inequality_wrapperINS9_8equal_toIiEEEEPmJSH_EEE10hipError_tPvRmT3_T4_T5_T6_T7_T9_mT8_P12ihipStream_tbDpT10_ENKUlT_T0_E_clISt17integral_constantIbLb1EES1A_EEDaS15_S16_EUlS15_E_NS1_11comp_targetILNS1_3genE10ELNS1_11target_archE1200ELNS1_3gpuE4ELNS1_3repE0EEENS1_30default_config_static_selectorELNS0_4arch9wavefront6targetE0EEEvT1_
    .private_segment_fixed_size: 0
    .sgpr_count:     0
    .sgpr_spill_count: 0
    .symbol:         _ZN7rocprim17ROCPRIM_400000_NS6detail17trampoline_kernelINS0_14default_configENS1_25partition_config_selectorILNS1_17partition_subalgoE9EijbEEZZNS1_14partition_implILS5_9ELb0ES3_jN6thrust23THRUST_200600_302600_NS6detail15normal_iteratorINS9_10device_ptrIiEEEENSB_INSC_IjEEEEPNS0_10empty_typeENS0_5tupleIJSE_SH_EEENSJ_IJSG_SI_EEENS0_18inequality_wrapperINS9_8equal_toIiEEEEPmJSH_EEE10hipError_tPvRmT3_T4_T5_T6_T7_T9_mT8_P12ihipStream_tbDpT10_ENKUlT_T0_E_clISt17integral_constantIbLb1EES1A_EEDaS15_S16_EUlS15_E_NS1_11comp_targetILNS1_3genE10ELNS1_11target_archE1200ELNS1_3gpuE4ELNS1_3repE0EEENS1_30default_config_static_selectorELNS0_4arch9wavefront6targetE0EEEvT1_.kd
    .uniform_work_group_size: 1
    .uses_dynamic_stack: false
    .vgpr_count:     0
    .vgpr_spill_count: 0
    .wavefront_size: 32
    .workgroup_processor_mode: 1
  - .args:
      - .offset:         0
        .size:           128
        .value_kind:     by_value
    .group_segment_fixed_size: 12680
    .kernarg_segment_align: 8
    .kernarg_segment_size: 128
    .language:       OpenCL C
    .language_version:
      - 2
      - 0
    .max_flat_workgroup_size: 384
    .name:           _ZN7rocprim17ROCPRIM_400000_NS6detail17trampoline_kernelINS0_14default_configENS1_25partition_config_selectorILNS1_17partition_subalgoE9EijbEEZZNS1_14partition_implILS5_9ELb0ES3_jN6thrust23THRUST_200600_302600_NS6detail15normal_iteratorINS9_10device_ptrIiEEEENSB_INSC_IjEEEEPNS0_10empty_typeENS0_5tupleIJSE_SH_EEENSJ_IJSG_SI_EEENS0_18inequality_wrapperINS9_8equal_toIiEEEEPmJSH_EEE10hipError_tPvRmT3_T4_T5_T6_T7_T9_mT8_P12ihipStream_tbDpT10_ENKUlT_T0_E_clISt17integral_constantIbLb1EES1A_EEDaS15_S16_EUlS15_E_NS1_11comp_targetILNS1_3genE9ELNS1_11target_archE1100ELNS1_3gpuE3ELNS1_3repE0EEENS1_30default_config_static_selectorELNS0_4arch9wavefront6targetE0EEEvT1_
    .private_segment_fixed_size: 0
    .sgpr_count:     31
    .sgpr_spill_count: 0
    .symbol:         _ZN7rocprim17ROCPRIM_400000_NS6detail17trampoline_kernelINS0_14default_configENS1_25partition_config_selectorILNS1_17partition_subalgoE9EijbEEZZNS1_14partition_implILS5_9ELb0ES3_jN6thrust23THRUST_200600_302600_NS6detail15normal_iteratorINS9_10device_ptrIiEEEENSB_INSC_IjEEEEPNS0_10empty_typeENS0_5tupleIJSE_SH_EEENSJ_IJSG_SI_EEENS0_18inequality_wrapperINS9_8equal_toIiEEEEPmJSH_EEE10hipError_tPvRmT3_T4_T5_T6_T7_T9_mT8_P12ihipStream_tbDpT10_ENKUlT_T0_E_clISt17integral_constantIbLb1EES1A_EEDaS15_S16_EUlS15_E_NS1_11comp_targetILNS1_3genE9ELNS1_11target_archE1100ELNS1_3gpuE3ELNS1_3repE0EEENS1_30default_config_static_selectorELNS0_4arch9wavefront6targetE0EEEvT1_.kd
    .uniform_work_group_size: 1
    .uses_dynamic_stack: false
    .vgpr_count:     51
    .vgpr_spill_count: 0
    .wavefront_size: 32
    .workgroup_processor_mode: 1
  - .args:
      - .offset:         0
        .size:           128
        .value_kind:     by_value
    .group_segment_fixed_size: 0
    .kernarg_segment_align: 8
    .kernarg_segment_size: 128
    .language:       OpenCL C
    .language_version:
      - 2
      - 0
    .max_flat_workgroup_size: 512
    .name:           _ZN7rocprim17ROCPRIM_400000_NS6detail17trampoline_kernelINS0_14default_configENS1_25partition_config_selectorILNS1_17partition_subalgoE9EijbEEZZNS1_14partition_implILS5_9ELb0ES3_jN6thrust23THRUST_200600_302600_NS6detail15normal_iteratorINS9_10device_ptrIiEEEENSB_INSC_IjEEEEPNS0_10empty_typeENS0_5tupleIJSE_SH_EEENSJ_IJSG_SI_EEENS0_18inequality_wrapperINS9_8equal_toIiEEEEPmJSH_EEE10hipError_tPvRmT3_T4_T5_T6_T7_T9_mT8_P12ihipStream_tbDpT10_ENKUlT_T0_E_clISt17integral_constantIbLb1EES1A_EEDaS15_S16_EUlS15_E_NS1_11comp_targetILNS1_3genE8ELNS1_11target_archE1030ELNS1_3gpuE2ELNS1_3repE0EEENS1_30default_config_static_selectorELNS0_4arch9wavefront6targetE0EEEvT1_
    .private_segment_fixed_size: 0
    .sgpr_count:     0
    .sgpr_spill_count: 0
    .symbol:         _ZN7rocprim17ROCPRIM_400000_NS6detail17trampoline_kernelINS0_14default_configENS1_25partition_config_selectorILNS1_17partition_subalgoE9EijbEEZZNS1_14partition_implILS5_9ELb0ES3_jN6thrust23THRUST_200600_302600_NS6detail15normal_iteratorINS9_10device_ptrIiEEEENSB_INSC_IjEEEEPNS0_10empty_typeENS0_5tupleIJSE_SH_EEENSJ_IJSG_SI_EEENS0_18inequality_wrapperINS9_8equal_toIiEEEEPmJSH_EEE10hipError_tPvRmT3_T4_T5_T6_T7_T9_mT8_P12ihipStream_tbDpT10_ENKUlT_T0_E_clISt17integral_constantIbLb1EES1A_EEDaS15_S16_EUlS15_E_NS1_11comp_targetILNS1_3genE8ELNS1_11target_archE1030ELNS1_3gpuE2ELNS1_3repE0EEENS1_30default_config_static_selectorELNS0_4arch9wavefront6targetE0EEEvT1_.kd
    .uniform_work_group_size: 1
    .uses_dynamic_stack: false
    .vgpr_count:     0
    .vgpr_spill_count: 0
    .wavefront_size: 32
    .workgroup_processor_mode: 1
  - .args:
      - .offset:         0
        .size:           112
        .value_kind:     by_value
    .group_segment_fixed_size: 0
    .kernarg_segment_align: 8
    .kernarg_segment_size: 112
    .language:       OpenCL C
    .language_version:
      - 2
      - 0
    .max_flat_workgroup_size: 256
    .name:           _ZN7rocprim17ROCPRIM_400000_NS6detail17trampoline_kernelINS0_14default_configENS1_25partition_config_selectorILNS1_17partition_subalgoE9EijbEEZZNS1_14partition_implILS5_9ELb0ES3_jN6thrust23THRUST_200600_302600_NS6detail15normal_iteratorINS9_10device_ptrIiEEEENSB_INSC_IjEEEEPNS0_10empty_typeENS0_5tupleIJSE_SH_EEENSJ_IJSG_SI_EEENS0_18inequality_wrapperINS9_8equal_toIiEEEEPmJSH_EEE10hipError_tPvRmT3_T4_T5_T6_T7_T9_mT8_P12ihipStream_tbDpT10_ENKUlT_T0_E_clISt17integral_constantIbLb1EES19_IbLb0EEEEDaS15_S16_EUlS15_E_NS1_11comp_targetILNS1_3genE0ELNS1_11target_archE4294967295ELNS1_3gpuE0ELNS1_3repE0EEENS1_30default_config_static_selectorELNS0_4arch9wavefront6targetE0EEEvT1_
    .private_segment_fixed_size: 0
    .sgpr_count:     0
    .sgpr_spill_count: 0
    .symbol:         _ZN7rocprim17ROCPRIM_400000_NS6detail17trampoline_kernelINS0_14default_configENS1_25partition_config_selectorILNS1_17partition_subalgoE9EijbEEZZNS1_14partition_implILS5_9ELb0ES3_jN6thrust23THRUST_200600_302600_NS6detail15normal_iteratorINS9_10device_ptrIiEEEENSB_INSC_IjEEEEPNS0_10empty_typeENS0_5tupleIJSE_SH_EEENSJ_IJSG_SI_EEENS0_18inequality_wrapperINS9_8equal_toIiEEEEPmJSH_EEE10hipError_tPvRmT3_T4_T5_T6_T7_T9_mT8_P12ihipStream_tbDpT10_ENKUlT_T0_E_clISt17integral_constantIbLb1EES19_IbLb0EEEEDaS15_S16_EUlS15_E_NS1_11comp_targetILNS1_3genE0ELNS1_11target_archE4294967295ELNS1_3gpuE0ELNS1_3repE0EEENS1_30default_config_static_selectorELNS0_4arch9wavefront6targetE0EEEvT1_.kd
    .uniform_work_group_size: 1
    .uses_dynamic_stack: false
    .vgpr_count:     0
    .vgpr_spill_count: 0
    .wavefront_size: 32
    .workgroup_processor_mode: 1
  - .args:
      - .offset:         0
        .size:           112
        .value_kind:     by_value
    .group_segment_fixed_size: 0
    .kernarg_segment_align: 8
    .kernarg_segment_size: 112
    .language:       OpenCL C
    .language_version:
      - 2
      - 0
    .max_flat_workgroup_size: 512
    .name:           _ZN7rocprim17ROCPRIM_400000_NS6detail17trampoline_kernelINS0_14default_configENS1_25partition_config_selectorILNS1_17partition_subalgoE9EijbEEZZNS1_14partition_implILS5_9ELb0ES3_jN6thrust23THRUST_200600_302600_NS6detail15normal_iteratorINS9_10device_ptrIiEEEENSB_INSC_IjEEEEPNS0_10empty_typeENS0_5tupleIJSE_SH_EEENSJ_IJSG_SI_EEENS0_18inequality_wrapperINS9_8equal_toIiEEEEPmJSH_EEE10hipError_tPvRmT3_T4_T5_T6_T7_T9_mT8_P12ihipStream_tbDpT10_ENKUlT_T0_E_clISt17integral_constantIbLb1EES19_IbLb0EEEEDaS15_S16_EUlS15_E_NS1_11comp_targetILNS1_3genE5ELNS1_11target_archE942ELNS1_3gpuE9ELNS1_3repE0EEENS1_30default_config_static_selectorELNS0_4arch9wavefront6targetE0EEEvT1_
    .private_segment_fixed_size: 0
    .sgpr_count:     0
    .sgpr_spill_count: 0
    .symbol:         _ZN7rocprim17ROCPRIM_400000_NS6detail17trampoline_kernelINS0_14default_configENS1_25partition_config_selectorILNS1_17partition_subalgoE9EijbEEZZNS1_14partition_implILS5_9ELb0ES3_jN6thrust23THRUST_200600_302600_NS6detail15normal_iteratorINS9_10device_ptrIiEEEENSB_INSC_IjEEEEPNS0_10empty_typeENS0_5tupleIJSE_SH_EEENSJ_IJSG_SI_EEENS0_18inequality_wrapperINS9_8equal_toIiEEEEPmJSH_EEE10hipError_tPvRmT3_T4_T5_T6_T7_T9_mT8_P12ihipStream_tbDpT10_ENKUlT_T0_E_clISt17integral_constantIbLb1EES19_IbLb0EEEEDaS15_S16_EUlS15_E_NS1_11comp_targetILNS1_3genE5ELNS1_11target_archE942ELNS1_3gpuE9ELNS1_3repE0EEENS1_30default_config_static_selectorELNS0_4arch9wavefront6targetE0EEEvT1_.kd
    .uniform_work_group_size: 1
    .uses_dynamic_stack: false
    .vgpr_count:     0
    .vgpr_spill_count: 0
    .wavefront_size: 32
    .workgroup_processor_mode: 1
  - .args:
      - .offset:         0
        .size:           112
        .value_kind:     by_value
    .group_segment_fixed_size: 0
    .kernarg_segment_align: 8
    .kernarg_segment_size: 112
    .language:       OpenCL C
    .language_version:
      - 2
      - 0
    .max_flat_workgroup_size: 192
    .name:           _ZN7rocprim17ROCPRIM_400000_NS6detail17trampoline_kernelINS0_14default_configENS1_25partition_config_selectorILNS1_17partition_subalgoE9EijbEEZZNS1_14partition_implILS5_9ELb0ES3_jN6thrust23THRUST_200600_302600_NS6detail15normal_iteratorINS9_10device_ptrIiEEEENSB_INSC_IjEEEEPNS0_10empty_typeENS0_5tupleIJSE_SH_EEENSJ_IJSG_SI_EEENS0_18inequality_wrapperINS9_8equal_toIiEEEEPmJSH_EEE10hipError_tPvRmT3_T4_T5_T6_T7_T9_mT8_P12ihipStream_tbDpT10_ENKUlT_T0_E_clISt17integral_constantIbLb1EES19_IbLb0EEEEDaS15_S16_EUlS15_E_NS1_11comp_targetILNS1_3genE4ELNS1_11target_archE910ELNS1_3gpuE8ELNS1_3repE0EEENS1_30default_config_static_selectorELNS0_4arch9wavefront6targetE0EEEvT1_
    .private_segment_fixed_size: 0
    .sgpr_count:     0
    .sgpr_spill_count: 0
    .symbol:         _ZN7rocprim17ROCPRIM_400000_NS6detail17trampoline_kernelINS0_14default_configENS1_25partition_config_selectorILNS1_17partition_subalgoE9EijbEEZZNS1_14partition_implILS5_9ELb0ES3_jN6thrust23THRUST_200600_302600_NS6detail15normal_iteratorINS9_10device_ptrIiEEEENSB_INSC_IjEEEEPNS0_10empty_typeENS0_5tupleIJSE_SH_EEENSJ_IJSG_SI_EEENS0_18inequality_wrapperINS9_8equal_toIiEEEEPmJSH_EEE10hipError_tPvRmT3_T4_T5_T6_T7_T9_mT8_P12ihipStream_tbDpT10_ENKUlT_T0_E_clISt17integral_constantIbLb1EES19_IbLb0EEEEDaS15_S16_EUlS15_E_NS1_11comp_targetILNS1_3genE4ELNS1_11target_archE910ELNS1_3gpuE8ELNS1_3repE0EEENS1_30default_config_static_selectorELNS0_4arch9wavefront6targetE0EEEvT1_.kd
    .uniform_work_group_size: 1
    .uses_dynamic_stack: false
    .vgpr_count:     0
    .vgpr_spill_count: 0
    .wavefront_size: 32
    .workgroup_processor_mode: 1
  - .args:
      - .offset:         0
        .size:           112
        .value_kind:     by_value
    .group_segment_fixed_size: 0
    .kernarg_segment_align: 8
    .kernarg_segment_size: 112
    .language:       OpenCL C
    .language_version:
      - 2
      - 0
    .max_flat_workgroup_size: 256
    .name:           _ZN7rocprim17ROCPRIM_400000_NS6detail17trampoline_kernelINS0_14default_configENS1_25partition_config_selectorILNS1_17partition_subalgoE9EijbEEZZNS1_14partition_implILS5_9ELb0ES3_jN6thrust23THRUST_200600_302600_NS6detail15normal_iteratorINS9_10device_ptrIiEEEENSB_INSC_IjEEEEPNS0_10empty_typeENS0_5tupleIJSE_SH_EEENSJ_IJSG_SI_EEENS0_18inequality_wrapperINS9_8equal_toIiEEEEPmJSH_EEE10hipError_tPvRmT3_T4_T5_T6_T7_T9_mT8_P12ihipStream_tbDpT10_ENKUlT_T0_E_clISt17integral_constantIbLb1EES19_IbLb0EEEEDaS15_S16_EUlS15_E_NS1_11comp_targetILNS1_3genE3ELNS1_11target_archE908ELNS1_3gpuE7ELNS1_3repE0EEENS1_30default_config_static_selectorELNS0_4arch9wavefront6targetE0EEEvT1_
    .private_segment_fixed_size: 0
    .sgpr_count:     0
    .sgpr_spill_count: 0
    .symbol:         _ZN7rocprim17ROCPRIM_400000_NS6detail17trampoline_kernelINS0_14default_configENS1_25partition_config_selectorILNS1_17partition_subalgoE9EijbEEZZNS1_14partition_implILS5_9ELb0ES3_jN6thrust23THRUST_200600_302600_NS6detail15normal_iteratorINS9_10device_ptrIiEEEENSB_INSC_IjEEEEPNS0_10empty_typeENS0_5tupleIJSE_SH_EEENSJ_IJSG_SI_EEENS0_18inequality_wrapperINS9_8equal_toIiEEEEPmJSH_EEE10hipError_tPvRmT3_T4_T5_T6_T7_T9_mT8_P12ihipStream_tbDpT10_ENKUlT_T0_E_clISt17integral_constantIbLb1EES19_IbLb0EEEEDaS15_S16_EUlS15_E_NS1_11comp_targetILNS1_3genE3ELNS1_11target_archE908ELNS1_3gpuE7ELNS1_3repE0EEENS1_30default_config_static_selectorELNS0_4arch9wavefront6targetE0EEEvT1_.kd
    .uniform_work_group_size: 1
    .uses_dynamic_stack: false
    .vgpr_count:     0
    .vgpr_spill_count: 0
    .wavefront_size: 32
    .workgroup_processor_mode: 1
  - .args:
      - .offset:         0
        .size:           112
        .value_kind:     by_value
    .group_segment_fixed_size: 0
    .kernarg_segment_align: 8
    .kernarg_segment_size: 112
    .language:       OpenCL C
    .language_version:
      - 2
      - 0
    .max_flat_workgroup_size: 256
    .name:           _ZN7rocprim17ROCPRIM_400000_NS6detail17trampoline_kernelINS0_14default_configENS1_25partition_config_selectorILNS1_17partition_subalgoE9EijbEEZZNS1_14partition_implILS5_9ELb0ES3_jN6thrust23THRUST_200600_302600_NS6detail15normal_iteratorINS9_10device_ptrIiEEEENSB_INSC_IjEEEEPNS0_10empty_typeENS0_5tupleIJSE_SH_EEENSJ_IJSG_SI_EEENS0_18inequality_wrapperINS9_8equal_toIiEEEEPmJSH_EEE10hipError_tPvRmT3_T4_T5_T6_T7_T9_mT8_P12ihipStream_tbDpT10_ENKUlT_T0_E_clISt17integral_constantIbLb1EES19_IbLb0EEEEDaS15_S16_EUlS15_E_NS1_11comp_targetILNS1_3genE2ELNS1_11target_archE906ELNS1_3gpuE6ELNS1_3repE0EEENS1_30default_config_static_selectorELNS0_4arch9wavefront6targetE0EEEvT1_
    .private_segment_fixed_size: 0
    .sgpr_count:     0
    .sgpr_spill_count: 0
    .symbol:         _ZN7rocprim17ROCPRIM_400000_NS6detail17trampoline_kernelINS0_14default_configENS1_25partition_config_selectorILNS1_17partition_subalgoE9EijbEEZZNS1_14partition_implILS5_9ELb0ES3_jN6thrust23THRUST_200600_302600_NS6detail15normal_iteratorINS9_10device_ptrIiEEEENSB_INSC_IjEEEEPNS0_10empty_typeENS0_5tupleIJSE_SH_EEENSJ_IJSG_SI_EEENS0_18inequality_wrapperINS9_8equal_toIiEEEEPmJSH_EEE10hipError_tPvRmT3_T4_T5_T6_T7_T9_mT8_P12ihipStream_tbDpT10_ENKUlT_T0_E_clISt17integral_constantIbLb1EES19_IbLb0EEEEDaS15_S16_EUlS15_E_NS1_11comp_targetILNS1_3genE2ELNS1_11target_archE906ELNS1_3gpuE6ELNS1_3repE0EEENS1_30default_config_static_selectorELNS0_4arch9wavefront6targetE0EEEvT1_.kd
    .uniform_work_group_size: 1
    .uses_dynamic_stack: false
    .vgpr_count:     0
    .vgpr_spill_count: 0
    .wavefront_size: 32
    .workgroup_processor_mode: 1
  - .args:
      - .offset:         0
        .size:           112
        .value_kind:     by_value
    .group_segment_fixed_size: 0
    .kernarg_segment_align: 8
    .kernarg_segment_size: 112
    .language:       OpenCL C
    .language_version:
      - 2
      - 0
    .max_flat_workgroup_size: 384
    .name:           _ZN7rocprim17ROCPRIM_400000_NS6detail17trampoline_kernelINS0_14default_configENS1_25partition_config_selectorILNS1_17partition_subalgoE9EijbEEZZNS1_14partition_implILS5_9ELb0ES3_jN6thrust23THRUST_200600_302600_NS6detail15normal_iteratorINS9_10device_ptrIiEEEENSB_INSC_IjEEEEPNS0_10empty_typeENS0_5tupleIJSE_SH_EEENSJ_IJSG_SI_EEENS0_18inequality_wrapperINS9_8equal_toIiEEEEPmJSH_EEE10hipError_tPvRmT3_T4_T5_T6_T7_T9_mT8_P12ihipStream_tbDpT10_ENKUlT_T0_E_clISt17integral_constantIbLb1EES19_IbLb0EEEEDaS15_S16_EUlS15_E_NS1_11comp_targetILNS1_3genE10ELNS1_11target_archE1200ELNS1_3gpuE4ELNS1_3repE0EEENS1_30default_config_static_selectorELNS0_4arch9wavefront6targetE0EEEvT1_
    .private_segment_fixed_size: 0
    .sgpr_count:     0
    .sgpr_spill_count: 0
    .symbol:         _ZN7rocprim17ROCPRIM_400000_NS6detail17trampoline_kernelINS0_14default_configENS1_25partition_config_selectorILNS1_17partition_subalgoE9EijbEEZZNS1_14partition_implILS5_9ELb0ES3_jN6thrust23THRUST_200600_302600_NS6detail15normal_iteratorINS9_10device_ptrIiEEEENSB_INSC_IjEEEEPNS0_10empty_typeENS0_5tupleIJSE_SH_EEENSJ_IJSG_SI_EEENS0_18inequality_wrapperINS9_8equal_toIiEEEEPmJSH_EEE10hipError_tPvRmT3_T4_T5_T6_T7_T9_mT8_P12ihipStream_tbDpT10_ENKUlT_T0_E_clISt17integral_constantIbLb1EES19_IbLb0EEEEDaS15_S16_EUlS15_E_NS1_11comp_targetILNS1_3genE10ELNS1_11target_archE1200ELNS1_3gpuE4ELNS1_3repE0EEENS1_30default_config_static_selectorELNS0_4arch9wavefront6targetE0EEEvT1_.kd
    .uniform_work_group_size: 1
    .uses_dynamic_stack: false
    .vgpr_count:     0
    .vgpr_spill_count: 0
    .wavefront_size: 32
    .workgroup_processor_mode: 1
  - .args:
      - .offset:         0
        .size:           112
        .value_kind:     by_value
    .group_segment_fixed_size: 12680
    .kernarg_segment_align: 8
    .kernarg_segment_size: 112
    .language:       OpenCL C
    .language_version:
      - 2
      - 0
    .max_flat_workgroup_size: 384
    .name:           _ZN7rocprim17ROCPRIM_400000_NS6detail17trampoline_kernelINS0_14default_configENS1_25partition_config_selectorILNS1_17partition_subalgoE9EijbEEZZNS1_14partition_implILS5_9ELb0ES3_jN6thrust23THRUST_200600_302600_NS6detail15normal_iteratorINS9_10device_ptrIiEEEENSB_INSC_IjEEEEPNS0_10empty_typeENS0_5tupleIJSE_SH_EEENSJ_IJSG_SI_EEENS0_18inequality_wrapperINS9_8equal_toIiEEEEPmJSH_EEE10hipError_tPvRmT3_T4_T5_T6_T7_T9_mT8_P12ihipStream_tbDpT10_ENKUlT_T0_E_clISt17integral_constantIbLb1EES19_IbLb0EEEEDaS15_S16_EUlS15_E_NS1_11comp_targetILNS1_3genE9ELNS1_11target_archE1100ELNS1_3gpuE3ELNS1_3repE0EEENS1_30default_config_static_selectorELNS0_4arch9wavefront6targetE0EEEvT1_
    .private_segment_fixed_size: 0
    .sgpr_count:     27
    .sgpr_spill_count: 0
    .symbol:         _ZN7rocprim17ROCPRIM_400000_NS6detail17trampoline_kernelINS0_14default_configENS1_25partition_config_selectorILNS1_17partition_subalgoE9EijbEEZZNS1_14partition_implILS5_9ELb0ES3_jN6thrust23THRUST_200600_302600_NS6detail15normal_iteratorINS9_10device_ptrIiEEEENSB_INSC_IjEEEEPNS0_10empty_typeENS0_5tupleIJSE_SH_EEENSJ_IJSG_SI_EEENS0_18inequality_wrapperINS9_8equal_toIiEEEEPmJSH_EEE10hipError_tPvRmT3_T4_T5_T6_T7_T9_mT8_P12ihipStream_tbDpT10_ENKUlT_T0_E_clISt17integral_constantIbLb1EES19_IbLb0EEEEDaS15_S16_EUlS15_E_NS1_11comp_targetILNS1_3genE9ELNS1_11target_archE1100ELNS1_3gpuE3ELNS1_3repE0EEENS1_30default_config_static_selectorELNS0_4arch9wavefront6targetE0EEEvT1_.kd
    .uniform_work_group_size: 1
    .uses_dynamic_stack: false
    .vgpr_count:     51
    .vgpr_spill_count: 0
    .wavefront_size: 32
    .workgroup_processor_mode: 1
  - .args:
      - .offset:         0
        .size:           112
        .value_kind:     by_value
    .group_segment_fixed_size: 0
    .kernarg_segment_align: 8
    .kernarg_segment_size: 112
    .language:       OpenCL C
    .language_version:
      - 2
      - 0
    .max_flat_workgroup_size: 512
    .name:           _ZN7rocprim17ROCPRIM_400000_NS6detail17trampoline_kernelINS0_14default_configENS1_25partition_config_selectorILNS1_17partition_subalgoE9EijbEEZZNS1_14partition_implILS5_9ELb0ES3_jN6thrust23THRUST_200600_302600_NS6detail15normal_iteratorINS9_10device_ptrIiEEEENSB_INSC_IjEEEEPNS0_10empty_typeENS0_5tupleIJSE_SH_EEENSJ_IJSG_SI_EEENS0_18inequality_wrapperINS9_8equal_toIiEEEEPmJSH_EEE10hipError_tPvRmT3_T4_T5_T6_T7_T9_mT8_P12ihipStream_tbDpT10_ENKUlT_T0_E_clISt17integral_constantIbLb1EES19_IbLb0EEEEDaS15_S16_EUlS15_E_NS1_11comp_targetILNS1_3genE8ELNS1_11target_archE1030ELNS1_3gpuE2ELNS1_3repE0EEENS1_30default_config_static_selectorELNS0_4arch9wavefront6targetE0EEEvT1_
    .private_segment_fixed_size: 0
    .sgpr_count:     0
    .sgpr_spill_count: 0
    .symbol:         _ZN7rocprim17ROCPRIM_400000_NS6detail17trampoline_kernelINS0_14default_configENS1_25partition_config_selectorILNS1_17partition_subalgoE9EijbEEZZNS1_14partition_implILS5_9ELb0ES3_jN6thrust23THRUST_200600_302600_NS6detail15normal_iteratorINS9_10device_ptrIiEEEENSB_INSC_IjEEEEPNS0_10empty_typeENS0_5tupleIJSE_SH_EEENSJ_IJSG_SI_EEENS0_18inequality_wrapperINS9_8equal_toIiEEEEPmJSH_EEE10hipError_tPvRmT3_T4_T5_T6_T7_T9_mT8_P12ihipStream_tbDpT10_ENKUlT_T0_E_clISt17integral_constantIbLb1EES19_IbLb0EEEEDaS15_S16_EUlS15_E_NS1_11comp_targetILNS1_3genE8ELNS1_11target_archE1030ELNS1_3gpuE2ELNS1_3repE0EEENS1_30default_config_static_selectorELNS0_4arch9wavefront6targetE0EEEvT1_.kd
    .uniform_work_group_size: 1
    .uses_dynamic_stack: false
    .vgpr_count:     0
    .vgpr_spill_count: 0
    .wavefront_size: 32
    .workgroup_processor_mode: 1
  - .args:
      - .offset:         0
        .size:           128
        .value_kind:     by_value
    .group_segment_fixed_size: 0
    .kernarg_segment_align: 8
    .kernarg_segment_size: 128
    .language:       OpenCL C
    .language_version:
      - 2
      - 0
    .max_flat_workgroup_size: 256
    .name:           _ZN7rocprim17ROCPRIM_400000_NS6detail17trampoline_kernelINS0_14default_configENS1_25partition_config_selectorILNS1_17partition_subalgoE9EijbEEZZNS1_14partition_implILS5_9ELb0ES3_jN6thrust23THRUST_200600_302600_NS6detail15normal_iteratorINS9_10device_ptrIiEEEENSB_INSC_IjEEEEPNS0_10empty_typeENS0_5tupleIJSE_SH_EEENSJ_IJSG_SI_EEENS0_18inequality_wrapperINS9_8equal_toIiEEEEPmJSH_EEE10hipError_tPvRmT3_T4_T5_T6_T7_T9_mT8_P12ihipStream_tbDpT10_ENKUlT_T0_E_clISt17integral_constantIbLb0EES19_IbLb1EEEEDaS15_S16_EUlS15_E_NS1_11comp_targetILNS1_3genE0ELNS1_11target_archE4294967295ELNS1_3gpuE0ELNS1_3repE0EEENS1_30default_config_static_selectorELNS0_4arch9wavefront6targetE0EEEvT1_
    .private_segment_fixed_size: 0
    .sgpr_count:     0
    .sgpr_spill_count: 0
    .symbol:         _ZN7rocprim17ROCPRIM_400000_NS6detail17trampoline_kernelINS0_14default_configENS1_25partition_config_selectorILNS1_17partition_subalgoE9EijbEEZZNS1_14partition_implILS5_9ELb0ES3_jN6thrust23THRUST_200600_302600_NS6detail15normal_iteratorINS9_10device_ptrIiEEEENSB_INSC_IjEEEEPNS0_10empty_typeENS0_5tupleIJSE_SH_EEENSJ_IJSG_SI_EEENS0_18inequality_wrapperINS9_8equal_toIiEEEEPmJSH_EEE10hipError_tPvRmT3_T4_T5_T6_T7_T9_mT8_P12ihipStream_tbDpT10_ENKUlT_T0_E_clISt17integral_constantIbLb0EES19_IbLb1EEEEDaS15_S16_EUlS15_E_NS1_11comp_targetILNS1_3genE0ELNS1_11target_archE4294967295ELNS1_3gpuE0ELNS1_3repE0EEENS1_30default_config_static_selectorELNS0_4arch9wavefront6targetE0EEEvT1_.kd
    .uniform_work_group_size: 1
    .uses_dynamic_stack: false
    .vgpr_count:     0
    .vgpr_spill_count: 0
    .wavefront_size: 32
    .workgroup_processor_mode: 1
  - .args:
      - .offset:         0
        .size:           128
        .value_kind:     by_value
    .group_segment_fixed_size: 0
    .kernarg_segment_align: 8
    .kernarg_segment_size: 128
    .language:       OpenCL C
    .language_version:
      - 2
      - 0
    .max_flat_workgroup_size: 512
    .name:           _ZN7rocprim17ROCPRIM_400000_NS6detail17trampoline_kernelINS0_14default_configENS1_25partition_config_selectorILNS1_17partition_subalgoE9EijbEEZZNS1_14partition_implILS5_9ELb0ES3_jN6thrust23THRUST_200600_302600_NS6detail15normal_iteratorINS9_10device_ptrIiEEEENSB_INSC_IjEEEEPNS0_10empty_typeENS0_5tupleIJSE_SH_EEENSJ_IJSG_SI_EEENS0_18inequality_wrapperINS9_8equal_toIiEEEEPmJSH_EEE10hipError_tPvRmT3_T4_T5_T6_T7_T9_mT8_P12ihipStream_tbDpT10_ENKUlT_T0_E_clISt17integral_constantIbLb0EES19_IbLb1EEEEDaS15_S16_EUlS15_E_NS1_11comp_targetILNS1_3genE5ELNS1_11target_archE942ELNS1_3gpuE9ELNS1_3repE0EEENS1_30default_config_static_selectorELNS0_4arch9wavefront6targetE0EEEvT1_
    .private_segment_fixed_size: 0
    .sgpr_count:     0
    .sgpr_spill_count: 0
    .symbol:         _ZN7rocprim17ROCPRIM_400000_NS6detail17trampoline_kernelINS0_14default_configENS1_25partition_config_selectorILNS1_17partition_subalgoE9EijbEEZZNS1_14partition_implILS5_9ELb0ES3_jN6thrust23THRUST_200600_302600_NS6detail15normal_iteratorINS9_10device_ptrIiEEEENSB_INSC_IjEEEEPNS0_10empty_typeENS0_5tupleIJSE_SH_EEENSJ_IJSG_SI_EEENS0_18inequality_wrapperINS9_8equal_toIiEEEEPmJSH_EEE10hipError_tPvRmT3_T4_T5_T6_T7_T9_mT8_P12ihipStream_tbDpT10_ENKUlT_T0_E_clISt17integral_constantIbLb0EES19_IbLb1EEEEDaS15_S16_EUlS15_E_NS1_11comp_targetILNS1_3genE5ELNS1_11target_archE942ELNS1_3gpuE9ELNS1_3repE0EEENS1_30default_config_static_selectorELNS0_4arch9wavefront6targetE0EEEvT1_.kd
    .uniform_work_group_size: 1
    .uses_dynamic_stack: false
    .vgpr_count:     0
    .vgpr_spill_count: 0
    .wavefront_size: 32
    .workgroup_processor_mode: 1
  - .args:
      - .offset:         0
        .size:           128
        .value_kind:     by_value
    .group_segment_fixed_size: 0
    .kernarg_segment_align: 8
    .kernarg_segment_size: 128
    .language:       OpenCL C
    .language_version:
      - 2
      - 0
    .max_flat_workgroup_size: 192
    .name:           _ZN7rocprim17ROCPRIM_400000_NS6detail17trampoline_kernelINS0_14default_configENS1_25partition_config_selectorILNS1_17partition_subalgoE9EijbEEZZNS1_14partition_implILS5_9ELb0ES3_jN6thrust23THRUST_200600_302600_NS6detail15normal_iteratorINS9_10device_ptrIiEEEENSB_INSC_IjEEEEPNS0_10empty_typeENS0_5tupleIJSE_SH_EEENSJ_IJSG_SI_EEENS0_18inequality_wrapperINS9_8equal_toIiEEEEPmJSH_EEE10hipError_tPvRmT3_T4_T5_T6_T7_T9_mT8_P12ihipStream_tbDpT10_ENKUlT_T0_E_clISt17integral_constantIbLb0EES19_IbLb1EEEEDaS15_S16_EUlS15_E_NS1_11comp_targetILNS1_3genE4ELNS1_11target_archE910ELNS1_3gpuE8ELNS1_3repE0EEENS1_30default_config_static_selectorELNS0_4arch9wavefront6targetE0EEEvT1_
    .private_segment_fixed_size: 0
    .sgpr_count:     0
    .sgpr_spill_count: 0
    .symbol:         _ZN7rocprim17ROCPRIM_400000_NS6detail17trampoline_kernelINS0_14default_configENS1_25partition_config_selectorILNS1_17partition_subalgoE9EijbEEZZNS1_14partition_implILS5_9ELb0ES3_jN6thrust23THRUST_200600_302600_NS6detail15normal_iteratorINS9_10device_ptrIiEEEENSB_INSC_IjEEEEPNS0_10empty_typeENS0_5tupleIJSE_SH_EEENSJ_IJSG_SI_EEENS0_18inequality_wrapperINS9_8equal_toIiEEEEPmJSH_EEE10hipError_tPvRmT3_T4_T5_T6_T7_T9_mT8_P12ihipStream_tbDpT10_ENKUlT_T0_E_clISt17integral_constantIbLb0EES19_IbLb1EEEEDaS15_S16_EUlS15_E_NS1_11comp_targetILNS1_3genE4ELNS1_11target_archE910ELNS1_3gpuE8ELNS1_3repE0EEENS1_30default_config_static_selectorELNS0_4arch9wavefront6targetE0EEEvT1_.kd
    .uniform_work_group_size: 1
    .uses_dynamic_stack: false
    .vgpr_count:     0
    .vgpr_spill_count: 0
    .wavefront_size: 32
    .workgroup_processor_mode: 1
  - .args:
      - .offset:         0
        .size:           128
        .value_kind:     by_value
    .group_segment_fixed_size: 0
    .kernarg_segment_align: 8
    .kernarg_segment_size: 128
    .language:       OpenCL C
    .language_version:
      - 2
      - 0
    .max_flat_workgroup_size: 256
    .name:           _ZN7rocprim17ROCPRIM_400000_NS6detail17trampoline_kernelINS0_14default_configENS1_25partition_config_selectorILNS1_17partition_subalgoE9EijbEEZZNS1_14partition_implILS5_9ELb0ES3_jN6thrust23THRUST_200600_302600_NS6detail15normal_iteratorINS9_10device_ptrIiEEEENSB_INSC_IjEEEEPNS0_10empty_typeENS0_5tupleIJSE_SH_EEENSJ_IJSG_SI_EEENS0_18inequality_wrapperINS9_8equal_toIiEEEEPmJSH_EEE10hipError_tPvRmT3_T4_T5_T6_T7_T9_mT8_P12ihipStream_tbDpT10_ENKUlT_T0_E_clISt17integral_constantIbLb0EES19_IbLb1EEEEDaS15_S16_EUlS15_E_NS1_11comp_targetILNS1_3genE3ELNS1_11target_archE908ELNS1_3gpuE7ELNS1_3repE0EEENS1_30default_config_static_selectorELNS0_4arch9wavefront6targetE0EEEvT1_
    .private_segment_fixed_size: 0
    .sgpr_count:     0
    .sgpr_spill_count: 0
    .symbol:         _ZN7rocprim17ROCPRIM_400000_NS6detail17trampoline_kernelINS0_14default_configENS1_25partition_config_selectorILNS1_17partition_subalgoE9EijbEEZZNS1_14partition_implILS5_9ELb0ES3_jN6thrust23THRUST_200600_302600_NS6detail15normal_iteratorINS9_10device_ptrIiEEEENSB_INSC_IjEEEEPNS0_10empty_typeENS0_5tupleIJSE_SH_EEENSJ_IJSG_SI_EEENS0_18inequality_wrapperINS9_8equal_toIiEEEEPmJSH_EEE10hipError_tPvRmT3_T4_T5_T6_T7_T9_mT8_P12ihipStream_tbDpT10_ENKUlT_T0_E_clISt17integral_constantIbLb0EES19_IbLb1EEEEDaS15_S16_EUlS15_E_NS1_11comp_targetILNS1_3genE3ELNS1_11target_archE908ELNS1_3gpuE7ELNS1_3repE0EEENS1_30default_config_static_selectorELNS0_4arch9wavefront6targetE0EEEvT1_.kd
    .uniform_work_group_size: 1
    .uses_dynamic_stack: false
    .vgpr_count:     0
    .vgpr_spill_count: 0
    .wavefront_size: 32
    .workgroup_processor_mode: 1
  - .args:
      - .offset:         0
        .size:           128
        .value_kind:     by_value
    .group_segment_fixed_size: 0
    .kernarg_segment_align: 8
    .kernarg_segment_size: 128
    .language:       OpenCL C
    .language_version:
      - 2
      - 0
    .max_flat_workgroup_size: 256
    .name:           _ZN7rocprim17ROCPRIM_400000_NS6detail17trampoline_kernelINS0_14default_configENS1_25partition_config_selectorILNS1_17partition_subalgoE9EijbEEZZNS1_14partition_implILS5_9ELb0ES3_jN6thrust23THRUST_200600_302600_NS6detail15normal_iteratorINS9_10device_ptrIiEEEENSB_INSC_IjEEEEPNS0_10empty_typeENS0_5tupleIJSE_SH_EEENSJ_IJSG_SI_EEENS0_18inequality_wrapperINS9_8equal_toIiEEEEPmJSH_EEE10hipError_tPvRmT3_T4_T5_T6_T7_T9_mT8_P12ihipStream_tbDpT10_ENKUlT_T0_E_clISt17integral_constantIbLb0EES19_IbLb1EEEEDaS15_S16_EUlS15_E_NS1_11comp_targetILNS1_3genE2ELNS1_11target_archE906ELNS1_3gpuE6ELNS1_3repE0EEENS1_30default_config_static_selectorELNS0_4arch9wavefront6targetE0EEEvT1_
    .private_segment_fixed_size: 0
    .sgpr_count:     0
    .sgpr_spill_count: 0
    .symbol:         _ZN7rocprim17ROCPRIM_400000_NS6detail17trampoline_kernelINS0_14default_configENS1_25partition_config_selectorILNS1_17partition_subalgoE9EijbEEZZNS1_14partition_implILS5_9ELb0ES3_jN6thrust23THRUST_200600_302600_NS6detail15normal_iteratorINS9_10device_ptrIiEEEENSB_INSC_IjEEEEPNS0_10empty_typeENS0_5tupleIJSE_SH_EEENSJ_IJSG_SI_EEENS0_18inequality_wrapperINS9_8equal_toIiEEEEPmJSH_EEE10hipError_tPvRmT3_T4_T5_T6_T7_T9_mT8_P12ihipStream_tbDpT10_ENKUlT_T0_E_clISt17integral_constantIbLb0EES19_IbLb1EEEEDaS15_S16_EUlS15_E_NS1_11comp_targetILNS1_3genE2ELNS1_11target_archE906ELNS1_3gpuE6ELNS1_3repE0EEENS1_30default_config_static_selectorELNS0_4arch9wavefront6targetE0EEEvT1_.kd
    .uniform_work_group_size: 1
    .uses_dynamic_stack: false
    .vgpr_count:     0
    .vgpr_spill_count: 0
    .wavefront_size: 32
    .workgroup_processor_mode: 1
  - .args:
      - .offset:         0
        .size:           128
        .value_kind:     by_value
    .group_segment_fixed_size: 0
    .kernarg_segment_align: 8
    .kernarg_segment_size: 128
    .language:       OpenCL C
    .language_version:
      - 2
      - 0
    .max_flat_workgroup_size: 384
    .name:           _ZN7rocprim17ROCPRIM_400000_NS6detail17trampoline_kernelINS0_14default_configENS1_25partition_config_selectorILNS1_17partition_subalgoE9EijbEEZZNS1_14partition_implILS5_9ELb0ES3_jN6thrust23THRUST_200600_302600_NS6detail15normal_iteratorINS9_10device_ptrIiEEEENSB_INSC_IjEEEEPNS0_10empty_typeENS0_5tupleIJSE_SH_EEENSJ_IJSG_SI_EEENS0_18inequality_wrapperINS9_8equal_toIiEEEEPmJSH_EEE10hipError_tPvRmT3_T4_T5_T6_T7_T9_mT8_P12ihipStream_tbDpT10_ENKUlT_T0_E_clISt17integral_constantIbLb0EES19_IbLb1EEEEDaS15_S16_EUlS15_E_NS1_11comp_targetILNS1_3genE10ELNS1_11target_archE1200ELNS1_3gpuE4ELNS1_3repE0EEENS1_30default_config_static_selectorELNS0_4arch9wavefront6targetE0EEEvT1_
    .private_segment_fixed_size: 0
    .sgpr_count:     0
    .sgpr_spill_count: 0
    .symbol:         _ZN7rocprim17ROCPRIM_400000_NS6detail17trampoline_kernelINS0_14default_configENS1_25partition_config_selectorILNS1_17partition_subalgoE9EijbEEZZNS1_14partition_implILS5_9ELb0ES3_jN6thrust23THRUST_200600_302600_NS6detail15normal_iteratorINS9_10device_ptrIiEEEENSB_INSC_IjEEEEPNS0_10empty_typeENS0_5tupleIJSE_SH_EEENSJ_IJSG_SI_EEENS0_18inequality_wrapperINS9_8equal_toIiEEEEPmJSH_EEE10hipError_tPvRmT3_T4_T5_T6_T7_T9_mT8_P12ihipStream_tbDpT10_ENKUlT_T0_E_clISt17integral_constantIbLb0EES19_IbLb1EEEEDaS15_S16_EUlS15_E_NS1_11comp_targetILNS1_3genE10ELNS1_11target_archE1200ELNS1_3gpuE4ELNS1_3repE0EEENS1_30default_config_static_selectorELNS0_4arch9wavefront6targetE0EEEvT1_.kd
    .uniform_work_group_size: 1
    .uses_dynamic_stack: false
    .vgpr_count:     0
    .vgpr_spill_count: 0
    .wavefront_size: 32
    .workgroup_processor_mode: 1
  - .args:
      - .offset:         0
        .size:           128
        .value_kind:     by_value
    .group_segment_fixed_size: 12680
    .kernarg_segment_align: 8
    .kernarg_segment_size: 128
    .language:       OpenCL C
    .language_version:
      - 2
      - 0
    .max_flat_workgroup_size: 384
    .name:           _ZN7rocprim17ROCPRIM_400000_NS6detail17trampoline_kernelINS0_14default_configENS1_25partition_config_selectorILNS1_17partition_subalgoE9EijbEEZZNS1_14partition_implILS5_9ELb0ES3_jN6thrust23THRUST_200600_302600_NS6detail15normal_iteratorINS9_10device_ptrIiEEEENSB_INSC_IjEEEEPNS0_10empty_typeENS0_5tupleIJSE_SH_EEENSJ_IJSG_SI_EEENS0_18inequality_wrapperINS9_8equal_toIiEEEEPmJSH_EEE10hipError_tPvRmT3_T4_T5_T6_T7_T9_mT8_P12ihipStream_tbDpT10_ENKUlT_T0_E_clISt17integral_constantIbLb0EES19_IbLb1EEEEDaS15_S16_EUlS15_E_NS1_11comp_targetILNS1_3genE9ELNS1_11target_archE1100ELNS1_3gpuE3ELNS1_3repE0EEENS1_30default_config_static_selectorELNS0_4arch9wavefront6targetE0EEEvT1_
    .private_segment_fixed_size: 0
    .sgpr_count:     31
    .sgpr_spill_count: 0
    .symbol:         _ZN7rocprim17ROCPRIM_400000_NS6detail17trampoline_kernelINS0_14default_configENS1_25partition_config_selectorILNS1_17partition_subalgoE9EijbEEZZNS1_14partition_implILS5_9ELb0ES3_jN6thrust23THRUST_200600_302600_NS6detail15normal_iteratorINS9_10device_ptrIiEEEENSB_INSC_IjEEEEPNS0_10empty_typeENS0_5tupleIJSE_SH_EEENSJ_IJSG_SI_EEENS0_18inequality_wrapperINS9_8equal_toIiEEEEPmJSH_EEE10hipError_tPvRmT3_T4_T5_T6_T7_T9_mT8_P12ihipStream_tbDpT10_ENKUlT_T0_E_clISt17integral_constantIbLb0EES19_IbLb1EEEEDaS15_S16_EUlS15_E_NS1_11comp_targetILNS1_3genE9ELNS1_11target_archE1100ELNS1_3gpuE3ELNS1_3repE0EEENS1_30default_config_static_selectorELNS0_4arch9wavefront6targetE0EEEvT1_.kd
    .uniform_work_group_size: 1
    .uses_dynamic_stack: false
    .vgpr_count:     51
    .vgpr_spill_count: 0
    .wavefront_size: 32
    .workgroup_processor_mode: 1
  - .args:
      - .offset:         0
        .size:           128
        .value_kind:     by_value
    .group_segment_fixed_size: 0
    .kernarg_segment_align: 8
    .kernarg_segment_size: 128
    .language:       OpenCL C
    .language_version:
      - 2
      - 0
    .max_flat_workgroup_size: 512
    .name:           _ZN7rocprim17ROCPRIM_400000_NS6detail17trampoline_kernelINS0_14default_configENS1_25partition_config_selectorILNS1_17partition_subalgoE9EijbEEZZNS1_14partition_implILS5_9ELb0ES3_jN6thrust23THRUST_200600_302600_NS6detail15normal_iteratorINS9_10device_ptrIiEEEENSB_INSC_IjEEEEPNS0_10empty_typeENS0_5tupleIJSE_SH_EEENSJ_IJSG_SI_EEENS0_18inequality_wrapperINS9_8equal_toIiEEEEPmJSH_EEE10hipError_tPvRmT3_T4_T5_T6_T7_T9_mT8_P12ihipStream_tbDpT10_ENKUlT_T0_E_clISt17integral_constantIbLb0EES19_IbLb1EEEEDaS15_S16_EUlS15_E_NS1_11comp_targetILNS1_3genE8ELNS1_11target_archE1030ELNS1_3gpuE2ELNS1_3repE0EEENS1_30default_config_static_selectorELNS0_4arch9wavefront6targetE0EEEvT1_
    .private_segment_fixed_size: 0
    .sgpr_count:     0
    .sgpr_spill_count: 0
    .symbol:         _ZN7rocprim17ROCPRIM_400000_NS6detail17trampoline_kernelINS0_14default_configENS1_25partition_config_selectorILNS1_17partition_subalgoE9EijbEEZZNS1_14partition_implILS5_9ELb0ES3_jN6thrust23THRUST_200600_302600_NS6detail15normal_iteratorINS9_10device_ptrIiEEEENSB_INSC_IjEEEEPNS0_10empty_typeENS0_5tupleIJSE_SH_EEENSJ_IJSG_SI_EEENS0_18inequality_wrapperINS9_8equal_toIiEEEEPmJSH_EEE10hipError_tPvRmT3_T4_T5_T6_T7_T9_mT8_P12ihipStream_tbDpT10_ENKUlT_T0_E_clISt17integral_constantIbLb0EES19_IbLb1EEEEDaS15_S16_EUlS15_E_NS1_11comp_targetILNS1_3genE8ELNS1_11target_archE1030ELNS1_3gpuE2ELNS1_3repE0EEENS1_30default_config_static_selectorELNS0_4arch9wavefront6targetE0EEEvT1_.kd
    .uniform_work_group_size: 1
    .uses_dynamic_stack: false
    .vgpr_count:     0
    .vgpr_spill_count: 0
    .wavefront_size: 32
    .workgroup_processor_mode: 1
  - .args:
      - .offset:         0
        .size:           112
        .value_kind:     by_value
    .group_segment_fixed_size: 0
    .kernarg_segment_align: 8
    .kernarg_segment_size: 112
    .language:       OpenCL C
    .language_version:
      - 2
      - 0
    .max_flat_workgroup_size: 256
    .name:           _ZN7rocprim17ROCPRIM_400000_NS6detail17trampoline_kernelINS0_14default_configENS1_25partition_config_selectorILNS1_17partition_subalgoE9EsjbEEZZNS1_14partition_implILS5_9ELb0ES3_jN6thrust23THRUST_200600_302600_NS6detail15normal_iteratorINS9_10device_ptrIsEEEENSB_INSC_IjEEEEPNS0_10empty_typeENS0_5tupleIJSE_SH_EEENSJ_IJSG_SI_EEENS0_18inequality_wrapperINS9_8equal_toIsEEEEPmJSH_EEE10hipError_tPvRmT3_T4_T5_T6_T7_T9_mT8_P12ihipStream_tbDpT10_ENKUlT_T0_E_clISt17integral_constantIbLb0EES1A_EEDaS15_S16_EUlS15_E_NS1_11comp_targetILNS1_3genE0ELNS1_11target_archE4294967295ELNS1_3gpuE0ELNS1_3repE0EEENS1_30default_config_static_selectorELNS0_4arch9wavefront6targetE0EEEvT1_
    .private_segment_fixed_size: 0
    .sgpr_count:     0
    .sgpr_spill_count: 0
    .symbol:         _ZN7rocprim17ROCPRIM_400000_NS6detail17trampoline_kernelINS0_14default_configENS1_25partition_config_selectorILNS1_17partition_subalgoE9EsjbEEZZNS1_14partition_implILS5_9ELb0ES3_jN6thrust23THRUST_200600_302600_NS6detail15normal_iteratorINS9_10device_ptrIsEEEENSB_INSC_IjEEEEPNS0_10empty_typeENS0_5tupleIJSE_SH_EEENSJ_IJSG_SI_EEENS0_18inequality_wrapperINS9_8equal_toIsEEEEPmJSH_EEE10hipError_tPvRmT3_T4_T5_T6_T7_T9_mT8_P12ihipStream_tbDpT10_ENKUlT_T0_E_clISt17integral_constantIbLb0EES1A_EEDaS15_S16_EUlS15_E_NS1_11comp_targetILNS1_3genE0ELNS1_11target_archE4294967295ELNS1_3gpuE0ELNS1_3repE0EEENS1_30default_config_static_selectorELNS0_4arch9wavefront6targetE0EEEvT1_.kd
    .uniform_work_group_size: 1
    .uses_dynamic_stack: false
    .vgpr_count:     0
    .vgpr_spill_count: 0
    .wavefront_size: 32
    .workgroup_processor_mode: 1
  - .args:
      - .offset:         0
        .size:           112
        .value_kind:     by_value
    .group_segment_fixed_size: 0
    .kernarg_segment_align: 8
    .kernarg_segment_size: 112
    .language:       OpenCL C
    .language_version:
      - 2
      - 0
    .max_flat_workgroup_size: 512
    .name:           _ZN7rocprim17ROCPRIM_400000_NS6detail17trampoline_kernelINS0_14default_configENS1_25partition_config_selectorILNS1_17partition_subalgoE9EsjbEEZZNS1_14partition_implILS5_9ELb0ES3_jN6thrust23THRUST_200600_302600_NS6detail15normal_iteratorINS9_10device_ptrIsEEEENSB_INSC_IjEEEEPNS0_10empty_typeENS0_5tupleIJSE_SH_EEENSJ_IJSG_SI_EEENS0_18inequality_wrapperINS9_8equal_toIsEEEEPmJSH_EEE10hipError_tPvRmT3_T4_T5_T6_T7_T9_mT8_P12ihipStream_tbDpT10_ENKUlT_T0_E_clISt17integral_constantIbLb0EES1A_EEDaS15_S16_EUlS15_E_NS1_11comp_targetILNS1_3genE5ELNS1_11target_archE942ELNS1_3gpuE9ELNS1_3repE0EEENS1_30default_config_static_selectorELNS0_4arch9wavefront6targetE0EEEvT1_
    .private_segment_fixed_size: 0
    .sgpr_count:     0
    .sgpr_spill_count: 0
    .symbol:         _ZN7rocprim17ROCPRIM_400000_NS6detail17trampoline_kernelINS0_14default_configENS1_25partition_config_selectorILNS1_17partition_subalgoE9EsjbEEZZNS1_14partition_implILS5_9ELb0ES3_jN6thrust23THRUST_200600_302600_NS6detail15normal_iteratorINS9_10device_ptrIsEEEENSB_INSC_IjEEEEPNS0_10empty_typeENS0_5tupleIJSE_SH_EEENSJ_IJSG_SI_EEENS0_18inequality_wrapperINS9_8equal_toIsEEEEPmJSH_EEE10hipError_tPvRmT3_T4_T5_T6_T7_T9_mT8_P12ihipStream_tbDpT10_ENKUlT_T0_E_clISt17integral_constantIbLb0EES1A_EEDaS15_S16_EUlS15_E_NS1_11comp_targetILNS1_3genE5ELNS1_11target_archE942ELNS1_3gpuE9ELNS1_3repE0EEENS1_30default_config_static_selectorELNS0_4arch9wavefront6targetE0EEEvT1_.kd
    .uniform_work_group_size: 1
    .uses_dynamic_stack: false
    .vgpr_count:     0
    .vgpr_spill_count: 0
    .wavefront_size: 32
    .workgroup_processor_mode: 1
  - .args:
      - .offset:         0
        .size:           112
        .value_kind:     by_value
    .group_segment_fixed_size: 0
    .kernarg_segment_align: 8
    .kernarg_segment_size: 112
    .language:       OpenCL C
    .language_version:
      - 2
      - 0
    .max_flat_workgroup_size: 192
    .name:           _ZN7rocprim17ROCPRIM_400000_NS6detail17trampoline_kernelINS0_14default_configENS1_25partition_config_selectorILNS1_17partition_subalgoE9EsjbEEZZNS1_14partition_implILS5_9ELb0ES3_jN6thrust23THRUST_200600_302600_NS6detail15normal_iteratorINS9_10device_ptrIsEEEENSB_INSC_IjEEEEPNS0_10empty_typeENS0_5tupleIJSE_SH_EEENSJ_IJSG_SI_EEENS0_18inequality_wrapperINS9_8equal_toIsEEEEPmJSH_EEE10hipError_tPvRmT3_T4_T5_T6_T7_T9_mT8_P12ihipStream_tbDpT10_ENKUlT_T0_E_clISt17integral_constantIbLb0EES1A_EEDaS15_S16_EUlS15_E_NS1_11comp_targetILNS1_3genE4ELNS1_11target_archE910ELNS1_3gpuE8ELNS1_3repE0EEENS1_30default_config_static_selectorELNS0_4arch9wavefront6targetE0EEEvT1_
    .private_segment_fixed_size: 0
    .sgpr_count:     0
    .sgpr_spill_count: 0
    .symbol:         _ZN7rocprim17ROCPRIM_400000_NS6detail17trampoline_kernelINS0_14default_configENS1_25partition_config_selectorILNS1_17partition_subalgoE9EsjbEEZZNS1_14partition_implILS5_9ELb0ES3_jN6thrust23THRUST_200600_302600_NS6detail15normal_iteratorINS9_10device_ptrIsEEEENSB_INSC_IjEEEEPNS0_10empty_typeENS0_5tupleIJSE_SH_EEENSJ_IJSG_SI_EEENS0_18inequality_wrapperINS9_8equal_toIsEEEEPmJSH_EEE10hipError_tPvRmT3_T4_T5_T6_T7_T9_mT8_P12ihipStream_tbDpT10_ENKUlT_T0_E_clISt17integral_constantIbLb0EES1A_EEDaS15_S16_EUlS15_E_NS1_11comp_targetILNS1_3genE4ELNS1_11target_archE910ELNS1_3gpuE8ELNS1_3repE0EEENS1_30default_config_static_selectorELNS0_4arch9wavefront6targetE0EEEvT1_.kd
    .uniform_work_group_size: 1
    .uses_dynamic_stack: false
    .vgpr_count:     0
    .vgpr_spill_count: 0
    .wavefront_size: 32
    .workgroup_processor_mode: 1
  - .args:
      - .offset:         0
        .size:           112
        .value_kind:     by_value
    .group_segment_fixed_size: 0
    .kernarg_segment_align: 8
    .kernarg_segment_size: 112
    .language:       OpenCL C
    .language_version:
      - 2
      - 0
    .max_flat_workgroup_size: 256
    .name:           _ZN7rocprim17ROCPRIM_400000_NS6detail17trampoline_kernelINS0_14default_configENS1_25partition_config_selectorILNS1_17partition_subalgoE9EsjbEEZZNS1_14partition_implILS5_9ELb0ES3_jN6thrust23THRUST_200600_302600_NS6detail15normal_iteratorINS9_10device_ptrIsEEEENSB_INSC_IjEEEEPNS0_10empty_typeENS0_5tupleIJSE_SH_EEENSJ_IJSG_SI_EEENS0_18inequality_wrapperINS9_8equal_toIsEEEEPmJSH_EEE10hipError_tPvRmT3_T4_T5_T6_T7_T9_mT8_P12ihipStream_tbDpT10_ENKUlT_T0_E_clISt17integral_constantIbLb0EES1A_EEDaS15_S16_EUlS15_E_NS1_11comp_targetILNS1_3genE3ELNS1_11target_archE908ELNS1_3gpuE7ELNS1_3repE0EEENS1_30default_config_static_selectorELNS0_4arch9wavefront6targetE0EEEvT1_
    .private_segment_fixed_size: 0
    .sgpr_count:     0
    .sgpr_spill_count: 0
    .symbol:         _ZN7rocprim17ROCPRIM_400000_NS6detail17trampoline_kernelINS0_14default_configENS1_25partition_config_selectorILNS1_17partition_subalgoE9EsjbEEZZNS1_14partition_implILS5_9ELb0ES3_jN6thrust23THRUST_200600_302600_NS6detail15normal_iteratorINS9_10device_ptrIsEEEENSB_INSC_IjEEEEPNS0_10empty_typeENS0_5tupleIJSE_SH_EEENSJ_IJSG_SI_EEENS0_18inequality_wrapperINS9_8equal_toIsEEEEPmJSH_EEE10hipError_tPvRmT3_T4_T5_T6_T7_T9_mT8_P12ihipStream_tbDpT10_ENKUlT_T0_E_clISt17integral_constantIbLb0EES1A_EEDaS15_S16_EUlS15_E_NS1_11comp_targetILNS1_3genE3ELNS1_11target_archE908ELNS1_3gpuE7ELNS1_3repE0EEENS1_30default_config_static_selectorELNS0_4arch9wavefront6targetE0EEEvT1_.kd
    .uniform_work_group_size: 1
    .uses_dynamic_stack: false
    .vgpr_count:     0
    .vgpr_spill_count: 0
    .wavefront_size: 32
    .workgroup_processor_mode: 1
  - .args:
      - .offset:         0
        .size:           112
        .value_kind:     by_value
    .group_segment_fixed_size: 0
    .kernarg_segment_align: 8
    .kernarg_segment_size: 112
    .language:       OpenCL C
    .language_version:
      - 2
      - 0
    .max_flat_workgroup_size: 256
    .name:           _ZN7rocprim17ROCPRIM_400000_NS6detail17trampoline_kernelINS0_14default_configENS1_25partition_config_selectorILNS1_17partition_subalgoE9EsjbEEZZNS1_14partition_implILS5_9ELb0ES3_jN6thrust23THRUST_200600_302600_NS6detail15normal_iteratorINS9_10device_ptrIsEEEENSB_INSC_IjEEEEPNS0_10empty_typeENS0_5tupleIJSE_SH_EEENSJ_IJSG_SI_EEENS0_18inequality_wrapperINS9_8equal_toIsEEEEPmJSH_EEE10hipError_tPvRmT3_T4_T5_T6_T7_T9_mT8_P12ihipStream_tbDpT10_ENKUlT_T0_E_clISt17integral_constantIbLb0EES1A_EEDaS15_S16_EUlS15_E_NS1_11comp_targetILNS1_3genE2ELNS1_11target_archE906ELNS1_3gpuE6ELNS1_3repE0EEENS1_30default_config_static_selectorELNS0_4arch9wavefront6targetE0EEEvT1_
    .private_segment_fixed_size: 0
    .sgpr_count:     0
    .sgpr_spill_count: 0
    .symbol:         _ZN7rocprim17ROCPRIM_400000_NS6detail17trampoline_kernelINS0_14default_configENS1_25partition_config_selectorILNS1_17partition_subalgoE9EsjbEEZZNS1_14partition_implILS5_9ELb0ES3_jN6thrust23THRUST_200600_302600_NS6detail15normal_iteratorINS9_10device_ptrIsEEEENSB_INSC_IjEEEEPNS0_10empty_typeENS0_5tupleIJSE_SH_EEENSJ_IJSG_SI_EEENS0_18inequality_wrapperINS9_8equal_toIsEEEEPmJSH_EEE10hipError_tPvRmT3_T4_T5_T6_T7_T9_mT8_P12ihipStream_tbDpT10_ENKUlT_T0_E_clISt17integral_constantIbLb0EES1A_EEDaS15_S16_EUlS15_E_NS1_11comp_targetILNS1_3genE2ELNS1_11target_archE906ELNS1_3gpuE6ELNS1_3repE0EEENS1_30default_config_static_selectorELNS0_4arch9wavefront6targetE0EEEvT1_.kd
    .uniform_work_group_size: 1
    .uses_dynamic_stack: false
    .vgpr_count:     0
    .vgpr_spill_count: 0
    .wavefront_size: 32
    .workgroup_processor_mode: 1
  - .args:
      - .offset:         0
        .size:           112
        .value_kind:     by_value
    .group_segment_fixed_size: 0
    .kernarg_segment_align: 8
    .kernarg_segment_size: 112
    .language:       OpenCL C
    .language_version:
      - 2
      - 0
    .max_flat_workgroup_size: 512
    .name:           _ZN7rocprim17ROCPRIM_400000_NS6detail17trampoline_kernelINS0_14default_configENS1_25partition_config_selectorILNS1_17partition_subalgoE9EsjbEEZZNS1_14partition_implILS5_9ELb0ES3_jN6thrust23THRUST_200600_302600_NS6detail15normal_iteratorINS9_10device_ptrIsEEEENSB_INSC_IjEEEEPNS0_10empty_typeENS0_5tupleIJSE_SH_EEENSJ_IJSG_SI_EEENS0_18inequality_wrapperINS9_8equal_toIsEEEEPmJSH_EEE10hipError_tPvRmT3_T4_T5_T6_T7_T9_mT8_P12ihipStream_tbDpT10_ENKUlT_T0_E_clISt17integral_constantIbLb0EES1A_EEDaS15_S16_EUlS15_E_NS1_11comp_targetILNS1_3genE10ELNS1_11target_archE1200ELNS1_3gpuE4ELNS1_3repE0EEENS1_30default_config_static_selectorELNS0_4arch9wavefront6targetE0EEEvT1_
    .private_segment_fixed_size: 0
    .sgpr_count:     0
    .sgpr_spill_count: 0
    .symbol:         _ZN7rocprim17ROCPRIM_400000_NS6detail17trampoline_kernelINS0_14default_configENS1_25partition_config_selectorILNS1_17partition_subalgoE9EsjbEEZZNS1_14partition_implILS5_9ELb0ES3_jN6thrust23THRUST_200600_302600_NS6detail15normal_iteratorINS9_10device_ptrIsEEEENSB_INSC_IjEEEEPNS0_10empty_typeENS0_5tupleIJSE_SH_EEENSJ_IJSG_SI_EEENS0_18inequality_wrapperINS9_8equal_toIsEEEEPmJSH_EEE10hipError_tPvRmT3_T4_T5_T6_T7_T9_mT8_P12ihipStream_tbDpT10_ENKUlT_T0_E_clISt17integral_constantIbLb0EES1A_EEDaS15_S16_EUlS15_E_NS1_11comp_targetILNS1_3genE10ELNS1_11target_archE1200ELNS1_3gpuE4ELNS1_3repE0EEENS1_30default_config_static_selectorELNS0_4arch9wavefront6targetE0EEEvT1_.kd
    .uniform_work_group_size: 1
    .uses_dynamic_stack: false
    .vgpr_count:     0
    .vgpr_spill_count: 0
    .wavefront_size: 32
    .workgroup_processor_mode: 1
  - .args:
      - .offset:         0
        .size:           112
        .value_kind:     by_value
    .group_segment_fixed_size: 5640
    .kernarg_segment_align: 8
    .kernarg_segment_size: 112
    .language:       OpenCL C
    .language_version:
      - 2
      - 0
    .max_flat_workgroup_size: 128
    .name:           _ZN7rocprim17ROCPRIM_400000_NS6detail17trampoline_kernelINS0_14default_configENS1_25partition_config_selectorILNS1_17partition_subalgoE9EsjbEEZZNS1_14partition_implILS5_9ELb0ES3_jN6thrust23THRUST_200600_302600_NS6detail15normal_iteratorINS9_10device_ptrIsEEEENSB_INSC_IjEEEEPNS0_10empty_typeENS0_5tupleIJSE_SH_EEENSJ_IJSG_SI_EEENS0_18inequality_wrapperINS9_8equal_toIsEEEEPmJSH_EEE10hipError_tPvRmT3_T4_T5_T6_T7_T9_mT8_P12ihipStream_tbDpT10_ENKUlT_T0_E_clISt17integral_constantIbLb0EES1A_EEDaS15_S16_EUlS15_E_NS1_11comp_targetILNS1_3genE9ELNS1_11target_archE1100ELNS1_3gpuE3ELNS1_3repE0EEENS1_30default_config_static_selectorELNS0_4arch9wavefront6targetE0EEEvT1_
    .private_segment_fixed_size: 0
    .sgpr_count:     26
    .sgpr_spill_count: 0
    .symbol:         _ZN7rocprim17ROCPRIM_400000_NS6detail17trampoline_kernelINS0_14default_configENS1_25partition_config_selectorILNS1_17partition_subalgoE9EsjbEEZZNS1_14partition_implILS5_9ELb0ES3_jN6thrust23THRUST_200600_302600_NS6detail15normal_iteratorINS9_10device_ptrIsEEEENSB_INSC_IjEEEEPNS0_10empty_typeENS0_5tupleIJSE_SH_EEENSJ_IJSG_SI_EEENS0_18inequality_wrapperINS9_8equal_toIsEEEEPmJSH_EEE10hipError_tPvRmT3_T4_T5_T6_T7_T9_mT8_P12ihipStream_tbDpT10_ENKUlT_T0_E_clISt17integral_constantIbLb0EES1A_EEDaS15_S16_EUlS15_E_NS1_11comp_targetILNS1_3genE9ELNS1_11target_archE1100ELNS1_3gpuE3ELNS1_3repE0EEENS1_30default_config_static_selectorELNS0_4arch9wavefront6targetE0EEEvT1_.kd
    .uniform_work_group_size: 1
    .uses_dynamic_stack: false
    .vgpr_count:     85
    .vgpr_spill_count: 0
    .wavefront_size: 32
    .workgroup_processor_mode: 1
  - .args:
      - .offset:         0
        .size:           112
        .value_kind:     by_value
    .group_segment_fixed_size: 0
    .kernarg_segment_align: 8
    .kernarg_segment_size: 112
    .language:       OpenCL C
    .language_version:
      - 2
      - 0
    .max_flat_workgroup_size: 512
    .name:           _ZN7rocprim17ROCPRIM_400000_NS6detail17trampoline_kernelINS0_14default_configENS1_25partition_config_selectorILNS1_17partition_subalgoE9EsjbEEZZNS1_14partition_implILS5_9ELb0ES3_jN6thrust23THRUST_200600_302600_NS6detail15normal_iteratorINS9_10device_ptrIsEEEENSB_INSC_IjEEEEPNS0_10empty_typeENS0_5tupleIJSE_SH_EEENSJ_IJSG_SI_EEENS0_18inequality_wrapperINS9_8equal_toIsEEEEPmJSH_EEE10hipError_tPvRmT3_T4_T5_T6_T7_T9_mT8_P12ihipStream_tbDpT10_ENKUlT_T0_E_clISt17integral_constantIbLb0EES1A_EEDaS15_S16_EUlS15_E_NS1_11comp_targetILNS1_3genE8ELNS1_11target_archE1030ELNS1_3gpuE2ELNS1_3repE0EEENS1_30default_config_static_selectorELNS0_4arch9wavefront6targetE0EEEvT1_
    .private_segment_fixed_size: 0
    .sgpr_count:     0
    .sgpr_spill_count: 0
    .symbol:         _ZN7rocprim17ROCPRIM_400000_NS6detail17trampoline_kernelINS0_14default_configENS1_25partition_config_selectorILNS1_17partition_subalgoE9EsjbEEZZNS1_14partition_implILS5_9ELb0ES3_jN6thrust23THRUST_200600_302600_NS6detail15normal_iteratorINS9_10device_ptrIsEEEENSB_INSC_IjEEEEPNS0_10empty_typeENS0_5tupleIJSE_SH_EEENSJ_IJSG_SI_EEENS0_18inequality_wrapperINS9_8equal_toIsEEEEPmJSH_EEE10hipError_tPvRmT3_T4_T5_T6_T7_T9_mT8_P12ihipStream_tbDpT10_ENKUlT_T0_E_clISt17integral_constantIbLb0EES1A_EEDaS15_S16_EUlS15_E_NS1_11comp_targetILNS1_3genE8ELNS1_11target_archE1030ELNS1_3gpuE2ELNS1_3repE0EEENS1_30default_config_static_selectorELNS0_4arch9wavefront6targetE0EEEvT1_.kd
    .uniform_work_group_size: 1
    .uses_dynamic_stack: false
    .vgpr_count:     0
    .vgpr_spill_count: 0
    .wavefront_size: 32
    .workgroup_processor_mode: 1
  - .args:
      - .offset:         0
        .size:           128
        .value_kind:     by_value
    .group_segment_fixed_size: 0
    .kernarg_segment_align: 8
    .kernarg_segment_size: 128
    .language:       OpenCL C
    .language_version:
      - 2
      - 0
    .max_flat_workgroup_size: 256
    .name:           _ZN7rocprim17ROCPRIM_400000_NS6detail17trampoline_kernelINS0_14default_configENS1_25partition_config_selectorILNS1_17partition_subalgoE9EsjbEEZZNS1_14partition_implILS5_9ELb0ES3_jN6thrust23THRUST_200600_302600_NS6detail15normal_iteratorINS9_10device_ptrIsEEEENSB_INSC_IjEEEEPNS0_10empty_typeENS0_5tupleIJSE_SH_EEENSJ_IJSG_SI_EEENS0_18inequality_wrapperINS9_8equal_toIsEEEEPmJSH_EEE10hipError_tPvRmT3_T4_T5_T6_T7_T9_mT8_P12ihipStream_tbDpT10_ENKUlT_T0_E_clISt17integral_constantIbLb1EES1A_EEDaS15_S16_EUlS15_E_NS1_11comp_targetILNS1_3genE0ELNS1_11target_archE4294967295ELNS1_3gpuE0ELNS1_3repE0EEENS1_30default_config_static_selectorELNS0_4arch9wavefront6targetE0EEEvT1_
    .private_segment_fixed_size: 0
    .sgpr_count:     0
    .sgpr_spill_count: 0
    .symbol:         _ZN7rocprim17ROCPRIM_400000_NS6detail17trampoline_kernelINS0_14default_configENS1_25partition_config_selectorILNS1_17partition_subalgoE9EsjbEEZZNS1_14partition_implILS5_9ELb0ES3_jN6thrust23THRUST_200600_302600_NS6detail15normal_iteratorINS9_10device_ptrIsEEEENSB_INSC_IjEEEEPNS0_10empty_typeENS0_5tupleIJSE_SH_EEENSJ_IJSG_SI_EEENS0_18inequality_wrapperINS9_8equal_toIsEEEEPmJSH_EEE10hipError_tPvRmT3_T4_T5_T6_T7_T9_mT8_P12ihipStream_tbDpT10_ENKUlT_T0_E_clISt17integral_constantIbLb1EES1A_EEDaS15_S16_EUlS15_E_NS1_11comp_targetILNS1_3genE0ELNS1_11target_archE4294967295ELNS1_3gpuE0ELNS1_3repE0EEENS1_30default_config_static_selectorELNS0_4arch9wavefront6targetE0EEEvT1_.kd
    .uniform_work_group_size: 1
    .uses_dynamic_stack: false
    .vgpr_count:     0
    .vgpr_spill_count: 0
    .wavefront_size: 32
    .workgroup_processor_mode: 1
  - .args:
      - .offset:         0
        .size:           128
        .value_kind:     by_value
    .group_segment_fixed_size: 0
    .kernarg_segment_align: 8
    .kernarg_segment_size: 128
    .language:       OpenCL C
    .language_version:
      - 2
      - 0
    .max_flat_workgroup_size: 512
    .name:           _ZN7rocprim17ROCPRIM_400000_NS6detail17trampoline_kernelINS0_14default_configENS1_25partition_config_selectorILNS1_17partition_subalgoE9EsjbEEZZNS1_14partition_implILS5_9ELb0ES3_jN6thrust23THRUST_200600_302600_NS6detail15normal_iteratorINS9_10device_ptrIsEEEENSB_INSC_IjEEEEPNS0_10empty_typeENS0_5tupleIJSE_SH_EEENSJ_IJSG_SI_EEENS0_18inequality_wrapperINS9_8equal_toIsEEEEPmJSH_EEE10hipError_tPvRmT3_T4_T5_T6_T7_T9_mT8_P12ihipStream_tbDpT10_ENKUlT_T0_E_clISt17integral_constantIbLb1EES1A_EEDaS15_S16_EUlS15_E_NS1_11comp_targetILNS1_3genE5ELNS1_11target_archE942ELNS1_3gpuE9ELNS1_3repE0EEENS1_30default_config_static_selectorELNS0_4arch9wavefront6targetE0EEEvT1_
    .private_segment_fixed_size: 0
    .sgpr_count:     0
    .sgpr_spill_count: 0
    .symbol:         _ZN7rocprim17ROCPRIM_400000_NS6detail17trampoline_kernelINS0_14default_configENS1_25partition_config_selectorILNS1_17partition_subalgoE9EsjbEEZZNS1_14partition_implILS5_9ELb0ES3_jN6thrust23THRUST_200600_302600_NS6detail15normal_iteratorINS9_10device_ptrIsEEEENSB_INSC_IjEEEEPNS0_10empty_typeENS0_5tupleIJSE_SH_EEENSJ_IJSG_SI_EEENS0_18inequality_wrapperINS9_8equal_toIsEEEEPmJSH_EEE10hipError_tPvRmT3_T4_T5_T6_T7_T9_mT8_P12ihipStream_tbDpT10_ENKUlT_T0_E_clISt17integral_constantIbLb1EES1A_EEDaS15_S16_EUlS15_E_NS1_11comp_targetILNS1_3genE5ELNS1_11target_archE942ELNS1_3gpuE9ELNS1_3repE0EEENS1_30default_config_static_selectorELNS0_4arch9wavefront6targetE0EEEvT1_.kd
    .uniform_work_group_size: 1
    .uses_dynamic_stack: false
    .vgpr_count:     0
    .vgpr_spill_count: 0
    .wavefront_size: 32
    .workgroup_processor_mode: 1
  - .args:
      - .offset:         0
        .size:           128
        .value_kind:     by_value
    .group_segment_fixed_size: 0
    .kernarg_segment_align: 8
    .kernarg_segment_size: 128
    .language:       OpenCL C
    .language_version:
      - 2
      - 0
    .max_flat_workgroup_size: 192
    .name:           _ZN7rocprim17ROCPRIM_400000_NS6detail17trampoline_kernelINS0_14default_configENS1_25partition_config_selectorILNS1_17partition_subalgoE9EsjbEEZZNS1_14partition_implILS5_9ELb0ES3_jN6thrust23THRUST_200600_302600_NS6detail15normal_iteratorINS9_10device_ptrIsEEEENSB_INSC_IjEEEEPNS0_10empty_typeENS0_5tupleIJSE_SH_EEENSJ_IJSG_SI_EEENS0_18inequality_wrapperINS9_8equal_toIsEEEEPmJSH_EEE10hipError_tPvRmT3_T4_T5_T6_T7_T9_mT8_P12ihipStream_tbDpT10_ENKUlT_T0_E_clISt17integral_constantIbLb1EES1A_EEDaS15_S16_EUlS15_E_NS1_11comp_targetILNS1_3genE4ELNS1_11target_archE910ELNS1_3gpuE8ELNS1_3repE0EEENS1_30default_config_static_selectorELNS0_4arch9wavefront6targetE0EEEvT1_
    .private_segment_fixed_size: 0
    .sgpr_count:     0
    .sgpr_spill_count: 0
    .symbol:         _ZN7rocprim17ROCPRIM_400000_NS6detail17trampoline_kernelINS0_14default_configENS1_25partition_config_selectorILNS1_17partition_subalgoE9EsjbEEZZNS1_14partition_implILS5_9ELb0ES3_jN6thrust23THRUST_200600_302600_NS6detail15normal_iteratorINS9_10device_ptrIsEEEENSB_INSC_IjEEEEPNS0_10empty_typeENS0_5tupleIJSE_SH_EEENSJ_IJSG_SI_EEENS0_18inequality_wrapperINS9_8equal_toIsEEEEPmJSH_EEE10hipError_tPvRmT3_T4_T5_T6_T7_T9_mT8_P12ihipStream_tbDpT10_ENKUlT_T0_E_clISt17integral_constantIbLb1EES1A_EEDaS15_S16_EUlS15_E_NS1_11comp_targetILNS1_3genE4ELNS1_11target_archE910ELNS1_3gpuE8ELNS1_3repE0EEENS1_30default_config_static_selectorELNS0_4arch9wavefront6targetE0EEEvT1_.kd
    .uniform_work_group_size: 1
    .uses_dynamic_stack: false
    .vgpr_count:     0
    .vgpr_spill_count: 0
    .wavefront_size: 32
    .workgroup_processor_mode: 1
  - .args:
      - .offset:         0
        .size:           128
        .value_kind:     by_value
    .group_segment_fixed_size: 0
    .kernarg_segment_align: 8
    .kernarg_segment_size: 128
    .language:       OpenCL C
    .language_version:
      - 2
      - 0
    .max_flat_workgroup_size: 256
    .name:           _ZN7rocprim17ROCPRIM_400000_NS6detail17trampoline_kernelINS0_14default_configENS1_25partition_config_selectorILNS1_17partition_subalgoE9EsjbEEZZNS1_14partition_implILS5_9ELb0ES3_jN6thrust23THRUST_200600_302600_NS6detail15normal_iteratorINS9_10device_ptrIsEEEENSB_INSC_IjEEEEPNS0_10empty_typeENS0_5tupleIJSE_SH_EEENSJ_IJSG_SI_EEENS0_18inequality_wrapperINS9_8equal_toIsEEEEPmJSH_EEE10hipError_tPvRmT3_T4_T5_T6_T7_T9_mT8_P12ihipStream_tbDpT10_ENKUlT_T0_E_clISt17integral_constantIbLb1EES1A_EEDaS15_S16_EUlS15_E_NS1_11comp_targetILNS1_3genE3ELNS1_11target_archE908ELNS1_3gpuE7ELNS1_3repE0EEENS1_30default_config_static_selectorELNS0_4arch9wavefront6targetE0EEEvT1_
    .private_segment_fixed_size: 0
    .sgpr_count:     0
    .sgpr_spill_count: 0
    .symbol:         _ZN7rocprim17ROCPRIM_400000_NS6detail17trampoline_kernelINS0_14default_configENS1_25partition_config_selectorILNS1_17partition_subalgoE9EsjbEEZZNS1_14partition_implILS5_9ELb0ES3_jN6thrust23THRUST_200600_302600_NS6detail15normal_iteratorINS9_10device_ptrIsEEEENSB_INSC_IjEEEEPNS0_10empty_typeENS0_5tupleIJSE_SH_EEENSJ_IJSG_SI_EEENS0_18inequality_wrapperINS9_8equal_toIsEEEEPmJSH_EEE10hipError_tPvRmT3_T4_T5_T6_T7_T9_mT8_P12ihipStream_tbDpT10_ENKUlT_T0_E_clISt17integral_constantIbLb1EES1A_EEDaS15_S16_EUlS15_E_NS1_11comp_targetILNS1_3genE3ELNS1_11target_archE908ELNS1_3gpuE7ELNS1_3repE0EEENS1_30default_config_static_selectorELNS0_4arch9wavefront6targetE0EEEvT1_.kd
    .uniform_work_group_size: 1
    .uses_dynamic_stack: false
    .vgpr_count:     0
    .vgpr_spill_count: 0
    .wavefront_size: 32
    .workgroup_processor_mode: 1
  - .args:
      - .offset:         0
        .size:           128
        .value_kind:     by_value
    .group_segment_fixed_size: 0
    .kernarg_segment_align: 8
    .kernarg_segment_size: 128
    .language:       OpenCL C
    .language_version:
      - 2
      - 0
    .max_flat_workgroup_size: 256
    .name:           _ZN7rocprim17ROCPRIM_400000_NS6detail17trampoline_kernelINS0_14default_configENS1_25partition_config_selectorILNS1_17partition_subalgoE9EsjbEEZZNS1_14partition_implILS5_9ELb0ES3_jN6thrust23THRUST_200600_302600_NS6detail15normal_iteratorINS9_10device_ptrIsEEEENSB_INSC_IjEEEEPNS0_10empty_typeENS0_5tupleIJSE_SH_EEENSJ_IJSG_SI_EEENS0_18inequality_wrapperINS9_8equal_toIsEEEEPmJSH_EEE10hipError_tPvRmT3_T4_T5_T6_T7_T9_mT8_P12ihipStream_tbDpT10_ENKUlT_T0_E_clISt17integral_constantIbLb1EES1A_EEDaS15_S16_EUlS15_E_NS1_11comp_targetILNS1_3genE2ELNS1_11target_archE906ELNS1_3gpuE6ELNS1_3repE0EEENS1_30default_config_static_selectorELNS0_4arch9wavefront6targetE0EEEvT1_
    .private_segment_fixed_size: 0
    .sgpr_count:     0
    .sgpr_spill_count: 0
    .symbol:         _ZN7rocprim17ROCPRIM_400000_NS6detail17trampoline_kernelINS0_14default_configENS1_25partition_config_selectorILNS1_17partition_subalgoE9EsjbEEZZNS1_14partition_implILS5_9ELb0ES3_jN6thrust23THRUST_200600_302600_NS6detail15normal_iteratorINS9_10device_ptrIsEEEENSB_INSC_IjEEEEPNS0_10empty_typeENS0_5tupleIJSE_SH_EEENSJ_IJSG_SI_EEENS0_18inequality_wrapperINS9_8equal_toIsEEEEPmJSH_EEE10hipError_tPvRmT3_T4_T5_T6_T7_T9_mT8_P12ihipStream_tbDpT10_ENKUlT_T0_E_clISt17integral_constantIbLb1EES1A_EEDaS15_S16_EUlS15_E_NS1_11comp_targetILNS1_3genE2ELNS1_11target_archE906ELNS1_3gpuE6ELNS1_3repE0EEENS1_30default_config_static_selectorELNS0_4arch9wavefront6targetE0EEEvT1_.kd
    .uniform_work_group_size: 1
    .uses_dynamic_stack: false
    .vgpr_count:     0
    .vgpr_spill_count: 0
    .wavefront_size: 32
    .workgroup_processor_mode: 1
  - .args:
      - .offset:         0
        .size:           128
        .value_kind:     by_value
    .group_segment_fixed_size: 0
    .kernarg_segment_align: 8
    .kernarg_segment_size: 128
    .language:       OpenCL C
    .language_version:
      - 2
      - 0
    .max_flat_workgroup_size: 512
    .name:           _ZN7rocprim17ROCPRIM_400000_NS6detail17trampoline_kernelINS0_14default_configENS1_25partition_config_selectorILNS1_17partition_subalgoE9EsjbEEZZNS1_14partition_implILS5_9ELb0ES3_jN6thrust23THRUST_200600_302600_NS6detail15normal_iteratorINS9_10device_ptrIsEEEENSB_INSC_IjEEEEPNS0_10empty_typeENS0_5tupleIJSE_SH_EEENSJ_IJSG_SI_EEENS0_18inequality_wrapperINS9_8equal_toIsEEEEPmJSH_EEE10hipError_tPvRmT3_T4_T5_T6_T7_T9_mT8_P12ihipStream_tbDpT10_ENKUlT_T0_E_clISt17integral_constantIbLb1EES1A_EEDaS15_S16_EUlS15_E_NS1_11comp_targetILNS1_3genE10ELNS1_11target_archE1200ELNS1_3gpuE4ELNS1_3repE0EEENS1_30default_config_static_selectorELNS0_4arch9wavefront6targetE0EEEvT1_
    .private_segment_fixed_size: 0
    .sgpr_count:     0
    .sgpr_spill_count: 0
    .symbol:         _ZN7rocprim17ROCPRIM_400000_NS6detail17trampoline_kernelINS0_14default_configENS1_25partition_config_selectorILNS1_17partition_subalgoE9EsjbEEZZNS1_14partition_implILS5_9ELb0ES3_jN6thrust23THRUST_200600_302600_NS6detail15normal_iteratorINS9_10device_ptrIsEEEENSB_INSC_IjEEEEPNS0_10empty_typeENS0_5tupleIJSE_SH_EEENSJ_IJSG_SI_EEENS0_18inequality_wrapperINS9_8equal_toIsEEEEPmJSH_EEE10hipError_tPvRmT3_T4_T5_T6_T7_T9_mT8_P12ihipStream_tbDpT10_ENKUlT_T0_E_clISt17integral_constantIbLb1EES1A_EEDaS15_S16_EUlS15_E_NS1_11comp_targetILNS1_3genE10ELNS1_11target_archE1200ELNS1_3gpuE4ELNS1_3repE0EEENS1_30default_config_static_selectorELNS0_4arch9wavefront6targetE0EEEvT1_.kd
    .uniform_work_group_size: 1
    .uses_dynamic_stack: false
    .vgpr_count:     0
    .vgpr_spill_count: 0
    .wavefront_size: 32
    .workgroup_processor_mode: 1
  - .args:
      - .offset:         0
        .size:           128
        .value_kind:     by_value
    .group_segment_fixed_size: 5640
    .kernarg_segment_align: 8
    .kernarg_segment_size: 128
    .language:       OpenCL C
    .language_version:
      - 2
      - 0
    .max_flat_workgroup_size: 128
    .name:           _ZN7rocprim17ROCPRIM_400000_NS6detail17trampoline_kernelINS0_14default_configENS1_25partition_config_selectorILNS1_17partition_subalgoE9EsjbEEZZNS1_14partition_implILS5_9ELb0ES3_jN6thrust23THRUST_200600_302600_NS6detail15normal_iteratorINS9_10device_ptrIsEEEENSB_INSC_IjEEEEPNS0_10empty_typeENS0_5tupleIJSE_SH_EEENSJ_IJSG_SI_EEENS0_18inequality_wrapperINS9_8equal_toIsEEEEPmJSH_EEE10hipError_tPvRmT3_T4_T5_T6_T7_T9_mT8_P12ihipStream_tbDpT10_ENKUlT_T0_E_clISt17integral_constantIbLb1EES1A_EEDaS15_S16_EUlS15_E_NS1_11comp_targetILNS1_3genE9ELNS1_11target_archE1100ELNS1_3gpuE3ELNS1_3repE0EEENS1_30default_config_static_selectorELNS0_4arch9wavefront6targetE0EEEvT1_
    .private_segment_fixed_size: 0
    .sgpr_count:     32
    .sgpr_spill_count: 0
    .symbol:         _ZN7rocprim17ROCPRIM_400000_NS6detail17trampoline_kernelINS0_14default_configENS1_25partition_config_selectorILNS1_17partition_subalgoE9EsjbEEZZNS1_14partition_implILS5_9ELb0ES3_jN6thrust23THRUST_200600_302600_NS6detail15normal_iteratorINS9_10device_ptrIsEEEENSB_INSC_IjEEEEPNS0_10empty_typeENS0_5tupleIJSE_SH_EEENSJ_IJSG_SI_EEENS0_18inequality_wrapperINS9_8equal_toIsEEEEPmJSH_EEE10hipError_tPvRmT3_T4_T5_T6_T7_T9_mT8_P12ihipStream_tbDpT10_ENKUlT_T0_E_clISt17integral_constantIbLb1EES1A_EEDaS15_S16_EUlS15_E_NS1_11comp_targetILNS1_3genE9ELNS1_11target_archE1100ELNS1_3gpuE3ELNS1_3repE0EEENS1_30default_config_static_selectorELNS0_4arch9wavefront6targetE0EEEvT1_.kd
    .uniform_work_group_size: 1
    .uses_dynamic_stack: false
    .vgpr_count:     85
    .vgpr_spill_count: 0
    .wavefront_size: 32
    .workgroup_processor_mode: 1
  - .args:
      - .offset:         0
        .size:           128
        .value_kind:     by_value
    .group_segment_fixed_size: 0
    .kernarg_segment_align: 8
    .kernarg_segment_size: 128
    .language:       OpenCL C
    .language_version:
      - 2
      - 0
    .max_flat_workgroup_size: 512
    .name:           _ZN7rocprim17ROCPRIM_400000_NS6detail17trampoline_kernelINS0_14default_configENS1_25partition_config_selectorILNS1_17partition_subalgoE9EsjbEEZZNS1_14partition_implILS5_9ELb0ES3_jN6thrust23THRUST_200600_302600_NS6detail15normal_iteratorINS9_10device_ptrIsEEEENSB_INSC_IjEEEEPNS0_10empty_typeENS0_5tupleIJSE_SH_EEENSJ_IJSG_SI_EEENS0_18inequality_wrapperINS9_8equal_toIsEEEEPmJSH_EEE10hipError_tPvRmT3_T4_T5_T6_T7_T9_mT8_P12ihipStream_tbDpT10_ENKUlT_T0_E_clISt17integral_constantIbLb1EES1A_EEDaS15_S16_EUlS15_E_NS1_11comp_targetILNS1_3genE8ELNS1_11target_archE1030ELNS1_3gpuE2ELNS1_3repE0EEENS1_30default_config_static_selectorELNS0_4arch9wavefront6targetE0EEEvT1_
    .private_segment_fixed_size: 0
    .sgpr_count:     0
    .sgpr_spill_count: 0
    .symbol:         _ZN7rocprim17ROCPRIM_400000_NS6detail17trampoline_kernelINS0_14default_configENS1_25partition_config_selectorILNS1_17partition_subalgoE9EsjbEEZZNS1_14partition_implILS5_9ELb0ES3_jN6thrust23THRUST_200600_302600_NS6detail15normal_iteratorINS9_10device_ptrIsEEEENSB_INSC_IjEEEEPNS0_10empty_typeENS0_5tupleIJSE_SH_EEENSJ_IJSG_SI_EEENS0_18inequality_wrapperINS9_8equal_toIsEEEEPmJSH_EEE10hipError_tPvRmT3_T4_T5_T6_T7_T9_mT8_P12ihipStream_tbDpT10_ENKUlT_T0_E_clISt17integral_constantIbLb1EES1A_EEDaS15_S16_EUlS15_E_NS1_11comp_targetILNS1_3genE8ELNS1_11target_archE1030ELNS1_3gpuE2ELNS1_3repE0EEENS1_30default_config_static_selectorELNS0_4arch9wavefront6targetE0EEEvT1_.kd
    .uniform_work_group_size: 1
    .uses_dynamic_stack: false
    .vgpr_count:     0
    .vgpr_spill_count: 0
    .wavefront_size: 32
    .workgroup_processor_mode: 1
  - .args:
      - .offset:         0
        .size:           112
        .value_kind:     by_value
    .group_segment_fixed_size: 0
    .kernarg_segment_align: 8
    .kernarg_segment_size: 112
    .language:       OpenCL C
    .language_version:
      - 2
      - 0
    .max_flat_workgroup_size: 256
    .name:           _ZN7rocprim17ROCPRIM_400000_NS6detail17trampoline_kernelINS0_14default_configENS1_25partition_config_selectorILNS1_17partition_subalgoE9EsjbEEZZNS1_14partition_implILS5_9ELb0ES3_jN6thrust23THRUST_200600_302600_NS6detail15normal_iteratorINS9_10device_ptrIsEEEENSB_INSC_IjEEEEPNS0_10empty_typeENS0_5tupleIJSE_SH_EEENSJ_IJSG_SI_EEENS0_18inequality_wrapperINS9_8equal_toIsEEEEPmJSH_EEE10hipError_tPvRmT3_T4_T5_T6_T7_T9_mT8_P12ihipStream_tbDpT10_ENKUlT_T0_E_clISt17integral_constantIbLb1EES19_IbLb0EEEEDaS15_S16_EUlS15_E_NS1_11comp_targetILNS1_3genE0ELNS1_11target_archE4294967295ELNS1_3gpuE0ELNS1_3repE0EEENS1_30default_config_static_selectorELNS0_4arch9wavefront6targetE0EEEvT1_
    .private_segment_fixed_size: 0
    .sgpr_count:     0
    .sgpr_spill_count: 0
    .symbol:         _ZN7rocprim17ROCPRIM_400000_NS6detail17trampoline_kernelINS0_14default_configENS1_25partition_config_selectorILNS1_17partition_subalgoE9EsjbEEZZNS1_14partition_implILS5_9ELb0ES3_jN6thrust23THRUST_200600_302600_NS6detail15normal_iteratorINS9_10device_ptrIsEEEENSB_INSC_IjEEEEPNS0_10empty_typeENS0_5tupleIJSE_SH_EEENSJ_IJSG_SI_EEENS0_18inequality_wrapperINS9_8equal_toIsEEEEPmJSH_EEE10hipError_tPvRmT3_T4_T5_T6_T7_T9_mT8_P12ihipStream_tbDpT10_ENKUlT_T0_E_clISt17integral_constantIbLb1EES19_IbLb0EEEEDaS15_S16_EUlS15_E_NS1_11comp_targetILNS1_3genE0ELNS1_11target_archE4294967295ELNS1_3gpuE0ELNS1_3repE0EEENS1_30default_config_static_selectorELNS0_4arch9wavefront6targetE0EEEvT1_.kd
    .uniform_work_group_size: 1
    .uses_dynamic_stack: false
    .vgpr_count:     0
    .vgpr_spill_count: 0
    .wavefront_size: 32
    .workgroup_processor_mode: 1
  - .args:
      - .offset:         0
        .size:           112
        .value_kind:     by_value
    .group_segment_fixed_size: 0
    .kernarg_segment_align: 8
    .kernarg_segment_size: 112
    .language:       OpenCL C
    .language_version:
      - 2
      - 0
    .max_flat_workgroup_size: 512
    .name:           _ZN7rocprim17ROCPRIM_400000_NS6detail17trampoline_kernelINS0_14default_configENS1_25partition_config_selectorILNS1_17partition_subalgoE9EsjbEEZZNS1_14partition_implILS5_9ELb0ES3_jN6thrust23THRUST_200600_302600_NS6detail15normal_iteratorINS9_10device_ptrIsEEEENSB_INSC_IjEEEEPNS0_10empty_typeENS0_5tupleIJSE_SH_EEENSJ_IJSG_SI_EEENS0_18inequality_wrapperINS9_8equal_toIsEEEEPmJSH_EEE10hipError_tPvRmT3_T4_T5_T6_T7_T9_mT8_P12ihipStream_tbDpT10_ENKUlT_T0_E_clISt17integral_constantIbLb1EES19_IbLb0EEEEDaS15_S16_EUlS15_E_NS1_11comp_targetILNS1_3genE5ELNS1_11target_archE942ELNS1_3gpuE9ELNS1_3repE0EEENS1_30default_config_static_selectorELNS0_4arch9wavefront6targetE0EEEvT1_
    .private_segment_fixed_size: 0
    .sgpr_count:     0
    .sgpr_spill_count: 0
    .symbol:         _ZN7rocprim17ROCPRIM_400000_NS6detail17trampoline_kernelINS0_14default_configENS1_25partition_config_selectorILNS1_17partition_subalgoE9EsjbEEZZNS1_14partition_implILS5_9ELb0ES3_jN6thrust23THRUST_200600_302600_NS6detail15normal_iteratorINS9_10device_ptrIsEEEENSB_INSC_IjEEEEPNS0_10empty_typeENS0_5tupleIJSE_SH_EEENSJ_IJSG_SI_EEENS0_18inequality_wrapperINS9_8equal_toIsEEEEPmJSH_EEE10hipError_tPvRmT3_T4_T5_T6_T7_T9_mT8_P12ihipStream_tbDpT10_ENKUlT_T0_E_clISt17integral_constantIbLb1EES19_IbLb0EEEEDaS15_S16_EUlS15_E_NS1_11comp_targetILNS1_3genE5ELNS1_11target_archE942ELNS1_3gpuE9ELNS1_3repE0EEENS1_30default_config_static_selectorELNS0_4arch9wavefront6targetE0EEEvT1_.kd
    .uniform_work_group_size: 1
    .uses_dynamic_stack: false
    .vgpr_count:     0
    .vgpr_spill_count: 0
    .wavefront_size: 32
    .workgroup_processor_mode: 1
  - .args:
      - .offset:         0
        .size:           112
        .value_kind:     by_value
    .group_segment_fixed_size: 0
    .kernarg_segment_align: 8
    .kernarg_segment_size: 112
    .language:       OpenCL C
    .language_version:
      - 2
      - 0
    .max_flat_workgroup_size: 192
    .name:           _ZN7rocprim17ROCPRIM_400000_NS6detail17trampoline_kernelINS0_14default_configENS1_25partition_config_selectorILNS1_17partition_subalgoE9EsjbEEZZNS1_14partition_implILS5_9ELb0ES3_jN6thrust23THRUST_200600_302600_NS6detail15normal_iteratorINS9_10device_ptrIsEEEENSB_INSC_IjEEEEPNS0_10empty_typeENS0_5tupleIJSE_SH_EEENSJ_IJSG_SI_EEENS0_18inequality_wrapperINS9_8equal_toIsEEEEPmJSH_EEE10hipError_tPvRmT3_T4_T5_T6_T7_T9_mT8_P12ihipStream_tbDpT10_ENKUlT_T0_E_clISt17integral_constantIbLb1EES19_IbLb0EEEEDaS15_S16_EUlS15_E_NS1_11comp_targetILNS1_3genE4ELNS1_11target_archE910ELNS1_3gpuE8ELNS1_3repE0EEENS1_30default_config_static_selectorELNS0_4arch9wavefront6targetE0EEEvT1_
    .private_segment_fixed_size: 0
    .sgpr_count:     0
    .sgpr_spill_count: 0
    .symbol:         _ZN7rocprim17ROCPRIM_400000_NS6detail17trampoline_kernelINS0_14default_configENS1_25partition_config_selectorILNS1_17partition_subalgoE9EsjbEEZZNS1_14partition_implILS5_9ELb0ES3_jN6thrust23THRUST_200600_302600_NS6detail15normal_iteratorINS9_10device_ptrIsEEEENSB_INSC_IjEEEEPNS0_10empty_typeENS0_5tupleIJSE_SH_EEENSJ_IJSG_SI_EEENS0_18inequality_wrapperINS9_8equal_toIsEEEEPmJSH_EEE10hipError_tPvRmT3_T4_T5_T6_T7_T9_mT8_P12ihipStream_tbDpT10_ENKUlT_T0_E_clISt17integral_constantIbLb1EES19_IbLb0EEEEDaS15_S16_EUlS15_E_NS1_11comp_targetILNS1_3genE4ELNS1_11target_archE910ELNS1_3gpuE8ELNS1_3repE0EEENS1_30default_config_static_selectorELNS0_4arch9wavefront6targetE0EEEvT1_.kd
    .uniform_work_group_size: 1
    .uses_dynamic_stack: false
    .vgpr_count:     0
    .vgpr_spill_count: 0
    .wavefront_size: 32
    .workgroup_processor_mode: 1
  - .args:
      - .offset:         0
        .size:           112
        .value_kind:     by_value
    .group_segment_fixed_size: 0
    .kernarg_segment_align: 8
    .kernarg_segment_size: 112
    .language:       OpenCL C
    .language_version:
      - 2
      - 0
    .max_flat_workgroup_size: 256
    .name:           _ZN7rocprim17ROCPRIM_400000_NS6detail17trampoline_kernelINS0_14default_configENS1_25partition_config_selectorILNS1_17partition_subalgoE9EsjbEEZZNS1_14partition_implILS5_9ELb0ES3_jN6thrust23THRUST_200600_302600_NS6detail15normal_iteratorINS9_10device_ptrIsEEEENSB_INSC_IjEEEEPNS0_10empty_typeENS0_5tupleIJSE_SH_EEENSJ_IJSG_SI_EEENS0_18inequality_wrapperINS9_8equal_toIsEEEEPmJSH_EEE10hipError_tPvRmT3_T4_T5_T6_T7_T9_mT8_P12ihipStream_tbDpT10_ENKUlT_T0_E_clISt17integral_constantIbLb1EES19_IbLb0EEEEDaS15_S16_EUlS15_E_NS1_11comp_targetILNS1_3genE3ELNS1_11target_archE908ELNS1_3gpuE7ELNS1_3repE0EEENS1_30default_config_static_selectorELNS0_4arch9wavefront6targetE0EEEvT1_
    .private_segment_fixed_size: 0
    .sgpr_count:     0
    .sgpr_spill_count: 0
    .symbol:         _ZN7rocprim17ROCPRIM_400000_NS6detail17trampoline_kernelINS0_14default_configENS1_25partition_config_selectorILNS1_17partition_subalgoE9EsjbEEZZNS1_14partition_implILS5_9ELb0ES3_jN6thrust23THRUST_200600_302600_NS6detail15normal_iteratorINS9_10device_ptrIsEEEENSB_INSC_IjEEEEPNS0_10empty_typeENS0_5tupleIJSE_SH_EEENSJ_IJSG_SI_EEENS0_18inequality_wrapperINS9_8equal_toIsEEEEPmJSH_EEE10hipError_tPvRmT3_T4_T5_T6_T7_T9_mT8_P12ihipStream_tbDpT10_ENKUlT_T0_E_clISt17integral_constantIbLb1EES19_IbLb0EEEEDaS15_S16_EUlS15_E_NS1_11comp_targetILNS1_3genE3ELNS1_11target_archE908ELNS1_3gpuE7ELNS1_3repE0EEENS1_30default_config_static_selectorELNS0_4arch9wavefront6targetE0EEEvT1_.kd
    .uniform_work_group_size: 1
    .uses_dynamic_stack: false
    .vgpr_count:     0
    .vgpr_spill_count: 0
    .wavefront_size: 32
    .workgroup_processor_mode: 1
  - .args:
      - .offset:         0
        .size:           112
        .value_kind:     by_value
    .group_segment_fixed_size: 0
    .kernarg_segment_align: 8
    .kernarg_segment_size: 112
    .language:       OpenCL C
    .language_version:
      - 2
      - 0
    .max_flat_workgroup_size: 256
    .name:           _ZN7rocprim17ROCPRIM_400000_NS6detail17trampoline_kernelINS0_14default_configENS1_25partition_config_selectorILNS1_17partition_subalgoE9EsjbEEZZNS1_14partition_implILS5_9ELb0ES3_jN6thrust23THRUST_200600_302600_NS6detail15normal_iteratorINS9_10device_ptrIsEEEENSB_INSC_IjEEEEPNS0_10empty_typeENS0_5tupleIJSE_SH_EEENSJ_IJSG_SI_EEENS0_18inequality_wrapperINS9_8equal_toIsEEEEPmJSH_EEE10hipError_tPvRmT3_T4_T5_T6_T7_T9_mT8_P12ihipStream_tbDpT10_ENKUlT_T0_E_clISt17integral_constantIbLb1EES19_IbLb0EEEEDaS15_S16_EUlS15_E_NS1_11comp_targetILNS1_3genE2ELNS1_11target_archE906ELNS1_3gpuE6ELNS1_3repE0EEENS1_30default_config_static_selectorELNS0_4arch9wavefront6targetE0EEEvT1_
    .private_segment_fixed_size: 0
    .sgpr_count:     0
    .sgpr_spill_count: 0
    .symbol:         _ZN7rocprim17ROCPRIM_400000_NS6detail17trampoline_kernelINS0_14default_configENS1_25partition_config_selectorILNS1_17partition_subalgoE9EsjbEEZZNS1_14partition_implILS5_9ELb0ES3_jN6thrust23THRUST_200600_302600_NS6detail15normal_iteratorINS9_10device_ptrIsEEEENSB_INSC_IjEEEEPNS0_10empty_typeENS0_5tupleIJSE_SH_EEENSJ_IJSG_SI_EEENS0_18inequality_wrapperINS9_8equal_toIsEEEEPmJSH_EEE10hipError_tPvRmT3_T4_T5_T6_T7_T9_mT8_P12ihipStream_tbDpT10_ENKUlT_T0_E_clISt17integral_constantIbLb1EES19_IbLb0EEEEDaS15_S16_EUlS15_E_NS1_11comp_targetILNS1_3genE2ELNS1_11target_archE906ELNS1_3gpuE6ELNS1_3repE0EEENS1_30default_config_static_selectorELNS0_4arch9wavefront6targetE0EEEvT1_.kd
    .uniform_work_group_size: 1
    .uses_dynamic_stack: false
    .vgpr_count:     0
    .vgpr_spill_count: 0
    .wavefront_size: 32
    .workgroup_processor_mode: 1
  - .args:
      - .offset:         0
        .size:           112
        .value_kind:     by_value
    .group_segment_fixed_size: 0
    .kernarg_segment_align: 8
    .kernarg_segment_size: 112
    .language:       OpenCL C
    .language_version:
      - 2
      - 0
    .max_flat_workgroup_size: 512
    .name:           _ZN7rocprim17ROCPRIM_400000_NS6detail17trampoline_kernelINS0_14default_configENS1_25partition_config_selectorILNS1_17partition_subalgoE9EsjbEEZZNS1_14partition_implILS5_9ELb0ES3_jN6thrust23THRUST_200600_302600_NS6detail15normal_iteratorINS9_10device_ptrIsEEEENSB_INSC_IjEEEEPNS0_10empty_typeENS0_5tupleIJSE_SH_EEENSJ_IJSG_SI_EEENS0_18inequality_wrapperINS9_8equal_toIsEEEEPmJSH_EEE10hipError_tPvRmT3_T4_T5_T6_T7_T9_mT8_P12ihipStream_tbDpT10_ENKUlT_T0_E_clISt17integral_constantIbLb1EES19_IbLb0EEEEDaS15_S16_EUlS15_E_NS1_11comp_targetILNS1_3genE10ELNS1_11target_archE1200ELNS1_3gpuE4ELNS1_3repE0EEENS1_30default_config_static_selectorELNS0_4arch9wavefront6targetE0EEEvT1_
    .private_segment_fixed_size: 0
    .sgpr_count:     0
    .sgpr_spill_count: 0
    .symbol:         _ZN7rocprim17ROCPRIM_400000_NS6detail17trampoline_kernelINS0_14default_configENS1_25partition_config_selectorILNS1_17partition_subalgoE9EsjbEEZZNS1_14partition_implILS5_9ELb0ES3_jN6thrust23THRUST_200600_302600_NS6detail15normal_iteratorINS9_10device_ptrIsEEEENSB_INSC_IjEEEEPNS0_10empty_typeENS0_5tupleIJSE_SH_EEENSJ_IJSG_SI_EEENS0_18inequality_wrapperINS9_8equal_toIsEEEEPmJSH_EEE10hipError_tPvRmT3_T4_T5_T6_T7_T9_mT8_P12ihipStream_tbDpT10_ENKUlT_T0_E_clISt17integral_constantIbLb1EES19_IbLb0EEEEDaS15_S16_EUlS15_E_NS1_11comp_targetILNS1_3genE10ELNS1_11target_archE1200ELNS1_3gpuE4ELNS1_3repE0EEENS1_30default_config_static_selectorELNS0_4arch9wavefront6targetE0EEEvT1_.kd
    .uniform_work_group_size: 1
    .uses_dynamic_stack: false
    .vgpr_count:     0
    .vgpr_spill_count: 0
    .wavefront_size: 32
    .workgroup_processor_mode: 1
  - .args:
      - .offset:         0
        .size:           112
        .value_kind:     by_value
    .group_segment_fixed_size: 5640
    .kernarg_segment_align: 8
    .kernarg_segment_size: 112
    .language:       OpenCL C
    .language_version:
      - 2
      - 0
    .max_flat_workgroup_size: 128
    .name:           _ZN7rocprim17ROCPRIM_400000_NS6detail17trampoline_kernelINS0_14default_configENS1_25partition_config_selectorILNS1_17partition_subalgoE9EsjbEEZZNS1_14partition_implILS5_9ELb0ES3_jN6thrust23THRUST_200600_302600_NS6detail15normal_iteratorINS9_10device_ptrIsEEEENSB_INSC_IjEEEEPNS0_10empty_typeENS0_5tupleIJSE_SH_EEENSJ_IJSG_SI_EEENS0_18inequality_wrapperINS9_8equal_toIsEEEEPmJSH_EEE10hipError_tPvRmT3_T4_T5_T6_T7_T9_mT8_P12ihipStream_tbDpT10_ENKUlT_T0_E_clISt17integral_constantIbLb1EES19_IbLb0EEEEDaS15_S16_EUlS15_E_NS1_11comp_targetILNS1_3genE9ELNS1_11target_archE1100ELNS1_3gpuE3ELNS1_3repE0EEENS1_30default_config_static_selectorELNS0_4arch9wavefront6targetE0EEEvT1_
    .private_segment_fixed_size: 0
    .sgpr_count:     26
    .sgpr_spill_count: 0
    .symbol:         _ZN7rocprim17ROCPRIM_400000_NS6detail17trampoline_kernelINS0_14default_configENS1_25partition_config_selectorILNS1_17partition_subalgoE9EsjbEEZZNS1_14partition_implILS5_9ELb0ES3_jN6thrust23THRUST_200600_302600_NS6detail15normal_iteratorINS9_10device_ptrIsEEEENSB_INSC_IjEEEEPNS0_10empty_typeENS0_5tupleIJSE_SH_EEENSJ_IJSG_SI_EEENS0_18inequality_wrapperINS9_8equal_toIsEEEEPmJSH_EEE10hipError_tPvRmT3_T4_T5_T6_T7_T9_mT8_P12ihipStream_tbDpT10_ENKUlT_T0_E_clISt17integral_constantIbLb1EES19_IbLb0EEEEDaS15_S16_EUlS15_E_NS1_11comp_targetILNS1_3genE9ELNS1_11target_archE1100ELNS1_3gpuE3ELNS1_3repE0EEENS1_30default_config_static_selectorELNS0_4arch9wavefront6targetE0EEEvT1_.kd
    .uniform_work_group_size: 1
    .uses_dynamic_stack: false
    .vgpr_count:     85
    .vgpr_spill_count: 0
    .wavefront_size: 32
    .workgroup_processor_mode: 1
  - .args:
      - .offset:         0
        .size:           112
        .value_kind:     by_value
    .group_segment_fixed_size: 0
    .kernarg_segment_align: 8
    .kernarg_segment_size: 112
    .language:       OpenCL C
    .language_version:
      - 2
      - 0
    .max_flat_workgroup_size: 512
    .name:           _ZN7rocprim17ROCPRIM_400000_NS6detail17trampoline_kernelINS0_14default_configENS1_25partition_config_selectorILNS1_17partition_subalgoE9EsjbEEZZNS1_14partition_implILS5_9ELb0ES3_jN6thrust23THRUST_200600_302600_NS6detail15normal_iteratorINS9_10device_ptrIsEEEENSB_INSC_IjEEEEPNS0_10empty_typeENS0_5tupleIJSE_SH_EEENSJ_IJSG_SI_EEENS0_18inequality_wrapperINS9_8equal_toIsEEEEPmJSH_EEE10hipError_tPvRmT3_T4_T5_T6_T7_T9_mT8_P12ihipStream_tbDpT10_ENKUlT_T0_E_clISt17integral_constantIbLb1EES19_IbLb0EEEEDaS15_S16_EUlS15_E_NS1_11comp_targetILNS1_3genE8ELNS1_11target_archE1030ELNS1_3gpuE2ELNS1_3repE0EEENS1_30default_config_static_selectorELNS0_4arch9wavefront6targetE0EEEvT1_
    .private_segment_fixed_size: 0
    .sgpr_count:     0
    .sgpr_spill_count: 0
    .symbol:         _ZN7rocprim17ROCPRIM_400000_NS6detail17trampoline_kernelINS0_14default_configENS1_25partition_config_selectorILNS1_17partition_subalgoE9EsjbEEZZNS1_14partition_implILS5_9ELb0ES3_jN6thrust23THRUST_200600_302600_NS6detail15normal_iteratorINS9_10device_ptrIsEEEENSB_INSC_IjEEEEPNS0_10empty_typeENS0_5tupleIJSE_SH_EEENSJ_IJSG_SI_EEENS0_18inequality_wrapperINS9_8equal_toIsEEEEPmJSH_EEE10hipError_tPvRmT3_T4_T5_T6_T7_T9_mT8_P12ihipStream_tbDpT10_ENKUlT_T0_E_clISt17integral_constantIbLb1EES19_IbLb0EEEEDaS15_S16_EUlS15_E_NS1_11comp_targetILNS1_3genE8ELNS1_11target_archE1030ELNS1_3gpuE2ELNS1_3repE0EEENS1_30default_config_static_selectorELNS0_4arch9wavefront6targetE0EEEvT1_.kd
    .uniform_work_group_size: 1
    .uses_dynamic_stack: false
    .vgpr_count:     0
    .vgpr_spill_count: 0
    .wavefront_size: 32
    .workgroup_processor_mode: 1
  - .args:
      - .offset:         0
        .size:           128
        .value_kind:     by_value
    .group_segment_fixed_size: 0
    .kernarg_segment_align: 8
    .kernarg_segment_size: 128
    .language:       OpenCL C
    .language_version:
      - 2
      - 0
    .max_flat_workgroup_size: 256
    .name:           _ZN7rocprim17ROCPRIM_400000_NS6detail17trampoline_kernelINS0_14default_configENS1_25partition_config_selectorILNS1_17partition_subalgoE9EsjbEEZZNS1_14partition_implILS5_9ELb0ES3_jN6thrust23THRUST_200600_302600_NS6detail15normal_iteratorINS9_10device_ptrIsEEEENSB_INSC_IjEEEEPNS0_10empty_typeENS0_5tupleIJSE_SH_EEENSJ_IJSG_SI_EEENS0_18inequality_wrapperINS9_8equal_toIsEEEEPmJSH_EEE10hipError_tPvRmT3_T4_T5_T6_T7_T9_mT8_P12ihipStream_tbDpT10_ENKUlT_T0_E_clISt17integral_constantIbLb0EES19_IbLb1EEEEDaS15_S16_EUlS15_E_NS1_11comp_targetILNS1_3genE0ELNS1_11target_archE4294967295ELNS1_3gpuE0ELNS1_3repE0EEENS1_30default_config_static_selectorELNS0_4arch9wavefront6targetE0EEEvT1_
    .private_segment_fixed_size: 0
    .sgpr_count:     0
    .sgpr_spill_count: 0
    .symbol:         _ZN7rocprim17ROCPRIM_400000_NS6detail17trampoline_kernelINS0_14default_configENS1_25partition_config_selectorILNS1_17partition_subalgoE9EsjbEEZZNS1_14partition_implILS5_9ELb0ES3_jN6thrust23THRUST_200600_302600_NS6detail15normal_iteratorINS9_10device_ptrIsEEEENSB_INSC_IjEEEEPNS0_10empty_typeENS0_5tupleIJSE_SH_EEENSJ_IJSG_SI_EEENS0_18inequality_wrapperINS9_8equal_toIsEEEEPmJSH_EEE10hipError_tPvRmT3_T4_T5_T6_T7_T9_mT8_P12ihipStream_tbDpT10_ENKUlT_T0_E_clISt17integral_constantIbLb0EES19_IbLb1EEEEDaS15_S16_EUlS15_E_NS1_11comp_targetILNS1_3genE0ELNS1_11target_archE4294967295ELNS1_3gpuE0ELNS1_3repE0EEENS1_30default_config_static_selectorELNS0_4arch9wavefront6targetE0EEEvT1_.kd
    .uniform_work_group_size: 1
    .uses_dynamic_stack: false
    .vgpr_count:     0
    .vgpr_spill_count: 0
    .wavefront_size: 32
    .workgroup_processor_mode: 1
  - .args:
      - .offset:         0
        .size:           128
        .value_kind:     by_value
    .group_segment_fixed_size: 0
    .kernarg_segment_align: 8
    .kernarg_segment_size: 128
    .language:       OpenCL C
    .language_version:
      - 2
      - 0
    .max_flat_workgroup_size: 512
    .name:           _ZN7rocprim17ROCPRIM_400000_NS6detail17trampoline_kernelINS0_14default_configENS1_25partition_config_selectorILNS1_17partition_subalgoE9EsjbEEZZNS1_14partition_implILS5_9ELb0ES3_jN6thrust23THRUST_200600_302600_NS6detail15normal_iteratorINS9_10device_ptrIsEEEENSB_INSC_IjEEEEPNS0_10empty_typeENS0_5tupleIJSE_SH_EEENSJ_IJSG_SI_EEENS0_18inequality_wrapperINS9_8equal_toIsEEEEPmJSH_EEE10hipError_tPvRmT3_T4_T5_T6_T7_T9_mT8_P12ihipStream_tbDpT10_ENKUlT_T0_E_clISt17integral_constantIbLb0EES19_IbLb1EEEEDaS15_S16_EUlS15_E_NS1_11comp_targetILNS1_3genE5ELNS1_11target_archE942ELNS1_3gpuE9ELNS1_3repE0EEENS1_30default_config_static_selectorELNS0_4arch9wavefront6targetE0EEEvT1_
    .private_segment_fixed_size: 0
    .sgpr_count:     0
    .sgpr_spill_count: 0
    .symbol:         _ZN7rocprim17ROCPRIM_400000_NS6detail17trampoline_kernelINS0_14default_configENS1_25partition_config_selectorILNS1_17partition_subalgoE9EsjbEEZZNS1_14partition_implILS5_9ELb0ES3_jN6thrust23THRUST_200600_302600_NS6detail15normal_iteratorINS9_10device_ptrIsEEEENSB_INSC_IjEEEEPNS0_10empty_typeENS0_5tupleIJSE_SH_EEENSJ_IJSG_SI_EEENS0_18inequality_wrapperINS9_8equal_toIsEEEEPmJSH_EEE10hipError_tPvRmT3_T4_T5_T6_T7_T9_mT8_P12ihipStream_tbDpT10_ENKUlT_T0_E_clISt17integral_constantIbLb0EES19_IbLb1EEEEDaS15_S16_EUlS15_E_NS1_11comp_targetILNS1_3genE5ELNS1_11target_archE942ELNS1_3gpuE9ELNS1_3repE0EEENS1_30default_config_static_selectorELNS0_4arch9wavefront6targetE0EEEvT1_.kd
    .uniform_work_group_size: 1
    .uses_dynamic_stack: false
    .vgpr_count:     0
    .vgpr_spill_count: 0
    .wavefront_size: 32
    .workgroup_processor_mode: 1
  - .args:
      - .offset:         0
        .size:           128
        .value_kind:     by_value
    .group_segment_fixed_size: 0
    .kernarg_segment_align: 8
    .kernarg_segment_size: 128
    .language:       OpenCL C
    .language_version:
      - 2
      - 0
    .max_flat_workgroup_size: 192
    .name:           _ZN7rocprim17ROCPRIM_400000_NS6detail17trampoline_kernelINS0_14default_configENS1_25partition_config_selectorILNS1_17partition_subalgoE9EsjbEEZZNS1_14partition_implILS5_9ELb0ES3_jN6thrust23THRUST_200600_302600_NS6detail15normal_iteratorINS9_10device_ptrIsEEEENSB_INSC_IjEEEEPNS0_10empty_typeENS0_5tupleIJSE_SH_EEENSJ_IJSG_SI_EEENS0_18inequality_wrapperINS9_8equal_toIsEEEEPmJSH_EEE10hipError_tPvRmT3_T4_T5_T6_T7_T9_mT8_P12ihipStream_tbDpT10_ENKUlT_T0_E_clISt17integral_constantIbLb0EES19_IbLb1EEEEDaS15_S16_EUlS15_E_NS1_11comp_targetILNS1_3genE4ELNS1_11target_archE910ELNS1_3gpuE8ELNS1_3repE0EEENS1_30default_config_static_selectorELNS0_4arch9wavefront6targetE0EEEvT1_
    .private_segment_fixed_size: 0
    .sgpr_count:     0
    .sgpr_spill_count: 0
    .symbol:         _ZN7rocprim17ROCPRIM_400000_NS6detail17trampoline_kernelINS0_14default_configENS1_25partition_config_selectorILNS1_17partition_subalgoE9EsjbEEZZNS1_14partition_implILS5_9ELb0ES3_jN6thrust23THRUST_200600_302600_NS6detail15normal_iteratorINS9_10device_ptrIsEEEENSB_INSC_IjEEEEPNS0_10empty_typeENS0_5tupleIJSE_SH_EEENSJ_IJSG_SI_EEENS0_18inequality_wrapperINS9_8equal_toIsEEEEPmJSH_EEE10hipError_tPvRmT3_T4_T5_T6_T7_T9_mT8_P12ihipStream_tbDpT10_ENKUlT_T0_E_clISt17integral_constantIbLb0EES19_IbLb1EEEEDaS15_S16_EUlS15_E_NS1_11comp_targetILNS1_3genE4ELNS1_11target_archE910ELNS1_3gpuE8ELNS1_3repE0EEENS1_30default_config_static_selectorELNS0_4arch9wavefront6targetE0EEEvT1_.kd
    .uniform_work_group_size: 1
    .uses_dynamic_stack: false
    .vgpr_count:     0
    .vgpr_spill_count: 0
    .wavefront_size: 32
    .workgroup_processor_mode: 1
  - .args:
      - .offset:         0
        .size:           128
        .value_kind:     by_value
    .group_segment_fixed_size: 0
    .kernarg_segment_align: 8
    .kernarg_segment_size: 128
    .language:       OpenCL C
    .language_version:
      - 2
      - 0
    .max_flat_workgroup_size: 256
    .name:           _ZN7rocprim17ROCPRIM_400000_NS6detail17trampoline_kernelINS0_14default_configENS1_25partition_config_selectorILNS1_17partition_subalgoE9EsjbEEZZNS1_14partition_implILS5_9ELb0ES3_jN6thrust23THRUST_200600_302600_NS6detail15normal_iteratorINS9_10device_ptrIsEEEENSB_INSC_IjEEEEPNS0_10empty_typeENS0_5tupleIJSE_SH_EEENSJ_IJSG_SI_EEENS0_18inequality_wrapperINS9_8equal_toIsEEEEPmJSH_EEE10hipError_tPvRmT3_T4_T5_T6_T7_T9_mT8_P12ihipStream_tbDpT10_ENKUlT_T0_E_clISt17integral_constantIbLb0EES19_IbLb1EEEEDaS15_S16_EUlS15_E_NS1_11comp_targetILNS1_3genE3ELNS1_11target_archE908ELNS1_3gpuE7ELNS1_3repE0EEENS1_30default_config_static_selectorELNS0_4arch9wavefront6targetE0EEEvT1_
    .private_segment_fixed_size: 0
    .sgpr_count:     0
    .sgpr_spill_count: 0
    .symbol:         _ZN7rocprim17ROCPRIM_400000_NS6detail17trampoline_kernelINS0_14default_configENS1_25partition_config_selectorILNS1_17partition_subalgoE9EsjbEEZZNS1_14partition_implILS5_9ELb0ES3_jN6thrust23THRUST_200600_302600_NS6detail15normal_iteratorINS9_10device_ptrIsEEEENSB_INSC_IjEEEEPNS0_10empty_typeENS0_5tupleIJSE_SH_EEENSJ_IJSG_SI_EEENS0_18inequality_wrapperINS9_8equal_toIsEEEEPmJSH_EEE10hipError_tPvRmT3_T4_T5_T6_T7_T9_mT8_P12ihipStream_tbDpT10_ENKUlT_T0_E_clISt17integral_constantIbLb0EES19_IbLb1EEEEDaS15_S16_EUlS15_E_NS1_11comp_targetILNS1_3genE3ELNS1_11target_archE908ELNS1_3gpuE7ELNS1_3repE0EEENS1_30default_config_static_selectorELNS0_4arch9wavefront6targetE0EEEvT1_.kd
    .uniform_work_group_size: 1
    .uses_dynamic_stack: false
    .vgpr_count:     0
    .vgpr_spill_count: 0
    .wavefront_size: 32
    .workgroup_processor_mode: 1
  - .args:
      - .offset:         0
        .size:           128
        .value_kind:     by_value
    .group_segment_fixed_size: 0
    .kernarg_segment_align: 8
    .kernarg_segment_size: 128
    .language:       OpenCL C
    .language_version:
      - 2
      - 0
    .max_flat_workgroup_size: 256
    .name:           _ZN7rocprim17ROCPRIM_400000_NS6detail17trampoline_kernelINS0_14default_configENS1_25partition_config_selectorILNS1_17partition_subalgoE9EsjbEEZZNS1_14partition_implILS5_9ELb0ES3_jN6thrust23THRUST_200600_302600_NS6detail15normal_iteratorINS9_10device_ptrIsEEEENSB_INSC_IjEEEEPNS0_10empty_typeENS0_5tupleIJSE_SH_EEENSJ_IJSG_SI_EEENS0_18inequality_wrapperINS9_8equal_toIsEEEEPmJSH_EEE10hipError_tPvRmT3_T4_T5_T6_T7_T9_mT8_P12ihipStream_tbDpT10_ENKUlT_T0_E_clISt17integral_constantIbLb0EES19_IbLb1EEEEDaS15_S16_EUlS15_E_NS1_11comp_targetILNS1_3genE2ELNS1_11target_archE906ELNS1_3gpuE6ELNS1_3repE0EEENS1_30default_config_static_selectorELNS0_4arch9wavefront6targetE0EEEvT1_
    .private_segment_fixed_size: 0
    .sgpr_count:     0
    .sgpr_spill_count: 0
    .symbol:         _ZN7rocprim17ROCPRIM_400000_NS6detail17trampoline_kernelINS0_14default_configENS1_25partition_config_selectorILNS1_17partition_subalgoE9EsjbEEZZNS1_14partition_implILS5_9ELb0ES3_jN6thrust23THRUST_200600_302600_NS6detail15normal_iteratorINS9_10device_ptrIsEEEENSB_INSC_IjEEEEPNS0_10empty_typeENS0_5tupleIJSE_SH_EEENSJ_IJSG_SI_EEENS0_18inequality_wrapperINS9_8equal_toIsEEEEPmJSH_EEE10hipError_tPvRmT3_T4_T5_T6_T7_T9_mT8_P12ihipStream_tbDpT10_ENKUlT_T0_E_clISt17integral_constantIbLb0EES19_IbLb1EEEEDaS15_S16_EUlS15_E_NS1_11comp_targetILNS1_3genE2ELNS1_11target_archE906ELNS1_3gpuE6ELNS1_3repE0EEENS1_30default_config_static_selectorELNS0_4arch9wavefront6targetE0EEEvT1_.kd
    .uniform_work_group_size: 1
    .uses_dynamic_stack: false
    .vgpr_count:     0
    .vgpr_spill_count: 0
    .wavefront_size: 32
    .workgroup_processor_mode: 1
  - .args:
      - .offset:         0
        .size:           128
        .value_kind:     by_value
    .group_segment_fixed_size: 0
    .kernarg_segment_align: 8
    .kernarg_segment_size: 128
    .language:       OpenCL C
    .language_version:
      - 2
      - 0
    .max_flat_workgroup_size: 512
    .name:           _ZN7rocprim17ROCPRIM_400000_NS6detail17trampoline_kernelINS0_14default_configENS1_25partition_config_selectorILNS1_17partition_subalgoE9EsjbEEZZNS1_14partition_implILS5_9ELb0ES3_jN6thrust23THRUST_200600_302600_NS6detail15normal_iteratorINS9_10device_ptrIsEEEENSB_INSC_IjEEEEPNS0_10empty_typeENS0_5tupleIJSE_SH_EEENSJ_IJSG_SI_EEENS0_18inequality_wrapperINS9_8equal_toIsEEEEPmJSH_EEE10hipError_tPvRmT3_T4_T5_T6_T7_T9_mT8_P12ihipStream_tbDpT10_ENKUlT_T0_E_clISt17integral_constantIbLb0EES19_IbLb1EEEEDaS15_S16_EUlS15_E_NS1_11comp_targetILNS1_3genE10ELNS1_11target_archE1200ELNS1_3gpuE4ELNS1_3repE0EEENS1_30default_config_static_selectorELNS0_4arch9wavefront6targetE0EEEvT1_
    .private_segment_fixed_size: 0
    .sgpr_count:     0
    .sgpr_spill_count: 0
    .symbol:         _ZN7rocprim17ROCPRIM_400000_NS6detail17trampoline_kernelINS0_14default_configENS1_25partition_config_selectorILNS1_17partition_subalgoE9EsjbEEZZNS1_14partition_implILS5_9ELb0ES3_jN6thrust23THRUST_200600_302600_NS6detail15normal_iteratorINS9_10device_ptrIsEEEENSB_INSC_IjEEEEPNS0_10empty_typeENS0_5tupleIJSE_SH_EEENSJ_IJSG_SI_EEENS0_18inequality_wrapperINS9_8equal_toIsEEEEPmJSH_EEE10hipError_tPvRmT3_T4_T5_T6_T7_T9_mT8_P12ihipStream_tbDpT10_ENKUlT_T0_E_clISt17integral_constantIbLb0EES19_IbLb1EEEEDaS15_S16_EUlS15_E_NS1_11comp_targetILNS1_3genE10ELNS1_11target_archE1200ELNS1_3gpuE4ELNS1_3repE0EEENS1_30default_config_static_selectorELNS0_4arch9wavefront6targetE0EEEvT1_.kd
    .uniform_work_group_size: 1
    .uses_dynamic_stack: false
    .vgpr_count:     0
    .vgpr_spill_count: 0
    .wavefront_size: 32
    .workgroup_processor_mode: 1
  - .args:
      - .offset:         0
        .size:           128
        .value_kind:     by_value
    .group_segment_fixed_size: 5640
    .kernarg_segment_align: 8
    .kernarg_segment_size: 128
    .language:       OpenCL C
    .language_version:
      - 2
      - 0
    .max_flat_workgroup_size: 128
    .name:           _ZN7rocprim17ROCPRIM_400000_NS6detail17trampoline_kernelINS0_14default_configENS1_25partition_config_selectorILNS1_17partition_subalgoE9EsjbEEZZNS1_14partition_implILS5_9ELb0ES3_jN6thrust23THRUST_200600_302600_NS6detail15normal_iteratorINS9_10device_ptrIsEEEENSB_INSC_IjEEEEPNS0_10empty_typeENS0_5tupleIJSE_SH_EEENSJ_IJSG_SI_EEENS0_18inequality_wrapperINS9_8equal_toIsEEEEPmJSH_EEE10hipError_tPvRmT3_T4_T5_T6_T7_T9_mT8_P12ihipStream_tbDpT10_ENKUlT_T0_E_clISt17integral_constantIbLb0EES19_IbLb1EEEEDaS15_S16_EUlS15_E_NS1_11comp_targetILNS1_3genE9ELNS1_11target_archE1100ELNS1_3gpuE3ELNS1_3repE0EEENS1_30default_config_static_selectorELNS0_4arch9wavefront6targetE0EEEvT1_
    .private_segment_fixed_size: 0
    .sgpr_count:     32
    .sgpr_spill_count: 0
    .symbol:         _ZN7rocprim17ROCPRIM_400000_NS6detail17trampoline_kernelINS0_14default_configENS1_25partition_config_selectorILNS1_17partition_subalgoE9EsjbEEZZNS1_14partition_implILS5_9ELb0ES3_jN6thrust23THRUST_200600_302600_NS6detail15normal_iteratorINS9_10device_ptrIsEEEENSB_INSC_IjEEEEPNS0_10empty_typeENS0_5tupleIJSE_SH_EEENSJ_IJSG_SI_EEENS0_18inequality_wrapperINS9_8equal_toIsEEEEPmJSH_EEE10hipError_tPvRmT3_T4_T5_T6_T7_T9_mT8_P12ihipStream_tbDpT10_ENKUlT_T0_E_clISt17integral_constantIbLb0EES19_IbLb1EEEEDaS15_S16_EUlS15_E_NS1_11comp_targetILNS1_3genE9ELNS1_11target_archE1100ELNS1_3gpuE3ELNS1_3repE0EEENS1_30default_config_static_selectorELNS0_4arch9wavefront6targetE0EEEvT1_.kd
    .uniform_work_group_size: 1
    .uses_dynamic_stack: false
    .vgpr_count:     85
    .vgpr_spill_count: 0
    .wavefront_size: 32
    .workgroup_processor_mode: 1
  - .args:
      - .offset:         0
        .size:           128
        .value_kind:     by_value
    .group_segment_fixed_size: 0
    .kernarg_segment_align: 8
    .kernarg_segment_size: 128
    .language:       OpenCL C
    .language_version:
      - 2
      - 0
    .max_flat_workgroup_size: 512
    .name:           _ZN7rocprim17ROCPRIM_400000_NS6detail17trampoline_kernelINS0_14default_configENS1_25partition_config_selectorILNS1_17partition_subalgoE9EsjbEEZZNS1_14partition_implILS5_9ELb0ES3_jN6thrust23THRUST_200600_302600_NS6detail15normal_iteratorINS9_10device_ptrIsEEEENSB_INSC_IjEEEEPNS0_10empty_typeENS0_5tupleIJSE_SH_EEENSJ_IJSG_SI_EEENS0_18inequality_wrapperINS9_8equal_toIsEEEEPmJSH_EEE10hipError_tPvRmT3_T4_T5_T6_T7_T9_mT8_P12ihipStream_tbDpT10_ENKUlT_T0_E_clISt17integral_constantIbLb0EES19_IbLb1EEEEDaS15_S16_EUlS15_E_NS1_11comp_targetILNS1_3genE8ELNS1_11target_archE1030ELNS1_3gpuE2ELNS1_3repE0EEENS1_30default_config_static_selectorELNS0_4arch9wavefront6targetE0EEEvT1_
    .private_segment_fixed_size: 0
    .sgpr_count:     0
    .sgpr_spill_count: 0
    .symbol:         _ZN7rocprim17ROCPRIM_400000_NS6detail17trampoline_kernelINS0_14default_configENS1_25partition_config_selectorILNS1_17partition_subalgoE9EsjbEEZZNS1_14partition_implILS5_9ELb0ES3_jN6thrust23THRUST_200600_302600_NS6detail15normal_iteratorINS9_10device_ptrIsEEEENSB_INSC_IjEEEEPNS0_10empty_typeENS0_5tupleIJSE_SH_EEENSJ_IJSG_SI_EEENS0_18inequality_wrapperINS9_8equal_toIsEEEEPmJSH_EEE10hipError_tPvRmT3_T4_T5_T6_T7_T9_mT8_P12ihipStream_tbDpT10_ENKUlT_T0_E_clISt17integral_constantIbLb0EES19_IbLb1EEEEDaS15_S16_EUlS15_E_NS1_11comp_targetILNS1_3genE8ELNS1_11target_archE1030ELNS1_3gpuE2ELNS1_3repE0EEENS1_30default_config_static_selectorELNS0_4arch9wavefront6targetE0EEEvT1_.kd
    .uniform_work_group_size: 1
    .uses_dynamic_stack: false
    .vgpr_count:     0
    .vgpr_spill_count: 0
    .wavefront_size: 32
    .workgroup_processor_mode: 1
  - .args:
      - .offset:         0
        .size:           128
        .value_kind:     by_value
    .group_segment_fixed_size: 0
    .kernarg_segment_align: 8
    .kernarg_segment_size: 128
    .language:       OpenCL C
    .language_version:
      - 2
      - 0
    .max_flat_workgroup_size: 128
    .name:           _ZN7rocprim17ROCPRIM_400000_NS6detail17trampoline_kernelINS0_14default_configENS1_25partition_config_selectorILNS1_17partition_subalgoE9EyjbEEZZNS1_14partition_implILS5_9ELb0ES3_jN6thrust23THRUST_200600_302600_NS6detail15normal_iteratorINS9_10device_ptrIyEEEENSB_INSC_IjEEEEPNS0_10empty_typeENS0_5tupleIJNS9_16discard_iteratorINS9_11use_defaultEEESH_EEENSJ_IJSM_SI_EEENS0_18inequality_wrapperINS9_8equal_toIyEEEEPmJSH_EEE10hipError_tPvRmT3_T4_T5_T6_T7_T9_mT8_P12ihipStream_tbDpT10_ENKUlT_T0_E_clISt17integral_constantIbLb0EES1D_EEDaS18_S19_EUlS18_E_NS1_11comp_targetILNS1_3genE0ELNS1_11target_archE4294967295ELNS1_3gpuE0ELNS1_3repE0EEENS1_30default_config_static_selectorELNS0_4arch9wavefront6targetE0EEEvT1_
    .private_segment_fixed_size: 0
    .sgpr_count:     0
    .sgpr_spill_count: 0
    .symbol:         _ZN7rocprim17ROCPRIM_400000_NS6detail17trampoline_kernelINS0_14default_configENS1_25partition_config_selectorILNS1_17partition_subalgoE9EyjbEEZZNS1_14partition_implILS5_9ELb0ES3_jN6thrust23THRUST_200600_302600_NS6detail15normal_iteratorINS9_10device_ptrIyEEEENSB_INSC_IjEEEEPNS0_10empty_typeENS0_5tupleIJNS9_16discard_iteratorINS9_11use_defaultEEESH_EEENSJ_IJSM_SI_EEENS0_18inequality_wrapperINS9_8equal_toIyEEEEPmJSH_EEE10hipError_tPvRmT3_T4_T5_T6_T7_T9_mT8_P12ihipStream_tbDpT10_ENKUlT_T0_E_clISt17integral_constantIbLb0EES1D_EEDaS18_S19_EUlS18_E_NS1_11comp_targetILNS1_3genE0ELNS1_11target_archE4294967295ELNS1_3gpuE0ELNS1_3repE0EEENS1_30default_config_static_selectorELNS0_4arch9wavefront6targetE0EEEvT1_.kd
    .uniform_work_group_size: 1
    .uses_dynamic_stack: false
    .vgpr_count:     0
    .vgpr_spill_count: 0
    .wavefront_size: 32
    .workgroup_processor_mode: 1
  - .args:
      - .offset:         0
        .size:           128
        .value_kind:     by_value
    .group_segment_fixed_size: 0
    .kernarg_segment_align: 8
    .kernarg_segment_size: 128
    .language:       OpenCL C
    .language_version:
      - 2
      - 0
    .max_flat_workgroup_size: 512
    .name:           _ZN7rocprim17ROCPRIM_400000_NS6detail17trampoline_kernelINS0_14default_configENS1_25partition_config_selectorILNS1_17partition_subalgoE9EyjbEEZZNS1_14partition_implILS5_9ELb0ES3_jN6thrust23THRUST_200600_302600_NS6detail15normal_iteratorINS9_10device_ptrIyEEEENSB_INSC_IjEEEEPNS0_10empty_typeENS0_5tupleIJNS9_16discard_iteratorINS9_11use_defaultEEESH_EEENSJ_IJSM_SI_EEENS0_18inequality_wrapperINS9_8equal_toIyEEEEPmJSH_EEE10hipError_tPvRmT3_T4_T5_T6_T7_T9_mT8_P12ihipStream_tbDpT10_ENKUlT_T0_E_clISt17integral_constantIbLb0EES1D_EEDaS18_S19_EUlS18_E_NS1_11comp_targetILNS1_3genE5ELNS1_11target_archE942ELNS1_3gpuE9ELNS1_3repE0EEENS1_30default_config_static_selectorELNS0_4arch9wavefront6targetE0EEEvT1_
    .private_segment_fixed_size: 0
    .sgpr_count:     0
    .sgpr_spill_count: 0
    .symbol:         _ZN7rocprim17ROCPRIM_400000_NS6detail17trampoline_kernelINS0_14default_configENS1_25partition_config_selectorILNS1_17partition_subalgoE9EyjbEEZZNS1_14partition_implILS5_9ELb0ES3_jN6thrust23THRUST_200600_302600_NS6detail15normal_iteratorINS9_10device_ptrIyEEEENSB_INSC_IjEEEEPNS0_10empty_typeENS0_5tupleIJNS9_16discard_iteratorINS9_11use_defaultEEESH_EEENSJ_IJSM_SI_EEENS0_18inequality_wrapperINS9_8equal_toIyEEEEPmJSH_EEE10hipError_tPvRmT3_T4_T5_T6_T7_T9_mT8_P12ihipStream_tbDpT10_ENKUlT_T0_E_clISt17integral_constantIbLb0EES1D_EEDaS18_S19_EUlS18_E_NS1_11comp_targetILNS1_3genE5ELNS1_11target_archE942ELNS1_3gpuE9ELNS1_3repE0EEENS1_30default_config_static_selectorELNS0_4arch9wavefront6targetE0EEEvT1_.kd
    .uniform_work_group_size: 1
    .uses_dynamic_stack: false
    .vgpr_count:     0
    .vgpr_spill_count: 0
    .wavefront_size: 32
    .workgroup_processor_mode: 1
  - .args:
      - .offset:         0
        .size:           128
        .value_kind:     by_value
    .group_segment_fixed_size: 0
    .kernarg_segment_align: 8
    .kernarg_segment_size: 128
    .language:       OpenCL C
    .language_version:
      - 2
      - 0
    .max_flat_workgroup_size: 192
    .name:           _ZN7rocprim17ROCPRIM_400000_NS6detail17trampoline_kernelINS0_14default_configENS1_25partition_config_selectorILNS1_17partition_subalgoE9EyjbEEZZNS1_14partition_implILS5_9ELb0ES3_jN6thrust23THRUST_200600_302600_NS6detail15normal_iteratorINS9_10device_ptrIyEEEENSB_INSC_IjEEEEPNS0_10empty_typeENS0_5tupleIJNS9_16discard_iteratorINS9_11use_defaultEEESH_EEENSJ_IJSM_SI_EEENS0_18inequality_wrapperINS9_8equal_toIyEEEEPmJSH_EEE10hipError_tPvRmT3_T4_T5_T6_T7_T9_mT8_P12ihipStream_tbDpT10_ENKUlT_T0_E_clISt17integral_constantIbLb0EES1D_EEDaS18_S19_EUlS18_E_NS1_11comp_targetILNS1_3genE4ELNS1_11target_archE910ELNS1_3gpuE8ELNS1_3repE0EEENS1_30default_config_static_selectorELNS0_4arch9wavefront6targetE0EEEvT1_
    .private_segment_fixed_size: 0
    .sgpr_count:     0
    .sgpr_spill_count: 0
    .symbol:         _ZN7rocprim17ROCPRIM_400000_NS6detail17trampoline_kernelINS0_14default_configENS1_25partition_config_selectorILNS1_17partition_subalgoE9EyjbEEZZNS1_14partition_implILS5_9ELb0ES3_jN6thrust23THRUST_200600_302600_NS6detail15normal_iteratorINS9_10device_ptrIyEEEENSB_INSC_IjEEEEPNS0_10empty_typeENS0_5tupleIJNS9_16discard_iteratorINS9_11use_defaultEEESH_EEENSJ_IJSM_SI_EEENS0_18inequality_wrapperINS9_8equal_toIyEEEEPmJSH_EEE10hipError_tPvRmT3_T4_T5_T6_T7_T9_mT8_P12ihipStream_tbDpT10_ENKUlT_T0_E_clISt17integral_constantIbLb0EES1D_EEDaS18_S19_EUlS18_E_NS1_11comp_targetILNS1_3genE4ELNS1_11target_archE910ELNS1_3gpuE8ELNS1_3repE0EEENS1_30default_config_static_selectorELNS0_4arch9wavefront6targetE0EEEvT1_.kd
    .uniform_work_group_size: 1
    .uses_dynamic_stack: false
    .vgpr_count:     0
    .vgpr_spill_count: 0
    .wavefront_size: 32
    .workgroup_processor_mode: 1
  - .args:
      - .offset:         0
        .size:           128
        .value_kind:     by_value
    .group_segment_fixed_size: 0
    .kernarg_segment_align: 8
    .kernarg_segment_size: 128
    .language:       OpenCL C
    .language_version:
      - 2
      - 0
    .max_flat_workgroup_size: 128
    .name:           _ZN7rocprim17ROCPRIM_400000_NS6detail17trampoline_kernelINS0_14default_configENS1_25partition_config_selectorILNS1_17partition_subalgoE9EyjbEEZZNS1_14partition_implILS5_9ELb0ES3_jN6thrust23THRUST_200600_302600_NS6detail15normal_iteratorINS9_10device_ptrIyEEEENSB_INSC_IjEEEEPNS0_10empty_typeENS0_5tupleIJNS9_16discard_iteratorINS9_11use_defaultEEESH_EEENSJ_IJSM_SI_EEENS0_18inequality_wrapperINS9_8equal_toIyEEEEPmJSH_EEE10hipError_tPvRmT3_T4_T5_T6_T7_T9_mT8_P12ihipStream_tbDpT10_ENKUlT_T0_E_clISt17integral_constantIbLb0EES1D_EEDaS18_S19_EUlS18_E_NS1_11comp_targetILNS1_3genE3ELNS1_11target_archE908ELNS1_3gpuE7ELNS1_3repE0EEENS1_30default_config_static_selectorELNS0_4arch9wavefront6targetE0EEEvT1_
    .private_segment_fixed_size: 0
    .sgpr_count:     0
    .sgpr_spill_count: 0
    .symbol:         _ZN7rocprim17ROCPRIM_400000_NS6detail17trampoline_kernelINS0_14default_configENS1_25partition_config_selectorILNS1_17partition_subalgoE9EyjbEEZZNS1_14partition_implILS5_9ELb0ES3_jN6thrust23THRUST_200600_302600_NS6detail15normal_iteratorINS9_10device_ptrIyEEEENSB_INSC_IjEEEEPNS0_10empty_typeENS0_5tupleIJNS9_16discard_iteratorINS9_11use_defaultEEESH_EEENSJ_IJSM_SI_EEENS0_18inequality_wrapperINS9_8equal_toIyEEEEPmJSH_EEE10hipError_tPvRmT3_T4_T5_T6_T7_T9_mT8_P12ihipStream_tbDpT10_ENKUlT_T0_E_clISt17integral_constantIbLb0EES1D_EEDaS18_S19_EUlS18_E_NS1_11comp_targetILNS1_3genE3ELNS1_11target_archE908ELNS1_3gpuE7ELNS1_3repE0EEENS1_30default_config_static_selectorELNS0_4arch9wavefront6targetE0EEEvT1_.kd
    .uniform_work_group_size: 1
    .uses_dynamic_stack: false
    .vgpr_count:     0
    .vgpr_spill_count: 0
    .wavefront_size: 32
    .workgroup_processor_mode: 1
  - .args:
      - .offset:         0
        .size:           128
        .value_kind:     by_value
    .group_segment_fixed_size: 0
    .kernarg_segment_align: 8
    .kernarg_segment_size: 128
    .language:       OpenCL C
    .language_version:
      - 2
      - 0
    .max_flat_workgroup_size: 256
    .name:           _ZN7rocprim17ROCPRIM_400000_NS6detail17trampoline_kernelINS0_14default_configENS1_25partition_config_selectorILNS1_17partition_subalgoE9EyjbEEZZNS1_14partition_implILS5_9ELb0ES3_jN6thrust23THRUST_200600_302600_NS6detail15normal_iteratorINS9_10device_ptrIyEEEENSB_INSC_IjEEEEPNS0_10empty_typeENS0_5tupleIJNS9_16discard_iteratorINS9_11use_defaultEEESH_EEENSJ_IJSM_SI_EEENS0_18inequality_wrapperINS9_8equal_toIyEEEEPmJSH_EEE10hipError_tPvRmT3_T4_T5_T6_T7_T9_mT8_P12ihipStream_tbDpT10_ENKUlT_T0_E_clISt17integral_constantIbLb0EES1D_EEDaS18_S19_EUlS18_E_NS1_11comp_targetILNS1_3genE2ELNS1_11target_archE906ELNS1_3gpuE6ELNS1_3repE0EEENS1_30default_config_static_selectorELNS0_4arch9wavefront6targetE0EEEvT1_
    .private_segment_fixed_size: 0
    .sgpr_count:     0
    .sgpr_spill_count: 0
    .symbol:         _ZN7rocprim17ROCPRIM_400000_NS6detail17trampoline_kernelINS0_14default_configENS1_25partition_config_selectorILNS1_17partition_subalgoE9EyjbEEZZNS1_14partition_implILS5_9ELb0ES3_jN6thrust23THRUST_200600_302600_NS6detail15normal_iteratorINS9_10device_ptrIyEEEENSB_INSC_IjEEEEPNS0_10empty_typeENS0_5tupleIJNS9_16discard_iteratorINS9_11use_defaultEEESH_EEENSJ_IJSM_SI_EEENS0_18inequality_wrapperINS9_8equal_toIyEEEEPmJSH_EEE10hipError_tPvRmT3_T4_T5_T6_T7_T9_mT8_P12ihipStream_tbDpT10_ENKUlT_T0_E_clISt17integral_constantIbLb0EES1D_EEDaS18_S19_EUlS18_E_NS1_11comp_targetILNS1_3genE2ELNS1_11target_archE906ELNS1_3gpuE6ELNS1_3repE0EEENS1_30default_config_static_selectorELNS0_4arch9wavefront6targetE0EEEvT1_.kd
    .uniform_work_group_size: 1
    .uses_dynamic_stack: false
    .vgpr_count:     0
    .vgpr_spill_count: 0
    .wavefront_size: 32
    .workgroup_processor_mode: 1
  - .args:
      - .offset:         0
        .size:           128
        .value_kind:     by_value
    .group_segment_fixed_size: 0
    .kernarg_segment_align: 8
    .kernarg_segment_size: 128
    .language:       OpenCL C
    .language_version:
      - 2
      - 0
    .max_flat_workgroup_size: 384
    .name:           _ZN7rocprim17ROCPRIM_400000_NS6detail17trampoline_kernelINS0_14default_configENS1_25partition_config_selectorILNS1_17partition_subalgoE9EyjbEEZZNS1_14partition_implILS5_9ELb0ES3_jN6thrust23THRUST_200600_302600_NS6detail15normal_iteratorINS9_10device_ptrIyEEEENSB_INSC_IjEEEEPNS0_10empty_typeENS0_5tupleIJNS9_16discard_iteratorINS9_11use_defaultEEESH_EEENSJ_IJSM_SI_EEENS0_18inequality_wrapperINS9_8equal_toIyEEEEPmJSH_EEE10hipError_tPvRmT3_T4_T5_T6_T7_T9_mT8_P12ihipStream_tbDpT10_ENKUlT_T0_E_clISt17integral_constantIbLb0EES1D_EEDaS18_S19_EUlS18_E_NS1_11comp_targetILNS1_3genE10ELNS1_11target_archE1200ELNS1_3gpuE4ELNS1_3repE0EEENS1_30default_config_static_selectorELNS0_4arch9wavefront6targetE0EEEvT1_
    .private_segment_fixed_size: 0
    .sgpr_count:     0
    .sgpr_spill_count: 0
    .symbol:         _ZN7rocprim17ROCPRIM_400000_NS6detail17trampoline_kernelINS0_14default_configENS1_25partition_config_selectorILNS1_17partition_subalgoE9EyjbEEZZNS1_14partition_implILS5_9ELb0ES3_jN6thrust23THRUST_200600_302600_NS6detail15normal_iteratorINS9_10device_ptrIyEEEENSB_INSC_IjEEEEPNS0_10empty_typeENS0_5tupleIJNS9_16discard_iteratorINS9_11use_defaultEEESH_EEENSJ_IJSM_SI_EEENS0_18inequality_wrapperINS9_8equal_toIyEEEEPmJSH_EEE10hipError_tPvRmT3_T4_T5_T6_T7_T9_mT8_P12ihipStream_tbDpT10_ENKUlT_T0_E_clISt17integral_constantIbLb0EES1D_EEDaS18_S19_EUlS18_E_NS1_11comp_targetILNS1_3genE10ELNS1_11target_archE1200ELNS1_3gpuE4ELNS1_3repE0EEENS1_30default_config_static_selectorELNS0_4arch9wavefront6targetE0EEEvT1_.kd
    .uniform_work_group_size: 1
    .uses_dynamic_stack: false
    .vgpr_count:     0
    .vgpr_spill_count: 0
    .wavefront_size: 32
    .workgroup_processor_mode: 1
  - .args:
      - .offset:         0
        .size:           128
        .value_kind:     by_value
    .group_segment_fixed_size: 33800
    .kernarg_segment_align: 8
    .kernarg_segment_size: 128
    .language:       OpenCL C
    .language_version:
      - 2
      - 0
    .max_flat_workgroup_size: 512
    .name:           _ZN7rocprim17ROCPRIM_400000_NS6detail17trampoline_kernelINS0_14default_configENS1_25partition_config_selectorILNS1_17partition_subalgoE9EyjbEEZZNS1_14partition_implILS5_9ELb0ES3_jN6thrust23THRUST_200600_302600_NS6detail15normal_iteratorINS9_10device_ptrIyEEEENSB_INSC_IjEEEEPNS0_10empty_typeENS0_5tupleIJNS9_16discard_iteratorINS9_11use_defaultEEESH_EEENSJ_IJSM_SI_EEENS0_18inequality_wrapperINS9_8equal_toIyEEEEPmJSH_EEE10hipError_tPvRmT3_T4_T5_T6_T7_T9_mT8_P12ihipStream_tbDpT10_ENKUlT_T0_E_clISt17integral_constantIbLb0EES1D_EEDaS18_S19_EUlS18_E_NS1_11comp_targetILNS1_3genE9ELNS1_11target_archE1100ELNS1_3gpuE3ELNS1_3repE0EEENS1_30default_config_static_selectorELNS0_4arch9wavefront6targetE0EEEvT1_
    .private_segment_fixed_size: 0
    .sgpr_count:     26
    .sgpr_spill_count: 0
    .symbol:         _ZN7rocprim17ROCPRIM_400000_NS6detail17trampoline_kernelINS0_14default_configENS1_25partition_config_selectorILNS1_17partition_subalgoE9EyjbEEZZNS1_14partition_implILS5_9ELb0ES3_jN6thrust23THRUST_200600_302600_NS6detail15normal_iteratorINS9_10device_ptrIyEEEENSB_INSC_IjEEEEPNS0_10empty_typeENS0_5tupleIJNS9_16discard_iteratorINS9_11use_defaultEEESH_EEENSJ_IJSM_SI_EEENS0_18inequality_wrapperINS9_8equal_toIyEEEEPmJSH_EEE10hipError_tPvRmT3_T4_T5_T6_T7_T9_mT8_P12ihipStream_tbDpT10_ENKUlT_T0_E_clISt17integral_constantIbLb0EES1D_EEDaS18_S19_EUlS18_E_NS1_11comp_targetILNS1_3genE9ELNS1_11target_archE1100ELNS1_3gpuE3ELNS1_3repE0EEENS1_30default_config_static_selectorELNS0_4arch9wavefront6targetE0EEEvT1_.kd
    .uniform_work_group_size: 1
    .uses_dynamic_stack: false
    .vgpr_count:     59
    .vgpr_spill_count: 0
    .wavefront_size: 32
    .workgroup_processor_mode: 1
  - .args:
      - .offset:         0
        .size:           128
        .value_kind:     by_value
    .group_segment_fixed_size: 0
    .kernarg_segment_align: 8
    .kernarg_segment_size: 128
    .language:       OpenCL C
    .language_version:
      - 2
      - 0
    .max_flat_workgroup_size: 512
    .name:           _ZN7rocprim17ROCPRIM_400000_NS6detail17trampoline_kernelINS0_14default_configENS1_25partition_config_selectorILNS1_17partition_subalgoE9EyjbEEZZNS1_14partition_implILS5_9ELb0ES3_jN6thrust23THRUST_200600_302600_NS6detail15normal_iteratorINS9_10device_ptrIyEEEENSB_INSC_IjEEEEPNS0_10empty_typeENS0_5tupleIJNS9_16discard_iteratorINS9_11use_defaultEEESH_EEENSJ_IJSM_SI_EEENS0_18inequality_wrapperINS9_8equal_toIyEEEEPmJSH_EEE10hipError_tPvRmT3_T4_T5_T6_T7_T9_mT8_P12ihipStream_tbDpT10_ENKUlT_T0_E_clISt17integral_constantIbLb0EES1D_EEDaS18_S19_EUlS18_E_NS1_11comp_targetILNS1_3genE8ELNS1_11target_archE1030ELNS1_3gpuE2ELNS1_3repE0EEENS1_30default_config_static_selectorELNS0_4arch9wavefront6targetE0EEEvT1_
    .private_segment_fixed_size: 0
    .sgpr_count:     0
    .sgpr_spill_count: 0
    .symbol:         _ZN7rocprim17ROCPRIM_400000_NS6detail17trampoline_kernelINS0_14default_configENS1_25partition_config_selectorILNS1_17partition_subalgoE9EyjbEEZZNS1_14partition_implILS5_9ELb0ES3_jN6thrust23THRUST_200600_302600_NS6detail15normal_iteratorINS9_10device_ptrIyEEEENSB_INSC_IjEEEEPNS0_10empty_typeENS0_5tupleIJNS9_16discard_iteratorINS9_11use_defaultEEESH_EEENSJ_IJSM_SI_EEENS0_18inequality_wrapperINS9_8equal_toIyEEEEPmJSH_EEE10hipError_tPvRmT3_T4_T5_T6_T7_T9_mT8_P12ihipStream_tbDpT10_ENKUlT_T0_E_clISt17integral_constantIbLb0EES1D_EEDaS18_S19_EUlS18_E_NS1_11comp_targetILNS1_3genE8ELNS1_11target_archE1030ELNS1_3gpuE2ELNS1_3repE0EEENS1_30default_config_static_selectorELNS0_4arch9wavefront6targetE0EEEvT1_.kd
    .uniform_work_group_size: 1
    .uses_dynamic_stack: false
    .vgpr_count:     0
    .vgpr_spill_count: 0
    .wavefront_size: 32
    .workgroup_processor_mode: 1
  - .args:
      - .offset:         0
        .size:           144
        .value_kind:     by_value
    .group_segment_fixed_size: 0
    .kernarg_segment_align: 8
    .kernarg_segment_size: 144
    .language:       OpenCL C
    .language_version:
      - 2
      - 0
    .max_flat_workgroup_size: 128
    .name:           _ZN7rocprim17ROCPRIM_400000_NS6detail17trampoline_kernelINS0_14default_configENS1_25partition_config_selectorILNS1_17partition_subalgoE9EyjbEEZZNS1_14partition_implILS5_9ELb0ES3_jN6thrust23THRUST_200600_302600_NS6detail15normal_iteratorINS9_10device_ptrIyEEEENSB_INSC_IjEEEEPNS0_10empty_typeENS0_5tupleIJNS9_16discard_iteratorINS9_11use_defaultEEESH_EEENSJ_IJSM_SI_EEENS0_18inequality_wrapperINS9_8equal_toIyEEEEPmJSH_EEE10hipError_tPvRmT3_T4_T5_T6_T7_T9_mT8_P12ihipStream_tbDpT10_ENKUlT_T0_E_clISt17integral_constantIbLb1EES1D_EEDaS18_S19_EUlS18_E_NS1_11comp_targetILNS1_3genE0ELNS1_11target_archE4294967295ELNS1_3gpuE0ELNS1_3repE0EEENS1_30default_config_static_selectorELNS0_4arch9wavefront6targetE0EEEvT1_
    .private_segment_fixed_size: 0
    .sgpr_count:     0
    .sgpr_spill_count: 0
    .symbol:         _ZN7rocprim17ROCPRIM_400000_NS6detail17trampoline_kernelINS0_14default_configENS1_25partition_config_selectorILNS1_17partition_subalgoE9EyjbEEZZNS1_14partition_implILS5_9ELb0ES3_jN6thrust23THRUST_200600_302600_NS6detail15normal_iteratorINS9_10device_ptrIyEEEENSB_INSC_IjEEEEPNS0_10empty_typeENS0_5tupleIJNS9_16discard_iteratorINS9_11use_defaultEEESH_EEENSJ_IJSM_SI_EEENS0_18inequality_wrapperINS9_8equal_toIyEEEEPmJSH_EEE10hipError_tPvRmT3_T4_T5_T6_T7_T9_mT8_P12ihipStream_tbDpT10_ENKUlT_T0_E_clISt17integral_constantIbLb1EES1D_EEDaS18_S19_EUlS18_E_NS1_11comp_targetILNS1_3genE0ELNS1_11target_archE4294967295ELNS1_3gpuE0ELNS1_3repE0EEENS1_30default_config_static_selectorELNS0_4arch9wavefront6targetE0EEEvT1_.kd
    .uniform_work_group_size: 1
    .uses_dynamic_stack: false
    .vgpr_count:     0
    .vgpr_spill_count: 0
    .wavefront_size: 32
    .workgroup_processor_mode: 1
  - .args:
      - .offset:         0
        .size:           144
        .value_kind:     by_value
    .group_segment_fixed_size: 0
    .kernarg_segment_align: 8
    .kernarg_segment_size: 144
    .language:       OpenCL C
    .language_version:
      - 2
      - 0
    .max_flat_workgroup_size: 512
    .name:           _ZN7rocprim17ROCPRIM_400000_NS6detail17trampoline_kernelINS0_14default_configENS1_25partition_config_selectorILNS1_17partition_subalgoE9EyjbEEZZNS1_14partition_implILS5_9ELb0ES3_jN6thrust23THRUST_200600_302600_NS6detail15normal_iteratorINS9_10device_ptrIyEEEENSB_INSC_IjEEEEPNS0_10empty_typeENS0_5tupleIJNS9_16discard_iteratorINS9_11use_defaultEEESH_EEENSJ_IJSM_SI_EEENS0_18inequality_wrapperINS9_8equal_toIyEEEEPmJSH_EEE10hipError_tPvRmT3_T4_T5_T6_T7_T9_mT8_P12ihipStream_tbDpT10_ENKUlT_T0_E_clISt17integral_constantIbLb1EES1D_EEDaS18_S19_EUlS18_E_NS1_11comp_targetILNS1_3genE5ELNS1_11target_archE942ELNS1_3gpuE9ELNS1_3repE0EEENS1_30default_config_static_selectorELNS0_4arch9wavefront6targetE0EEEvT1_
    .private_segment_fixed_size: 0
    .sgpr_count:     0
    .sgpr_spill_count: 0
    .symbol:         _ZN7rocprim17ROCPRIM_400000_NS6detail17trampoline_kernelINS0_14default_configENS1_25partition_config_selectorILNS1_17partition_subalgoE9EyjbEEZZNS1_14partition_implILS5_9ELb0ES3_jN6thrust23THRUST_200600_302600_NS6detail15normal_iteratorINS9_10device_ptrIyEEEENSB_INSC_IjEEEEPNS0_10empty_typeENS0_5tupleIJNS9_16discard_iteratorINS9_11use_defaultEEESH_EEENSJ_IJSM_SI_EEENS0_18inequality_wrapperINS9_8equal_toIyEEEEPmJSH_EEE10hipError_tPvRmT3_T4_T5_T6_T7_T9_mT8_P12ihipStream_tbDpT10_ENKUlT_T0_E_clISt17integral_constantIbLb1EES1D_EEDaS18_S19_EUlS18_E_NS1_11comp_targetILNS1_3genE5ELNS1_11target_archE942ELNS1_3gpuE9ELNS1_3repE0EEENS1_30default_config_static_selectorELNS0_4arch9wavefront6targetE0EEEvT1_.kd
    .uniform_work_group_size: 1
    .uses_dynamic_stack: false
    .vgpr_count:     0
    .vgpr_spill_count: 0
    .wavefront_size: 32
    .workgroup_processor_mode: 1
  - .args:
      - .offset:         0
        .size:           144
        .value_kind:     by_value
    .group_segment_fixed_size: 0
    .kernarg_segment_align: 8
    .kernarg_segment_size: 144
    .language:       OpenCL C
    .language_version:
      - 2
      - 0
    .max_flat_workgroup_size: 192
    .name:           _ZN7rocprim17ROCPRIM_400000_NS6detail17trampoline_kernelINS0_14default_configENS1_25partition_config_selectorILNS1_17partition_subalgoE9EyjbEEZZNS1_14partition_implILS5_9ELb0ES3_jN6thrust23THRUST_200600_302600_NS6detail15normal_iteratorINS9_10device_ptrIyEEEENSB_INSC_IjEEEEPNS0_10empty_typeENS0_5tupleIJNS9_16discard_iteratorINS9_11use_defaultEEESH_EEENSJ_IJSM_SI_EEENS0_18inequality_wrapperINS9_8equal_toIyEEEEPmJSH_EEE10hipError_tPvRmT3_T4_T5_T6_T7_T9_mT8_P12ihipStream_tbDpT10_ENKUlT_T0_E_clISt17integral_constantIbLb1EES1D_EEDaS18_S19_EUlS18_E_NS1_11comp_targetILNS1_3genE4ELNS1_11target_archE910ELNS1_3gpuE8ELNS1_3repE0EEENS1_30default_config_static_selectorELNS0_4arch9wavefront6targetE0EEEvT1_
    .private_segment_fixed_size: 0
    .sgpr_count:     0
    .sgpr_spill_count: 0
    .symbol:         _ZN7rocprim17ROCPRIM_400000_NS6detail17trampoline_kernelINS0_14default_configENS1_25partition_config_selectorILNS1_17partition_subalgoE9EyjbEEZZNS1_14partition_implILS5_9ELb0ES3_jN6thrust23THRUST_200600_302600_NS6detail15normal_iteratorINS9_10device_ptrIyEEEENSB_INSC_IjEEEEPNS0_10empty_typeENS0_5tupleIJNS9_16discard_iteratorINS9_11use_defaultEEESH_EEENSJ_IJSM_SI_EEENS0_18inequality_wrapperINS9_8equal_toIyEEEEPmJSH_EEE10hipError_tPvRmT3_T4_T5_T6_T7_T9_mT8_P12ihipStream_tbDpT10_ENKUlT_T0_E_clISt17integral_constantIbLb1EES1D_EEDaS18_S19_EUlS18_E_NS1_11comp_targetILNS1_3genE4ELNS1_11target_archE910ELNS1_3gpuE8ELNS1_3repE0EEENS1_30default_config_static_selectorELNS0_4arch9wavefront6targetE0EEEvT1_.kd
    .uniform_work_group_size: 1
    .uses_dynamic_stack: false
    .vgpr_count:     0
    .vgpr_spill_count: 0
    .wavefront_size: 32
    .workgroup_processor_mode: 1
  - .args:
      - .offset:         0
        .size:           144
        .value_kind:     by_value
    .group_segment_fixed_size: 0
    .kernarg_segment_align: 8
    .kernarg_segment_size: 144
    .language:       OpenCL C
    .language_version:
      - 2
      - 0
    .max_flat_workgroup_size: 128
    .name:           _ZN7rocprim17ROCPRIM_400000_NS6detail17trampoline_kernelINS0_14default_configENS1_25partition_config_selectorILNS1_17partition_subalgoE9EyjbEEZZNS1_14partition_implILS5_9ELb0ES3_jN6thrust23THRUST_200600_302600_NS6detail15normal_iteratorINS9_10device_ptrIyEEEENSB_INSC_IjEEEEPNS0_10empty_typeENS0_5tupleIJNS9_16discard_iteratorINS9_11use_defaultEEESH_EEENSJ_IJSM_SI_EEENS0_18inequality_wrapperINS9_8equal_toIyEEEEPmJSH_EEE10hipError_tPvRmT3_T4_T5_T6_T7_T9_mT8_P12ihipStream_tbDpT10_ENKUlT_T0_E_clISt17integral_constantIbLb1EES1D_EEDaS18_S19_EUlS18_E_NS1_11comp_targetILNS1_3genE3ELNS1_11target_archE908ELNS1_3gpuE7ELNS1_3repE0EEENS1_30default_config_static_selectorELNS0_4arch9wavefront6targetE0EEEvT1_
    .private_segment_fixed_size: 0
    .sgpr_count:     0
    .sgpr_spill_count: 0
    .symbol:         _ZN7rocprim17ROCPRIM_400000_NS6detail17trampoline_kernelINS0_14default_configENS1_25partition_config_selectorILNS1_17partition_subalgoE9EyjbEEZZNS1_14partition_implILS5_9ELb0ES3_jN6thrust23THRUST_200600_302600_NS6detail15normal_iteratorINS9_10device_ptrIyEEEENSB_INSC_IjEEEEPNS0_10empty_typeENS0_5tupleIJNS9_16discard_iteratorINS9_11use_defaultEEESH_EEENSJ_IJSM_SI_EEENS0_18inequality_wrapperINS9_8equal_toIyEEEEPmJSH_EEE10hipError_tPvRmT3_T4_T5_T6_T7_T9_mT8_P12ihipStream_tbDpT10_ENKUlT_T0_E_clISt17integral_constantIbLb1EES1D_EEDaS18_S19_EUlS18_E_NS1_11comp_targetILNS1_3genE3ELNS1_11target_archE908ELNS1_3gpuE7ELNS1_3repE0EEENS1_30default_config_static_selectorELNS0_4arch9wavefront6targetE0EEEvT1_.kd
    .uniform_work_group_size: 1
    .uses_dynamic_stack: false
    .vgpr_count:     0
    .vgpr_spill_count: 0
    .wavefront_size: 32
    .workgroup_processor_mode: 1
  - .args:
      - .offset:         0
        .size:           144
        .value_kind:     by_value
    .group_segment_fixed_size: 0
    .kernarg_segment_align: 8
    .kernarg_segment_size: 144
    .language:       OpenCL C
    .language_version:
      - 2
      - 0
    .max_flat_workgroup_size: 256
    .name:           _ZN7rocprim17ROCPRIM_400000_NS6detail17trampoline_kernelINS0_14default_configENS1_25partition_config_selectorILNS1_17partition_subalgoE9EyjbEEZZNS1_14partition_implILS5_9ELb0ES3_jN6thrust23THRUST_200600_302600_NS6detail15normal_iteratorINS9_10device_ptrIyEEEENSB_INSC_IjEEEEPNS0_10empty_typeENS0_5tupleIJNS9_16discard_iteratorINS9_11use_defaultEEESH_EEENSJ_IJSM_SI_EEENS0_18inequality_wrapperINS9_8equal_toIyEEEEPmJSH_EEE10hipError_tPvRmT3_T4_T5_T6_T7_T9_mT8_P12ihipStream_tbDpT10_ENKUlT_T0_E_clISt17integral_constantIbLb1EES1D_EEDaS18_S19_EUlS18_E_NS1_11comp_targetILNS1_3genE2ELNS1_11target_archE906ELNS1_3gpuE6ELNS1_3repE0EEENS1_30default_config_static_selectorELNS0_4arch9wavefront6targetE0EEEvT1_
    .private_segment_fixed_size: 0
    .sgpr_count:     0
    .sgpr_spill_count: 0
    .symbol:         _ZN7rocprim17ROCPRIM_400000_NS6detail17trampoline_kernelINS0_14default_configENS1_25partition_config_selectorILNS1_17partition_subalgoE9EyjbEEZZNS1_14partition_implILS5_9ELb0ES3_jN6thrust23THRUST_200600_302600_NS6detail15normal_iteratorINS9_10device_ptrIyEEEENSB_INSC_IjEEEEPNS0_10empty_typeENS0_5tupleIJNS9_16discard_iteratorINS9_11use_defaultEEESH_EEENSJ_IJSM_SI_EEENS0_18inequality_wrapperINS9_8equal_toIyEEEEPmJSH_EEE10hipError_tPvRmT3_T4_T5_T6_T7_T9_mT8_P12ihipStream_tbDpT10_ENKUlT_T0_E_clISt17integral_constantIbLb1EES1D_EEDaS18_S19_EUlS18_E_NS1_11comp_targetILNS1_3genE2ELNS1_11target_archE906ELNS1_3gpuE6ELNS1_3repE0EEENS1_30default_config_static_selectorELNS0_4arch9wavefront6targetE0EEEvT1_.kd
    .uniform_work_group_size: 1
    .uses_dynamic_stack: false
    .vgpr_count:     0
    .vgpr_spill_count: 0
    .wavefront_size: 32
    .workgroup_processor_mode: 1
  - .args:
      - .offset:         0
        .size:           144
        .value_kind:     by_value
    .group_segment_fixed_size: 0
    .kernarg_segment_align: 8
    .kernarg_segment_size: 144
    .language:       OpenCL C
    .language_version:
      - 2
      - 0
    .max_flat_workgroup_size: 384
    .name:           _ZN7rocprim17ROCPRIM_400000_NS6detail17trampoline_kernelINS0_14default_configENS1_25partition_config_selectorILNS1_17partition_subalgoE9EyjbEEZZNS1_14partition_implILS5_9ELb0ES3_jN6thrust23THRUST_200600_302600_NS6detail15normal_iteratorINS9_10device_ptrIyEEEENSB_INSC_IjEEEEPNS0_10empty_typeENS0_5tupleIJNS9_16discard_iteratorINS9_11use_defaultEEESH_EEENSJ_IJSM_SI_EEENS0_18inequality_wrapperINS9_8equal_toIyEEEEPmJSH_EEE10hipError_tPvRmT3_T4_T5_T6_T7_T9_mT8_P12ihipStream_tbDpT10_ENKUlT_T0_E_clISt17integral_constantIbLb1EES1D_EEDaS18_S19_EUlS18_E_NS1_11comp_targetILNS1_3genE10ELNS1_11target_archE1200ELNS1_3gpuE4ELNS1_3repE0EEENS1_30default_config_static_selectorELNS0_4arch9wavefront6targetE0EEEvT1_
    .private_segment_fixed_size: 0
    .sgpr_count:     0
    .sgpr_spill_count: 0
    .symbol:         _ZN7rocprim17ROCPRIM_400000_NS6detail17trampoline_kernelINS0_14default_configENS1_25partition_config_selectorILNS1_17partition_subalgoE9EyjbEEZZNS1_14partition_implILS5_9ELb0ES3_jN6thrust23THRUST_200600_302600_NS6detail15normal_iteratorINS9_10device_ptrIyEEEENSB_INSC_IjEEEEPNS0_10empty_typeENS0_5tupleIJNS9_16discard_iteratorINS9_11use_defaultEEESH_EEENSJ_IJSM_SI_EEENS0_18inequality_wrapperINS9_8equal_toIyEEEEPmJSH_EEE10hipError_tPvRmT3_T4_T5_T6_T7_T9_mT8_P12ihipStream_tbDpT10_ENKUlT_T0_E_clISt17integral_constantIbLb1EES1D_EEDaS18_S19_EUlS18_E_NS1_11comp_targetILNS1_3genE10ELNS1_11target_archE1200ELNS1_3gpuE4ELNS1_3repE0EEENS1_30default_config_static_selectorELNS0_4arch9wavefront6targetE0EEEvT1_.kd
    .uniform_work_group_size: 1
    .uses_dynamic_stack: false
    .vgpr_count:     0
    .vgpr_spill_count: 0
    .wavefront_size: 32
    .workgroup_processor_mode: 1
  - .args:
      - .offset:         0
        .size:           144
        .value_kind:     by_value
    .group_segment_fixed_size: 33800
    .kernarg_segment_align: 8
    .kernarg_segment_size: 144
    .language:       OpenCL C
    .language_version:
      - 2
      - 0
    .max_flat_workgroup_size: 512
    .name:           _ZN7rocprim17ROCPRIM_400000_NS6detail17trampoline_kernelINS0_14default_configENS1_25partition_config_selectorILNS1_17partition_subalgoE9EyjbEEZZNS1_14partition_implILS5_9ELb0ES3_jN6thrust23THRUST_200600_302600_NS6detail15normal_iteratorINS9_10device_ptrIyEEEENSB_INSC_IjEEEEPNS0_10empty_typeENS0_5tupleIJNS9_16discard_iteratorINS9_11use_defaultEEESH_EEENSJ_IJSM_SI_EEENS0_18inequality_wrapperINS9_8equal_toIyEEEEPmJSH_EEE10hipError_tPvRmT3_T4_T5_T6_T7_T9_mT8_P12ihipStream_tbDpT10_ENKUlT_T0_E_clISt17integral_constantIbLb1EES1D_EEDaS18_S19_EUlS18_E_NS1_11comp_targetILNS1_3genE9ELNS1_11target_archE1100ELNS1_3gpuE3ELNS1_3repE0EEENS1_30default_config_static_selectorELNS0_4arch9wavefront6targetE0EEEvT1_
    .private_segment_fixed_size: 0
    .sgpr_count:     26
    .sgpr_spill_count: 0
    .symbol:         _ZN7rocprim17ROCPRIM_400000_NS6detail17trampoline_kernelINS0_14default_configENS1_25partition_config_selectorILNS1_17partition_subalgoE9EyjbEEZZNS1_14partition_implILS5_9ELb0ES3_jN6thrust23THRUST_200600_302600_NS6detail15normal_iteratorINS9_10device_ptrIyEEEENSB_INSC_IjEEEEPNS0_10empty_typeENS0_5tupleIJNS9_16discard_iteratorINS9_11use_defaultEEESH_EEENSJ_IJSM_SI_EEENS0_18inequality_wrapperINS9_8equal_toIyEEEEPmJSH_EEE10hipError_tPvRmT3_T4_T5_T6_T7_T9_mT8_P12ihipStream_tbDpT10_ENKUlT_T0_E_clISt17integral_constantIbLb1EES1D_EEDaS18_S19_EUlS18_E_NS1_11comp_targetILNS1_3genE9ELNS1_11target_archE1100ELNS1_3gpuE3ELNS1_3repE0EEENS1_30default_config_static_selectorELNS0_4arch9wavefront6targetE0EEEvT1_.kd
    .uniform_work_group_size: 1
    .uses_dynamic_stack: false
    .vgpr_count:     61
    .vgpr_spill_count: 0
    .wavefront_size: 32
    .workgroup_processor_mode: 1
  - .args:
      - .offset:         0
        .size:           144
        .value_kind:     by_value
    .group_segment_fixed_size: 0
    .kernarg_segment_align: 8
    .kernarg_segment_size: 144
    .language:       OpenCL C
    .language_version:
      - 2
      - 0
    .max_flat_workgroup_size: 512
    .name:           _ZN7rocprim17ROCPRIM_400000_NS6detail17trampoline_kernelINS0_14default_configENS1_25partition_config_selectorILNS1_17partition_subalgoE9EyjbEEZZNS1_14partition_implILS5_9ELb0ES3_jN6thrust23THRUST_200600_302600_NS6detail15normal_iteratorINS9_10device_ptrIyEEEENSB_INSC_IjEEEEPNS0_10empty_typeENS0_5tupleIJNS9_16discard_iteratorINS9_11use_defaultEEESH_EEENSJ_IJSM_SI_EEENS0_18inequality_wrapperINS9_8equal_toIyEEEEPmJSH_EEE10hipError_tPvRmT3_T4_T5_T6_T7_T9_mT8_P12ihipStream_tbDpT10_ENKUlT_T0_E_clISt17integral_constantIbLb1EES1D_EEDaS18_S19_EUlS18_E_NS1_11comp_targetILNS1_3genE8ELNS1_11target_archE1030ELNS1_3gpuE2ELNS1_3repE0EEENS1_30default_config_static_selectorELNS0_4arch9wavefront6targetE0EEEvT1_
    .private_segment_fixed_size: 0
    .sgpr_count:     0
    .sgpr_spill_count: 0
    .symbol:         _ZN7rocprim17ROCPRIM_400000_NS6detail17trampoline_kernelINS0_14default_configENS1_25partition_config_selectorILNS1_17partition_subalgoE9EyjbEEZZNS1_14partition_implILS5_9ELb0ES3_jN6thrust23THRUST_200600_302600_NS6detail15normal_iteratorINS9_10device_ptrIyEEEENSB_INSC_IjEEEEPNS0_10empty_typeENS0_5tupleIJNS9_16discard_iteratorINS9_11use_defaultEEESH_EEENSJ_IJSM_SI_EEENS0_18inequality_wrapperINS9_8equal_toIyEEEEPmJSH_EEE10hipError_tPvRmT3_T4_T5_T6_T7_T9_mT8_P12ihipStream_tbDpT10_ENKUlT_T0_E_clISt17integral_constantIbLb1EES1D_EEDaS18_S19_EUlS18_E_NS1_11comp_targetILNS1_3genE8ELNS1_11target_archE1030ELNS1_3gpuE2ELNS1_3repE0EEENS1_30default_config_static_selectorELNS0_4arch9wavefront6targetE0EEEvT1_.kd
    .uniform_work_group_size: 1
    .uses_dynamic_stack: false
    .vgpr_count:     0
    .vgpr_spill_count: 0
    .wavefront_size: 32
    .workgroup_processor_mode: 1
  - .args:
      - .offset:         0
        .size:           128
        .value_kind:     by_value
    .group_segment_fixed_size: 0
    .kernarg_segment_align: 8
    .kernarg_segment_size: 128
    .language:       OpenCL C
    .language_version:
      - 2
      - 0
    .max_flat_workgroup_size: 128
    .name:           _ZN7rocprim17ROCPRIM_400000_NS6detail17trampoline_kernelINS0_14default_configENS1_25partition_config_selectorILNS1_17partition_subalgoE9EyjbEEZZNS1_14partition_implILS5_9ELb0ES3_jN6thrust23THRUST_200600_302600_NS6detail15normal_iteratorINS9_10device_ptrIyEEEENSB_INSC_IjEEEEPNS0_10empty_typeENS0_5tupleIJNS9_16discard_iteratorINS9_11use_defaultEEESH_EEENSJ_IJSM_SI_EEENS0_18inequality_wrapperINS9_8equal_toIyEEEEPmJSH_EEE10hipError_tPvRmT3_T4_T5_T6_T7_T9_mT8_P12ihipStream_tbDpT10_ENKUlT_T0_E_clISt17integral_constantIbLb1EES1C_IbLb0EEEEDaS18_S19_EUlS18_E_NS1_11comp_targetILNS1_3genE0ELNS1_11target_archE4294967295ELNS1_3gpuE0ELNS1_3repE0EEENS1_30default_config_static_selectorELNS0_4arch9wavefront6targetE0EEEvT1_
    .private_segment_fixed_size: 0
    .sgpr_count:     0
    .sgpr_spill_count: 0
    .symbol:         _ZN7rocprim17ROCPRIM_400000_NS6detail17trampoline_kernelINS0_14default_configENS1_25partition_config_selectorILNS1_17partition_subalgoE9EyjbEEZZNS1_14partition_implILS5_9ELb0ES3_jN6thrust23THRUST_200600_302600_NS6detail15normal_iteratorINS9_10device_ptrIyEEEENSB_INSC_IjEEEEPNS0_10empty_typeENS0_5tupleIJNS9_16discard_iteratorINS9_11use_defaultEEESH_EEENSJ_IJSM_SI_EEENS0_18inequality_wrapperINS9_8equal_toIyEEEEPmJSH_EEE10hipError_tPvRmT3_T4_T5_T6_T7_T9_mT8_P12ihipStream_tbDpT10_ENKUlT_T0_E_clISt17integral_constantIbLb1EES1C_IbLb0EEEEDaS18_S19_EUlS18_E_NS1_11comp_targetILNS1_3genE0ELNS1_11target_archE4294967295ELNS1_3gpuE0ELNS1_3repE0EEENS1_30default_config_static_selectorELNS0_4arch9wavefront6targetE0EEEvT1_.kd
    .uniform_work_group_size: 1
    .uses_dynamic_stack: false
    .vgpr_count:     0
    .vgpr_spill_count: 0
    .wavefront_size: 32
    .workgroup_processor_mode: 1
  - .args:
      - .offset:         0
        .size:           128
        .value_kind:     by_value
    .group_segment_fixed_size: 0
    .kernarg_segment_align: 8
    .kernarg_segment_size: 128
    .language:       OpenCL C
    .language_version:
      - 2
      - 0
    .max_flat_workgroup_size: 512
    .name:           _ZN7rocprim17ROCPRIM_400000_NS6detail17trampoline_kernelINS0_14default_configENS1_25partition_config_selectorILNS1_17partition_subalgoE9EyjbEEZZNS1_14partition_implILS5_9ELb0ES3_jN6thrust23THRUST_200600_302600_NS6detail15normal_iteratorINS9_10device_ptrIyEEEENSB_INSC_IjEEEEPNS0_10empty_typeENS0_5tupleIJNS9_16discard_iteratorINS9_11use_defaultEEESH_EEENSJ_IJSM_SI_EEENS0_18inequality_wrapperINS9_8equal_toIyEEEEPmJSH_EEE10hipError_tPvRmT3_T4_T5_T6_T7_T9_mT8_P12ihipStream_tbDpT10_ENKUlT_T0_E_clISt17integral_constantIbLb1EES1C_IbLb0EEEEDaS18_S19_EUlS18_E_NS1_11comp_targetILNS1_3genE5ELNS1_11target_archE942ELNS1_3gpuE9ELNS1_3repE0EEENS1_30default_config_static_selectorELNS0_4arch9wavefront6targetE0EEEvT1_
    .private_segment_fixed_size: 0
    .sgpr_count:     0
    .sgpr_spill_count: 0
    .symbol:         _ZN7rocprim17ROCPRIM_400000_NS6detail17trampoline_kernelINS0_14default_configENS1_25partition_config_selectorILNS1_17partition_subalgoE9EyjbEEZZNS1_14partition_implILS5_9ELb0ES3_jN6thrust23THRUST_200600_302600_NS6detail15normal_iteratorINS9_10device_ptrIyEEEENSB_INSC_IjEEEEPNS0_10empty_typeENS0_5tupleIJNS9_16discard_iteratorINS9_11use_defaultEEESH_EEENSJ_IJSM_SI_EEENS0_18inequality_wrapperINS9_8equal_toIyEEEEPmJSH_EEE10hipError_tPvRmT3_T4_T5_T6_T7_T9_mT8_P12ihipStream_tbDpT10_ENKUlT_T0_E_clISt17integral_constantIbLb1EES1C_IbLb0EEEEDaS18_S19_EUlS18_E_NS1_11comp_targetILNS1_3genE5ELNS1_11target_archE942ELNS1_3gpuE9ELNS1_3repE0EEENS1_30default_config_static_selectorELNS0_4arch9wavefront6targetE0EEEvT1_.kd
    .uniform_work_group_size: 1
    .uses_dynamic_stack: false
    .vgpr_count:     0
    .vgpr_spill_count: 0
    .wavefront_size: 32
    .workgroup_processor_mode: 1
  - .args:
      - .offset:         0
        .size:           128
        .value_kind:     by_value
    .group_segment_fixed_size: 0
    .kernarg_segment_align: 8
    .kernarg_segment_size: 128
    .language:       OpenCL C
    .language_version:
      - 2
      - 0
    .max_flat_workgroup_size: 192
    .name:           _ZN7rocprim17ROCPRIM_400000_NS6detail17trampoline_kernelINS0_14default_configENS1_25partition_config_selectorILNS1_17partition_subalgoE9EyjbEEZZNS1_14partition_implILS5_9ELb0ES3_jN6thrust23THRUST_200600_302600_NS6detail15normal_iteratorINS9_10device_ptrIyEEEENSB_INSC_IjEEEEPNS0_10empty_typeENS0_5tupleIJNS9_16discard_iteratorINS9_11use_defaultEEESH_EEENSJ_IJSM_SI_EEENS0_18inequality_wrapperINS9_8equal_toIyEEEEPmJSH_EEE10hipError_tPvRmT3_T4_T5_T6_T7_T9_mT8_P12ihipStream_tbDpT10_ENKUlT_T0_E_clISt17integral_constantIbLb1EES1C_IbLb0EEEEDaS18_S19_EUlS18_E_NS1_11comp_targetILNS1_3genE4ELNS1_11target_archE910ELNS1_3gpuE8ELNS1_3repE0EEENS1_30default_config_static_selectorELNS0_4arch9wavefront6targetE0EEEvT1_
    .private_segment_fixed_size: 0
    .sgpr_count:     0
    .sgpr_spill_count: 0
    .symbol:         _ZN7rocprim17ROCPRIM_400000_NS6detail17trampoline_kernelINS0_14default_configENS1_25partition_config_selectorILNS1_17partition_subalgoE9EyjbEEZZNS1_14partition_implILS5_9ELb0ES3_jN6thrust23THRUST_200600_302600_NS6detail15normal_iteratorINS9_10device_ptrIyEEEENSB_INSC_IjEEEEPNS0_10empty_typeENS0_5tupleIJNS9_16discard_iteratorINS9_11use_defaultEEESH_EEENSJ_IJSM_SI_EEENS0_18inequality_wrapperINS9_8equal_toIyEEEEPmJSH_EEE10hipError_tPvRmT3_T4_T5_T6_T7_T9_mT8_P12ihipStream_tbDpT10_ENKUlT_T0_E_clISt17integral_constantIbLb1EES1C_IbLb0EEEEDaS18_S19_EUlS18_E_NS1_11comp_targetILNS1_3genE4ELNS1_11target_archE910ELNS1_3gpuE8ELNS1_3repE0EEENS1_30default_config_static_selectorELNS0_4arch9wavefront6targetE0EEEvT1_.kd
    .uniform_work_group_size: 1
    .uses_dynamic_stack: false
    .vgpr_count:     0
    .vgpr_spill_count: 0
    .wavefront_size: 32
    .workgroup_processor_mode: 1
  - .args:
      - .offset:         0
        .size:           128
        .value_kind:     by_value
    .group_segment_fixed_size: 0
    .kernarg_segment_align: 8
    .kernarg_segment_size: 128
    .language:       OpenCL C
    .language_version:
      - 2
      - 0
    .max_flat_workgroup_size: 128
    .name:           _ZN7rocprim17ROCPRIM_400000_NS6detail17trampoline_kernelINS0_14default_configENS1_25partition_config_selectorILNS1_17partition_subalgoE9EyjbEEZZNS1_14partition_implILS5_9ELb0ES3_jN6thrust23THRUST_200600_302600_NS6detail15normal_iteratorINS9_10device_ptrIyEEEENSB_INSC_IjEEEEPNS0_10empty_typeENS0_5tupleIJNS9_16discard_iteratorINS9_11use_defaultEEESH_EEENSJ_IJSM_SI_EEENS0_18inequality_wrapperINS9_8equal_toIyEEEEPmJSH_EEE10hipError_tPvRmT3_T4_T5_T6_T7_T9_mT8_P12ihipStream_tbDpT10_ENKUlT_T0_E_clISt17integral_constantIbLb1EES1C_IbLb0EEEEDaS18_S19_EUlS18_E_NS1_11comp_targetILNS1_3genE3ELNS1_11target_archE908ELNS1_3gpuE7ELNS1_3repE0EEENS1_30default_config_static_selectorELNS0_4arch9wavefront6targetE0EEEvT1_
    .private_segment_fixed_size: 0
    .sgpr_count:     0
    .sgpr_spill_count: 0
    .symbol:         _ZN7rocprim17ROCPRIM_400000_NS6detail17trampoline_kernelINS0_14default_configENS1_25partition_config_selectorILNS1_17partition_subalgoE9EyjbEEZZNS1_14partition_implILS5_9ELb0ES3_jN6thrust23THRUST_200600_302600_NS6detail15normal_iteratorINS9_10device_ptrIyEEEENSB_INSC_IjEEEEPNS0_10empty_typeENS0_5tupleIJNS9_16discard_iteratorINS9_11use_defaultEEESH_EEENSJ_IJSM_SI_EEENS0_18inequality_wrapperINS9_8equal_toIyEEEEPmJSH_EEE10hipError_tPvRmT3_T4_T5_T6_T7_T9_mT8_P12ihipStream_tbDpT10_ENKUlT_T0_E_clISt17integral_constantIbLb1EES1C_IbLb0EEEEDaS18_S19_EUlS18_E_NS1_11comp_targetILNS1_3genE3ELNS1_11target_archE908ELNS1_3gpuE7ELNS1_3repE0EEENS1_30default_config_static_selectorELNS0_4arch9wavefront6targetE0EEEvT1_.kd
    .uniform_work_group_size: 1
    .uses_dynamic_stack: false
    .vgpr_count:     0
    .vgpr_spill_count: 0
    .wavefront_size: 32
    .workgroup_processor_mode: 1
  - .args:
      - .offset:         0
        .size:           128
        .value_kind:     by_value
    .group_segment_fixed_size: 0
    .kernarg_segment_align: 8
    .kernarg_segment_size: 128
    .language:       OpenCL C
    .language_version:
      - 2
      - 0
    .max_flat_workgroup_size: 256
    .name:           _ZN7rocprim17ROCPRIM_400000_NS6detail17trampoline_kernelINS0_14default_configENS1_25partition_config_selectorILNS1_17partition_subalgoE9EyjbEEZZNS1_14partition_implILS5_9ELb0ES3_jN6thrust23THRUST_200600_302600_NS6detail15normal_iteratorINS9_10device_ptrIyEEEENSB_INSC_IjEEEEPNS0_10empty_typeENS0_5tupleIJNS9_16discard_iteratorINS9_11use_defaultEEESH_EEENSJ_IJSM_SI_EEENS0_18inequality_wrapperINS9_8equal_toIyEEEEPmJSH_EEE10hipError_tPvRmT3_T4_T5_T6_T7_T9_mT8_P12ihipStream_tbDpT10_ENKUlT_T0_E_clISt17integral_constantIbLb1EES1C_IbLb0EEEEDaS18_S19_EUlS18_E_NS1_11comp_targetILNS1_3genE2ELNS1_11target_archE906ELNS1_3gpuE6ELNS1_3repE0EEENS1_30default_config_static_selectorELNS0_4arch9wavefront6targetE0EEEvT1_
    .private_segment_fixed_size: 0
    .sgpr_count:     0
    .sgpr_spill_count: 0
    .symbol:         _ZN7rocprim17ROCPRIM_400000_NS6detail17trampoline_kernelINS0_14default_configENS1_25partition_config_selectorILNS1_17partition_subalgoE9EyjbEEZZNS1_14partition_implILS5_9ELb0ES3_jN6thrust23THRUST_200600_302600_NS6detail15normal_iteratorINS9_10device_ptrIyEEEENSB_INSC_IjEEEEPNS0_10empty_typeENS0_5tupleIJNS9_16discard_iteratorINS9_11use_defaultEEESH_EEENSJ_IJSM_SI_EEENS0_18inequality_wrapperINS9_8equal_toIyEEEEPmJSH_EEE10hipError_tPvRmT3_T4_T5_T6_T7_T9_mT8_P12ihipStream_tbDpT10_ENKUlT_T0_E_clISt17integral_constantIbLb1EES1C_IbLb0EEEEDaS18_S19_EUlS18_E_NS1_11comp_targetILNS1_3genE2ELNS1_11target_archE906ELNS1_3gpuE6ELNS1_3repE0EEENS1_30default_config_static_selectorELNS0_4arch9wavefront6targetE0EEEvT1_.kd
    .uniform_work_group_size: 1
    .uses_dynamic_stack: false
    .vgpr_count:     0
    .vgpr_spill_count: 0
    .wavefront_size: 32
    .workgroup_processor_mode: 1
  - .args:
      - .offset:         0
        .size:           128
        .value_kind:     by_value
    .group_segment_fixed_size: 0
    .kernarg_segment_align: 8
    .kernarg_segment_size: 128
    .language:       OpenCL C
    .language_version:
      - 2
      - 0
    .max_flat_workgroup_size: 384
    .name:           _ZN7rocprim17ROCPRIM_400000_NS6detail17trampoline_kernelINS0_14default_configENS1_25partition_config_selectorILNS1_17partition_subalgoE9EyjbEEZZNS1_14partition_implILS5_9ELb0ES3_jN6thrust23THRUST_200600_302600_NS6detail15normal_iteratorINS9_10device_ptrIyEEEENSB_INSC_IjEEEEPNS0_10empty_typeENS0_5tupleIJNS9_16discard_iteratorINS9_11use_defaultEEESH_EEENSJ_IJSM_SI_EEENS0_18inequality_wrapperINS9_8equal_toIyEEEEPmJSH_EEE10hipError_tPvRmT3_T4_T5_T6_T7_T9_mT8_P12ihipStream_tbDpT10_ENKUlT_T0_E_clISt17integral_constantIbLb1EES1C_IbLb0EEEEDaS18_S19_EUlS18_E_NS1_11comp_targetILNS1_3genE10ELNS1_11target_archE1200ELNS1_3gpuE4ELNS1_3repE0EEENS1_30default_config_static_selectorELNS0_4arch9wavefront6targetE0EEEvT1_
    .private_segment_fixed_size: 0
    .sgpr_count:     0
    .sgpr_spill_count: 0
    .symbol:         _ZN7rocprim17ROCPRIM_400000_NS6detail17trampoline_kernelINS0_14default_configENS1_25partition_config_selectorILNS1_17partition_subalgoE9EyjbEEZZNS1_14partition_implILS5_9ELb0ES3_jN6thrust23THRUST_200600_302600_NS6detail15normal_iteratorINS9_10device_ptrIyEEEENSB_INSC_IjEEEEPNS0_10empty_typeENS0_5tupleIJNS9_16discard_iteratorINS9_11use_defaultEEESH_EEENSJ_IJSM_SI_EEENS0_18inequality_wrapperINS9_8equal_toIyEEEEPmJSH_EEE10hipError_tPvRmT3_T4_T5_T6_T7_T9_mT8_P12ihipStream_tbDpT10_ENKUlT_T0_E_clISt17integral_constantIbLb1EES1C_IbLb0EEEEDaS18_S19_EUlS18_E_NS1_11comp_targetILNS1_3genE10ELNS1_11target_archE1200ELNS1_3gpuE4ELNS1_3repE0EEENS1_30default_config_static_selectorELNS0_4arch9wavefront6targetE0EEEvT1_.kd
    .uniform_work_group_size: 1
    .uses_dynamic_stack: false
    .vgpr_count:     0
    .vgpr_spill_count: 0
    .wavefront_size: 32
    .workgroup_processor_mode: 1
  - .args:
      - .offset:         0
        .size:           128
        .value_kind:     by_value
    .group_segment_fixed_size: 33800
    .kernarg_segment_align: 8
    .kernarg_segment_size: 128
    .language:       OpenCL C
    .language_version:
      - 2
      - 0
    .max_flat_workgroup_size: 512
    .name:           _ZN7rocprim17ROCPRIM_400000_NS6detail17trampoline_kernelINS0_14default_configENS1_25partition_config_selectorILNS1_17partition_subalgoE9EyjbEEZZNS1_14partition_implILS5_9ELb0ES3_jN6thrust23THRUST_200600_302600_NS6detail15normal_iteratorINS9_10device_ptrIyEEEENSB_INSC_IjEEEEPNS0_10empty_typeENS0_5tupleIJNS9_16discard_iteratorINS9_11use_defaultEEESH_EEENSJ_IJSM_SI_EEENS0_18inequality_wrapperINS9_8equal_toIyEEEEPmJSH_EEE10hipError_tPvRmT3_T4_T5_T6_T7_T9_mT8_P12ihipStream_tbDpT10_ENKUlT_T0_E_clISt17integral_constantIbLb1EES1C_IbLb0EEEEDaS18_S19_EUlS18_E_NS1_11comp_targetILNS1_3genE9ELNS1_11target_archE1100ELNS1_3gpuE3ELNS1_3repE0EEENS1_30default_config_static_selectorELNS0_4arch9wavefront6targetE0EEEvT1_
    .private_segment_fixed_size: 0
    .sgpr_count:     26
    .sgpr_spill_count: 0
    .symbol:         _ZN7rocprim17ROCPRIM_400000_NS6detail17trampoline_kernelINS0_14default_configENS1_25partition_config_selectorILNS1_17partition_subalgoE9EyjbEEZZNS1_14partition_implILS5_9ELb0ES3_jN6thrust23THRUST_200600_302600_NS6detail15normal_iteratorINS9_10device_ptrIyEEEENSB_INSC_IjEEEEPNS0_10empty_typeENS0_5tupleIJNS9_16discard_iteratorINS9_11use_defaultEEESH_EEENSJ_IJSM_SI_EEENS0_18inequality_wrapperINS9_8equal_toIyEEEEPmJSH_EEE10hipError_tPvRmT3_T4_T5_T6_T7_T9_mT8_P12ihipStream_tbDpT10_ENKUlT_T0_E_clISt17integral_constantIbLb1EES1C_IbLb0EEEEDaS18_S19_EUlS18_E_NS1_11comp_targetILNS1_3genE9ELNS1_11target_archE1100ELNS1_3gpuE3ELNS1_3repE0EEENS1_30default_config_static_selectorELNS0_4arch9wavefront6targetE0EEEvT1_.kd
    .uniform_work_group_size: 1
    .uses_dynamic_stack: false
    .vgpr_count:     59
    .vgpr_spill_count: 0
    .wavefront_size: 32
    .workgroup_processor_mode: 1
  - .args:
      - .offset:         0
        .size:           128
        .value_kind:     by_value
    .group_segment_fixed_size: 0
    .kernarg_segment_align: 8
    .kernarg_segment_size: 128
    .language:       OpenCL C
    .language_version:
      - 2
      - 0
    .max_flat_workgroup_size: 512
    .name:           _ZN7rocprim17ROCPRIM_400000_NS6detail17trampoline_kernelINS0_14default_configENS1_25partition_config_selectorILNS1_17partition_subalgoE9EyjbEEZZNS1_14partition_implILS5_9ELb0ES3_jN6thrust23THRUST_200600_302600_NS6detail15normal_iteratorINS9_10device_ptrIyEEEENSB_INSC_IjEEEEPNS0_10empty_typeENS0_5tupleIJNS9_16discard_iteratorINS9_11use_defaultEEESH_EEENSJ_IJSM_SI_EEENS0_18inequality_wrapperINS9_8equal_toIyEEEEPmJSH_EEE10hipError_tPvRmT3_T4_T5_T6_T7_T9_mT8_P12ihipStream_tbDpT10_ENKUlT_T0_E_clISt17integral_constantIbLb1EES1C_IbLb0EEEEDaS18_S19_EUlS18_E_NS1_11comp_targetILNS1_3genE8ELNS1_11target_archE1030ELNS1_3gpuE2ELNS1_3repE0EEENS1_30default_config_static_selectorELNS0_4arch9wavefront6targetE0EEEvT1_
    .private_segment_fixed_size: 0
    .sgpr_count:     0
    .sgpr_spill_count: 0
    .symbol:         _ZN7rocprim17ROCPRIM_400000_NS6detail17trampoline_kernelINS0_14default_configENS1_25partition_config_selectorILNS1_17partition_subalgoE9EyjbEEZZNS1_14partition_implILS5_9ELb0ES3_jN6thrust23THRUST_200600_302600_NS6detail15normal_iteratorINS9_10device_ptrIyEEEENSB_INSC_IjEEEEPNS0_10empty_typeENS0_5tupleIJNS9_16discard_iteratorINS9_11use_defaultEEESH_EEENSJ_IJSM_SI_EEENS0_18inequality_wrapperINS9_8equal_toIyEEEEPmJSH_EEE10hipError_tPvRmT3_T4_T5_T6_T7_T9_mT8_P12ihipStream_tbDpT10_ENKUlT_T0_E_clISt17integral_constantIbLb1EES1C_IbLb0EEEEDaS18_S19_EUlS18_E_NS1_11comp_targetILNS1_3genE8ELNS1_11target_archE1030ELNS1_3gpuE2ELNS1_3repE0EEENS1_30default_config_static_selectorELNS0_4arch9wavefront6targetE0EEEvT1_.kd
    .uniform_work_group_size: 1
    .uses_dynamic_stack: false
    .vgpr_count:     0
    .vgpr_spill_count: 0
    .wavefront_size: 32
    .workgroup_processor_mode: 1
  - .args:
      - .offset:         0
        .size:           144
        .value_kind:     by_value
    .group_segment_fixed_size: 0
    .kernarg_segment_align: 8
    .kernarg_segment_size: 144
    .language:       OpenCL C
    .language_version:
      - 2
      - 0
    .max_flat_workgroup_size: 128
    .name:           _ZN7rocprim17ROCPRIM_400000_NS6detail17trampoline_kernelINS0_14default_configENS1_25partition_config_selectorILNS1_17partition_subalgoE9EyjbEEZZNS1_14partition_implILS5_9ELb0ES3_jN6thrust23THRUST_200600_302600_NS6detail15normal_iteratorINS9_10device_ptrIyEEEENSB_INSC_IjEEEEPNS0_10empty_typeENS0_5tupleIJNS9_16discard_iteratorINS9_11use_defaultEEESH_EEENSJ_IJSM_SI_EEENS0_18inequality_wrapperINS9_8equal_toIyEEEEPmJSH_EEE10hipError_tPvRmT3_T4_T5_T6_T7_T9_mT8_P12ihipStream_tbDpT10_ENKUlT_T0_E_clISt17integral_constantIbLb0EES1C_IbLb1EEEEDaS18_S19_EUlS18_E_NS1_11comp_targetILNS1_3genE0ELNS1_11target_archE4294967295ELNS1_3gpuE0ELNS1_3repE0EEENS1_30default_config_static_selectorELNS0_4arch9wavefront6targetE0EEEvT1_
    .private_segment_fixed_size: 0
    .sgpr_count:     0
    .sgpr_spill_count: 0
    .symbol:         _ZN7rocprim17ROCPRIM_400000_NS6detail17trampoline_kernelINS0_14default_configENS1_25partition_config_selectorILNS1_17partition_subalgoE9EyjbEEZZNS1_14partition_implILS5_9ELb0ES3_jN6thrust23THRUST_200600_302600_NS6detail15normal_iteratorINS9_10device_ptrIyEEEENSB_INSC_IjEEEEPNS0_10empty_typeENS0_5tupleIJNS9_16discard_iteratorINS9_11use_defaultEEESH_EEENSJ_IJSM_SI_EEENS0_18inequality_wrapperINS9_8equal_toIyEEEEPmJSH_EEE10hipError_tPvRmT3_T4_T5_T6_T7_T9_mT8_P12ihipStream_tbDpT10_ENKUlT_T0_E_clISt17integral_constantIbLb0EES1C_IbLb1EEEEDaS18_S19_EUlS18_E_NS1_11comp_targetILNS1_3genE0ELNS1_11target_archE4294967295ELNS1_3gpuE0ELNS1_3repE0EEENS1_30default_config_static_selectorELNS0_4arch9wavefront6targetE0EEEvT1_.kd
    .uniform_work_group_size: 1
    .uses_dynamic_stack: false
    .vgpr_count:     0
    .vgpr_spill_count: 0
    .wavefront_size: 32
    .workgroup_processor_mode: 1
  - .args:
      - .offset:         0
        .size:           144
        .value_kind:     by_value
    .group_segment_fixed_size: 0
    .kernarg_segment_align: 8
    .kernarg_segment_size: 144
    .language:       OpenCL C
    .language_version:
      - 2
      - 0
    .max_flat_workgroup_size: 512
    .name:           _ZN7rocprim17ROCPRIM_400000_NS6detail17trampoline_kernelINS0_14default_configENS1_25partition_config_selectorILNS1_17partition_subalgoE9EyjbEEZZNS1_14partition_implILS5_9ELb0ES3_jN6thrust23THRUST_200600_302600_NS6detail15normal_iteratorINS9_10device_ptrIyEEEENSB_INSC_IjEEEEPNS0_10empty_typeENS0_5tupleIJNS9_16discard_iteratorINS9_11use_defaultEEESH_EEENSJ_IJSM_SI_EEENS0_18inequality_wrapperINS9_8equal_toIyEEEEPmJSH_EEE10hipError_tPvRmT3_T4_T5_T6_T7_T9_mT8_P12ihipStream_tbDpT10_ENKUlT_T0_E_clISt17integral_constantIbLb0EES1C_IbLb1EEEEDaS18_S19_EUlS18_E_NS1_11comp_targetILNS1_3genE5ELNS1_11target_archE942ELNS1_3gpuE9ELNS1_3repE0EEENS1_30default_config_static_selectorELNS0_4arch9wavefront6targetE0EEEvT1_
    .private_segment_fixed_size: 0
    .sgpr_count:     0
    .sgpr_spill_count: 0
    .symbol:         _ZN7rocprim17ROCPRIM_400000_NS6detail17trampoline_kernelINS0_14default_configENS1_25partition_config_selectorILNS1_17partition_subalgoE9EyjbEEZZNS1_14partition_implILS5_9ELb0ES3_jN6thrust23THRUST_200600_302600_NS6detail15normal_iteratorINS9_10device_ptrIyEEEENSB_INSC_IjEEEEPNS0_10empty_typeENS0_5tupleIJNS9_16discard_iteratorINS9_11use_defaultEEESH_EEENSJ_IJSM_SI_EEENS0_18inequality_wrapperINS9_8equal_toIyEEEEPmJSH_EEE10hipError_tPvRmT3_T4_T5_T6_T7_T9_mT8_P12ihipStream_tbDpT10_ENKUlT_T0_E_clISt17integral_constantIbLb0EES1C_IbLb1EEEEDaS18_S19_EUlS18_E_NS1_11comp_targetILNS1_3genE5ELNS1_11target_archE942ELNS1_3gpuE9ELNS1_3repE0EEENS1_30default_config_static_selectorELNS0_4arch9wavefront6targetE0EEEvT1_.kd
    .uniform_work_group_size: 1
    .uses_dynamic_stack: false
    .vgpr_count:     0
    .vgpr_spill_count: 0
    .wavefront_size: 32
    .workgroup_processor_mode: 1
  - .args:
      - .offset:         0
        .size:           144
        .value_kind:     by_value
    .group_segment_fixed_size: 0
    .kernarg_segment_align: 8
    .kernarg_segment_size: 144
    .language:       OpenCL C
    .language_version:
      - 2
      - 0
    .max_flat_workgroup_size: 192
    .name:           _ZN7rocprim17ROCPRIM_400000_NS6detail17trampoline_kernelINS0_14default_configENS1_25partition_config_selectorILNS1_17partition_subalgoE9EyjbEEZZNS1_14partition_implILS5_9ELb0ES3_jN6thrust23THRUST_200600_302600_NS6detail15normal_iteratorINS9_10device_ptrIyEEEENSB_INSC_IjEEEEPNS0_10empty_typeENS0_5tupleIJNS9_16discard_iteratorINS9_11use_defaultEEESH_EEENSJ_IJSM_SI_EEENS0_18inequality_wrapperINS9_8equal_toIyEEEEPmJSH_EEE10hipError_tPvRmT3_T4_T5_T6_T7_T9_mT8_P12ihipStream_tbDpT10_ENKUlT_T0_E_clISt17integral_constantIbLb0EES1C_IbLb1EEEEDaS18_S19_EUlS18_E_NS1_11comp_targetILNS1_3genE4ELNS1_11target_archE910ELNS1_3gpuE8ELNS1_3repE0EEENS1_30default_config_static_selectorELNS0_4arch9wavefront6targetE0EEEvT1_
    .private_segment_fixed_size: 0
    .sgpr_count:     0
    .sgpr_spill_count: 0
    .symbol:         _ZN7rocprim17ROCPRIM_400000_NS6detail17trampoline_kernelINS0_14default_configENS1_25partition_config_selectorILNS1_17partition_subalgoE9EyjbEEZZNS1_14partition_implILS5_9ELb0ES3_jN6thrust23THRUST_200600_302600_NS6detail15normal_iteratorINS9_10device_ptrIyEEEENSB_INSC_IjEEEEPNS0_10empty_typeENS0_5tupleIJNS9_16discard_iteratorINS9_11use_defaultEEESH_EEENSJ_IJSM_SI_EEENS0_18inequality_wrapperINS9_8equal_toIyEEEEPmJSH_EEE10hipError_tPvRmT3_T4_T5_T6_T7_T9_mT8_P12ihipStream_tbDpT10_ENKUlT_T0_E_clISt17integral_constantIbLb0EES1C_IbLb1EEEEDaS18_S19_EUlS18_E_NS1_11comp_targetILNS1_3genE4ELNS1_11target_archE910ELNS1_3gpuE8ELNS1_3repE0EEENS1_30default_config_static_selectorELNS0_4arch9wavefront6targetE0EEEvT1_.kd
    .uniform_work_group_size: 1
    .uses_dynamic_stack: false
    .vgpr_count:     0
    .vgpr_spill_count: 0
    .wavefront_size: 32
    .workgroup_processor_mode: 1
  - .args:
      - .offset:         0
        .size:           144
        .value_kind:     by_value
    .group_segment_fixed_size: 0
    .kernarg_segment_align: 8
    .kernarg_segment_size: 144
    .language:       OpenCL C
    .language_version:
      - 2
      - 0
    .max_flat_workgroup_size: 128
    .name:           _ZN7rocprim17ROCPRIM_400000_NS6detail17trampoline_kernelINS0_14default_configENS1_25partition_config_selectorILNS1_17partition_subalgoE9EyjbEEZZNS1_14partition_implILS5_9ELb0ES3_jN6thrust23THRUST_200600_302600_NS6detail15normal_iteratorINS9_10device_ptrIyEEEENSB_INSC_IjEEEEPNS0_10empty_typeENS0_5tupleIJNS9_16discard_iteratorINS9_11use_defaultEEESH_EEENSJ_IJSM_SI_EEENS0_18inequality_wrapperINS9_8equal_toIyEEEEPmJSH_EEE10hipError_tPvRmT3_T4_T5_T6_T7_T9_mT8_P12ihipStream_tbDpT10_ENKUlT_T0_E_clISt17integral_constantIbLb0EES1C_IbLb1EEEEDaS18_S19_EUlS18_E_NS1_11comp_targetILNS1_3genE3ELNS1_11target_archE908ELNS1_3gpuE7ELNS1_3repE0EEENS1_30default_config_static_selectorELNS0_4arch9wavefront6targetE0EEEvT1_
    .private_segment_fixed_size: 0
    .sgpr_count:     0
    .sgpr_spill_count: 0
    .symbol:         _ZN7rocprim17ROCPRIM_400000_NS6detail17trampoline_kernelINS0_14default_configENS1_25partition_config_selectorILNS1_17partition_subalgoE9EyjbEEZZNS1_14partition_implILS5_9ELb0ES3_jN6thrust23THRUST_200600_302600_NS6detail15normal_iteratorINS9_10device_ptrIyEEEENSB_INSC_IjEEEEPNS0_10empty_typeENS0_5tupleIJNS9_16discard_iteratorINS9_11use_defaultEEESH_EEENSJ_IJSM_SI_EEENS0_18inequality_wrapperINS9_8equal_toIyEEEEPmJSH_EEE10hipError_tPvRmT3_T4_T5_T6_T7_T9_mT8_P12ihipStream_tbDpT10_ENKUlT_T0_E_clISt17integral_constantIbLb0EES1C_IbLb1EEEEDaS18_S19_EUlS18_E_NS1_11comp_targetILNS1_3genE3ELNS1_11target_archE908ELNS1_3gpuE7ELNS1_3repE0EEENS1_30default_config_static_selectorELNS0_4arch9wavefront6targetE0EEEvT1_.kd
    .uniform_work_group_size: 1
    .uses_dynamic_stack: false
    .vgpr_count:     0
    .vgpr_spill_count: 0
    .wavefront_size: 32
    .workgroup_processor_mode: 1
  - .args:
      - .offset:         0
        .size:           144
        .value_kind:     by_value
    .group_segment_fixed_size: 0
    .kernarg_segment_align: 8
    .kernarg_segment_size: 144
    .language:       OpenCL C
    .language_version:
      - 2
      - 0
    .max_flat_workgroup_size: 256
    .name:           _ZN7rocprim17ROCPRIM_400000_NS6detail17trampoline_kernelINS0_14default_configENS1_25partition_config_selectorILNS1_17partition_subalgoE9EyjbEEZZNS1_14partition_implILS5_9ELb0ES3_jN6thrust23THRUST_200600_302600_NS6detail15normal_iteratorINS9_10device_ptrIyEEEENSB_INSC_IjEEEEPNS0_10empty_typeENS0_5tupleIJNS9_16discard_iteratorINS9_11use_defaultEEESH_EEENSJ_IJSM_SI_EEENS0_18inequality_wrapperINS9_8equal_toIyEEEEPmJSH_EEE10hipError_tPvRmT3_T4_T5_T6_T7_T9_mT8_P12ihipStream_tbDpT10_ENKUlT_T0_E_clISt17integral_constantIbLb0EES1C_IbLb1EEEEDaS18_S19_EUlS18_E_NS1_11comp_targetILNS1_3genE2ELNS1_11target_archE906ELNS1_3gpuE6ELNS1_3repE0EEENS1_30default_config_static_selectorELNS0_4arch9wavefront6targetE0EEEvT1_
    .private_segment_fixed_size: 0
    .sgpr_count:     0
    .sgpr_spill_count: 0
    .symbol:         _ZN7rocprim17ROCPRIM_400000_NS6detail17trampoline_kernelINS0_14default_configENS1_25partition_config_selectorILNS1_17partition_subalgoE9EyjbEEZZNS1_14partition_implILS5_9ELb0ES3_jN6thrust23THRUST_200600_302600_NS6detail15normal_iteratorINS9_10device_ptrIyEEEENSB_INSC_IjEEEEPNS0_10empty_typeENS0_5tupleIJNS9_16discard_iteratorINS9_11use_defaultEEESH_EEENSJ_IJSM_SI_EEENS0_18inequality_wrapperINS9_8equal_toIyEEEEPmJSH_EEE10hipError_tPvRmT3_T4_T5_T6_T7_T9_mT8_P12ihipStream_tbDpT10_ENKUlT_T0_E_clISt17integral_constantIbLb0EES1C_IbLb1EEEEDaS18_S19_EUlS18_E_NS1_11comp_targetILNS1_3genE2ELNS1_11target_archE906ELNS1_3gpuE6ELNS1_3repE0EEENS1_30default_config_static_selectorELNS0_4arch9wavefront6targetE0EEEvT1_.kd
    .uniform_work_group_size: 1
    .uses_dynamic_stack: false
    .vgpr_count:     0
    .vgpr_spill_count: 0
    .wavefront_size: 32
    .workgroup_processor_mode: 1
  - .args:
      - .offset:         0
        .size:           144
        .value_kind:     by_value
    .group_segment_fixed_size: 0
    .kernarg_segment_align: 8
    .kernarg_segment_size: 144
    .language:       OpenCL C
    .language_version:
      - 2
      - 0
    .max_flat_workgroup_size: 384
    .name:           _ZN7rocprim17ROCPRIM_400000_NS6detail17trampoline_kernelINS0_14default_configENS1_25partition_config_selectorILNS1_17partition_subalgoE9EyjbEEZZNS1_14partition_implILS5_9ELb0ES3_jN6thrust23THRUST_200600_302600_NS6detail15normal_iteratorINS9_10device_ptrIyEEEENSB_INSC_IjEEEEPNS0_10empty_typeENS0_5tupleIJNS9_16discard_iteratorINS9_11use_defaultEEESH_EEENSJ_IJSM_SI_EEENS0_18inequality_wrapperINS9_8equal_toIyEEEEPmJSH_EEE10hipError_tPvRmT3_T4_T5_T6_T7_T9_mT8_P12ihipStream_tbDpT10_ENKUlT_T0_E_clISt17integral_constantIbLb0EES1C_IbLb1EEEEDaS18_S19_EUlS18_E_NS1_11comp_targetILNS1_3genE10ELNS1_11target_archE1200ELNS1_3gpuE4ELNS1_3repE0EEENS1_30default_config_static_selectorELNS0_4arch9wavefront6targetE0EEEvT1_
    .private_segment_fixed_size: 0
    .sgpr_count:     0
    .sgpr_spill_count: 0
    .symbol:         _ZN7rocprim17ROCPRIM_400000_NS6detail17trampoline_kernelINS0_14default_configENS1_25partition_config_selectorILNS1_17partition_subalgoE9EyjbEEZZNS1_14partition_implILS5_9ELb0ES3_jN6thrust23THRUST_200600_302600_NS6detail15normal_iteratorINS9_10device_ptrIyEEEENSB_INSC_IjEEEEPNS0_10empty_typeENS0_5tupleIJNS9_16discard_iteratorINS9_11use_defaultEEESH_EEENSJ_IJSM_SI_EEENS0_18inequality_wrapperINS9_8equal_toIyEEEEPmJSH_EEE10hipError_tPvRmT3_T4_T5_T6_T7_T9_mT8_P12ihipStream_tbDpT10_ENKUlT_T0_E_clISt17integral_constantIbLb0EES1C_IbLb1EEEEDaS18_S19_EUlS18_E_NS1_11comp_targetILNS1_3genE10ELNS1_11target_archE1200ELNS1_3gpuE4ELNS1_3repE0EEENS1_30default_config_static_selectorELNS0_4arch9wavefront6targetE0EEEvT1_.kd
    .uniform_work_group_size: 1
    .uses_dynamic_stack: false
    .vgpr_count:     0
    .vgpr_spill_count: 0
    .wavefront_size: 32
    .workgroup_processor_mode: 1
  - .args:
      - .offset:         0
        .size:           144
        .value_kind:     by_value
    .group_segment_fixed_size: 33800
    .kernarg_segment_align: 8
    .kernarg_segment_size: 144
    .language:       OpenCL C
    .language_version:
      - 2
      - 0
    .max_flat_workgroup_size: 512
    .name:           _ZN7rocprim17ROCPRIM_400000_NS6detail17trampoline_kernelINS0_14default_configENS1_25partition_config_selectorILNS1_17partition_subalgoE9EyjbEEZZNS1_14partition_implILS5_9ELb0ES3_jN6thrust23THRUST_200600_302600_NS6detail15normal_iteratorINS9_10device_ptrIyEEEENSB_INSC_IjEEEEPNS0_10empty_typeENS0_5tupleIJNS9_16discard_iteratorINS9_11use_defaultEEESH_EEENSJ_IJSM_SI_EEENS0_18inequality_wrapperINS9_8equal_toIyEEEEPmJSH_EEE10hipError_tPvRmT3_T4_T5_T6_T7_T9_mT8_P12ihipStream_tbDpT10_ENKUlT_T0_E_clISt17integral_constantIbLb0EES1C_IbLb1EEEEDaS18_S19_EUlS18_E_NS1_11comp_targetILNS1_3genE9ELNS1_11target_archE1100ELNS1_3gpuE3ELNS1_3repE0EEENS1_30default_config_static_selectorELNS0_4arch9wavefront6targetE0EEEvT1_
    .private_segment_fixed_size: 0
    .sgpr_count:     26
    .sgpr_spill_count: 0
    .symbol:         _ZN7rocprim17ROCPRIM_400000_NS6detail17trampoline_kernelINS0_14default_configENS1_25partition_config_selectorILNS1_17partition_subalgoE9EyjbEEZZNS1_14partition_implILS5_9ELb0ES3_jN6thrust23THRUST_200600_302600_NS6detail15normal_iteratorINS9_10device_ptrIyEEEENSB_INSC_IjEEEEPNS0_10empty_typeENS0_5tupleIJNS9_16discard_iteratorINS9_11use_defaultEEESH_EEENSJ_IJSM_SI_EEENS0_18inequality_wrapperINS9_8equal_toIyEEEEPmJSH_EEE10hipError_tPvRmT3_T4_T5_T6_T7_T9_mT8_P12ihipStream_tbDpT10_ENKUlT_T0_E_clISt17integral_constantIbLb0EES1C_IbLb1EEEEDaS18_S19_EUlS18_E_NS1_11comp_targetILNS1_3genE9ELNS1_11target_archE1100ELNS1_3gpuE3ELNS1_3repE0EEENS1_30default_config_static_selectorELNS0_4arch9wavefront6targetE0EEEvT1_.kd
    .uniform_work_group_size: 1
    .uses_dynamic_stack: false
    .vgpr_count:     61
    .vgpr_spill_count: 0
    .wavefront_size: 32
    .workgroup_processor_mode: 1
  - .args:
      - .offset:         0
        .size:           144
        .value_kind:     by_value
    .group_segment_fixed_size: 0
    .kernarg_segment_align: 8
    .kernarg_segment_size: 144
    .language:       OpenCL C
    .language_version:
      - 2
      - 0
    .max_flat_workgroup_size: 512
    .name:           _ZN7rocprim17ROCPRIM_400000_NS6detail17trampoline_kernelINS0_14default_configENS1_25partition_config_selectorILNS1_17partition_subalgoE9EyjbEEZZNS1_14partition_implILS5_9ELb0ES3_jN6thrust23THRUST_200600_302600_NS6detail15normal_iteratorINS9_10device_ptrIyEEEENSB_INSC_IjEEEEPNS0_10empty_typeENS0_5tupleIJNS9_16discard_iteratorINS9_11use_defaultEEESH_EEENSJ_IJSM_SI_EEENS0_18inequality_wrapperINS9_8equal_toIyEEEEPmJSH_EEE10hipError_tPvRmT3_T4_T5_T6_T7_T9_mT8_P12ihipStream_tbDpT10_ENKUlT_T0_E_clISt17integral_constantIbLb0EES1C_IbLb1EEEEDaS18_S19_EUlS18_E_NS1_11comp_targetILNS1_3genE8ELNS1_11target_archE1030ELNS1_3gpuE2ELNS1_3repE0EEENS1_30default_config_static_selectorELNS0_4arch9wavefront6targetE0EEEvT1_
    .private_segment_fixed_size: 0
    .sgpr_count:     0
    .sgpr_spill_count: 0
    .symbol:         _ZN7rocprim17ROCPRIM_400000_NS6detail17trampoline_kernelINS0_14default_configENS1_25partition_config_selectorILNS1_17partition_subalgoE9EyjbEEZZNS1_14partition_implILS5_9ELb0ES3_jN6thrust23THRUST_200600_302600_NS6detail15normal_iteratorINS9_10device_ptrIyEEEENSB_INSC_IjEEEEPNS0_10empty_typeENS0_5tupleIJNS9_16discard_iteratorINS9_11use_defaultEEESH_EEENSJ_IJSM_SI_EEENS0_18inequality_wrapperINS9_8equal_toIyEEEEPmJSH_EEE10hipError_tPvRmT3_T4_T5_T6_T7_T9_mT8_P12ihipStream_tbDpT10_ENKUlT_T0_E_clISt17integral_constantIbLb0EES1C_IbLb1EEEEDaS18_S19_EUlS18_E_NS1_11comp_targetILNS1_3genE8ELNS1_11target_archE1030ELNS1_3gpuE2ELNS1_3repE0EEENS1_30default_config_static_selectorELNS0_4arch9wavefront6targetE0EEEvT1_.kd
    .uniform_work_group_size: 1
    .uses_dynamic_stack: false
    .vgpr_count:     0
    .vgpr_spill_count: 0
    .wavefront_size: 32
    .workgroup_processor_mode: 1
  - .args:
      - .offset:         0
        .size:           120
        .value_kind:     by_value
    .group_segment_fixed_size: 0
    .kernarg_segment_align: 8
    .kernarg_segment_size: 120
    .language:       OpenCL C
    .language_version:
      - 2
      - 0
    .max_flat_workgroup_size: 128
    .name:           _ZN7rocprim17ROCPRIM_400000_NS6detail17trampoline_kernelINS0_14default_configENS1_25partition_config_selectorILNS1_17partition_subalgoE9EyjbEEZZNS1_14partition_implILS5_9ELb0ES3_jN6thrust23THRUST_200600_302600_NS6detail15normal_iteratorINS9_10device_ptrIyEEEENSB_INSC_IjEEEEPNS0_10empty_typeENS0_5tupleIJSE_SH_EEENSJ_IJNS9_16discard_iteratorINS9_11use_defaultEEESI_EEENS0_18inequality_wrapperINS9_8equal_toIyEEEEPmJSH_EEE10hipError_tPvRmT3_T4_T5_T6_T7_T9_mT8_P12ihipStream_tbDpT10_ENKUlT_T0_E_clISt17integral_constantIbLb0EES1D_EEDaS18_S19_EUlS18_E_NS1_11comp_targetILNS1_3genE0ELNS1_11target_archE4294967295ELNS1_3gpuE0ELNS1_3repE0EEENS1_30default_config_static_selectorELNS0_4arch9wavefront6targetE0EEEvT1_
    .private_segment_fixed_size: 0
    .sgpr_count:     0
    .sgpr_spill_count: 0
    .symbol:         _ZN7rocprim17ROCPRIM_400000_NS6detail17trampoline_kernelINS0_14default_configENS1_25partition_config_selectorILNS1_17partition_subalgoE9EyjbEEZZNS1_14partition_implILS5_9ELb0ES3_jN6thrust23THRUST_200600_302600_NS6detail15normal_iteratorINS9_10device_ptrIyEEEENSB_INSC_IjEEEEPNS0_10empty_typeENS0_5tupleIJSE_SH_EEENSJ_IJNS9_16discard_iteratorINS9_11use_defaultEEESI_EEENS0_18inequality_wrapperINS9_8equal_toIyEEEEPmJSH_EEE10hipError_tPvRmT3_T4_T5_T6_T7_T9_mT8_P12ihipStream_tbDpT10_ENKUlT_T0_E_clISt17integral_constantIbLb0EES1D_EEDaS18_S19_EUlS18_E_NS1_11comp_targetILNS1_3genE0ELNS1_11target_archE4294967295ELNS1_3gpuE0ELNS1_3repE0EEENS1_30default_config_static_selectorELNS0_4arch9wavefront6targetE0EEEvT1_.kd
    .uniform_work_group_size: 1
    .uses_dynamic_stack: false
    .vgpr_count:     0
    .vgpr_spill_count: 0
    .wavefront_size: 32
    .workgroup_processor_mode: 1
  - .args:
      - .offset:         0
        .size:           120
        .value_kind:     by_value
    .group_segment_fixed_size: 0
    .kernarg_segment_align: 8
    .kernarg_segment_size: 120
    .language:       OpenCL C
    .language_version:
      - 2
      - 0
    .max_flat_workgroup_size: 512
    .name:           _ZN7rocprim17ROCPRIM_400000_NS6detail17trampoline_kernelINS0_14default_configENS1_25partition_config_selectorILNS1_17partition_subalgoE9EyjbEEZZNS1_14partition_implILS5_9ELb0ES3_jN6thrust23THRUST_200600_302600_NS6detail15normal_iteratorINS9_10device_ptrIyEEEENSB_INSC_IjEEEEPNS0_10empty_typeENS0_5tupleIJSE_SH_EEENSJ_IJNS9_16discard_iteratorINS9_11use_defaultEEESI_EEENS0_18inequality_wrapperINS9_8equal_toIyEEEEPmJSH_EEE10hipError_tPvRmT3_T4_T5_T6_T7_T9_mT8_P12ihipStream_tbDpT10_ENKUlT_T0_E_clISt17integral_constantIbLb0EES1D_EEDaS18_S19_EUlS18_E_NS1_11comp_targetILNS1_3genE5ELNS1_11target_archE942ELNS1_3gpuE9ELNS1_3repE0EEENS1_30default_config_static_selectorELNS0_4arch9wavefront6targetE0EEEvT1_
    .private_segment_fixed_size: 0
    .sgpr_count:     0
    .sgpr_spill_count: 0
    .symbol:         _ZN7rocprim17ROCPRIM_400000_NS6detail17trampoline_kernelINS0_14default_configENS1_25partition_config_selectorILNS1_17partition_subalgoE9EyjbEEZZNS1_14partition_implILS5_9ELb0ES3_jN6thrust23THRUST_200600_302600_NS6detail15normal_iteratorINS9_10device_ptrIyEEEENSB_INSC_IjEEEEPNS0_10empty_typeENS0_5tupleIJSE_SH_EEENSJ_IJNS9_16discard_iteratorINS9_11use_defaultEEESI_EEENS0_18inequality_wrapperINS9_8equal_toIyEEEEPmJSH_EEE10hipError_tPvRmT3_T4_T5_T6_T7_T9_mT8_P12ihipStream_tbDpT10_ENKUlT_T0_E_clISt17integral_constantIbLb0EES1D_EEDaS18_S19_EUlS18_E_NS1_11comp_targetILNS1_3genE5ELNS1_11target_archE942ELNS1_3gpuE9ELNS1_3repE0EEENS1_30default_config_static_selectorELNS0_4arch9wavefront6targetE0EEEvT1_.kd
    .uniform_work_group_size: 1
    .uses_dynamic_stack: false
    .vgpr_count:     0
    .vgpr_spill_count: 0
    .wavefront_size: 32
    .workgroup_processor_mode: 1
  - .args:
      - .offset:         0
        .size:           120
        .value_kind:     by_value
    .group_segment_fixed_size: 0
    .kernarg_segment_align: 8
    .kernarg_segment_size: 120
    .language:       OpenCL C
    .language_version:
      - 2
      - 0
    .max_flat_workgroup_size: 192
    .name:           _ZN7rocprim17ROCPRIM_400000_NS6detail17trampoline_kernelINS0_14default_configENS1_25partition_config_selectorILNS1_17partition_subalgoE9EyjbEEZZNS1_14partition_implILS5_9ELb0ES3_jN6thrust23THRUST_200600_302600_NS6detail15normal_iteratorINS9_10device_ptrIyEEEENSB_INSC_IjEEEEPNS0_10empty_typeENS0_5tupleIJSE_SH_EEENSJ_IJNS9_16discard_iteratorINS9_11use_defaultEEESI_EEENS0_18inequality_wrapperINS9_8equal_toIyEEEEPmJSH_EEE10hipError_tPvRmT3_T4_T5_T6_T7_T9_mT8_P12ihipStream_tbDpT10_ENKUlT_T0_E_clISt17integral_constantIbLb0EES1D_EEDaS18_S19_EUlS18_E_NS1_11comp_targetILNS1_3genE4ELNS1_11target_archE910ELNS1_3gpuE8ELNS1_3repE0EEENS1_30default_config_static_selectorELNS0_4arch9wavefront6targetE0EEEvT1_
    .private_segment_fixed_size: 0
    .sgpr_count:     0
    .sgpr_spill_count: 0
    .symbol:         _ZN7rocprim17ROCPRIM_400000_NS6detail17trampoline_kernelINS0_14default_configENS1_25partition_config_selectorILNS1_17partition_subalgoE9EyjbEEZZNS1_14partition_implILS5_9ELb0ES3_jN6thrust23THRUST_200600_302600_NS6detail15normal_iteratorINS9_10device_ptrIyEEEENSB_INSC_IjEEEEPNS0_10empty_typeENS0_5tupleIJSE_SH_EEENSJ_IJNS9_16discard_iteratorINS9_11use_defaultEEESI_EEENS0_18inequality_wrapperINS9_8equal_toIyEEEEPmJSH_EEE10hipError_tPvRmT3_T4_T5_T6_T7_T9_mT8_P12ihipStream_tbDpT10_ENKUlT_T0_E_clISt17integral_constantIbLb0EES1D_EEDaS18_S19_EUlS18_E_NS1_11comp_targetILNS1_3genE4ELNS1_11target_archE910ELNS1_3gpuE8ELNS1_3repE0EEENS1_30default_config_static_selectorELNS0_4arch9wavefront6targetE0EEEvT1_.kd
    .uniform_work_group_size: 1
    .uses_dynamic_stack: false
    .vgpr_count:     0
    .vgpr_spill_count: 0
    .wavefront_size: 32
    .workgroup_processor_mode: 1
  - .args:
      - .offset:         0
        .size:           120
        .value_kind:     by_value
    .group_segment_fixed_size: 0
    .kernarg_segment_align: 8
    .kernarg_segment_size: 120
    .language:       OpenCL C
    .language_version:
      - 2
      - 0
    .max_flat_workgroup_size: 128
    .name:           _ZN7rocprim17ROCPRIM_400000_NS6detail17trampoline_kernelINS0_14default_configENS1_25partition_config_selectorILNS1_17partition_subalgoE9EyjbEEZZNS1_14partition_implILS5_9ELb0ES3_jN6thrust23THRUST_200600_302600_NS6detail15normal_iteratorINS9_10device_ptrIyEEEENSB_INSC_IjEEEEPNS0_10empty_typeENS0_5tupleIJSE_SH_EEENSJ_IJNS9_16discard_iteratorINS9_11use_defaultEEESI_EEENS0_18inequality_wrapperINS9_8equal_toIyEEEEPmJSH_EEE10hipError_tPvRmT3_T4_T5_T6_T7_T9_mT8_P12ihipStream_tbDpT10_ENKUlT_T0_E_clISt17integral_constantIbLb0EES1D_EEDaS18_S19_EUlS18_E_NS1_11comp_targetILNS1_3genE3ELNS1_11target_archE908ELNS1_3gpuE7ELNS1_3repE0EEENS1_30default_config_static_selectorELNS0_4arch9wavefront6targetE0EEEvT1_
    .private_segment_fixed_size: 0
    .sgpr_count:     0
    .sgpr_spill_count: 0
    .symbol:         _ZN7rocprim17ROCPRIM_400000_NS6detail17trampoline_kernelINS0_14default_configENS1_25partition_config_selectorILNS1_17partition_subalgoE9EyjbEEZZNS1_14partition_implILS5_9ELb0ES3_jN6thrust23THRUST_200600_302600_NS6detail15normal_iteratorINS9_10device_ptrIyEEEENSB_INSC_IjEEEEPNS0_10empty_typeENS0_5tupleIJSE_SH_EEENSJ_IJNS9_16discard_iteratorINS9_11use_defaultEEESI_EEENS0_18inequality_wrapperINS9_8equal_toIyEEEEPmJSH_EEE10hipError_tPvRmT3_T4_T5_T6_T7_T9_mT8_P12ihipStream_tbDpT10_ENKUlT_T0_E_clISt17integral_constantIbLb0EES1D_EEDaS18_S19_EUlS18_E_NS1_11comp_targetILNS1_3genE3ELNS1_11target_archE908ELNS1_3gpuE7ELNS1_3repE0EEENS1_30default_config_static_selectorELNS0_4arch9wavefront6targetE0EEEvT1_.kd
    .uniform_work_group_size: 1
    .uses_dynamic_stack: false
    .vgpr_count:     0
    .vgpr_spill_count: 0
    .wavefront_size: 32
    .workgroup_processor_mode: 1
  - .args:
      - .offset:         0
        .size:           120
        .value_kind:     by_value
    .group_segment_fixed_size: 0
    .kernarg_segment_align: 8
    .kernarg_segment_size: 120
    .language:       OpenCL C
    .language_version:
      - 2
      - 0
    .max_flat_workgroup_size: 256
    .name:           _ZN7rocprim17ROCPRIM_400000_NS6detail17trampoline_kernelINS0_14default_configENS1_25partition_config_selectorILNS1_17partition_subalgoE9EyjbEEZZNS1_14partition_implILS5_9ELb0ES3_jN6thrust23THRUST_200600_302600_NS6detail15normal_iteratorINS9_10device_ptrIyEEEENSB_INSC_IjEEEEPNS0_10empty_typeENS0_5tupleIJSE_SH_EEENSJ_IJNS9_16discard_iteratorINS9_11use_defaultEEESI_EEENS0_18inequality_wrapperINS9_8equal_toIyEEEEPmJSH_EEE10hipError_tPvRmT3_T4_T5_T6_T7_T9_mT8_P12ihipStream_tbDpT10_ENKUlT_T0_E_clISt17integral_constantIbLb0EES1D_EEDaS18_S19_EUlS18_E_NS1_11comp_targetILNS1_3genE2ELNS1_11target_archE906ELNS1_3gpuE6ELNS1_3repE0EEENS1_30default_config_static_selectorELNS0_4arch9wavefront6targetE0EEEvT1_
    .private_segment_fixed_size: 0
    .sgpr_count:     0
    .sgpr_spill_count: 0
    .symbol:         _ZN7rocprim17ROCPRIM_400000_NS6detail17trampoline_kernelINS0_14default_configENS1_25partition_config_selectorILNS1_17partition_subalgoE9EyjbEEZZNS1_14partition_implILS5_9ELb0ES3_jN6thrust23THRUST_200600_302600_NS6detail15normal_iteratorINS9_10device_ptrIyEEEENSB_INSC_IjEEEEPNS0_10empty_typeENS0_5tupleIJSE_SH_EEENSJ_IJNS9_16discard_iteratorINS9_11use_defaultEEESI_EEENS0_18inequality_wrapperINS9_8equal_toIyEEEEPmJSH_EEE10hipError_tPvRmT3_T4_T5_T6_T7_T9_mT8_P12ihipStream_tbDpT10_ENKUlT_T0_E_clISt17integral_constantIbLb0EES1D_EEDaS18_S19_EUlS18_E_NS1_11comp_targetILNS1_3genE2ELNS1_11target_archE906ELNS1_3gpuE6ELNS1_3repE0EEENS1_30default_config_static_selectorELNS0_4arch9wavefront6targetE0EEEvT1_.kd
    .uniform_work_group_size: 1
    .uses_dynamic_stack: false
    .vgpr_count:     0
    .vgpr_spill_count: 0
    .wavefront_size: 32
    .workgroup_processor_mode: 1
  - .args:
      - .offset:         0
        .size:           120
        .value_kind:     by_value
    .group_segment_fixed_size: 0
    .kernarg_segment_align: 8
    .kernarg_segment_size: 120
    .language:       OpenCL C
    .language_version:
      - 2
      - 0
    .max_flat_workgroup_size: 384
    .name:           _ZN7rocprim17ROCPRIM_400000_NS6detail17trampoline_kernelINS0_14default_configENS1_25partition_config_selectorILNS1_17partition_subalgoE9EyjbEEZZNS1_14partition_implILS5_9ELb0ES3_jN6thrust23THRUST_200600_302600_NS6detail15normal_iteratorINS9_10device_ptrIyEEEENSB_INSC_IjEEEEPNS0_10empty_typeENS0_5tupleIJSE_SH_EEENSJ_IJNS9_16discard_iteratorINS9_11use_defaultEEESI_EEENS0_18inequality_wrapperINS9_8equal_toIyEEEEPmJSH_EEE10hipError_tPvRmT3_T4_T5_T6_T7_T9_mT8_P12ihipStream_tbDpT10_ENKUlT_T0_E_clISt17integral_constantIbLb0EES1D_EEDaS18_S19_EUlS18_E_NS1_11comp_targetILNS1_3genE10ELNS1_11target_archE1200ELNS1_3gpuE4ELNS1_3repE0EEENS1_30default_config_static_selectorELNS0_4arch9wavefront6targetE0EEEvT1_
    .private_segment_fixed_size: 0
    .sgpr_count:     0
    .sgpr_spill_count: 0
    .symbol:         _ZN7rocprim17ROCPRIM_400000_NS6detail17trampoline_kernelINS0_14default_configENS1_25partition_config_selectorILNS1_17partition_subalgoE9EyjbEEZZNS1_14partition_implILS5_9ELb0ES3_jN6thrust23THRUST_200600_302600_NS6detail15normal_iteratorINS9_10device_ptrIyEEEENSB_INSC_IjEEEEPNS0_10empty_typeENS0_5tupleIJSE_SH_EEENSJ_IJNS9_16discard_iteratorINS9_11use_defaultEEESI_EEENS0_18inequality_wrapperINS9_8equal_toIyEEEEPmJSH_EEE10hipError_tPvRmT3_T4_T5_T6_T7_T9_mT8_P12ihipStream_tbDpT10_ENKUlT_T0_E_clISt17integral_constantIbLb0EES1D_EEDaS18_S19_EUlS18_E_NS1_11comp_targetILNS1_3genE10ELNS1_11target_archE1200ELNS1_3gpuE4ELNS1_3repE0EEENS1_30default_config_static_selectorELNS0_4arch9wavefront6targetE0EEEvT1_.kd
    .uniform_work_group_size: 1
    .uses_dynamic_stack: false
    .vgpr_count:     0
    .vgpr_spill_count: 0
    .wavefront_size: 32
    .workgroup_processor_mode: 1
  - .args:
      - .offset:         0
        .size:           120
        .value_kind:     by_value
    .group_segment_fixed_size: 33800
    .kernarg_segment_align: 8
    .kernarg_segment_size: 120
    .language:       OpenCL C
    .language_version:
      - 2
      - 0
    .max_flat_workgroup_size: 512
    .name:           _ZN7rocprim17ROCPRIM_400000_NS6detail17trampoline_kernelINS0_14default_configENS1_25partition_config_selectorILNS1_17partition_subalgoE9EyjbEEZZNS1_14partition_implILS5_9ELb0ES3_jN6thrust23THRUST_200600_302600_NS6detail15normal_iteratorINS9_10device_ptrIyEEEENSB_INSC_IjEEEEPNS0_10empty_typeENS0_5tupleIJSE_SH_EEENSJ_IJNS9_16discard_iteratorINS9_11use_defaultEEESI_EEENS0_18inequality_wrapperINS9_8equal_toIyEEEEPmJSH_EEE10hipError_tPvRmT3_T4_T5_T6_T7_T9_mT8_P12ihipStream_tbDpT10_ENKUlT_T0_E_clISt17integral_constantIbLb0EES1D_EEDaS18_S19_EUlS18_E_NS1_11comp_targetILNS1_3genE9ELNS1_11target_archE1100ELNS1_3gpuE3ELNS1_3repE0EEENS1_30default_config_static_selectorELNS0_4arch9wavefront6targetE0EEEvT1_
    .private_segment_fixed_size: 0
    .sgpr_count:     26
    .sgpr_spill_count: 0
    .symbol:         _ZN7rocprim17ROCPRIM_400000_NS6detail17trampoline_kernelINS0_14default_configENS1_25partition_config_selectorILNS1_17partition_subalgoE9EyjbEEZZNS1_14partition_implILS5_9ELb0ES3_jN6thrust23THRUST_200600_302600_NS6detail15normal_iteratorINS9_10device_ptrIyEEEENSB_INSC_IjEEEEPNS0_10empty_typeENS0_5tupleIJSE_SH_EEENSJ_IJNS9_16discard_iteratorINS9_11use_defaultEEESI_EEENS0_18inequality_wrapperINS9_8equal_toIyEEEEPmJSH_EEE10hipError_tPvRmT3_T4_T5_T6_T7_T9_mT8_P12ihipStream_tbDpT10_ENKUlT_T0_E_clISt17integral_constantIbLb0EES1D_EEDaS18_S19_EUlS18_E_NS1_11comp_targetILNS1_3genE9ELNS1_11target_archE1100ELNS1_3gpuE3ELNS1_3repE0EEENS1_30default_config_static_selectorELNS0_4arch9wavefront6targetE0EEEvT1_.kd
    .uniform_work_group_size: 1
    .uses_dynamic_stack: false
    .vgpr_count:     60
    .vgpr_spill_count: 0
    .wavefront_size: 32
    .workgroup_processor_mode: 1
  - .args:
      - .offset:         0
        .size:           120
        .value_kind:     by_value
    .group_segment_fixed_size: 0
    .kernarg_segment_align: 8
    .kernarg_segment_size: 120
    .language:       OpenCL C
    .language_version:
      - 2
      - 0
    .max_flat_workgroup_size: 512
    .name:           _ZN7rocprim17ROCPRIM_400000_NS6detail17trampoline_kernelINS0_14default_configENS1_25partition_config_selectorILNS1_17partition_subalgoE9EyjbEEZZNS1_14partition_implILS5_9ELb0ES3_jN6thrust23THRUST_200600_302600_NS6detail15normal_iteratorINS9_10device_ptrIyEEEENSB_INSC_IjEEEEPNS0_10empty_typeENS0_5tupleIJSE_SH_EEENSJ_IJNS9_16discard_iteratorINS9_11use_defaultEEESI_EEENS0_18inequality_wrapperINS9_8equal_toIyEEEEPmJSH_EEE10hipError_tPvRmT3_T4_T5_T6_T7_T9_mT8_P12ihipStream_tbDpT10_ENKUlT_T0_E_clISt17integral_constantIbLb0EES1D_EEDaS18_S19_EUlS18_E_NS1_11comp_targetILNS1_3genE8ELNS1_11target_archE1030ELNS1_3gpuE2ELNS1_3repE0EEENS1_30default_config_static_selectorELNS0_4arch9wavefront6targetE0EEEvT1_
    .private_segment_fixed_size: 0
    .sgpr_count:     0
    .sgpr_spill_count: 0
    .symbol:         _ZN7rocprim17ROCPRIM_400000_NS6detail17trampoline_kernelINS0_14default_configENS1_25partition_config_selectorILNS1_17partition_subalgoE9EyjbEEZZNS1_14partition_implILS5_9ELb0ES3_jN6thrust23THRUST_200600_302600_NS6detail15normal_iteratorINS9_10device_ptrIyEEEENSB_INSC_IjEEEEPNS0_10empty_typeENS0_5tupleIJSE_SH_EEENSJ_IJNS9_16discard_iteratorINS9_11use_defaultEEESI_EEENS0_18inequality_wrapperINS9_8equal_toIyEEEEPmJSH_EEE10hipError_tPvRmT3_T4_T5_T6_T7_T9_mT8_P12ihipStream_tbDpT10_ENKUlT_T0_E_clISt17integral_constantIbLb0EES1D_EEDaS18_S19_EUlS18_E_NS1_11comp_targetILNS1_3genE8ELNS1_11target_archE1030ELNS1_3gpuE2ELNS1_3repE0EEENS1_30default_config_static_selectorELNS0_4arch9wavefront6targetE0EEEvT1_.kd
    .uniform_work_group_size: 1
    .uses_dynamic_stack: false
    .vgpr_count:     0
    .vgpr_spill_count: 0
    .wavefront_size: 32
    .workgroup_processor_mode: 1
  - .args:
      - .offset:         0
        .size:           136
        .value_kind:     by_value
    .group_segment_fixed_size: 0
    .kernarg_segment_align: 8
    .kernarg_segment_size: 136
    .language:       OpenCL C
    .language_version:
      - 2
      - 0
    .max_flat_workgroup_size: 128
    .name:           _ZN7rocprim17ROCPRIM_400000_NS6detail17trampoline_kernelINS0_14default_configENS1_25partition_config_selectorILNS1_17partition_subalgoE9EyjbEEZZNS1_14partition_implILS5_9ELb0ES3_jN6thrust23THRUST_200600_302600_NS6detail15normal_iteratorINS9_10device_ptrIyEEEENSB_INSC_IjEEEEPNS0_10empty_typeENS0_5tupleIJSE_SH_EEENSJ_IJNS9_16discard_iteratorINS9_11use_defaultEEESI_EEENS0_18inequality_wrapperINS9_8equal_toIyEEEEPmJSH_EEE10hipError_tPvRmT3_T4_T5_T6_T7_T9_mT8_P12ihipStream_tbDpT10_ENKUlT_T0_E_clISt17integral_constantIbLb1EES1D_EEDaS18_S19_EUlS18_E_NS1_11comp_targetILNS1_3genE0ELNS1_11target_archE4294967295ELNS1_3gpuE0ELNS1_3repE0EEENS1_30default_config_static_selectorELNS0_4arch9wavefront6targetE0EEEvT1_
    .private_segment_fixed_size: 0
    .sgpr_count:     0
    .sgpr_spill_count: 0
    .symbol:         _ZN7rocprim17ROCPRIM_400000_NS6detail17trampoline_kernelINS0_14default_configENS1_25partition_config_selectorILNS1_17partition_subalgoE9EyjbEEZZNS1_14partition_implILS5_9ELb0ES3_jN6thrust23THRUST_200600_302600_NS6detail15normal_iteratorINS9_10device_ptrIyEEEENSB_INSC_IjEEEEPNS0_10empty_typeENS0_5tupleIJSE_SH_EEENSJ_IJNS9_16discard_iteratorINS9_11use_defaultEEESI_EEENS0_18inequality_wrapperINS9_8equal_toIyEEEEPmJSH_EEE10hipError_tPvRmT3_T4_T5_T6_T7_T9_mT8_P12ihipStream_tbDpT10_ENKUlT_T0_E_clISt17integral_constantIbLb1EES1D_EEDaS18_S19_EUlS18_E_NS1_11comp_targetILNS1_3genE0ELNS1_11target_archE4294967295ELNS1_3gpuE0ELNS1_3repE0EEENS1_30default_config_static_selectorELNS0_4arch9wavefront6targetE0EEEvT1_.kd
    .uniform_work_group_size: 1
    .uses_dynamic_stack: false
    .vgpr_count:     0
    .vgpr_spill_count: 0
    .wavefront_size: 32
    .workgroup_processor_mode: 1
  - .args:
      - .offset:         0
        .size:           136
        .value_kind:     by_value
    .group_segment_fixed_size: 0
    .kernarg_segment_align: 8
    .kernarg_segment_size: 136
    .language:       OpenCL C
    .language_version:
      - 2
      - 0
    .max_flat_workgroup_size: 512
    .name:           _ZN7rocprim17ROCPRIM_400000_NS6detail17trampoline_kernelINS0_14default_configENS1_25partition_config_selectorILNS1_17partition_subalgoE9EyjbEEZZNS1_14partition_implILS5_9ELb0ES3_jN6thrust23THRUST_200600_302600_NS6detail15normal_iteratorINS9_10device_ptrIyEEEENSB_INSC_IjEEEEPNS0_10empty_typeENS0_5tupleIJSE_SH_EEENSJ_IJNS9_16discard_iteratorINS9_11use_defaultEEESI_EEENS0_18inequality_wrapperINS9_8equal_toIyEEEEPmJSH_EEE10hipError_tPvRmT3_T4_T5_T6_T7_T9_mT8_P12ihipStream_tbDpT10_ENKUlT_T0_E_clISt17integral_constantIbLb1EES1D_EEDaS18_S19_EUlS18_E_NS1_11comp_targetILNS1_3genE5ELNS1_11target_archE942ELNS1_3gpuE9ELNS1_3repE0EEENS1_30default_config_static_selectorELNS0_4arch9wavefront6targetE0EEEvT1_
    .private_segment_fixed_size: 0
    .sgpr_count:     0
    .sgpr_spill_count: 0
    .symbol:         _ZN7rocprim17ROCPRIM_400000_NS6detail17trampoline_kernelINS0_14default_configENS1_25partition_config_selectorILNS1_17partition_subalgoE9EyjbEEZZNS1_14partition_implILS5_9ELb0ES3_jN6thrust23THRUST_200600_302600_NS6detail15normal_iteratorINS9_10device_ptrIyEEEENSB_INSC_IjEEEEPNS0_10empty_typeENS0_5tupleIJSE_SH_EEENSJ_IJNS9_16discard_iteratorINS9_11use_defaultEEESI_EEENS0_18inequality_wrapperINS9_8equal_toIyEEEEPmJSH_EEE10hipError_tPvRmT3_T4_T5_T6_T7_T9_mT8_P12ihipStream_tbDpT10_ENKUlT_T0_E_clISt17integral_constantIbLb1EES1D_EEDaS18_S19_EUlS18_E_NS1_11comp_targetILNS1_3genE5ELNS1_11target_archE942ELNS1_3gpuE9ELNS1_3repE0EEENS1_30default_config_static_selectorELNS0_4arch9wavefront6targetE0EEEvT1_.kd
    .uniform_work_group_size: 1
    .uses_dynamic_stack: false
    .vgpr_count:     0
    .vgpr_spill_count: 0
    .wavefront_size: 32
    .workgroup_processor_mode: 1
  - .args:
      - .offset:         0
        .size:           136
        .value_kind:     by_value
    .group_segment_fixed_size: 0
    .kernarg_segment_align: 8
    .kernarg_segment_size: 136
    .language:       OpenCL C
    .language_version:
      - 2
      - 0
    .max_flat_workgroup_size: 192
    .name:           _ZN7rocprim17ROCPRIM_400000_NS6detail17trampoline_kernelINS0_14default_configENS1_25partition_config_selectorILNS1_17partition_subalgoE9EyjbEEZZNS1_14partition_implILS5_9ELb0ES3_jN6thrust23THRUST_200600_302600_NS6detail15normal_iteratorINS9_10device_ptrIyEEEENSB_INSC_IjEEEEPNS0_10empty_typeENS0_5tupleIJSE_SH_EEENSJ_IJNS9_16discard_iteratorINS9_11use_defaultEEESI_EEENS0_18inequality_wrapperINS9_8equal_toIyEEEEPmJSH_EEE10hipError_tPvRmT3_T4_T5_T6_T7_T9_mT8_P12ihipStream_tbDpT10_ENKUlT_T0_E_clISt17integral_constantIbLb1EES1D_EEDaS18_S19_EUlS18_E_NS1_11comp_targetILNS1_3genE4ELNS1_11target_archE910ELNS1_3gpuE8ELNS1_3repE0EEENS1_30default_config_static_selectorELNS0_4arch9wavefront6targetE0EEEvT1_
    .private_segment_fixed_size: 0
    .sgpr_count:     0
    .sgpr_spill_count: 0
    .symbol:         _ZN7rocprim17ROCPRIM_400000_NS6detail17trampoline_kernelINS0_14default_configENS1_25partition_config_selectorILNS1_17partition_subalgoE9EyjbEEZZNS1_14partition_implILS5_9ELb0ES3_jN6thrust23THRUST_200600_302600_NS6detail15normal_iteratorINS9_10device_ptrIyEEEENSB_INSC_IjEEEEPNS0_10empty_typeENS0_5tupleIJSE_SH_EEENSJ_IJNS9_16discard_iteratorINS9_11use_defaultEEESI_EEENS0_18inequality_wrapperINS9_8equal_toIyEEEEPmJSH_EEE10hipError_tPvRmT3_T4_T5_T6_T7_T9_mT8_P12ihipStream_tbDpT10_ENKUlT_T0_E_clISt17integral_constantIbLb1EES1D_EEDaS18_S19_EUlS18_E_NS1_11comp_targetILNS1_3genE4ELNS1_11target_archE910ELNS1_3gpuE8ELNS1_3repE0EEENS1_30default_config_static_selectorELNS0_4arch9wavefront6targetE0EEEvT1_.kd
    .uniform_work_group_size: 1
    .uses_dynamic_stack: false
    .vgpr_count:     0
    .vgpr_spill_count: 0
    .wavefront_size: 32
    .workgroup_processor_mode: 1
  - .args:
      - .offset:         0
        .size:           136
        .value_kind:     by_value
    .group_segment_fixed_size: 0
    .kernarg_segment_align: 8
    .kernarg_segment_size: 136
    .language:       OpenCL C
    .language_version:
      - 2
      - 0
    .max_flat_workgroup_size: 128
    .name:           _ZN7rocprim17ROCPRIM_400000_NS6detail17trampoline_kernelINS0_14default_configENS1_25partition_config_selectorILNS1_17partition_subalgoE9EyjbEEZZNS1_14partition_implILS5_9ELb0ES3_jN6thrust23THRUST_200600_302600_NS6detail15normal_iteratorINS9_10device_ptrIyEEEENSB_INSC_IjEEEEPNS0_10empty_typeENS0_5tupleIJSE_SH_EEENSJ_IJNS9_16discard_iteratorINS9_11use_defaultEEESI_EEENS0_18inequality_wrapperINS9_8equal_toIyEEEEPmJSH_EEE10hipError_tPvRmT3_T4_T5_T6_T7_T9_mT8_P12ihipStream_tbDpT10_ENKUlT_T0_E_clISt17integral_constantIbLb1EES1D_EEDaS18_S19_EUlS18_E_NS1_11comp_targetILNS1_3genE3ELNS1_11target_archE908ELNS1_3gpuE7ELNS1_3repE0EEENS1_30default_config_static_selectorELNS0_4arch9wavefront6targetE0EEEvT1_
    .private_segment_fixed_size: 0
    .sgpr_count:     0
    .sgpr_spill_count: 0
    .symbol:         _ZN7rocprim17ROCPRIM_400000_NS6detail17trampoline_kernelINS0_14default_configENS1_25partition_config_selectorILNS1_17partition_subalgoE9EyjbEEZZNS1_14partition_implILS5_9ELb0ES3_jN6thrust23THRUST_200600_302600_NS6detail15normal_iteratorINS9_10device_ptrIyEEEENSB_INSC_IjEEEEPNS0_10empty_typeENS0_5tupleIJSE_SH_EEENSJ_IJNS9_16discard_iteratorINS9_11use_defaultEEESI_EEENS0_18inequality_wrapperINS9_8equal_toIyEEEEPmJSH_EEE10hipError_tPvRmT3_T4_T5_T6_T7_T9_mT8_P12ihipStream_tbDpT10_ENKUlT_T0_E_clISt17integral_constantIbLb1EES1D_EEDaS18_S19_EUlS18_E_NS1_11comp_targetILNS1_3genE3ELNS1_11target_archE908ELNS1_3gpuE7ELNS1_3repE0EEENS1_30default_config_static_selectorELNS0_4arch9wavefront6targetE0EEEvT1_.kd
    .uniform_work_group_size: 1
    .uses_dynamic_stack: false
    .vgpr_count:     0
    .vgpr_spill_count: 0
    .wavefront_size: 32
    .workgroup_processor_mode: 1
  - .args:
      - .offset:         0
        .size:           136
        .value_kind:     by_value
    .group_segment_fixed_size: 0
    .kernarg_segment_align: 8
    .kernarg_segment_size: 136
    .language:       OpenCL C
    .language_version:
      - 2
      - 0
    .max_flat_workgroup_size: 256
    .name:           _ZN7rocprim17ROCPRIM_400000_NS6detail17trampoline_kernelINS0_14default_configENS1_25partition_config_selectorILNS1_17partition_subalgoE9EyjbEEZZNS1_14partition_implILS5_9ELb0ES3_jN6thrust23THRUST_200600_302600_NS6detail15normal_iteratorINS9_10device_ptrIyEEEENSB_INSC_IjEEEEPNS0_10empty_typeENS0_5tupleIJSE_SH_EEENSJ_IJNS9_16discard_iteratorINS9_11use_defaultEEESI_EEENS0_18inequality_wrapperINS9_8equal_toIyEEEEPmJSH_EEE10hipError_tPvRmT3_T4_T5_T6_T7_T9_mT8_P12ihipStream_tbDpT10_ENKUlT_T0_E_clISt17integral_constantIbLb1EES1D_EEDaS18_S19_EUlS18_E_NS1_11comp_targetILNS1_3genE2ELNS1_11target_archE906ELNS1_3gpuE6ELNS1_3repE0EEENS1_30default_config_static_selectorELNS0_4arch9wavefront6targetE0EEEvT1_
    .private_segment_fixed_size: 0
    .sgpr_count:     0
    .sgpr_spill_count: 0
    .symbol:         _ZN7rocprim17ROCPRIM_400000_NS6detail17trampoline_kernelINS0_14default_configENS1_25partition_config_selectorILNS1_17partition_subalgoE9EyjbEEZZNS1_14partition_implILS5_9ELb0ES3_jN6thrust23THRUST_200600_302600_NS6detail15normal_iteratorINS9_10device_ptrIyEEEENSB_INSC_IjEEEEPNS0_10empty_typeENS0_5tupleIJSE_SH_EEENSJ_IJNS9_16discard_iteratorINS9_11use_defaultEEESI_EEENS0_18inequality_wrapperINS9_8equal_toIyEEEEPmJSH_EEE10hipError_tPvRmT3_T4_T5_T6_T7_T9_mT8_P12ihipStream_tbDpT10_ENKUlT_T0_E_clISt17integral_constantIbLb1EES1D_EEDaS18_S19_EUlS18_E_NS1_11comp_targetILNS1_3genE2ELNS1_11target_archE906ELNS1_3gpuE6ELNS1_3repE0EEENS1_30default_config_static_selectorELNS0_4arch9wavefront6targetE0EEEvT1_.kd
    .uniform_work_group_size: 1
    .uses_dynamic_stack: false
    .vgpr_count:     0
    .vgpr_spill_count: 0
    .wavefront_size: 32
    .workgroup_processor_mode: 1
  - .args:
      - .offset:         0
        .size:           136
        .value_kind:     by_value
    .group_segment_fixed_size: 0
    .kernarg_segment_align: 8
    .kernarg_segment_size: 136
    .language:       OpenCL C
    .language_version:
      - 2
      - 0
    .max_flat_workgroup_size: 384
    .name:           _ZN7rocprim17ROCPRIM_400000_NS6detail17trampoline_kernelINS0_14default_configENS1_25partition_config_selectorILNS1_17partition_subalgoE9EyjbEEZZNS1_14partition_implILS5_9ELb0ES3_jN6thrust23THRUST_200600_302600_NS6detail15normal_iteratorINS9_10device_ptrIyEEEENSB_INSC_IjEEEEPNS0_10empty_typeENS0_5tupleIJSE_SH_EEENSJ_IJNS9_16discard_iteratorINS9_11use_defaultEEESI_EEENS0_18inequality_wrapperINS9_8equal_toIyEEEEPmJSH_EEE10hipError_tPvRmT3_T4_T5_T6_T7_T9_mT8_P12ihipStream_tbDpT10_ENKUlT_T0_E_clISt17integral_constantIbLb1EES1D_EEDaS18_S19_EUlS18_E_NS1_11comp_targetILNS1_3genE10ELNS1_11target_archE1200ELNS1_3gpuE4ELNS1_3repE0EEENS1_30default_config_static_selectorELNS0_4arch9wavefront6targetE0EEEvT1_
    .private_segment_fixed_size: 0
    .sgpr_count:     0
    .sgpr_spill_count: 0
    .symbol:         _ZN7rocprim17ROCPRIM_400000_NS6detail17trampoline_kernelINS0_14default_configENS1_25partition_config_selectorILNS1_17partition_subalgoE9EyjbEEZZNS1_14partition_implILS5_9ELb0ES3_jN6thrust23THRUST_200600_302600_NS6detail15normal_iteratorINS9_10device_ptrIyEEEENSB_INSC_IjEEEEPNS0_10empty_typeENS0_5tupleIJSE_SH_EEENSJ_IJNS9_16discard_iteratorINS9_11use_defaultEEESI_EEENS0_18inequality_wrapperINS9_8equal_toIyEEEEPmJSH_EEE10hipError_tPvRmT3_T4_T5_T6_T7_T9_mT8_P12ihipStream_tbDpT10_ENKUlT_T0_E_clISt17integral_constantIbLb1EES1D_EEDaS18_S19_EUlS18_E_NS1_11comp_targetILNS1_3genE10ELNS1_11target_archE1200ELNS1_3gpuE4ELNS1_3repE0EEENS1_30default_config_static_selectorELNS0_4arch9wavefront6targetE0EEEvT1_.kd
    .uniform_work_group_size: 1
    .uses_dynamic_stack: false
    .vgpr_count:     0
    .vgpr_spill_count: 0
    .wavefront_size: 32
    .workgroup_processor_mode: 1
  - .args:
      - .offset:         0
        .size:           136
        .value_kind:     by_value
    .group_segment_fixed_size: 33800
    .kernarg_segment_align: 8
    .kernarg_segment_size: 136
    .language:       OpenCL C
    .language_version:
      - 2
      - 0
    .max_flat_workgroup_size: 512
    .name:           _ZN7rocprim17ROCPRIM_400000_NS6detail17trampoline_kernelINS0_14default_configENS1_25partition_config_selectorILNS1_17partition_subalgoE9EyjbEEZZNS1_14partition_implILS5_9ELb0ES3_jN6thrust23THRUST_200600_302600_NS6detail15normal_iteratorINS9_10device_ptrIyEEEENSB_INSC_IjEEEEPNS0_10empty_typeENS0_5tupleIJSE_SH_EEENSJ_IJNS9_16discard_iteratorINS9_11use_defaultEEESI_EEENS0_18inequality_wrapperINS9_8equal_toIyEEEEPmJSH_EEE10hipError_tPvRmT3_T4_T5_T6_T7_T9_mT8_P12ihipStream_tbDpT10_ENKUlT_T0_E_clISt17integral_constantIbLb1EES1D_EEDaS18_S19_EUlS18_E_NS1_11comp_targetILNS1_3genE9ELNS1_11target_archE1100ELNS1_3gpuE3ELNS1_3repE0EEENS1_30default_config_static_selectorELNS0_4arch9wavefront6targetE0EEEvT1_
    .private_segment_fixed_size: 0
    .sgpr_count:     28
    .sgpr_spill_count: 0
    .symbol:         _ZN7rocprim17ROCPRIM_400000_NS6detail17trampoline_kernelINS0_14default_configENS1_25partition_config_selectorILNS1_17partition_subalgoE9EyjbEEZZNS1_14partition_implILS5_9ELb0ES3_jN6thrust23THRUST_200600_302600_NS6detail15normal_iteratorINS9_10device_ptrIyEEEENSB_INSC_IjEEEEPNS0_10empty_typeENS0_5tupleIJSE_SH_EEENSJ_IJNS9_16discard_iteratorINS9_11use_defaultEEESI_EEENS0_18inequality_wrapperINS9_8equal_toIyEEEEPmJSH_EEE10hipError_tPvRmT3_T4_T5_T6_T7_T9_mT8_P12ihipStream_tbDpT10_ENKUlT_T0_E_clISt17integral_constantIbLb1EES1D_EEDaS18_S19_EUlS18_E_NS1_11comp_targetILNS1_3genE9ELNS1_11target_archE1100ELNS1_3gpuE3ELNS1_3repE0EEENS1_30default_config_static_selectorELNS0_4arch9wavefront6targetE0EEEvT1_.kd
    .uniform_work_group_size: 1
    .uses_dynamic_stack: false
    .vgpr_count:     62
    .vgpr_spill_count: 0
    .wavefront_size: 32
    .workgroup_processor_mode: 1
  - .args:
      - .offset:         0
        .size:           136
        .value_kind:     by_value
    .group_segment_fixed_size: 0
    .kernarg_segment_align: 8
    .kernarg_segment_size: 136
    .language:       OpenCL C
    .language_version:
      - 2
      - 0
    .max_flat_workgroup_size: 512
    .name:           _ZN7rocprim17ROCPRIM_400000_NS6detail17trampoline_kernelINS0_14default_configENS1_25partition_config_selectorILNS1_17partition_subalgoE9EyjbEEZZNS1_14partition_implILS5_9ELb0ES3_jN6thrust23THRUST_200600_302600_NS6detail15normal_iteratorINS9_10device_ptrIyEEEENSB_INSC_IjEEEEPNS0_10empty_typeENS0_5tupleIJSE_SH_EEENSJ_IJNS9_16discard_iteratorINS9_11use_defaultEEESI_EEENS0_18inequality_wrapperINS9_8equal_toIyEEEEPmJSH_EEE10hipError_tPvRmT3_T4_T5_T6_T7_T9_mT8_P12ihipStream_tbDpT10_ENKUlT_T0_E_clISt17integral_constantIbLb1EES1D_EEDaS18_S19_EUlS18_E_NS1_11comp_targetILNS1_3genE8ELNS1_11target_archE1030ELNS1_3gpuE2ELNS1_3repE0EEENS1_30default_config_static_selectorELNS0_4arch9wavefront6targetE0EEEvT1_
    .private_segment_fixed_size: 0
    .sgpr_count:     0
    .sgpr_spill_count: 0
    .symbol:         _ZN7rocprim17ROCPRIM_400000_NS6detail17trampoline_kernelINS0_14default_configENS1_25partition_config_selectorILNS1_17partition_subalgoE9EyjbEEZZNS1_14partition_implILS5_9ELb0ES3_jN6thrust23THRUST_200600_302600_NS6detail15normal_iteratorINS9_10device_ptrIyEEEENSB_INSC_IjEEEEPNS0_10empty_typeENS0_5tupleIJSE_SH_EEENSJ_IJNS9_16discard_iteratorINS9_11use_defaultEEESI_EEENS0_18inequality_wrapperINS9_8equal_toIyEEEEPmJSH_EEE10hipError_tPvRmT3_T4_T5_T6_T7_T9_mT8_P12ihipStream_tbDpT10_ENKUlT_T0_E_clISt17integral_constantIbLb1EES1D_EEDaS18_S19_EUlS18_E_NS1_11comp_targetILNS1_3genE8ELNS1_11target_archE1030ELNS1_3gpuE2ELNS1_3repE0EEENS1_30default_config_static_selectorELNS0_4arch9wavefront6targetE0EEEvT1_.kd
    .uniform_work_group_size: 1
    .uses_dynamic_stack: false
    .vgpr_count:     0
    .vgpr_spill_count: 0
    .wavefront_size: 32
    .workgroup_processor_mode: 1
  - .args:
      - .offset:         0
        .size:           120
        .value_kind:     by_value
    .group_segment_fixed_size: 0
    .kernarg_segment_align: 8
    .kernarg_segment_size: 120
    .language:       OpenCL C
    .language_version:
      - 2
      - 0
    .max_flat_workgroup_size: 128
    .name:           _ZN7rocprim17ROCPRIM_400000_NS6detail17trampoline_kernelINS0_14default_configENS1_25partition_config_selectorILNS1_17partition_subalgoE9EyjbEEZZNS1_14partition_implILS5_9ELb0ES3_jN6thrust23THRUST_200600_302600_NS6detail15normal_iteratorINS9_10device_ptrIyEEEENSB_INSC_IjEEEEPNS0_10empty_typeENS0_5tupleIJSE_SH_EEENSJ_IJNS9_16discard_iteratorINS9_11use_defaultEEESI_EEENS0_18inequality_wrapperINS9_8equal_toIyEEEEPmJSH_EEE10hipError_tPvRmT3_T4_T5_T6_T7_T9_mT8_P12ihipStream_tbDpT10_ENKUlT_T0_E_clISt17integral_constantIbLb1EES1C_IbLb0EEEEDaS18_S19_EUlS18_E_NS1_11comp_targetILNS1_3genE0ELNS1_11target_archE4294967295ELNS1_3gpuE0ELNS1_3repE0EEENS1_30default_config_static_selectorELNS0_4arch9wavefront6targetE0EEEvT1_
    .private_segment_fixed_size: 0
    .sgpr_count:     0
    .sgpr_spill_count: 0
    .symbol:         _ZN7rocprim17ROCPRIM_400000_NS6detail17trampoline_kernelINS0_14default_configENS1_25partition_config_selectorILNS1_17partition_subalgoE9EyjbEEZZNS1_14partition_implILS5_9ELb0ES3_jN6thrust23THRUST_200600_302600_NS6detail15normal_iteratorINS9_10device_ptrIyEEEENSB_INSC_IjEEEEPNS0_10empty_typeENS0_5tupleIJSE_SH_EEENSJ_IJNS9_16discard_iteratorINS9_11use_defaultEEESI_EEENS0_18inequality_wrapperINS9_8equal_toIyEEEEPmJSH_EEE10hipError_tPvRmT3_T4_T5_T6_T7_T9_mT8_P12ihipStream_tbDpT10_ENKUlT_T0_E_clISt17integral_constantIbLb1EES1C_IbLb0EEEEDaS18_S19_EUlS18_E_NS1_11comp_targetILNS1_3genE0ELNS1_11target_archE4294967295ELNS1_3gpuE0ELNS1_3repE0EEENS1_30default_config_static_selectorELNS0_4arch9wavefront6targetE0EEEvT1_.kd
    .uniform_work_group_size: 1
    .uses_dynamic_stack: false
    .vgpr_count:     0
    .vgpr_spill_count: 0
    .wavefront_size: 32
    .workgroup_processor_mode: 1
  - .args:
      - .offset:         0
        .size:           120
        .value_kind:     by_value
    .group_segment_fixed_size: 0
    .kernarg_segment_align: 8
    .kernarg_segment_size: 120
    .language:       OpenCL C
    .language_version:
      - 2
      - 0
    .max_flat_workgroup_size: 512
    .name:           _ZN7rocprim17ROCPRIM_400000_NS6detail17trampoline_kernelINS0_14default_configENS1_25partition_config_selectorILNS1_17partition_subalgoE9EyjbEEZZNS1_14partition_implILS5_9ELb0ES3_jN6thrust23THRUST_200600_302600_NS6detail15normal_iteratorINS9_10device_ptrIyEEEENSB_INSC_IjEEEEPNS0_10empty_typeENS0_5tupleIJSE_SH_EEENSJ_IJNS9_16discard_iteratorINS9_11use_defaultEEESI_EEENS0_18inequality_wrapperINS9_8equal_toIyEEEEPmJSH_EEE10hipError_tPvRmT3_T4_T5_T6_T7_T9_mT8_P12ihipStream_tbDpT10_ENKUlT_T0_E_clISt17integral_constantIbLb1EES1C_IbLb0EEEEDaS18_S19_EUlS18_E_NS1_11comp_targetILNS1_3genE5ELNS1_11target_archE942ELNS1_3gpuE9ELNS1_3repE0EEENS1_30default_config_static_selectorELNS0_4arch9wavefront6targetE0EEEvT1_
    .private_segment_fixed_size: 0
    .sgpr_count:     0
    .sgpr_spill_count: 0
    .symbol:         _ZN7rocprim17ROCPRIM_400000_NS6detail17trampoline_kernelINS0_14default_configENS1_25partition_config_selectorILNS1_17partition_subalgoE9EyjbEEZZNS1_14partition_implILS5_9ELb0ES3_jN6thrust23THRUST_200600_302600_NS6detail15normal_iteratorINS9_10device_ptrIyEEEENSB_INSC_IjEEEEPNS0_10empty_typeENS0_5tupleIJSE_SH_EEENSJ_IJNS9_16discard_iteratorINS9_11use_defaultEEESI_EEENS0_18inequality_wrapperINS9_8equal_toIyEEEEPmJSH_EEE10hipError_tPvRmT3_T4_T5_T6_T7_T9_mT8_P12ihipStream_tbDpT10_ENKUlT_T0_E_clISt17integral_constantIbLb1EES1C_IbLb0EEEEDaS18_S19_EUlS18_E_NS1_11comp_targetILNS1_3genE5ELNS1_11target_archE942ELNS1_3gpuE9ELNS1_3repE0EEENS1_30default_config_static_selectorELNS0_4arch9wavefront6targetE0EEEvT1_.kd
    .uniform_work_group_size: 1
    .uses_dynamic_stack: false
    .vgpr_count:     0
    .vgpr_spill_count: 0
    .wavefront_size: 32
    .workgroup_processor_mode: 1
  - .args:
      - .offset:         0
        .size:           120
        .value_kind:     by_value
    .group_segment_fixed_size: 0
    .kernarg_segment_align: 8
    .kernarg_segment_size: 120
    .language:       OpenCL C
    .language_version:
      - 2
      - 0
    .max_flat_workgroup_size: 192
    .name:           _ZN7rocprim17ROCPRIM_400000_NS6detail17trampoline_kernelINS0_14default_configENS1_25partition_config_selectorILNS1_17partition_subalgoE9EyjbEEZZNS1_14partition_implILS5_9ELb0ES3_jN6thrust23THRUST_200600_302600_NS6detail15normal_iteratorINS9_10device_ptrIyEEEENSB_INSC_IjEEEEPNS0_10empty_typeENS0_5tupleIJSE_SH_EEENSJ_IJNS9_16discard_iteratorINS9_11use_defaultEEESI_EEENS0_18inequality_wrapperINS9_8equal_toIyEEEEPmJSH_EEE10hipError_tPvRmT3_T4_T5_T6_T7_T9_mT8_P12ihipStream_tbDpT10_ENKUlT_T0_E_clISt17integral_constantIbLb1EES1C_IbLb0EEEEDaS18_S19_EUlS18_E_NS1_11comp_targetILNS1_3genE4ELNS1_11target_archE910ELNS1_3gpuE8ELNS1_3repE0EEENS1_30default_config_static_selectorELNS0_4arch9wavefront6targetE0EEEvT1_
    .private_segment_fixed_size: 0
    .sgpr_count:     0
    .sgpr_spill_count: 0
    .symbol:         _ZN7rocprim17ROCPRIM_400000_NS6detail17trampoline_kernelINS0_14default_configENS1_25partition_config_selectorILNS1_17partition_subalgoE9EyjbEEZZNS1_14partition_implILS5_9ELb0ES3_jN6thrust23THRUST_200600_302600_NS6detail15normal_iteratorINS9_10device_ptrIyEEEENSB_INSC_IjEEEEPNS0_10empty_typeENS0_5tupleIJSE_SH_EEENSJ_IJNS9_16discard_iteratorINS9_11use_defaultEEESI_EEENS0_18inequality_wrapperINS9_8equal_toIyEEEEPmJSH_EEE10hipError_tPvRmT3_T4_T5_T6_T7_T9_mT8_P12ihipStream_tbDpT10_ENKUlT_T0_E_clISt17integral_constantIbLb1EES1C_IbLb0EEEEDaS18_S19_EUlS18_E_NS1_11comp_targetILNS1_3genE4ELNS1_11target_archE910ELNS1_3gpuE8ELNS1_3repE0EEENS1_30default_config_static_selectorELNS0_4arch9wavefront6targetE0EEEvT1_.kd
    .uniform_work_group_size: 1
    .uses_dynamic_stack: false
    .vgpr_count:     0
    .vgpr_spill_count: 0
    .wavefront_size: 32
    .workgroup_processor_mode: 1
  - .args:
      - .offset:         0
        .size:           120
        .value_kind:     by_value
    .group_segment_fixed_size: 0
    .kernarg_segment_align: 8
    .kernarg_segment_size: 120
    .language:       OpenCL C
    .language_version:
      - 2
      - 0
    .max_flat_workgroup_size: 128
    .name:           _ZN7rocprim17ROCPRIM_400000_NS6detail17trampoline_kernelINS0_14default_configENS1_25partition_config_selectorILNS1_17partition_subalgoE9EyjbEEZZNS1_14partition_implILS5_9ELb0ES3_jN6thrust23THRUST_200600_302600_NS6detail15normal_iteratorINS9_10device_ptrIyEEEENSB_INSC_IjEEEEPNS0_10empty_typeENS0_5tupleIJSE_SH_EEENSJ_IJNS9_16discard_iteratorINS9_11use_defaultEEESI_EEENS0_18inequality_wrapperINS9_8equal_toIyEEEEPmJSH_EEE10hipError_tPvRmT3_T4_T5_T6_T7_T9_mT8_P12ihipStream_tbDpT10_ENKUlT_T0_E_clISt17integral_constantIbLb1EES1C_IbLb0EEEEDaS18_S19_EUlS18_E_NS1_11comp_targetILNS1_3genE3ELNS1_11target_archE908ELNS1_3gpuE7ELNS1_3repE0EEENS1_30default_config_static_selectorELNS0_4arch9wavefront6targetE0EEEvT1_
    .private_segment_fixed_size: 0
    .sgpr_count:     0
    .sgpr_spill_count: 0
    .symbol:         _ZN7rocprim17ROCPRIM_400000_NS6detail17trampoline_kernelINS0_14default_configENS1_25partition_config_selectorILNS1_17partition_subalgoE9EyjbEEZZNS1_14partition_implILS5_9ELb0ES3_jN6thrust23THRUST_200600_302600_NS6detail15normal_iteratorINS9_10device_ptrIyEEEENSB_INSC_IjEEEEPNS0_10empty_typeENS0_5tupleIJSE_SH_EEENSJ_IJNS9_16discard_iteratorINS9_11use_defaultEEESI_EEENS0_18inequality_wrapperINS9_8equal_toIyEEEEPmJSH_EEE10hipError_tPvRmT3_T4_T5_T6_T7_T9_mT8_P12ihipStream_tbDpT10_ENKUlT_T0_E_clISt17integral_constantIbLb1EES1C_IbLb0EEEEDaS18_S19_EUlS18_E_NS1_11comp_targetILNS1_3genE3ELNS1_11target_archE908ELNS1_3gpuE7ELNS1_3repE0EEENS1_30default_config_static_selectorELNS0_4arch9wavefront6targetE0EEEvT1_.kd
    .uniform_work_group_size: 1
    .uses_dynamic_stack: false
    .vgpr_count:     0
    .vgpr_spill_count: 0
    .wavefront_size: 32
    .workgroup_processor_mode: 1
  - .args:
      - .offset:         0
        .size:           120
        .value_kind:     by_value
    .group_segment_fixed_size: 0
    .kernarg_segment_align: 8
    .kernarg_segment_size: 120
    .language:       OpenCL C
    .language_version:
      - 2
      - 0
    .max_flat_workgroup_size: 256
    .name:           _ZN7rocprim17ROCPRIM_400000_NS6detail17trampoline_kernelINS0_14default_configENS1_25partition_config_selectorILNS1_17partition_subalgoE9EyjbEEZZNS1_14partition_implILS5_9ELb0ES3_jN6thrust23THRUST_200600_302600_NS6detail15normal_iteratorINS9_10device_ptrIyEEEENSB_INSC_IjEEEEPNS0_10empty_typeENS0_5tupleIJSE_SH_EEENSJ_IJNS9_16discard_iteratorINS9_11use_defaultEEESI_EEENS0_18inequality_wrapperINS9_8equal_toIyEEEEPmJSH_EEE10hipError_tPvRmT3_T4_T5_T6_T7_T9_mT8_P12ihipStream_tbDpT10_ENKUlT_T0_E_clISt17integral_constantIbLb1EES1C_IbLb0EEEEDaS18_S19_EUlS18_E_NS1_11comp_targetILNS1_3genE2ELNS1_11target_archE906ELNS1_3gpuE6ELNS1_3repE0EEENS1_30default_config_static_selectorELNS0_4arch9wavefront6targetE0EEEvT1_
    .private_segment_fixed_size: 0
    .sgpr_count:     0
    .sgpr_spill_count: 0
    .symbol:         _ZN7rocprim17ROCPRIM_400000_NS6detail17trampoline_kernelINS0_14default_configENS1_25partition_config_selectorILNS1_17partition_subalgoE9EyjbEEZZNS1_14partition_implILS5_9ELb0ES3_jN6thrust23THRUST_200600_302600_NS6detail15normal_iteratorINS9_10device_ptrIyEEEENSB_INSC_IjEEEEPNS0_10empty_typeENS0_5tupleIJSE_SH_EEENSJ_IJNS9_16discard_iteratorINS9_11use_defaultEEESI_EEENS0_18inequality_wrapperINS9_8equal_toIyEEEEPmJSH_EEE10hipError_tPvRmT3_T4_T5_T6_T7_T9_mT8_P12ihipStream_tbDpT10_ENKUlT_T0_E_clISt17integral_constantIbLb1EES1C_IbLb0EEEEDaS18_S19_EUlS18_E_NS1_11comp_targetILNS1_3genE2ELNS1_11target_archE906ELNS1_3gpuE6ELNS1_3repE0EEENS1_30default_config_static_selectorELNS0_4arch9wavefront6targetE0EEEvT1_.kd
    .uniform_work_group_size: 1
    .uses_dynamic_stack: false
    .vgpr_count:     0
    .vgpr_spill_count: 0
    .wavefront_size: 32
    .workgroup_processor_mode: 1
  - .args:
      - .offset:         0
        .size:           120
        .value_kind:     by_value
    .group_segment_fixed_size: 0
    .kernarg_segment_align: 8
    .kernarg_segment_size: 120
    .language:       OpenCL C
    .language_version:
      - 2
      - 0
    .max_flat_workgroup_size: 384
    .name:           _ZN7rocprim17ROCPRIM_400000_NS6detail17trampoline_kernelINS0_14default_configENS1_25partition_config_selectorILNS1_17partition_subalgoE9EyjbEEZZNS1_14partition_implILS5_9ELb0ES3_jN6thrust23THRUST_200600_302600_NS6detail15normal_iteratorINS9_10device_ptrIyEEEENSB_INSC_IjEEEEPNS0_10empty_typeENS0_5tupleIJSE_SH_EEENSJ_IJNS9_16discard_iteratorINS9_11use_defaultEEESI_EEENS0_18inequality_wrapperINS9_8equal_toIyEEEEPmJSH_EEE10hipError_tPvRmT3_T4_T5_T6_T7_T9_mT8_P12ihipStream_tbDpT10_ENKUlT_T0_E_clISt17integral_constantIbLb1EES1C_IbLb0EEEEDaS18_S19_EUlS18_E_NS1_11comp_targetILNS1_3genE10ELNS1_11target_archE1200ELNS1_3gpuE4ELNS1_3repE0EEENS1_30default_config_static_selectorELNS0_4arch9wavefront6targetE0EEEvT1_
    .private_segment_fixed_size: 0
    .sgpr_count:     0
    .sgpr_spill_count: 0
    .symbol:         _ZN7rocprim17ROCPRIM_400000_NS6detail17trampoline_kernelINS0_14default_configENS1_25partition_config_selectorILNS1_17partition_subalgoE9EyjbEEZZNS1_14partition_implILS5_9ELb0ES3_jN6thrust23THRUST_200600_302600_NS6detail15normal_iteratorINS9_10device_ptrIyEEEENSB_INSC_IjEEEEPNS0_10empty_typeENS0_5tupleIJSE_SH_EEENSJ_IJNS9_16discard_iteratorINS9_11use_defaultEEESI_EEENS0_18inequality_wrapperINS9_8equal_toIyEEEEPmJSH_EEE10hipError_tPvRmT3_T4_T5_T6_T7_T9_mT8_P12ihipStream_tbDpT10_ENKUlT_T0_E_clISt17integral_constantIbLb1EES1C_IbLb0EEEEDaS18_S19_EUlS18_E_NS1_11comp_targetILNS1_3genE10ELNS1_11target_archE1200ELNS1_3gpuE4ELNS1_3repE0EEENS1_30default_config_static_selectorELNS0_4arch9wavefront6targetE0EEEvT1_.kd
    .uniform_work_group_size: 1
    .uses_dynamic_stack: false
    .vgpr_count:     0
    .vgpr_spill_count: 0
    .wavefront_size: 32
    .workgroup_processor_mode: 1
  - .args:
      - .offset:         0
        .size:           120
        .value_kind:     by_value
    .group_segment_fixed_size: 33800
    .kernarg_segment_align: 8
    .kernarg_segment_size: 120
    .language:       OpenCL C
    .language_version:
      - 2
      - 0
    .max_flat_workgroup_size: 512
    .name:           _ZN7rocprim17ROCPRIM_400000_NS6detail17trampoline_kernelINS0_14default_configENS1_25partition_config_selectorILNS1_17partition_subalgoE9EyjbEEZZNS1_14partition_implILS5_9ELb0ES3_jN6thrust23THRUST_200600_302600_NS6detail15normal_iteratorINS9_10device_ptrIyEEEENSB_INSC_IjEEEEPNS0_10empty_typeENS0_5tupleIJSE_SH_EEENSJ_IJNS9_16discard_iteratorINS9_11use_defaultEEESI_EEENS0_18inequality_wrapperINS9_8equal_toIyEEEEPmJSH_EEE10hipError_tPvRmT3_T4_T5_T6_T7_T9_mT8_P12ihipStream_tbDpT10_ENKUlT_T0_E_clISt17integral_constantIbLb1EES1C_IbLb0EEEEDaS18_S19_EUlS18_E_NS1_11comp_targetILNS1_3genE9ELNS1_11target_archE1100ELNS1_3gpuE3ELNS1_3repE0EEENS1_30default_config_static_selectorELNS0_4arch9wavefront6targetE0EEEvT1_
    .private_segment_fixed_size: 0
    .sgpr_count:     26
    .sgpr_spill_count: 0
    .symbol:         _ZN7rocprim17ROCPRIM_400000_NS6detail17trampoline_kernelINS0_14default_configENS1_25partition_config_selectorILNS1_17partition_subalgoE9EyjbEEZZNS1_14partition_implILS5_9ELb0ES3_jN6thrust23THRUST_200600_302600_NS6detail15normal_iteratorINS9_10device_ptrIyEEEENSB_INSC_IjEEEEPNS0_10empty_typeENS0_5tupleIJSE_SH_EEENSJ_IJNS9_16discard_iteratorINS9_11use_defaultEEESI_EEENS0_18inequality_wrapperINS9_8equal_toIyEEEEPmJSH_EEE10hipError_tPvRmT3_T4_T5_T6_T7_T9_mT8_P12ihipStream_tbDpT10_ENKUlT_T0_E_clISt17integral_constantIbLb1EES1C_IbLb0EEEEDaS18_S19_EUlS18_E_NS1_11comp_targetILNS1_3genE9ELNS1_11target_archE1100ELNS1_3gpuE3ELNS1_3repE0EEENS1_30default_config_static_selectorELNS0_4arch9wavefront6targetE0EEEvT1_.kd
    .uniform_work_group_size: 1
    .uses_dynamic_stack: false
    .vgpr_count:     60
    .vgpr_spill_count: 0
    .wavefront_size: 32
    .workgroup_processor_mode: 1
  - .args:
      - .offset:         0
        .size:           120
        .value_kind:     by_value
    .group_segment_fixed_size: 0
    .kernarg_segment_align: 8
    .kernarg_segment_size: 120
    .language:       OpenCL C
    .language_version:
      - 2
      - 0
    .max_flat_workgroup_size: 512
    .name:           _ZN7rocprim17ROCPRIM_400000_NS6detail17trampoline_kernelINS0_14default_configENS1_25partition_config_selectorILNS1_17partition_subalgoE9EyjbEEZZNS1_14partition_implILS5_9ELb0ES3_jN6thrust23THRUST_200600_302600_NS6detail15normal_iteratorINS9_10device_ptrIyEEEENSB_INSC_IjEEEEPNS0_10empty_typeENS0_5tupleIJSE_SH_EEENSJ_IJNS9_16discard_iteratorINS9_11use_defaultEEESI_EEENS0_18inequality_wrapperINS9_8equal_toIyEEEEPmJSH_EEE10hipError_tPvRmT3_T4_T5_T6_T7_T9_mT8_P12ihipStream_tbDpT10_ENKUlT_T0_E_clISt17integral_constantIbLb1EES1C_IbLb0EEEEDaS18_S19_EUlS18_E_NS1_11comp_targetILNS1_3genE8ELNS1_11target_archE1030ELNS1_3gpuE2ELNS1_3repE0EEENS1_30default_config_static_selectorELNS0_4arch9wavefront6targetE0EEEvT1_
    .private_segment_fixed_size: 0
    .sgpr_count:     0
    .sgpr_spill_count: 0
    .symbol:         _ZN7rocprim17ROCPRIM_400000_NS6detail17trampoline_kernelINS0_14default_configENS1_25partition_config_selectorILNS1_17partition_subalgoE9EyjbEEZZNS1_14partition_implILS5_9ELb0ES3_jN6thrust23THRUST_200600_302600_NS6detail15normal_iteratorINS9_10device_ptrIyEEEENSB_INSC_IjEEEEPNS0_10empty_typeENS0_5tupleIJSE_SH_EEENSJ_IJNS9_16discard_iteratorINS9_11use_defaultEEESI_EEENS0_18inequality_wrapperINS9_8equal_toIyEEEEPmJSH_EEE10hipError_tPvRmT3_T4_T5_T6_T7_T9_mT8_P12ihipStream_tbDpT10_ENKUlT_T0_E_clISt17integral_constantIbLb1EES1C_IbLb0EEEEDaS18_S19_EUlS18_E_NS1_11comp_targetILNS1_3genE8ELNS1_11target_archE1030ELNS1_3gpuE2ELNS1_3repE0EEENS1_30default_config_static_selectorELNS0_4arch9wavefront6targetE0EEEvT1_.kd
    .uniform_work_group_size: 1
    .uses_dynamic_stack: false
    .vgpr_count:     0
    .vgpr_spill_count: 0
    .wavefront_size: 32
    .workgroup_processor_mode: 1
  - .args:
      - .offset:         0
        .size:           136
        .value_kind:     by_value
    .group_segment_fixed_size: 0
    .kernarg_segment_align: 8
    .kernarg_segment_size: 136
    .language:       OpenCL C
    .language_version:
      - 2
      - 0
    .max_flat_workgroup_size: 128
    .name:           _ZN7rocprim17ROCPRIM_400000_NS6detail17trampoline_kernelINS0_14default_configENS1_25partition_config_selectorILNS1_17partition_subalgoE9EyjbEEZZNS1_14partition_implILS5_9ELb0ES3_jN6thrust23THRUST_200600_302600_NS6detail15normal_iteratorINS9_10device_ptrIyEEEENSB_INSC_IjEEEEPNS0_10empty_typeENS0_5tupleIJSE_SH_EEENSJ_IJNS9_16discard_iteratorINS9_11use_defaultEEESI_EEENS0_18inequality_wrapperINS9_8equal_toIyEEEEPmJSH_EEE10hipError_tPvRmT3_T4_T5_T6_T7_T9_mT8_P12ihipStream_tbDpT10_ENKUlT_T0_E_clISt17integral_constantIbLb0EES1C_IbLb1EEEEDaS18_S19_EUlS18_E_NS1_11comp_targetILNS1_3genE0ELNS1_11target_archE4294967295ELNS1_3gpuE0ELNS1_3repE0EEENS1_30default_config_static_selectorELNS0_4arch9wavefront6targetE0EEEvT1_
    .private_segment_fixed_size: 0
    .sgpr_count:     0
    .sgpr_spill_count: 0
    .symbol:         _ZN7rocprim17ROCPRIM_400000_NS6detail17trampoline_kernelINS0_14default_configENS1_25partition_config_selectorILNS1_17partition_subalgoE9EyjbEEZZNS1_14partition_implILS5_9ELb0ES3_jN6thrust23THRUST_200600_302600_NS6detail15normal_iteratorINS9_10device_ptrIyEEEENSB_INSC_IjEEEEPNS0_10empty_typeENS0_5tupleIJSE_SH_EEENSJ_IJNS9_16discard_iteratorINS9_11use_defaultEEESI_EEENS0_18inequality_wrapperINS9_8equal_toIyEEEEPmJSH_EEE10hipError_tPvRmT3_T4_T5_T6_T7_T9_mT8_P12ihipStream_tbDpT10_ENKUlT_T0_E_clISt17integral_constantIbLb0EES1C_IbLb1EEEEDaS18_S19_EUlS18_E_NS1_11comp_targetILNS1_3genE0ELNS1_11target_archE4294967295ELNS1_3gpuE0ELNS1_3repE0EEENS1_30default_config_static_selectorELNS0_4arch9wavefront6targetE0EEEvT1_.kd
    .uniform_work_group_size: 1
    .uses_dynamic_stack: false
    .vgpr_count:     0
    .vgpr_spill_count: 0
    .wavefront_size: 32
    .workgroup_processor_mode: 1
  - .args:
      - .offset:         0
        .size:           136
        .value_kind:     by_value
    .group_segment_fixed_size: 0
    .kernarg_segment_align: 8
    .kernarg_segment_size: 136
    .language:       OpenCL C
    .language_version:
      - 2
      - 0
    .max_flat_workgroup_size: 512
    .name:           _ZN7rocprim17ROCPRIM_400000_NS6detail17trampoline_kernelINS0_14default_configENS1_25partition_config_selectorILNS1_17partition_subalgoE9EyjbEEZZNS1_14partition_implILS5_9ELb0ES3_jN6thrust23THRUST_200600_302600_NS6detail15normal_iteratorINS9_10device_ptrIyEEEENSB_INSC_IjEEEEPNS0_10empty_typeENS0_5tupleIJSE_SH_EEENSJ_IJNS9_16discard_iteratorINS9_11use_defaultEEESI_EEENS0_18inequality_wrapperINS9_8equal_toIyEEEEPmJSH_EEE10hipError_tPvRmT3_T4_T5_T6_T7_T9_mT8_P12ihipStream_tbDpT10_ENKUlT_T0_E_clISt17integral_constantIbLb0EES1C_IbLb1EEEEDaS18_S19_EUlS18_E_NS1_11comp_targetILNS1_3genE5ELNS1_11target_archE942ELNS1_3gpuE9ELNS1_3repE0EEENS1_30default_config_static_selectorELNS0_4arch9wavefront6targetE0EEEvT1_
    .private_segment_fixed_size: 0
    .sgpr_count:     0
    .sgpr_spill_count: 0
    .symbol:         _ZN7rocprim17ROCPRIM_400000_NS6detail17trampoline_kernelINS0_14default_configENS1_25partition_config_selectorILNS1_17partition_subalgoE9EyjbEEZZNS1_14partition_implILS5_9ELb0ES3_jN6thrust23THRUST_200600_302600_NS6detail15normal_iteratorINS9_10device_ptrIyEEEENSB_INSC_IjEEEEPNS0_10empty_typeENS0_5tupleIJSE_SH_EEENSJ_IJNS9_16discard_iteratorINS9_11use_defaultEEESI_EEENS0_18inequality_wrapperINS9_8equal_toIyEEEEPmJSH_EEE10hipError_tPvRmT3_T4_T5_T6_T7_T9_mT8_P12ihipStream_tbDpT10_ENKUlT_T0_E_clISt17integral_constantIbLb0EES1C_IbLb1EEEEDaS18_S19_EUlS18_E_NS1_11comp_targetILNS1_3genE5ELNS1_11target_archE942ELNS1_3gpuE9ELNS1_3repE0EEENS1_30default_config_static_selectorELNS0_4arch9wavefront6targetE0EEEvT1_.kd
    .uniform_work_group_size: 1
    .uses_dynamic_stack: false
    .vgpr_count:     0
    .vgpr_spill_count: 0
    .wavefront_size: 32
    .workgroup_processor_mode: 1
  - .args:
      - .offset:         0
        .size:           136
        .value_kind:     by_value
    .group_segment_fixed_size: 0
    .kernarg_segment_align: 8
    .kernarg_segment_size: 136
    .language:       OpenCL C
    .language_version:
      - 2
      - 0
    .max_flat_workgroup_size: 192
    .name:           _ZN7rocprim17ROCPRIM_400000_NS6detail17trampoline_kernelINS0_14default_configENS1_25partition_config_selectorILNS1_17partition_subalgoE9EyjbEEZZNS1_14partition_implILS5_9ELb0ES3_jN6thrust23THRUST_200600_302600_NS6detail15normal_iteratorINS9_10device_ptrIyEEEENSB_INSC_IjEEEEPNS0_10empty_typeENS0_5tupleIJSE_SH_EEENSJ_IJNS9_16discard_iteratorINS9_11use_defaultEEESI_EEENS0_18inequality_wrapperINS9_8equal_toIyEEEEPmJSH_EEE10hipError_tPvRmT3_T4_T5_T6_T7_T9_mT8_P12ihipStream_tbDpT10_ENKUlT_T0_E_clISt17integral_constantIbLb0EES1C_IbLb1EEEEDaS18_S19_EUlS18_E_NS1_11comp_targetILNS1_3genE4ELNS1_11target_archE910ELNS1_3gpuE8ELNS1_3repE0EEENS1_30default_config_static_selectorELNS0_4arch9wavefront6targetE0EEEvT1_
    .private_segment_fixed_size: 0
    .sgpr_count:     0
    .sgpr_spill_count: 0
    .symbol:         _ZN7rocprim17ROCPRIM_400000_NS6detail17trampoline_kernelINS0_14default_configENS1_25partition_config_selectorILNS1_17partition_subalgoE9EyjbEEZZNS1_14partition_implILS5_9ELb0ES3_jN6thrust23THRUST_200600_302600_NS6detail15normal_iteratorINS9_10device_ptrIyEEEENSB_INSC_IjEEEEPNS0_10empty_typeENS0_5tupleIJSE_SH_EEENSJ_IJNS9_16discard_iteratorINS9_11use_defaultEEESI_EEENS0_18inequality_wrapperINS9_8equal_toIyEEEEPmJSH_EEE10hipError_tPvRmT3_T4_T5_T6_T7_T9_mT8_P12ihipStream_tbDpT10_ENKUlT_T0_E_clISt17integral_constantIbLb0EES1C_IbLb1EEEEDaS18_S19_EUlS18_E_NS1_11comp_targetILNS1_3genE4ELNS1_11target_archE910ELNS1_3gpuE8ELNS1_3repE0EEENS1_30default_config_static_selectorELNS0_4arch9wavefront6targetE0EEEvT1_.kd
    .uniform_work_group_size: 1
    .uses_dynamic_stack: false
    .vgpr_count:     0
    .vgpr_spill_count: 0
    .wavefront_size: 32
    .workgroup_processor_mode: 1
  - .args:
      - .offset:         0
        .size:           136
        .value_kind:     by_value
    .group_segment_fixed_size: 0
    .kernarg_segment_align: 8
    .kernarg_segment_size: 136
    .language:       OpenCL C
    .language_version:
      - 2
      - 0
    .max_flat_workgroup_size: 128
    .name:           _ZN7rocprim17ROCPRIM_400000_NS6detail17trampoline_kernelINS0_14default_configENS1_25partition_config_selectorILNS1_17partition_subalgoE9EyjbEEZZNS1_14partition_implILS5_9ELb0ES3_jN6thrust23THRUST_200600_302600_NS6detail15normal_iteratorINS9_10device_ptrIyEEEENSB_INSC_IjEEEEPNS0_10empty_typeENS0_5tupleIJSE_SH_EEENSJ_IJNS9_16discard_iteratorINS9_11use_defaultEEESI_EEENS0_18inequality_wrapperINS9_8equal_toIyEEEEPmJSH_EEE10hipError_tPvRmT3_T4_T5_T6_T7_T9_mT8_P12ihipStream_tbDpT10_ENKUlT_T0_E_clISt17integral_constantIbLb0EES1C_IbLb1EEEEDaS18_S19_EUlS18_E_NS1_11comp_targetILNS1_3genE3ELNS1_11target_archE908ELNS1_3gpuE7ELNS1_3repE0EEENS1_30default_config_static_selectorELNS0_4arch9wavefront6targetE0EEEvT1_
    .private_segment_fixed_size: 0
    .sgpr_count:     0
    .sgpr_spill_count: 0
    .symbol:         _ZN7rocprim17ROCPRIM_400000_NS6detail17trampoline_kernelINS0_14default_configENS1_25partition_config_selectorILNS1_17partition_subalgoE9EyjbEEZZNS1_14partition_implILS5_9ELb0ES3_jN6thrust23THRUST_200600_302600_NS6detail15normal_iteratorINS9_10device_ptrIyEEEENSB_INSC_IjEEEEPNS0_10empty_typeENS0_5tupleIJSE_SH_EEENSJ_IJNS9_16discard_iteratorINS9_11use_defaultEEESI_EEENS0_18inequality_wrapperINS9_8equal_toIyEEEEPmJSH_EEE10hipError_tPvRmT3_T4_T5_T6_T7_T9_mT8_P12ihipStream_tbDpT10_ENKUlT_T0_E_clISt17integral_constantIbLb0EES1C_IbLb1EEEEDaS18_S19_EUlS18_E_NS1_11comp_targetILNS1_3genE3ELNS1_11target_archE908ELNS1_3gpuE7ELNS1_3repE0EEENS1_30default_config_static_selectorELNS0_4arch9wavefront6targetE0EEEvT1_.kd
    .uniform_work_group_size: 1
    .uses_dynamic_stack: false
    .vgpr_count:     0
    .vgpr_spill_count: 0
    .wavefront_size: 32
    .workgroup_processor_mode: 1
  - .args:
      - .offset:         0
        .size:           136
        .value_kind:     by_value
    .group_segment_fixed_size: 0
    .kernarg_segment_align: 8
    .kernarg_segment_size: 136
    .language:       OpenCL C
    .language_version:
      - 2
      - 0
    .max_flat_workgroup_size: 256
    .name:           _ZN7rocprim17ROCPRIM_400000_NS6detail17trampoline_kernelINS0_14default_configENS1_25partition_config_selectorILNS1_17partition_subalgoE9EyjbEEZZNS1_14partition_implILS5_9ELb0ES3_jN6thrust23THRUST_200600_302600_NS6detail15normal_iteratorINS9_10device_ptrIyEEEENSB_INSC_IjEEEEPNS0_10empty_typeENS0_5tupleIJSE_SH_EEENSJ_IJNS9_16discard_iteratorINS9_11use_defaultEEESI_EEENS0_18inequality_wrapperINS9_8equal_toIyEEEEPmJSH_EEE10hipError_tPvRmT3_T4_T5_T6_T7_T9_mT8_P12ihipStream_tbDpT10_ENKUlT_T0_E_clISt17integral_constantIbLb0EES1C_IbLb1EEEEDaS18_S19_EUlS18_E_NS1_11comp_targetILNS1_3genE2ELNS1_11target_archE906ELNS1_3gpuE6ELNS1_3repE0EEENS1_30default_config_static_selectorELNS0_4arch9wavefront6targetE0EEEvT1_
    .private_segment_fixed_size: 0
    .sgpr_count:     0
    .sgpr_spill_count: 0
    .symbol:         _ZN7rocprim17ROCPRIM_400000_NS6detail17trampoline_kernelINS0_14default_configENS1_25partition_config_selectorILNS1_17partition_subalgoE9EyjbEEZZNS1_14partition_implILS5_9ELb0ES3_jN6thrust23THRUST_200600_302600_NS6detail15normal_iteratorINS9_10device_ptrIyEEEENSB_INSC_IjEEEEPNS0_10empty_typeENS0_5tupleIJSE_SH_EEENSJ_IJNS9_16discard_iteratorINS9_11use_defaultEEESI_EEENS0_18inequality_wrapperINS9_8equal_toIyEEEEPmJSH_EEE10hipError_tPvRmT3_T4_T5_T6_T7_T9_mT8_P12ihipStream_tbDpT10_ENKUlT_T0_E_clISt17integral_constantIbLb0EES1C_IbLb1EEEEDaS18_S19_EUlS18_E_NS1_11comp_targetILNS1_3genE2ELNS1_11target_archE906ELNS1_3gpuE6ELNS1_3repE0EEENS1_30default_config_static_selectorELNS0_4arch9wavefront6targetE0EEEvT1_.kd
    .uniform_work_group_size: 1
    .uses_dynamic_stack: false
    .vgpr_count:     0
    .vgpr_spill_count: 0
    .wavefront_size: 32
    .workgroup_processor_mode: 1
  - .args:
      - .offset:         0
        .size:           136
        .value_kind:     by_value
    .group_segment_fixed_size: 0
    .kernarg_segment_align: 8
    .kernarg_segment_size: 136
    .language:       OpenCL C
    .language_version:
      - 2
      - 0
    .max_flat_workgroup_size: 384
    .name:           _ZN7rocprim17ROCPRIM_400000_NS6detail17trampoline_kernelINS0_14default_configENS1_25partition_config_selectorILNS1_17partition_subalgoE9EyjbEEZZNS1_14partition_implILS5_9ELb0ES3_jN6thrust23THRUST_200600_302600_NS6detail15normal_iteratorINS9_10device_ptrIyEEEENSB_INSC_IjEEEEPNS0_10empty_typeENS0_5tupleIJSE_SH_EEENSJ_IJNS9_16discard_iteratorINS9_11use_defaultEEESI_EEENS0_18inequality_wrapperINS9_8equal_toIyEEEEPmJSH_EEE10hipError_tPvRmT3_T4_T5_T6_T7_T9_mT8_P12ihipStream_tbDpT10_ENKUlT_T0_E_clISt17integral_constantIbLb0EES1C_IbLb1EEEEDaS18_S19_EUlS18_E_NS1_11comp_targetILNS1_3genE10ELNS1_11target_archE1200ELNS1_3gpuE4ELNS1_3repE0EEENS1_30default_config_static_selectorELNS0_4arch9wavefront6targetE0EEEvT1_
    .private_segment_fixed_size: 0
    .sgpr_count:     0
    .sgpr_spill_count: 0
    .symbol:         _ZN7rocprim17ROCPRIM_400000_NS6detail17trampoline_kernelINS0_14default_configENS1_25partition_config_selectorILNS1_17partition_subalgoE9EyjbEEZZNS1_14partition_implILS5_9ELb0ES3_jN6thrust23THRUST_200600_302600_NS6detail15normal_iteratorINS9_10device_ptrIyEEEENSB_INSC_IjEEEEPNS0_10empty_typeENS0_5tupleIJSE_SH_EEENSJ_IJNS9_16discard_iteratorINS9_11use_defaultEEESI_EEENS0_18inequality_wrapperINS9_8equal_toIyEEEEPmJSH_EEE10hipError_tPvRmT3_T4_T5_T6_T7_T9_mT8_P12ihipStream_tbDpT10_ENKUlT_T0_E_clISt17integral_constantIbLb0EES1C_IbLb1EEEEDaS18_S19_EUlS18_E_NS1_11comp_targetILNS1_3genE10ELNS1_11target_archE1200ELNS1_3gpuE4ELNS1_3repE0EEENS1_30default_config_static_selectorELNS0_4arch9wavefront6targetE0EEEvT1_.kd
    .uniform_work_group_size: 1
    .uses_dynamic_stack: false
    .vgpr_count:     0
    .vgpr_spill_count: 0
    .wavefront_size: 32
    .workgroup_processor_mode: 1
  - .args:
      - .offset:         0
        .size:           136
        .value_kind:     by_value
    .group_segment_fixed_size: 33800
    .kernarg_segment_align: 8
    .kernarg_segment_size: 136
    .language:       OpenCL C
    .language_version:
      - 2
      - 0
    .max_flat_workgroup_size: 512
    .name:           _ZN7rocprim17ROCPRIM_400000_NS6detail17trampoline_kernelINS0_14default_configENS1_25partition_config_selectorILNS1_17partition_subalgoE9EyjbEEZZNS1_14partition_implILS5_9ELb0ES3_jN6thrust23THRUST_200600_302600_NS6detail15normal_iteratorINS9_10device_ptrIyEEEENSB_INSC_IjEEEEPNS0_10empty_typeENS0_5tupleIJSE_SH_EEENSJ_IJNS9_16discard_iteratorINS9_11use_defaultEEESI_EEENS0_18inequality_wrapperINS9_8equal_toIyEEEEPmJSH_EEE10hipError_tPvRmT3_T4_T5_T6_T7_T9_mT8_P12ihipStream_tbDpT10_ENKUlT_T0_E_clISt17integral_constantIbLb0EES1C_IbLb1EEEEDaS18_S19_EUlS18_E_NS1_11comp_targetILNS1_3genE9ELNS1_11target_archE1100ELNS1_3gpuE3ELNS1_3repE0EEENS1_30default_config_static_selectorELNS0_4arch9wavefront6targetE0EEEvT1_
    .private_segment_fixed_size: 0
    .sgpr_count:     28
    .sgpr_spill_count: 0
    .symbol:         _ZN7rocprim17ROCPRIM_400000_NS6detail17trampoline_kernelINS0_14default_configENS1_25partition_config_selectorILNS1_17partition_subalgoE9EyjbEEZZNS1_14partition_implILS5_9ELb0ES3_jN6thrust23THRUST_200600_302600_NS6detail15normal_iteratorINS9_10device_ptrIyEEEENSB_INSC_IjEEEEPNS0_10empty_typeENS0_5tupleIJSE_SH_EEENSJ_IJNS9_16discard_iteratorINS9_11use_defaultEEESI_EEENS0_18inequality_wrapperINS9_8equal_toIyEEEEPmJSH_EEE10hipError_tPvRmT3_T4_T5_T6_T7_T9_mT8_P12ihipStream_tbDpT10_ENKUlT_T0_E_clISt17integral_constantIbLb0EES1C_IbLb1EEEEDaS18_S19_EUlS18_E_NS1_11comp_targetILNS1_3genE9ELNS1_11target_archE1100ELNS1_3gpuE3ELNS1_3repE0EEENS1_30default_config_static_selectorELNS0_4arch9wavefront6targetE0EEEvT1_.kd
    .uniform_work_group_size: 1
    .uses_dynamic_stack: false
    .vgpr_count:     62
    .vgpr_spill_count: 0
    .wavefront_size: 32
    .workgroup_processor_mode: 1
  - .args:
      - .offset:         0
        .size:           136
        .value_kind:     by_value
    .group_segment_fixed_size: 0
    .kernarg_segment_align: 8
    .kernarg_segment_size: 136
    .language:       OpenCL C
    .language_version:
      - 2
      - 0
    .max_flat_workgroup_size: 512
    .name:           _ZN7rocprim17ROCPRIM_400000_NS6detail17trampoline_kernelINS0_14default_configENS1_25partition_config_selectorILNS1_17partition_subalgoE9EyjbEEZZNS1_14partition_implILS5_9ELb0ES3_jN6thrust23THRUST_200600_302600_NS6detail15normal_iteratorINS9_10device_ptrIyEEEENSB_INSC_IjEEEEPNS0_10empty_typeENS0_5tupleIJSE_SH_EEENSJ_IJNS9_16discard_iteratorINS9_11use_defaultEEESI_EEENS0_18inequality_wrapperINS9_8equal_toIyEEEEPmJSH_EEE10hipError_tPvRmT3_T4_T5_T6_T7_T9_mT8_P12ihipStream_tbDpT10_ENKUlT_T0_E_clISt17integral_constantIbLb0EES1C_IbLb1EEEEDaS18_S19_EUlS18_E_NS1_11comp_targetILNS1_3genE8ELNS1_11target_archE1030ELNS1_3gpuE2ELNS1_3repE0EEENS1_30default_config_static_selectorELNS0_4arch9wavefront6targetE0EEEvT1_
    .private_segment_fixed_size: 0
    .sgpr_count:     0
    .sgpr_spill_count: 0
    .symbol:         _ZN7rocprim17ROCPRIM_400000_NS6detail17trampoline_kernelINS0_14default_configENS1_25partition_config_selectorILNS1_17partition_subalgoE9EyjbEEZZNS1_14partition_implILS5_9ELb0ES3_jN6thrust23THRUST_200600_302600_NS6detail15normal_iteratorINS9_10device_ptrIyEEEENSB_INSC_IjEEEEPNS0_10empty_typeENS0_5tupleIJSE_SH_EEENSJ_IJNS9_16discard_iteratorINS9_11use_defaultEEESI_EEENS0_18inequality_wrapperINS9_8equal_toIyEEEEPmJSH_EEE10hipError_tPvRmT3_T4_T5_T6_T7_T9_mT8_P12ihipStream_tbDpT10_ENKUlT_T0_E_clISt17integral_constantIbLb0EES1C_IbLb1EEEEDaS18_S19_EUlS18_E_NS1_11comp_targetILNS1_3genE8ELNS1_11target_archE1030ELNS1_3gpuE2ELNS1_3repE0EEENS1_30default_config_static_selectorELNS0_4arch9wavefront6targetE0EEEvT1_.kd
    .uniform_work_group_size: 1
    .uses_dynamic_stack: false
    .vgpr_count:     0
    .vgpr_spill_count: 0
    .wavefront_size: 32
    .workgroup_processor_mode: 1
  - .args:
      - .offset:         0
        .size:           120
        .value_kind:     by_value
    .group_segment_fixed_size: 0
    .kernarg_segment_align: 8
    .kernarg_segment_size: 120
    .language:       OpenCL C
    .language_version:
      - 2
      - 0
    .max_flat_workgroup_size: 128
    .name:           _ZN7rocprim17ROCPRIM_400000_NS6detail17trampoline_kernelINS0_14default_configENS1_25partition_config_selectorILNS1_17partition_subalgoE9EyjbEEZZNS1_14partition_implILS5_9ELb0ES3_jN6thrust23THRUST_200600_302600_NS6detail15normal_iteratorINS9_10device_ptrIyEEEENSB_INSC_IjEEEEPNS0_10empty_typeENS0_5tupleIJNS9_16discard_iteratorINS9_11use_defaultEEESH_EEENSJ_IJSG_SI_EEENS0_18inequality_wrapperINS9_8equal_toIyEEEEPmJSH_EEE10hipError_tPvRmT3_T4_T5_T6_T7_T9_mT8_P12ihipStream_tbDpT10_ENKUlT_T0_E_clISt17integral_constantIbLb0EES1D_EEDaS18_S19_EUlS18_E_NS1_11comp_targetILNS1_3genE0ELNS1_11target_archE4294967295ELNS1_3gpuE0ELNS1_3repE0EEENS1_30default_config_static_selectorELNS0_4arch9wavefront6targetE0EEEvT1_
    .private_segment_fixed_size: 0
    .sgpr_count:     0
    .sgpr_spill_count: 0
    .symbol:         _ZN7rocprim17ROCPRIM_400000_NS6detail17trampoline_kernelINS0_14default_configENS1_25partition_config_selectorILNS1_17partition_subalgoE9EyjbEEZZNS1_14partition_implILS5_9ELb0ES3_jN6thrust23THRUST_200600_302600_NS6detail15normal_iteratorINS9_10device_ptrIyEEEENSB_INSC_IjEEEEPNS0_10empty_typeENS0_5tupleIJNS9_16discard_iteratorINS9_11use_defaultEEESH_EEENSJ_IJSG_SI_EEENS0_18inequality_wrapperINS9_8equal_toIyEEEEPmJSH_EEE10hipError_tPvRmT3_T4_T5_T6_T7_T9_mT8_P12ihipStream_tbDpT10_ENKUlT_T0_E_clISt17integral_constantIbLb0EES1D_EEDaS18_S19_EUlS18_E_NS1_11comp_targetILNS1_3genE0ELNS1_11target_archE4294967295ELNS1_3gpuE0ELNS1_3repE0EEENS1_30default_config_static_selectorELNS0_4arch9wavefront6targetE0EEEvT1_.kd
    .uniform_work_group_size: 1
    .uses_dynamic_stack: false
    .vgpr_count:     0
    .vgpr_spill_count: 0
    .wavefront_size: 32
    .workgroup_processor_mode: 1
  - .args:
      - .offset:         0
        .size:           120
        .value_kind:     by_value
    .group_segment_fixed_size: 0
    .kernarg_segment_align: 8
    .kernarg_segment_size: 120
    .language:       OpenCL C
    .language_version:
      - 2
      - 0
    .max_flat_workgroup_size: 512
    .name:           _ZN7rocprim17ROCPRIM_400000_NS6detail17trampoline_kernelINS0_14default_configENS1_25partition_config_selectorILNS1_17partition_subalgoE9EyjbEEZZNS1_14partition_implILS5_9ELb0ES3_jN6thrust23THRUST_200600_302600_NS6detail15normal_iteratorINS9_10device_ptrIyEEEENSB_INSC_IjEEEEPNS0_10empty_typeENS0_5tupleIJNS9_16discard_iteratorINS9_11use_defaultEEESH_EEENSJ_IJSG_SI_EEENS0_18inequality_wrapperINS9_8equal_toIyEEEEPmJSH_EEE10hipError_tPvRmT3_T4_T5_T6_T7_T9_mT8_P12ihipStream_tbDpT10_ENKUlT_T0_E_clISt17integral_constantIbLb0EES1D_EEDaS18_S19_EUlS18_E_NS1_11comp_targetILNS1_3genE5ELNS1_11target_archE942ELNS1_3gpuE9ELNS1_3repE0EEENS1_30default_config_static_selectorELNS0_4arch9wavefront6targetE0EEEvT1_
    .private_segment_fixed_size: 0
    .sgpr_count:     0
    .sgpr_spill_count: 0
    .symbol:         _ZN7rocprim17ROCPRIM_400000_NS6detail17trampoline_kernelINS0_14default_configENS1_25partition_config_selectorILNS1_17partition_subalgoE9EyjbEEZZNS1_14partition_implILS5_9ELb0ES3_jN6thrust23THRUST_200600_302600_NS6detail15normal_iteratorINS9_10device_ptrIyEEEENSB_INSC_IjEEEEPNS0_10empty_typeENS0_5tupleIJNS9_16discard_iteratorINS9_11use_defaultEEESH_EEENSJ_IJSG_SI_EEENS0_18inequality_wrapperINS9_8equal_toIyEEEEPmJSH_EEE10hipError_tPvRmT3_T4_T5_T6_T7_T9_mT8_P12ihipStream_tbDpT10_ENKUlT_T0_E_clISt17integral_constantIbLb0EES1D_EEDaS18_S19_EUlS18_E_NS1_11comp_targetILNS1_3genE5ELNS1_11target_archE942ELNS1_3gpuE9ELNS1_3repE0EEENS1_30default_config_static_selectorELNS0_4arch9wavefront6targetE0EEEvT1_.kd
    .uniform_work_group_size: 1
    .uses_dynamic_stack: false
    .vgpr_count:     0
    .vgpr_spill_count: 0
    .wavefront_size: 32
    .workgroup_processor_mode: 1
  - .args:
      - .offset:         0
        .size:           120
        .value_kind:     by_value
    .group_segment_fixed_size: 0
    .kernarg_segment_align: 8
    .kernarg_segment_size: 120
    .language:       OpenCL C
    .language_version:
      - 2
      - 0
    .max_flat_workgroup_size: 192
    .name:           _ZN7rocprim17ROCPRIM_400000_NS6detail17trampoline_kernelINS0_14default_configENS1_25partition_config_selectorILNS1_17partition_subalgoE9EyjbEEZZNS1_14partition_implILS5_9ELb0ES3_jN6thrust23THRUST_200600_302600_NS6detail15normal_iteratorINS9_10device_ptrIyEEEENSB_INSC_IjEEEEPNS0_10empty_typeENS0_5tupleIJNS9_16discard_iteratorINS9_11use_defaultEEESH_EEENSJ_IJSG_SI_EEENS0_18inequality_wrapperINS9_8equal_toIyEEEEPmJSH_EEE10hipError_tPvRmT3_T4_T5_T6_T7_T9_mT8_P12ihipStream_tbDpT10_ENKUlT_T0_E_clISt17integral_constantIbLb0EES1D_EEDaS18_S19_EUlS18_E_NS1_11comp_targetILNS1_3genE4ELNS1_11target_archE910ELNS1_3gpuE8ELNS1_3repE0EEENS1_30default_config_static_selectorELNS0_4arch9wavefront6targetE0EEEvT1_
    .private_segment_fixed_size: 0
    .sgpr_count:     0
    .sgpr_spill_count: 0
    .symbol:         _ZN7rocprim17ROCPRIM_400000_NS6detail17trampoline_kernelINS0_14default_configENS1_25partition_config_selectorILNS1_17partition_subalgoE9EyjbEEZZNS1_14partition_implILS5_9ELb0ES3_jN6thrust23THRUST_200600_302600_NS6detail15normal_iteratorINS9_10device_ptrIyEEEENSB_INSC_IjEEEEPNS0_10empty_typeENS0_5tupleIJNS9_16discard_iteratorINS9_11use_defaultEEESH_EEENSJ_IJSG_SI_EEENS0_18inequality_wrapperINS9_8equal_toIyEEEEPmJSH_EEE10hipError_tPvRmT3_T4_T5_T6_T7_T9_mT8_P12ihipStream_tbDpT10_ENKUlT_T0_E_clISt17integral_constantIbLb0EES1D_EEDaS18_S19_EUlS18_E_NS1_11comp_targetILNS1_3genE4ELNS1_11target_archE910ELNS1_3gpuE8ELNS1_3repE0EEENS1_30default_config_static_selectorELNS0_4arch9wavefront6targetE0EEEvT1_.kd
    .uniform_work_group_size: 1
    .uses_dynamic_stack: false
    .vgpr_count:     0
    .vgpr_spill_count: 0
    .wavefront_size: 32
    .workgroup_processor_mode: 1
  - .args:
      - .offset:         0
        .size:           120
        .value_kind:     by_value
    .group_segment_fixed_size: 0
    .kernarg_segment_align: 8
    .kernarg_segment_size: 120
    .language:       OpenCL C
    .language_version:
      - 2
      - 0
    .max_flat_workgroup_size: 128
    .name:           _ZN7rocprim17ROCPRIM_400000_NS6detail17trampoline_kernelINS0_14default_configENS1_25partition_config_selectorILNS1_17partition_subalgoE9EyjbEEZZNS1_14partition_implILS5_9ELb0ES3_jN6thrust23THRUST_200600_302600_NS6detail15normal_iteratorINS9_10device_ptrIyEEEENSB_INSC_IjEEEEPNS0_10empty_typeENS0_5tupleIJNS9_16discard_iteratorINS9_11use_defaultEEESH_EEENSJ_IJSG_SI_EEENS0_18inequality_wrapperINS9_8equal_toIyEEEEPmJSH_EEE10hipError_tPvRmT3_T4_T5_T6_T7_T9_mT8_P12ihipStream_tbDpT10_ENKUlT_T0_E_clISt17integral_constantIbLb0EES1D_EEDaS18_S19_EUlS18_E_NS1_11comp_targetILNS1_3genE3ELNS1_11target_archE908ELNS1_3gpuE7ELNS1_3repE0EEENS1_30default_config_static_selectorELNS0_4arch9wavefront6targetE0EEEvT1_
    .private_segment_fixed_size: 0
    .sgpr_count:     0
    .sgpr_spill_count: 0
    .symbol:         _ZN7rocprim17ROCPRIM_400000_NS6detail17trampoline_kernelINS0_14default_configENS1_25partition_config_selectorILNS1_17partition_subalgoE9EyjbEEZZNS1_14partition_implILS5_9ELb0ES3_jN6thrust23THRUST_200600_302600_NS6detail15normal_iteratorINS9_10device_ptrIyEEEENSB_INSC_IjEEEEPNS0_10empty_typeENS0_5tupleIJNS9_16discard_iteratorINS9_11use_defaultEEESH_EEENSJ_IJSG_SI_EEENS0_18inequality_wrapperINS9_8equal_toIyEEEEPmJSH_EEE10hipError_tPvRmT3_T4_T5_T6_T7_T9_mT8_P12ihipStream_tbDpT10_ENKUlT_T0_E_clISt17integral_constantIbLb0EES1D_EEDaS18_S19_EUlS18_E_NS1_11comp_targetILNS1_3genE3ELNS1_11target_archE908ELNS1_3gpuE7ELNS1_3repE0EEENS1_30default_config_static_selectorELNS0_4arch9wavefront6targetE0EEEvT1_.kd
    .uniform_work_group_size: 1
    .uses_dynamic_stack: false
    .vgpr_count:     0
    .vgpr_spill_count: 0
    .wavefront_size: 32
    .workgroup_processor_mode: 1
  - .args:
      - .offset:         0
        .size:           120
        .value_kind:     by_value
    .group_segment_fixed_size: 0
    .kernarg_segment_align: 8
    .kernarg_segment_size: 120
    .language:       OpenCL C
    .language_version:
      - 2
      - 0
    .max_flat_workgroup_size: 256
    .name:           _ZN7rocprim17ROCPRIM_400000_NS6detail17trampoline_kernelINS0_14default_configENS1_25partition_config_selectorILNS1_17partition_subalgoE9EyjbEEZZNS1_14partition_implILS5_9ELb0ES3_jN6thrust23THRUST_200600_302600_NS6detail15normal_iteratorINS9_10device_ptrIyEEEENSB_INSC_IjEEEEPNS0_10empty_typeENS0_5tupleIJNS9_16discard_iteratorINS9_11use_defaultEEESH_EEENSJ_IJSG_SI_EEENS0_18inequality_wrapperINS9_8equal_toIyEEEEPmJSH_EEE10hipError_tPvRmT3_T4_T5_T6_T7_T9_mT8_P12ihipStream_tbDpT10_ENKUlT_T0_E_clISt17integral_constantIbLb0EES1D_EEDaS18_S19_EUlS18_E_NS1_11comp_targetILNS1_3genE2ELNS1_11target_archE906ELNS1_3gpuE6ELNS1_3repE0EEENS1_30default_config_static_selectorELNS0_4arch9wavefront6targetE0EEEvT1_
    .private_segment_fixed_size: 0
    .sgpr_count:     0
    .sgpr_spill_count: 0
    .symbol:         _ZN7rocprim17ROCPRIM_400000_NS6detail17trampoline_kernelINS0_14default_configENS1_25partition_config_selectorILNS1_17partition_subalgoE9EyjbEEZZNS1_14partition_implILS5_9ELb0ES3_jN6thrust23THRUST_200600_302600_NS6detail15normal_iteratorINS9_10device_ptrIyEEEENSB_INSC_IjEEEEPNS0_10empty_typeENS0_5tupleIJNS9_16discard_iteratorINS9_11use_defaultEEESH_EEENSJ_IJSG_SI_EEENS0_18inequality_wrapperINS9_8equal_toIyEEEEPmJSH_EEE10hipError_tPvRmT3_T4_T5_T6_T7_T9_mT8_P12ihipStream_tbDpT10_ENKUlT_T0_E_clISt17integral_constantIbLb0EES1D_EEDaS18_S19_EUlS18_E_NS1_11comp_targetILNS1_3genE2ELNS1_11target_archE906ELNS1_3gpuE6ELNS1_3repE0EEENS1_30default_config_static_selectorELNS0_4arch9wavefront6targetE0EEEvT1_.kd
    .uniform_work_group_size: 1
    .uses_dynamic_stack: false
    .vgpr_count:     0
    .vgpr_spill_count: 0
    .wavefront_size: 32
    .workgroup_processor_mode: 1
  - .args:
      - .offset:         0
        .size:           120
        .value_kind:     by_value
    .group_segment_fixed_size: 0
    .kernarg_segment_align: 8
    .kernarg_segment_size: 120
    .language:       OpenCL C
    .language_version:
      - 2
      - 0
    .max_flat_workgroup_size: 384
    .name:           _ZN7rocprim17ROCPRIM_400000_NS6detail17trampoline_kernelINS0_14default_configENS1_25partition_config_selectorILNS1_17partition_subalgoE9EyjbEEZZNS1_14partition_implILS5_9ELb0ES3_jN6thrust23THRUST_200600_302600_NS6detail15normal_iteratorINS9_10device_ptrIyEEEENSB_INSC_IjEEEEPNS0_10empty_typeENS0_5tupleIJNS9_16discard_iteratorINS9_11use_defaultEEESH_EEENSJ_IJSG_SI_EEENS0_18inequality_wrapperINS9_8equal_toIyEEEEPmJSH_EEE10hipError_tPvRmT3_T4_T5_T6_T7_T9_mT8_P12ihipStream_tbDpT10_ENKUlT_T0_E_clISt17integral_constantIbLb0EES1D_EEDaS18_S19_EUlS18_E_NS1_11comp_targetILNS1_3genE10ELNS1_11target_archE1200ELNS1_3gpuE4ELNS1_3repE0EEENS1_30default_config_static_selectorELNS0_4arch9wavefront6targetE0EEEvT1_
    .private_segment_fixed_size: 0
    .sgpr_count:     0
    .sgpr_spill_count: 0
    .symbol:         _ZN7rocprim17ROCPRIM_400000_NS6detail17trampoline_kernelINS0_14default_configENS1_25partition_config_selectorILNS1_17partition_subalgoE9EyjbEEZZNS1_14partition_implILS5_9ELb0ES3_jN6thrust23THRUST_200600_302600_NS6detail15normal_iteratorINS9_10device_ptrIyEEEENSB_INSC_IjEEEEPNS0_10empty_typeENS0_5tupleIJNS9_16discard_iteratorINS9_11use_defaultEEESH_EEENSJ_IJSG_SI_EEENS0_18inequality_wrapperINS9_8equal_toIyEEEEPmJSH_EEE10hipError_tPvRmT3_T4_T5_T6_T7_T9_mT8_P12ihipStream_tbDpT10_ENKUlT_T0_E_clISt17integral_constantIbLb0EES1D_EEDaS18_S19_EUlS18_E_NS1_11comp_targetILNS1_3genE10ELNS1_11target_archE1200ELNS1_3gpuE4ELNS1_3repE0EEENS1_30default_config_static_selectorELNS0_4arch9wavefront6targetE0EEEvT1_.kd
    .uniform_work_group_size: 1
    .uses_dynamic_stack: false
    .vgpr_count:     0
    .vgpr_spill_count: 0
    .wavefront_size: 32
    .workgroup_processor_mode: 1
  - .args:
      - .offset:         0
        .size:           120
        .value_kind:     by_value
    .group_segment_fixed_size: 33800
    .kernarg_segment_align: 8
    .kernarg_segment_size: 120
    .language:       OpenCL C
    .language_version:
      - 2
      - 0
    .max_flat_workgroup_size: 512
    .name:           _ZN7rocprim17ROCPRIM_400000_NS6detail17trampoline_kernelINS0_14default_configENS1_25partition_config_selectorILNS1_17partition_subalgoE9EyjbEEZZNS1_14partition_implILS5_9ELb0ES3_jN6thrust23THRUST_200600_302600_NS6detail15normal_iteratorINS9_10device_ptrIyEEEENSB_INSC_IjEEEEPNS0_10empty_typeENS0_5tupleIJNS9_16discard_iteratorINS9_11use_defaultEEESH_EEENSJ_IJSG_SI_EEENS0_18inequality_wrapperINS9_8equal_toIyEEEEPmJSH_EEE10hipError_tPvRmT3_T4_T5_T6_T7_T9_mT8_P12ihipStream_tbDpT10_ENKUlT_T0_E_clISt17integral_constantIbLb0EES1D_EEDaS18_S19_EUlS18_E_NS1_11comp_targetILNS1_3genE9ELNS1_11target_archE1100ELNS1_3gpuE3ELNS1_3repE0EEENS1_30default_config_static_selectorELNS0_4arch9wavefront6targetE0EEEvT1_
    .private_segment_fixed_size: 0
    .sgpr_count:     26
    .sgpr_spill_count: 0
    .symbol:         _ZN7rocprim17ROCPRIM_400000_NS6detail17trampoline_kernelINS0_14default_configENS1_25partition_config_selectorILNS1_17partition_subalgoE9EyjbEEZZNS1_14partition_implILS5_9ELb0ES3_jN6thrust23THRUST_200600_302600_NS6detail15normal_iteratorINS9_10device_ptrIyEEEENSB_INSC_IjEEEEPNS0_10empty_typeENS0_5tupleIJNS9_16discard_iteratorINS9_11use_defaultEEESH_EEENSJ_IJSG_SI_EEENS0_18inequality_wrapperINS9_8equal_toIyEEEEPmJSH_EEE10hipError_tPvRmT3_T4_T5_T6_T7_T9_mT8_P12ihipStream_tbDpT10_ENKUlT_T0_E_clISt17integral_constantIbLb0EES1D_EEDaS18_S19_EUlS18_E_NS1_11comp_targetILNS1_3genE9ELNS1_11target_archE1100ELNS1_3gpuE3ELNS1_3repE0EEENS1_30default_config_static_selectorELNS0_4arch9wavefront6targetE0EEEvT1_.kd
    .uniform_work_group_size: 1
    .uses_dynamic_stack: false
    .vgpr_count:     59
    .vgpr_spill_count: 0
    .wavefront_size: 32
    .workgroup_processor_mode: 1
  - .args:
      - .offset:         0
        .size:           120
        .value_kind:     by_value
    .group_segment_fixed_size: 0
    .kernarg_segment_align: 8
    .kernarg_segment_size: 120
    .language:       OpenCL C
    .language_version:
      - 2
      - 0
    .max_flat_workgroup_size: 512
    .name:           _ZN7rocprim17ROCPRIM_400000_NS6detail17trampoline_kernelINS0_14default_configENS1_25partition_config_selectorILNS1_17partition_subalgoE9EyjbEEZZNS1_14partition_implILS5_9ELb0ES3_jN6thrust23THRUST_200600_302600_NS6detail15normal_iteratorINS9_10device_ptrIyEEEENSB_INSC_IjEEEEPNS0_10empty_typeENS0_5tupleIJNS9_16discard_iteratorINS9_11use_defaultEEESH_EEENSJ_IJSG_SI_EEENS0_18inequality_wrapperINS9_8equal_toIyEEEEPmJSH_EEE10hipError_tPvRmT3_T4_T5_T6_T7_T9_mT8_P12ihipStream_tbDpT10_ENKUlT_T0_E_clISt17integral_constantIbLb0EES1D_EEDaS18_S19_EUlS18_E_NS1_11comp_targetILNS1_3genE8ELNS1_11target_archE1030ELNS1_3gpuE2ELNS1_3repE0EEENS1_30default_config_static_selectorELNS0_4arch9wavefront6targetE0EEEvT1_
    .private_segment_fixed_size: 0
    .sgpr_count:     0
    .sgpr_spill_count: 0
    .symbol:         _ZN7rocprim17ROCPRIM_400000_NS6detail17trampoline_kernelINS0_14default_configENS1_25partition_config_selectorILNS1_17partition_subalgoE9EyjbEEZZNS1_14partition_implILS5_9ELb0ES3_jN6thrust23THRUST_200600_302600_NS6detail15normal_iteratorINS9_10device_ptrIyEEEENSB_INSC_IjEEEEPNS0_10empty_typeENS0_5tupleIJNS9_16discard_iteratorINS9_11use_defaultEEESH_EEENSJ_IJSG_SI_EEENS0_18inequality_wrapperINS9_8equal_toIyEEEEPmJSH_EEE10hipError_tPvRmT3_T4_T5_T6_T7_T9_mT8_P12ihipStream_tbDpT10_ENKUlT_T0_E_clISt17integral_constantIbLb0EES1D_EEDaS18_S19_EUlS18_E_NS1_11comp_targetILNS1_3genE8ELNS1_11target_archE1030ELNS1_3gpuE2ELNS1_3repE0EEENS1_30default_config_static_selectorELNS0_4arch9wavefront6targetE0EEEvT1_.kd
    .uniform_work_group_size: 1
    .uses_dynamic_stack: false
    .vgpr_count:     0
    .vgpr_spill_count: 0
    .wavefront_size: 32
    .workgroup_processor_mode: 1
  - .args:
      - .offset:         0
        .size:           136
        .value_kind:     by_value
    .group_segment_fixed_size: 0
    .kernarg_segment_align: 8
    .kernarg_segment_size: 136
    .language:       OpenCL C
    .language_version:
      - 2
      - 0
    .max_flat_workgroup_size: 128
    .name:           _ZN7rocprim17ROCPRIM_400000_NS6detail17trampoline_kernelINS0_14default_configENS1_25partition_config_selectorILNS1_17partition_subalgoE9EyjbEEZZNS1_14partition_implILS5_9ELb0ES3_jN6thrust23THRUST_200600_302600_NS6detail15normal_iteratorINS9_10device_ptrIyEEEENSB_INSC_IjEEEEPNS0_10empty_typeENS0_5tupleIJNS9_16discard_iteratorINS9_11use_defaultEEESH_EEENSJ_IJSG_SI_EEENS0_18inequality_wrapperINS9_8equal_toIyEEEEPmJSH_EEE10hipError_tPvRmT3_T4_T5_T6_T7_T9_mT8_P12ihipStream_tbDpT10_ENKUlT_T0_E_clISt17integral_constantIbLb1EES1D_EEDaS18_S19_EUlS18_E_NS1_11comp_targetILNS1_3genE0ELNS1_11target_archE4294967295ELNS1_3gpuE0ELNS1_3repE0EEENS1_30default_config_static_selectorELNS0_4arch9wavefront6targetE0EEEvT1_
    .private_segment_fixed_size: 0
    .sgpr_count:     0
    .sgpr_spill_count: 0
    .symbol:         _ZN7rocprim17ROCPRIM_400000_NS6detail17trampoline_kernelINS0_14default_configENS1_25partition_config_selectorILNS1_17partition_subalgoE9EyjbEEZZNS1_14partition_implILS5_9ELb0ES3_jN6thrust23THRUST_200600_302600_NS6detail15normal_iteratorINS9_10device_ptrIyEEEENSB_INSC_IjEEEEPNS0_10empty_typeENS0_5tupleIJNS9_16discard_iteratorINS9_11use_defaultEEESH_EEENSJ_IJSG_SI_EEENS0_18inequality_wrapperINS9_8equal_toIyEEEEPmJSH_EEE10hipError_tPvRmT3_T4_T5_T6_T7_T9_mT8_P12ihipStream_tbDpT10_ENKUlT_T0_E_clISt17integral_constantIbLb1EES1D_EEDaS18_S19_EUlS18_E_NS1_11comp_targetILNS1_3genE0ELNS1_11target_archE4294967295ELNS1_3gpuE0ELNS1_3repE0EEENS1_30default_config_static_selectorELNS0_4arch9wavefront6targetE0EEEvT1_.kd
    .uniform_work_group_size: 1
    .uses_dynamic_stack: false
    .vgpr_count:     0
    .vgpr_spill_count: 0
    .wavefront_size: 32
    .workgroup_processor_mode: 1
  - .args:
      - .offset:         0
        .size:           136
        .value_kind:     by_value
    .group_segment_fixed_size: 0
    .kernarg_segment_align: 8
    .kernarg_segment_size: 136
    .language:       OpenCL C
    .language_version:
      - 2
      - 0
    .max_flat_workgroup_size: 512
    .name:           _ZN7rocprim17ROCPRIM_400000_NS6detail17trampoline_kernelINS0_14default_configENS1_25partition_config_selectorILNS1_17partition_subalgoE9EyjbEEZZNS1_14partition_implILS5_9ELb0ES3_jN6thrust23THRUST_200600_302600_NS6detail15normal_iteratorINS9_10device_ptrIyEEEENSB_INSC_IjEEEEPNS0_10empty_typeENS0_5tupleIJNS9_16discard_iteratorINS9_11use_defaultEEESH_EEENSJ_IJSG_SI_EEENS0_18inequality_wrapperINS9_8equal_toIyEEEEPmJSH_EEE10hipError_tPvRmT3_T4_T5_T6_T7_T9_mT8_P12ihipStream_tbDpT10_ENKUlT_T0_E_clISt17integral_constantIbLb1EES1D_EEDaS18_S19_EUlS18_E_NS1_11comp_targetILNS1_3genE5ELNS1_11target_archE942ELNS1_3gpuE9ELNS1_3repE0EEENS1_30default_config_static_selectorELNS0_4arch9wavefront6targetE0EEEvT1_
    .private_segment_fixed_size: 0
    .sgpr_count:     0
    .sgpr_spill_count: 0
    .symbol:         _ZN7rocprim17ROCPRIM_400000_NS6detail17trampoline_kernelINS0_14default_configENS1_25partition_config_selectorILNS1_17partition_subalgoE9EyjbEEZZNS1_14partition_implILS5_9ELb0ES3_jN6thrust23THRUST_200600_302600_NS6detail15normal_iteratorINS9_10device_ptrIyEEEENSB_INSC_IjEEEEPNS0_10empty_typeENS0_5tupleIJNS9_16discard_iteratorINS9_11use_defaultEEESH_EEENSJ_IJSG_SI_EEENS0_18inequality_wrapperINS9_8equal_toIyEEEEPmJSH_EEE10hipError_tPvRmT3_T4_T5_T6_T7_T9_mT8_P12ihipStream_tbDpT10_ENKUlT_T0_E_clISt17integral_constantIbLb1EES1D_EEDaS18_S19_EUlS18_E_NS1_11comp_targetILNS1_3genE5ELNS1_11target_archE942ELNS1_3gpuE9ELNS1_3repE0EEENS1_30default_config_static_selectorELNS0_4arch9wavefront6targetE0EEEvT1_.kd
    .uniform_work_group_size: 1
    .uses_dynamic_stack: false
    .vgpr_count:     0
    .vgpr_spill_count: 0
    .wavefront_size: 32
    .workgroup_processor_mode: 1
  - .args:
      - .offset:         0
        .size:           136
        .value_kind:     by_value
    .group_segment_fixed_size: 0
    .kernarg_segment_align: 8
    .kernarg_segment_size: 136
    .language:       OpenCL C
    .language_version:
      - 2
      - 0
    .max_flat_workgroup_size: 192
    .name:           _ZN7rocprim17ROCPRIM_400000_NS6detail17trampoline_kernelINS0_14default_configENS1_25partition_config_selectorILNS1_17partition_subalgoE9EyjbEEZZNS1_14partition_implILS5_9ELb0ES3_jN6thrust23THRUST_200600_302600_NS6detail15normal_iteratorINS9_10device_ptrIyEEEENSB_INSC_IjEEEEPNS0_10empty_typeENS0_5tupleIJNS9_16discard_iteratorINS9_11use_defaultEEESH_EEENSJ_IJSG_SI_EEENS0_18inequality_wrapperINS9_8equal_toIyEEEEPmJSH_EEE10hipError_tPvRmT3_T4_T5_T6_T7_T9_mT8_P12ihipStream_tbDpT10_ENKUlT_T0_E_clISt17integral_constantIbLb1EES1D_EEDaS18_S19_EUlS18_E_NS1_11comp_targetILNS1_3genE4ELNS1_11target_archE910ELNS1_3gpuE8ELNS1_3repE0EEENS1_30default_config_static_selectorELNS0_4arch9wavefront6targetE0EEEvT1_
    .private_segment_fixed_size: 0
    .sgpr_count:     0
    .sgpr_spill_count: 0
    .symbol:         _ZN7rocprim17ROCPRIM_400000_NS6detail17trampoline_kernelINS0_14default_configENS1_25partition_config_selectorILNS1_17partition_subalgoE9EyjbEEZZNS1_14partition_implILS5_9ELb0ES3_jN6thrust23THRUST_200600_302600_NS6detail15normal_iteratorINS9_10device_ptrIyEEEENSB_INSC_IjEEEEPNS0_10empty_typeENS0_5tupleIJNS9_16discard_iteratorINS9_11use_defaultEEESH_EEENSJ_IJSG_SI_EEENS0_18inequality_wrapperINS9_8equal_toIyEEEEPmJSH_EEE10hipError_tPvRmT3_T4_T5_T6_T7_T9_mT8_P12ihipStream_tbDpT10_ENKUlT_T0_E_clISt17integral_constantIbLb1EES1D_EEDaS18_S19_EUlS18_E_NS1_11comp_targetILNS1_3genE4ELNS1_11target_archE910ELNS1_3gpuE8ELNS1_3repE0EEENS1_30default_config_static_selectorELNS0_4arch9wavefront6targetE0EEEvT1_.kd
    .uniform_work_group_size: 1
    .uses_dynamic_stack: false
    .vgpr_count:     0
    .vgpr_spill_count: 0
    .wavefront_size: 32
    .workgroup_processor_mode: 1
  - .args:
      - .offset:         0
        .size:           136
        .value_kind:     by_value
    .group_segment_fixed_size: 0
    .kernarg_segment_align: 8
    .kernarg_segment_size: 136
    .language:       OpenCL C
    .language_version:
      - 2
      - 0
    .max_flat_workgroup_size: 128
    .name:           _ZN7rocprim17ROCPRIM_400000_NS6detail17trampoline_kernelINS0_14default_configENS1_25partition_config_selectorILNS1_17partition_subalgoE9EyjbEEZZNS1_14partition_implILS5_9ELb0ES3_jN6thrust23THRUST_200600_302600_NS6detail15normal_iteratorINS9_10device_ptrIyEEEENSB_INSC_IjEEEEPNS0_10empty_typeENS0_5tupleIJNS9_16discard_iteratorINS9_11use_defaultEEESH_EEENSJ_IJSG_SI_EEENS0_18inequality_wrapperINS9_8equal_toIyEEEEPmJSH_EEE10hipError_tPvRmT3_T4_T5_T6_T7_T9_mT8_P12ihipStream_tbDpT10_ENKUlT_T0_E_clISt17integral_constantIbLb1EES1D_EEDaS18_S19_EUlS18_E_NS1_11comp_targetILNS1_3genE3ELNS1_11target_archE908ELNS1_3gpuE7ELNS1_3repE0EEENS1_30default_config_static_selectorELNS0_4arch9wavefront6targetE0EEEvT1_
    .private_segment_fixed_size: 0
    .sgpr_count:     0
    .sgpr_spill_count: 0
    .symbol:         _ZN7rocprim17ROCPRIM_400000_NS6detail17trampoline_kernelINS0_14default_configENS1_25partition_config_selectorILNS1_17partition_subalgoE9EyjbEEZZNS1_14partition_implILS5_9ELb0ES3_jN6thrust23THRUST_200600_302600_NS6detail15normal_iteratorINS9_10device_ptrIyEEEENSB_INSC_IjEEEEPNS0_10empty_typeENS0_5tupleIJNS9_16discard_iteratorINS9_11use_defaultEEESH_EEENSJ_IJSG_SI_EEENS0_18inequality_wrapperINS9_8equal_toIyEEEEPmJSH_EEE10hipError_tPvRmT3_T4_T5_T6_T7_T9_mT8_P12ihipStream_tbDpT10_ENKUlT_T0_E_clISt17integral_constantIbLb1EES1D_EEDaS18_S19_EUlS18_E_NS1_11comp_targetILNS1_3genE3ELNS1_11target_archE908ELNS1_3gpuE7ELNS1_3repE0EEENS1_30default_config_static_selectorELNS0_4arch9wavefront6targetE0EEEvT1_.kd
    .uniform_work_group_size: 1
    .uses_dynamic_stack: false
    .vgpr_count:     0
    .vgpr_spill_count: 0
    .wavefront_size: 32
    .workgroup_processor_mode: 1
  - .args:
      - .offset:         0
        .size:           136
        .value_kind:     by_value
    .group_segment_fixed_size: 0
    .kernarg_segment_align: 8
    .kernarg_segment_size: 136
    .language:       OpenCL C
    .language_version:
      - 2
      - 0
    .max_flat_workgroup_size: 256
    .name:           _ZN7rocprim17ROCPRIM_400000_NS6detail17trampoline_kernelINS0_14default_configENS1_25partition_config_selectorILNS1_17partition_subalgoE9EyjbEEZZNS1_14partition_implILS5_9ELb0ES3_jN6thrust23THRUST_200600_302600_NS6detail15normal_iteratorINS9_10device_ptrIyEEEENSB_INSC_IjEEEEPNS0_10empty_typeENS0_5tupleIJNS9_16discard_iteratorINS9_11use_defaultEEESH_EEENSJ_IJSG_SI_EEENS0_18inequality_wrapperINS9_8equal_toIyEEEEPmJSH_EEE10hipError_tPvRmT3_T4_T5_T6_T7_T9_mT8_P12ihipStream_tbDpT10_ENKUlT_T0_E_clISt17integral_constantIbLb1EES1D_EEDaS18_S19_EUlS18_E_NS1_11comp_targetILNS1_3genE2ELNS1_11target_archE906ELNS1_3gpuE6ELNS1_3repE0EEENS1_30default_config_static_selectorELNS0_4arch9wavefront6targetE0EEEvT1_
    .private_segment_fixed_size: 0
    .sgpr_count:     0
    .sgpr_spill_count: 0
    .symbol:         _ZN7rocprim17ROCPRIM_400000_NS6detail17trampoline_kernelINS0_14default_configENS1_25partition_config_selectorILNS1_17partition_subalgoE9EyjbEEZZNS1_14partition_implILS5_9ELb0ES3_jN6thrust23THRUST_200600_302600_NS6detail15normal_iteratorINS9_10device_ptrIyEEEENSB_INSC_IjEEEEPNS0_10empty_typeENS0_5tupleIJNS9_16discard_iteratorINS9_11use_defaultEEESH_EEENSJ_IJSG_SI_EEENS0_18inequality_wrapperINS9_8equal_toIyEEEEPmJSH_EEE10hipError_tPvRmT3_T4_T5_T6_T7_T9_mT8_P12ihipStream_tbDpT10_ENKUlT_T0_E_clISt17integral_constantIbLb1EES1D_EEDaS18_S19_EUlS18_E_NS1_11comp_targetILNS1_3genE2ELNS1_11target_archE906ELNS1_3gpuE6ELNS1_3repE0EEENS1_30default_config_static_selectorELNS0_4arch9wavefront6targetE0EEEvT1_.kd
    .uniform_work_group_size: 1
    .uses_dynamic_stack: false
    .vgpr_count:     0
    .vgpr_spill_count: 0
    .wavefront_size: 32
    .workgroup_processor_mode: 1
  - .args:
      - .offset:         0
        .size:           136
        .value_kind:     by_value
    .group_segment_fixed_size: 0
    .kernarg_segment_align: 8
    .kernarg_segment_size: 136
    .language:       OpenCL C
    .language_version:
      - 2
      - 0
    .max_flat_workgroup_size: 384
    .name:           _ZN7rocprim17ROCPRIM_400000_NS6detail17trampoline_kernelINS0_14default_configENS1_25partition_config_selectorILNS1_17partition_subalgoE9EyjbEEZZNS1_14partition_implILS5_9ELb0ES3_jN6thrust23THRUST_200600_302600_NS6detail15normal_iteratorINS9_10device_ptrIyEEEENSB_INSC_IjEEEEPNS0_10empty_typeENS0_5tupleIJNS9_16discard_iteratorINS9_11use_defaultEEESH_EEENSJ_IJSG_SI_EEENS0_18inequality_wrapperINS9_8equal_toIyEEEEPmJSH_EEE10hipError_tPvRmT3_T4_T5_T6_T7_T9_mT8_P12ihipStream_tbDpT10_ENKUlT_T0_E_clISt17integral_constantIbLb1EES1D_EEDaS18_S19_EUlS18_E_NS1_11comp_targetILNS1_3genE10ELNS1_11target_archE1200ELNS1_3gpuE4ELNS1_3repE0EEENS1_30default_config_static_selectorELNS0_4arch9wavefront6targetE0EEEvT1_
    .private_segment_fixed_size: 0
    .sgpr_count:     0
    .sgpr_spill_count: 0
    .symbol:         _ZN7rocprim17ROCPRIM_400000_NS6detail17trampoline_kernelINS0_14default_configENS1_25partition_config_selectorILNS1_17partition_subalgoE9EyjbEEZZNS1_14partition_implILS5_9ELb0ES3_jN6thrust23THRUST_200600_302600_NS6detail15normal_iteratorINS9_10device_ptrIyEEEENSB_INSC_IjEEEEPNS0_10empty_typeENS0_5tupleIJNS9_16discard_iteratorINS9_11use_defaultEEESH_EEENSJ_IJSG_SI_EEENS0_18inequality_wrapperINS9_8equal_toIyEEEEPmJSH_EEE10hipError_tPvRmT3_T4_T5_T6_T7_T9_mT8_P12ihipStream_tbDpT10_ENKUlT_T0_E_clISt17integral_constantIbLb1EES1D_EEDaS18_S19_EUlS18_E_NS1_11comp_targetILNS1_3genE10ELNS1_11target_archE1200ELNS1_3gpuE4ELNS1_3repE0EEENS1_30default_config_static_selectorELNS0_4arch9wavefront6targetE0EEEvT1_.kd
    .uniform_work_group_size: 1
    .uses_dynamic_stack: false
    .vgpr_count:     0
    .vgpr_spill_count: 0
    .wavefront_size: 32
    .workgroup_processor_mode: 1
  - .args:
      - .offset:         0
        .size:           136
        .value_kind:     by_value
    .group_segment_fixed_size: 33800
    .kernarg_segment_align: 8
    .kernarg_segment_size: 136
    .language:       OpenCL C
    .language_version:
      - 2
      - 0
    .max_flat_workgroup_size: 512
    .name:           _ZN7rocprim17ROCPRIM_400000_NS6detail17trampoline_kernelINS0_14default_configENS1_25partition_config_selectorILNS1_17partition_subalgoE9EyjbEEZZNS1_14partition_implILS5_9ELb0ES3_jN6thrust23THRUST_200600_302600_NS6detail15normal_iteratorINS9_10device_ptrIyEEEENSB_INSC_IjEEEEPNS0_10empty_typeENS0_5tupleIJNS9_16discard_iteratorINS9_11use_defaultEEESH_EEENSJ_IJSG_SI_EEENS0_18inequality_wrapperINS9_8equal_toIyEEEEPmJSH_EEE10hipError_tPvRmT3_T4_T5_T6_T7_T9_mT8_P12ihipStream_tbDpT10_ENKUlT_T0_E_clISt17integral_constantIbLb1EES1D_EEDaS18_S19_EUlS18_E_NS1_11comp_targetILNS1_3genE9ELNS1_11target_archE1100ELNS1_3gpuE3ELNS1_3repE0EEENS1_30default_config_static_selectorELNS0_4arch9wavefront6targetE0EEEvT1_
    .private_segment_fixed_size: 0
    .sgpr_count:     28
    .sgpr_spill_count: 0
    .symbol:         _ZN7rocprim17ROCPRIM_400000_NS6detail17trampoline_kernelINS0_14default_configENS1_25partition_config_selectorILNS1_17partition_subalgoE9EyjbEEZZNS1_14partition_implILS5_9ELb0ES3_jN6thrust23THRUST_200600_302600_NS6detail15normal_iteratorINS9_10device_ptrIyEEEENSB_INSC_IjEEEEPNS0_10empty_typeENS0_5tupleIJNS9_16discard_iteratorINS9_11use_defaultEEESH_EEENSJ_IJSG_SI_EEENS0_18inequality_wrapperINS9_8equal_toIyEEEEPmJSH_EEE10hipError_tPvRmT3_T4_T5_T6_T7_T9_mT8_P12ihipStream_tbDpT10_ENKUlT_T0_E_clISt17integral_constantIbLb1EES1D_EEDaS18_S19_EUlS18_E_NS1_11comp_targetILNS1_3genE9ELNS1_11target_archE1100ELNS1_3gpuE3ELNS1_3repE0EEENS1_30default_config_static_selectorELNS0_4arch9wavefront6targetE0EEEvT1_.kd
    .uniform_work_group_size: 1
    .uses_dynamic_stack: false
    .vgpr_count:     61
    .vgpr_spill_count: 0
    .wavefront_size: 32
    .workgroup_processor_mode: 1
  - .args:
      - .offset:         0
        .size:           136
        .value_kind:     by_value
    .group_segment_fixed_size: 0
    .kernarg_segment_align: 8
    .kernarg_segment_size: 136
    .language:       OpenCL C
    .language_version:
      - 2
      - 0
    .max_flat_workgroup_size: 512
    .name:           _ZN7rocprim17ROCPRIM_400000_NS6detail17trampoline_kernelINS0_14default_configENS1_25partition_config_selectorILNS1_17partition_subalgoE9EyjbEEZZNS1_14partition_implILS5_9ELb0ES3_jN6thrust23THRUST_200600_302600_NS6detail15normal_iteratorINS9_10device_ptrIyEEEENSB_INSC_IjEEEEPNS0_10empty_typeENS0_5tupleIJNS9_16discard_iteratorINS9_11use_defaultEEESH_EEENSJ_IJSG_SI_EEENS0_18inequality_wrapperINS9_8equal_toIyEEEEPmJSH_EEE10hipError_tPvRmT3_T4_T5_T6_T7_T9_mT8_P12ihipStream_tbDpT10_ENKUlT_T0_E_clISt17integral_constantIbLb1EES1D_EEDaS18_S19_EUlS18_E_NS1_11comp_targetILNS1_3genE8ELNS1_11target_archE1030ELNS1_3gpuE2ELNS1_3repE0EEENS1_30default_config_static_selectorELNS0_4arch9wavefront6targetE0EEEvT1_
    .private_segment_fixed_size: 0
    .sgpr_count:     0
    .sgpr_spill_count: 0
    .symbol:         _ZN7rocprim17ROCPRIM_400000_NS6detail17trampoline_kernelINS0_14default_configENS1_25partition_config_selectorILNS1_17partition_subalgoE9EyjbEEZZNS1_14partition_implILS5_9ELb0ES3_jN6thrust23THRUST_200600_302600_NS6detail15normal_iteratorINS9_10device_ptrIyEEEENSB_INSC_IjEEEEPNS0_10empty_typeENS0_5tupleIJNS9_16discard_iteratorINS9_11use_defaultEEESH_EEENSJ_IJSG_SI_EEENS0_18inequality_wrapperINS9_8equal_toIyEEEEPmJSH_EEE10hipError_tPvRmT3_T4_T5_T6_T7_T9_mT8_P12ihipStream_tbDpT10_ENKUlT_T0_E_clISt17integral_constantIbLb1EES1D_EEDaS18_S19_EUlS18_E_NS1_11comp_targetILNS1_3genE8ELNS1_11target_archE1030ELNS1_3gpuE2ELNS1_3repE0EEENS1_30default_config_static_selectorELNS0_4arch9wavefront6targetE0EEEvT1_.kd
    .uniform_work_group_size: 1
    .uses_dynamic_stack: false
    .vgpr_count:     0
    .vgpr_spill_count: 0
    .wavefront_size: 32
    .workgroup_processor_mode: 1
  - .args:
      - .offset:         0
        .size:           120
        .value_kind:     by_value
    .group_segment_fixed_size: 0
    .kernarg_segment_align: 8
    .kernarg_segment_size: 120
    .language:       OpenCL C
    .language_version:
      - 2
      - 0
    .max_flat_workgroup_size: 128
    .name:           _ZN7rocprim17ROCPRIM_400000_NS6detail17trampoline_kernelINS0_14default_configENS1_25partition_config_selectorILNS1_17partition_subalgoE9EyjbEEZZNS1_14partition_implILS5_9ELb0ES3_jN6thrust23THRUST_200600_302600_NS6detail15normal_iteratorINS9_10device_ptrIyEEEENSB_INSC_IjEEEEPNS0_10empty_typeENS0_5tupleIJNS9_16discard_iteratorINS9_11use_defaultEEESH_EEENSJ_IJSG_SI_EEENS0_18inequality_wrapperINS9_8equal_toIyEEEEPmJSH_EEE10hipError_tPvRmT3_T4_T5_T6_T7_T9_mT8_P12ihipStream_tbDpT10_ENKUlT_T0_E_clISt17integral_constantIbLb1EES1C_IbLb0EEEEDaS18_S19_EUlS18_E_NS1_11comp_targetILNS1_3genE0ELNS1_11target_archE4294967295ELNS1_3gpuE0ELNS1_3repE0EEENS1_30default_config_static_selectorELNS0_4arch9wavefront6targetE0EEEvT1_
    .private_segment_fixed_size: 0
    .sgpr_count:     0
    .sgpr_spill_count: 0
    .symbol:         _ZN7rocprim17ROCPRIM_400000_NS6detail17trampoline_kernelINS0_14default_configENS1_25partition_config_selectorILNS1_17partition_subalgoE9EyjbEEZZNS1_14partition_implILS5_9ELb0ES3_jN6thrust23THRUST_200600_302600_NS6detail15normal_iteratorINS9_10device_ptrIyEEEENSB_INSC_IjEEEEPNS0_10empty_typeENS0_5tupleIJNS9_16discard_iteratorINS9_11use_defaultEEESH_EEENSJ_IJSG_SI_EEENS0_18inequality_wrapperINS9_8equal_toIyEEEEPmJSH_EEE10hipError_tPvRmT3_T4_T5_T6_T7_T9_mT8_P12ihipStream_tbDpT10_ENKUlT_T0_E_clISt17integral_constantIbLb1EES1C_IbLb0EEEEDaS18_S19_EUlS18_E_NS1_11comp_targetILNS1_3genE0ELNS1_11target_archE4294967295ELNS1_3gpuE0ELNS1_3repE0EEENS1_30default_config_static_selectorELNS0_4arch9wavefront6targetE0EEEvT1_.kd
    .uniform_work_group_size: 1
    .uses_dynamic_stack: false
    .vgpr_count:     0
    .vgpr_spill_count: 0
    .wavefront_size: 32
    .workgroup_processor_mode: 1
  - .args:
      - .offset:         0
        .size:           120
        .value_kind:     by_value
    .group_segment_fixed_size: 0
    .kernarg_segment_align: 8
    .kernarg_segment_size: 120
    .language:       OpenCL C
    .language_version:
      - 2
      - 0
    .max_flat_workgroup_size: 512
    .name:           _ZN7rocprim17ROCPRIM_400000_NS6detail17trampoline_kernelINS0_14default_configENS1_25partition_config_selectorILNS1_17partition_subalgoE9EyjbEEZZNS1_14partition_implILS5_9ELb0ES3_jN6thrust23THRUST_200600_302600_NS6detail15normal_iteratorINS9_10device_ptrIyEEEENSB_INSC_IjEEEEPNS0_10empty_typeENS0_5tupleIJNS9_16discard_iteratorINS9_11use_defaultEEESH_EEENSJ_IJSG_SI_EEENS0_18inequality_wrapperINS9_8equal_toIyEEEEPmJSH_EEE10hipError_tPvRmT3_T4_T5_T6_T7_T9_mT8_P12ihipStream_tbDpT10_ENKUlT_T0_E_clISt17integral_constantIbLb1EES1C_IbLb0EEEEDaS18_S19_EUlS18_E_NS1_11comp_targetILNS1_3genE5ELNS1_11target_archE942ELNS1_3gpuE9ELNS1_3repE0EEENS1_30default_config_static_selectorELNS0_4arch9wavefront6targetE0EEEvT1_
    .private_segment_fixed_size: 0
    .sgpr_count:     0
    .sgpr_spill_count: 0
    .symbol:         _ZN7rocprim17ROCPRIM_400000_NS6detail17trampoline_kernelINS0_14default_configENS1_25partition_config_selectorILNS1_17partition_subalgoE9EyjbEEZZNS1_14partition_implILS5_9ELb0ES3_jN6thrust23THRUST_200600_302600_NS6detail15normal_iteratorINS9_10device_ptrIyEEEENSB_INSC_IjEEEEPNS0_10empty_typeENS0_5tupleIJNS9_16discard_iteratorINS9_11use_defaultEEESH_EEENSJ_IJSG_SI_EEENS0_18inequality_wrapperINS9_8equal_toIyEEEEPmJSH_EEE10hipError_tPvRmT3_T4_T5_T6_T7_T9_mT8_P12ihipStream_tbDpT10_ENKUlT_T0_E_clISt17integral_constantIbLb1EES1C_IbLb0EEEEDaS18_S19_EUlS18_E_NS1_11comp_targetILNS1_3genE5ELNS1_11target_archE942ELNS1_3gpuE9ELNS1_3repE0EEENS1_30default_config_static_selectorELNS0_4arch9wavefront6targetE0EEEvT1_.kd
    .uniform_work_group_size: 1
    .uses_dynamic_stack: false
    .vgpr_count:     0
    .vgpr_spill_count: 0
    .wavefront_size: 32
    .workgroup_processor_mode: 1
  - .args:
      - .offset:         0
        .size:           120
        .value_kind:     by_value
    .group_segment_fixed_size: 0
    .kernarg_segment_align: 8
    .kernarg_segment_size: 120
    .language:       OpenCL C
    .language_version:
      - 2
      - 0
    .max_flat_workgroup_size: 192
    .name:           _ZN7rocprim17ROCPRIM_400000_NS6detail17trampoline_kernelINS0_14default_configENS1_25partition_config_selectorILNS1_17partition_subalgoE9EyjbEEZZNS1_14partition_implILS5_9ELb0ES3_jN6thrust23THRUST_200600_302600_NS6detail15normal_iteratorINS9_10device_ptrIyEEEENSB_INSC_IjEEEEPNS0_10empty_typeENS0_5tupleIJNS9_16discard_iteratorINS9_11use_defaultEEESH_EEENSJ_IJSG_SI_EEENS0_18inequality_wrapperINS9_8equal_toIyEEEEPmJSH_EEE10hipError_tPvRmT3_T4_T5_T6_T7_T9_mT8_P12ihipStream_tbDpT10_ENKUlT_T0_E_clISt17integral_constantIbLb1EES1C_IbLb0EEEEDaS18_S19_EUlS18_E_NS1_11comp_targetILNS1_3genE4ELNS1_11target_archE910ELNS1_3gpuE8ELNS1_3repE0EEENS1_30default_config_static_selectorELNS0_4arch9wavefront6targetE0EEEvT1_
    .private_segment_fixed_size: 0
    .sgpr_count:     0
    .sgpr_spill_count: 0
    .symbol:         _ZN7rocprim17ROCPRIM_400000_NS6detail17trampoline_kernelINS0_14default_configENS1_25partition_config_selectorILNS1_17partition_subalgoE9EyjbEEZZNS1_14partition_implILS5_9ELb0ES3_jN6thrust23THRUST_200600_302600_NS6detail15normal_iteratorINS9_10device_ptrIyEEEENSB_INSC_IjEEEEPNS0_10empty_typeENS0_5tupleIJNS9_16discard_iteratorINS9_11use_defaultEEESH_EEENSJ_IJSG_SI_EEENS0_18inequality_wrapperINS9_8equal_toIyEEEEPmJSH_EEE10hipError_tPvRmT3_T4_T5_T6_T7_T9_mT8_P12ihipStream_tbDpT10_ENKUlT_T0_E_clISt17integral_constantIbLb1EES1C_IbLb0EEEEDaS18_S19_EUlS18_E_NS1_11comp_targetILNS1_3genE4ELNS1_11target_archE910ELNS1_3gpuE8ELNS1_3repE0EEENS1_30default_config_static_selectorELNS0_4arch9wavefront6targetE0EEEvT1_.kd
    .uniform_work_group_size: 1
    .uses_dynamic_stack: false
    .vgpr_count:     0
    .vgpr_spill_count: 0
    .wavefront_size: 32
    .workgroup_processor_mode: 1
  - .args:
      - .offset:         0
        .size:           120
        .value_kind:     by_value
    .group_segment_fixed_size: 0
    .kernarg_segment_align: 8
    .kernarg_segment_size: 120
    .language:       OpenCL C
    .language_version:
      - 2
      - 0
    .max_flat_workgroup_size: 128
    .name:           _ZN7rocprim17ROCPRIM_400000_NS6detail17trampoline_kernelINS0_14default_configENS1_25partition_config_selectorILNS1_17partition_subalgoE9EyjbEEZZNS1_14partition_implILS5_9ELb0ES3_jN6thrust23THRUST_200600_302600_NS6detail15normal_iteratorINS9_10device_ptrIyEEEENSB_INSC_IjEEEEPNS0_10empty_typeENS0_5tupleIJNS9_16discard_iteratorINS9_11use_defaultEEESH_EEENSJ_IJSG_SI_EEENS0_18inequality_wrapperINS9_8equal_toIyEEEEPmJSH_EEE10hipError_tPvRmT3_T4_T5_T6_T7_T9_mT8_P12ihipStream_tbDpT10_ENKUlT_T0_E_clISt17integral_constantIbLb1EES1C_IbLb0EEEEDaS18_S19_EUlS18_E_NS1_11comp_targetILNS1_3genE3ELNS1_11target_archE908ELNS1_3gpuE7ELNS1_3repE0EEENS1_30default_config_static_selectorELNS0_4arch9wavefront6targetE0EEEvT1_
    .private_segment_fixed_size: 0
    .sgpr_count:     0
    .sgpr_spill_count: 0
    .symbol:         _ZN7rocprim17ROCPRIM_400000_NS6detail17trampoline_kernelINS0_14default_configENS1_25partition_config_selectorILNS1_17partition_subalgoE9EyjbEEZZNS1_14partition_implILS5_9ELb0ES3_jN6thrust23THRUST_200600_302600_NS6detail15normal_iteratorINS9_10device_ptrIyEEEENSB_INSC_IjEEEEPNS0_10empty_typeENS0_5tupleIJNS9_16discard_iteratorINS9_11use_defaultEEESH_EEENSJ_IJSG_SI_EEENS0_18inequality_wrapperINS9_8equal_toIyEEEEPmJSH_EEE10hipError_tPvRmT3_T4_T5_T6_T7_T9_mT8_P12ihipStream_tbDpT10_ENKUlT_T0_E_clISt17integral_constantIbLb1EES1C_IbLb0EEEEDaS18_S19_EUlS18_E_NS1_11comp_targetILNS1_3genE3ELNS1_11target_archE908ELNS1_3gpuE7ELNS1_3repE0EEENS1_30default_config_static_selectorELNS0_4arch9wavefront6targetE0EEEvT1_.kd
    .uniform_work_group_size: 1
    .uses_dynamic_stack: false
    .vgpr_count:     0
    .vgpr_spill_count: 0
    .wavefront_size: 32
    .workgroup_processor_mode: 1
  - .args:
      - .offset:         0
        .size:           120
        .value_kind:     by_value
    .group_segment_fixed_size: 0
    .kernarg_segment_align: 8
    .kernarg_segment_size: 120
    .language:       OpenCL C
    .language_version:
      - 2
      - 0
    .max_flat_workgroup_size: 256
    .name:           _ZN7rocprim17ROCPRIM_400000_NS6detail17trampoline_kernelINS0_14default_configENS1_25partition_config_selectorILNS1_17partition_subalgoE9EyjbEEZZNS1_14partition_implILS5_9ELb0ES3_jN6thrust23THRUST_200600_302600_NS6detail15normal_iteratorINS9_10device_ptrIyEEEENSB_INSC_IjEEEEPNS0_10empty_typeENS0_5tupleIJNS9_16discard_iteratorINS9_11use_defaultEEESH_EEENSJ_IJSG_SI_EEENS0_18inequality_wrapperINS9_8equal_toIyEEEEPmJSH_EEE10hipError_tPvRmT3_T4_T5_T6_T7_T9_mT8_P12ihipStream_tbDpT10_ENKUlT_T0_E_clISt17integral_constantIbLb1EES1C_IbLb0EEEEDaS18_S19_EUlS18_E_NS1_11comp_targetILNS1_3genE2ELNS1_11target_archE906ELNS1_3gpuE6ELNS1_3repE0EEENS1_30default_config_static_selectorELNS0_4arch9wavefront6targetE0EEEvT1_
    .private_segment_fixed_size: 0
    .sgpr_count:     0
    .sgpr_spill_count: 0
    .symbol:         _ZN7rocprim17ROCPRIM_400000_NS6detail17trampoline_kernelINS0_14default_configENS1_25partition_config_selectorILNS1_17partition_subalgoE9EyjbEEZZNS1_14partition_implILS5_9ELb0ES3_jN6thrust23THRUST_200600_302600_NS6detail15normal_iteratorINS9_10device_ptrIyEEEENSB_INSC_IjEEEEPNS0_10empty_typeENS0_5tupleIJNS9_16discard_iteratorINS9_11use_defaultEEESH_EEENSJ_IJSG_SI_EEENS0_18inequality_wrapperINS9_8equal_toIyEEEEPmJSH_EEE10hipError_tPvRmT3_T4_T5_T6_T7_T9_mT8_P12ihipStream_tbDpT10_ENKUlT_T0_E_clISt17integral_constantIbLb1EES1C_IbLb0EEEEDaS18_S19_EUlS18_E_NS1_11comp_targetILNS1_3genE2ELNS1_11target_archE906ELNS1_3gpuE6ELNS1_3repE0EEENS1_30default_config_static_selectorELNS0_4arch9wavefront6targetE0EEEvT1_.kd
    .uniform_work_group_size: 1
    .uses_dynamic_stack: false
    .vgpr_count:     0
    .vgpr_spill_count: 0
    .wavefront_size: 32
    .workgroup_processor_mode: 1
  - .args:
      - .offset:         0
        .size:           120
        .value_kind:     by_value
    .group_segment_fixed_size: 0
    .kernarg_segment_align: 8
    .kernarg_segment_size: 120
    .language:       OpenCL C
    .language_version:
      - 2
      - 0
    .max_flat_workgroup_size: 384
    .name:           _ZN7rocprim17ROCPRIM_400000_NS6detail17trampoline_kernelINS0_14default_configENS1_25partition_config_selectorILNS1_17partition_subalgoE9EyjbEEZZNS1_14partition_implILS5_9ELb0ES3_jN6thrust23THRUST_200600_302600_NS6detail15normal_iteratorINS9_10device_ptrIyEEEENSB_INSC_IjEEEEPNS0_10empty_typeENS0_5tupleIJNS9_16discard_iteratorINS9_11use_defaultEEESH_EEENSJ_IJSG_SI_EEENS0_18inequality_wrapperINS9_8equal_toIyEEEEPmJSH_EEE10hipError_tPvRmT3_T4_T5_T6_T7_T9_mT8_P12ihipStream_tbDpT10_ENKUlT_T0_E_clISt17integral_constantIbLb1EES1C_IbLb0EEEEDaS18_S19_EUlS18_E_NS1_11comp_targetILNS1_3genE10ELNS1_11target_archE1200ELNS1_3gpuE4ELNS1_3repE0EEENS1_30default_config_static_selectorELNS0_4arch9wavefront6targetE0EEEvT1_
    .private_segment_fixed_size: 0
    .sgpr_count:     0
    .sgpr_spill_count: 0
    .symbol:         _ZN7rocprim17ROCPRIM_400000_NS6detail17trampoline_kernelINS0_14default_configENS1_25partition_config_selectorILNS1_17partition_subalgoE9EyjbEEZZNS1_14partition_implILS5_9ELb0ES3_jN6thrust23THRUST_200600_302600_NS6detail15normal_iteratorINS9_10device_ptrIyEEEENSB_INSC_IjEEEEPNS0_10empty_typeENS0_5tupleIJNS9_16discard_iteratorINS9_11use_defaultEEESH_EEENSJ_IJSG_SI_EEENS0_18inequality_wrapperINS9_8equal_toIyEEEEPmJSH_EEE10hipError_tPvRmT3_T4_T5_T6_T7_T9_mT8_P12ihipStream_tbDpT10_ENKUlT_T0_E_clISt17integral_constantIbLb1EES1C_IbLb0EEEEDaS18_S19_EUlS18_E_NS1_11comp_targetILNS1_3genE10ELNS1_11target_archE1200ELNS1_3gpuE4ELNS1_3repE0EEENS1_30default_config_static_selectorELNS0_4arch9wavefront6targetE0EEEvT1_.kd
    .uniform_work_group_size: 1
    .uses_dynamic_stack: false
    .vgpr_count:     0
    .vgpr_spill_count: 0
    .wavefront_size: 32
    .workgroup_processor_mode: 1
  - .args:
      - .offset:         0
        .size:           120
        .value_kind:     by_value
    .group_segment_fixed_size: 33800
    .kernarg_segment_align: 8
    .kernarg_segment_size: 120
    .language:       OpenCL C
    .language_version:
      - 2
      - 0
    .max_flat_workgroup_size: 512
    .name:           _ZN7rocprim17ROCPRIM_400000_NS6detail17trampoline_kernelINS0_14default_configENS1_25partition_config_selectorILNS1_17partition_subalgoE9EyjbEEZZNS1_14partition_implILS5_9ELb0ES3_jN6thrust23THRUST_200600_302600_NS6detail15normal_iteratorINS9_10device_ptrIyEEEENSB_INSC_IjEEEEPNS0_10empty_typeENS0_5tupleIJNS9_16discard_iteratorINS9_11use_defaultEEESH_EEENSJ_IJSG_SI_EEENS0_18inequality_wrapperINS9_8equal_toIyEEEEPmJSH_EEE10hipError_tPvRmT3_T4_T5_T6_T7_T9_mT8_P12ihipStream_tbDpT10_ENKUlT_T0_E_clISt17integral_constantIbLb1EES1C_IbLb0EEEEDaS18_S19_EUlS18_E_NS1_11comp_targetILNS1_3genE9ELNS1_11target_archE1100ELNS1_3gpuE3ELNS1_3repE0EEENS1_30default_config_static_selectorELNS0_4arch9wavefront6targetE0EEEvT1_
    .private_segment_fixed_size: 0
    .sgpr_count:     26
    .sgpr_spill_count: 0
    .symbol:         _ZN7rocprim17ROCPRIM_400000_NS6detail17trampoline_kernelINS0_14default_configENS1_25partition_config_selectorILNS1_17partition_subalgoE9EyjbEEZZNS1_14partition_implILS5_9ELb0ES3_jN6thrust23THRUST_200600_302600_NS6detail15normal_iteratorINS9_10device_ptrIyEEEENSB_INSC_IjEEEEPNS0_10empty_typeENS0_5tupleIJNS9_16discard_iteratorINS9_11use_defaultEEESH_EEENSJ_IJSG_SI_EEENS0_18inequality_wrapperINS9_8equal_toIyEEEEPmJSH_EEE10hipError_tPvRmT3_T4_T5_T6_T7_T9_mT8_P12ihipStream_tbDpT10_ENKUlT_T0_E_clISt17integral_constantIbLb1EES1C_IbLb0EEEEDaS18_S19_EUlS18_E_NS1_11comp_targetILNS1_3genE9ELNS1_11target_archE1100ELNS1_3gpuE3ELNS1_3repE0EEENS1_30default_config_static_selectorELNS0_4arch9wavefront6targetE0EEEvT1_.kd
    .uniform_work_group_size: 1
    .uses_dynamic_stack: false
    .vgpr_count:     59
    .vgpr_spill_count: 0
    .wavefront_size: 32
    .workgroup_processor_mode: 1
  - .args:
      - .offset:         0
        .size:           120
        .value_kind:     by_value
    .group_segment_fixed_size: 0
    .kernarg_segment_align: 8
    .kernarg_segment_size: 120
    .language:       OpenCL C
    .language_version:
      - 2
      - 0
    .max_flat_workgroup_size: 512
    .name:           _ZN7rocprim17ROCPRIM_400000_NS6detail17trampoline_kernelINS0_14default_configENS1_25partition_config_selectorILNS1_17partition_subalgoE9EyjbEEZZNS1_14partition_implILS5_9ELb0ES3_jN6thrust23THRUST_200600_302600_NS6detail15normal_iteratorINS9_10device_ptrIyEEEENSB_INSC_IjEEEEPNS0_10empty_typeENS0_5tupleIJNS9_16discard_iteratorINS9_11use_defaultEEESH_EEENSJ_IJSG_SI_EEENS0_18inequality_wrapperINS9_8equal_toIyEEEEPmJSH_EEE10hipError_tPvRmT3_T4_T5_T6_T7_T9_mT8_P12ihipStream_tbDpT10_ENKUlT_T0_E_clISt17integral_constantIbLb1EES1C_IbLb0EEEEDaS18_S19_EUlS18_E_NS1_11comp_targetILNS1_3genE8ELNS1_11target_archE1030ELNS1_3gpuE2ELNS1_3repE0EEENS1_30default_config_static_selectorELNS0_4arch9wavefront6targetE0EEEvT1_
    .private_segment_fixed_size: 0
    .sgpr_count:     0
    .sgpr_spill_count: 0
    .symbol:         _ZN7rocprim17ROCPRIM_400000_NS6detail17trampoline_kernelINS0_14default_configENS1_25partition_config_selectorILNS1_17partition_subalgoE9EyjbEEZZNS1_14partition_implILS5_9ELb0ES3_jN6thrust23THRUST_200600_302600_NS6detail15normal_iteratorINS9_10device_ptrIyEEEENSB_INSC_IjEEEEPNS0_10empty_typeENS0_5tupleIJNS9_16discard_iteratorINS9_11use_defaultEEESH_EEENSJ_IJSG_SI_EEENS0_18inequality_wrapperINS9_8equal_toIyEEEEPmJSH_EEE10hipError_tPvRmT3_T4_T5_T6_T7_T9_mT8_P12ihipStream_tbDpT10_ENKUlT_T0_E_clISt17integral_constantIbLb1EES1C_IbLb0EEEEDaS18_S19_EUlS18_E_NS1_11comp_targetILNS1_3genE8ELNS1_11target_archE1030ELNS1_3gpuE2ELNS1_3repE0EEENS1_30default_config_static_selectorELNS0_4arch9wavefront6targetE0EEEvT1_.kd
    .uniform_work_group_size: 1
    .uses_dynamic_stack: false
    .vgpr_count:     0
    .vgpr_spill_count: 0
    .wavefront_size: 32
    .workgroup_processor_mode: 1
  - .args:
      - .offset:         0
        .size:           136
        .value_kind:     by_value
    .group_segment_fixed_size: 0
    .kernarg_segment_align: 8
    .kernarg_segment_size: 136
    .language:       OpenCL C
    .language_version:
      - 2
      - 0
    .max_flat_workgroup_size: 128
    .name:           _ZN7rocprim17ROCPRIM_400000_NS6detail17trampoline_kernelINS0_14default_configENS1_25partition_config_selectorILNS1_17partition_subalgoE9EyjbEEZZNS1_14partition_implILS5_9ELb0ES3_jN6thrust23THRUST_200600_302600_NS6detail15normal_iteratorINS9_10device_ptrIyEEEENSB_INSC_IjEEEEPNS0_10empty_typeENS0_5tupleIJNS9_16discard_iteratorINS9_11use_defaultEEESH_EEENSJ_IJSG_SI_EEENS0_18inequality_wrapperINS9_8equal_toIyEEEEPmJSH_EEE10hipError_tPvRmT3_T4_T5_T6_T7_T9_mT8_P12ihipStream_tbDpT10_ENKUlT_T0_E_clISt17integral_constantIbLb0EES1C_IbLb1EEEEDaS18_S19_EUlS18_E_NS1_11comp_targetILNS1_3genE0ELNS1_11target_archE4294967295ELNS1_3gpuE0ELNS1_3repE0EEENS1_30default_config_static_selectorELNS0_4arch9wavefront6targetE0EEEvT1_
    .private_segment_fixed_size: 0
    .sgpr_count:     0
    .sgpr_spill_count: 0
    .symbol:         _ZN7rocprim17ROCPRIM_400000_NS6detail17trampoline_kernelINS0_14default_configENS1_25partition_config_selectorILNS1_17partition_subalgoE9EyjbEEZZNS1_14partition_implILS5_9ELb0ES3_jN6thrust23THRUST_200600_302600_NS6detail15normal_iteratorINS9_10device_ptrIyEEEENSB_INSC_IjEEEEPNS0_10empty_typeENS0_5tupleIJNS9_16discard_iteratorINS9_11use_defaultEEESH_EEENSJ_IJSG_SI_EEENS0_18inequality_wrapperINS9_8equal_toIyEEEEPmJSH_EEE10hipError_tPvRmT3_T4_T5_T6_T7_T9_mT8_P12ihipStream_tbDpT10_ENKUlT_T0_E_clISt17integral_constantIbLb0EES1C_IbLb1EEEEDaS18_S19_EUlS18_E_NS1_11comp_targetILNS1_3genE0ELNS1_11target_archE4294967295ELNS1_3gpuE0ELNS1_3repE0EEENS1_30default_config_static_selectorELNS0_4arch9wavefront6targetE0EEEvT1_.kd
    .uniform_work_group_size: 1
    .uses_dynamic_stack: false
    .vgpr_count:     0
    .vgpr_spill_count: 0
    .wavefront_size: 32
    .workgroup_processor_mode: 1
  - .args:
      - .offset:         0
        .size:           136
        .value_kind:     by_value
    .group_segment_fixed_size: 0
    .kernarg_segment_align: 8
    .kernarg_segment_size: 136
    .language:       OpenCL C
    .language_version:
      - 2
      - 0
    .max_flat_workgroup_size: 512
    .name:           _ZN7rocprim17ROCPRIM_400000_NS6detail17trampoline_kernelINS0_14default_configENS1_25partition_config_selectorILNS1_17partition_subalgoE9EyjbEEZZNS1_14partition_implILS5_9ELb0ES3_jN6thrust23THRUST_200600_302600_NS6detail15normal_iteratorINS9_10device_ptrIyEEEENSB_INSC_IjEEEEPNS0_10empty_typeENS0_5tupleIJNS9_16discard_iteratorINS9_11use_defaultEEESH_EEENSJ_IJSG_SI_EEENS0_18inequality_wrapperINS9_8equal_toIyEEEEPmJSH_EEE10hipError_tPvRmT3_T4_T5_T6_T7_T9_mT8_P12ihipStream_tbDpT10_ENKUlT_T0_E_clISt17integral_constantIbLb0EES1C_IbLb1EEEEDaS18_S19_EUlS18_E_NS1_11comp_targetILNS1_3genE5ELNS1_11target_archE942ELNS1_3gpuE9ELNS1_3repE0EEENS1_30default_config_static_selectorELNS0_4arch9wavefront6targetE0EEEvT1_
    .private_segment_fixed_size: 0
    .sgpr_count:     0
    .sgpr_spill_count: 0
    .symbol:         _ZN7rocprim17ROCPRIM_400000_NS6detail17trampoline_kernelINS0_14default_configENS1_25partition_config_selectorILNS1_17partition_subalgoE9EyjbEEZZNS1_14partition_implILS5_9ELb0ES3_jN6thrust23THRUST_200600_302600_NS6detail15normal_iteratorINS9_10device_ptrIyEEEENSB_INSC_IjEEEEPNS0_10empty_typeENS0_5tupleIJNS9_16discard_iteratorINS9_11use_defaultEEESH_EEENSJ_IJSG_SI_EEENS0_18inequality_wrapperINS9_8equal_toIyEEEEPmJSH_EEE10hipError_tPvRmT3_T4_T5_T6_T7_T9_mT8_P12ihipStream_tbDpT10_ENKUlT_T0_E_clISt17integral_constantIbLb0EES1C_IbLb1EEEEDaS18_S19_EUlS18_E_NS1_11comp_targetILNS1_3genE5ELNS1_11target_archE942ELNS1_3gpuE9ELNS1_3repE0EEENS1_30default_config_static_selectorELNS0_4arch9wavefront6targetE0EEEvT1_.kd
    .uniform_work_group_size: 1
    .uses_dynamic_stack: false
    .vgpr_count:     0
    .vgpr_spill_count: 0
    .wavefront_size: 32
    .workgroup_processor_mode: 1
  - .args:
      - .offset:         0
        .size:           136
        .value_kind:     by_value
    .group_segment_fixed_size: 0
    .kernarg_segment_align: 8
    .kernarg_segment_size: 136
    .language:       OpenCL C
    .language_version:
      - 2
      - 0
    .max_flat_workgroup_size: 192
    .name:           _ZN7rocprim17ROCPRIM_400000_NS6detail17trampoline_kernelINS0_14default_configENS1_25partition_config_selectorILNS1_17partition_subalgoE9EyjbEEZZNS1_14partition_implILS5_9ELb0ES3_jN6thrust23THRUST_200600_302600_NS6detail15normal_iteratorINS9_10device_ptrIyEEEENSB_INSC_IjEEEEPNS0_10empty_typeENS0_5tupleIJNS9_16discard_iteratorINS9_11use_defaultEEESH_EEENSJ_IJSG_SI_EEENS0_18inequality_wrapperINS9_8equal_toIyEEEEPmJSH_EEE10hipError_tPvRmT3_T4_T5_T6_T7_T9_mT8_P12ihipStream_tbDpT10_ENKUlT_T0_E_clISt17integral_constantIbLb0EES1C_IbLb1EEEEDaS18_S19_EUlS18_E_NS1_11comp_targetILNS1_3genE4ELNS1_11target_archE910ELNS1_3gpuE8ELNS1_3repE0EEENS1_30default_config_static_selectorELNS0_4arch9wavefront6targetE0EEEvT1_
    .private_segment_fixed_size: 0
    .sgpr_count:     0
    .sgpr_spill_count: 0
    .symbol:         _ZN7rocprim17ROCPRIM_400000_NS6detail17trampoline_kernelINS0_14default_configENS1_25partition_config_selectorILNS1_17partition_subalgoE9EyjbEEZZNS1_14partition_implILS5_9ELb0ES3_jN6thrust23THRUST_200600_302600_NS6detail15normal_iteratorINS9_10device_ptrIyEEEENSB_INSC_IjEEEEPNS0_10empty_typeENS0_5tupleIJNS9_16discard_iteratorINS9_11use_defaultEEESH_EEENSJ_IJSG_SI_EEENS0_18inequality_wrapperINS9_8equal_toIyEEEEPmJSH_EEE10hipError_tPvRmT3_T4_T5_T6_T7_T9_mT8_P12ihipStream_tbDpT10_ENKUlT_T0_E_clISt17integral_constantIbLb0EES1C_IbLb1EEEEDaS18_S19_EUlS18_E_NS1_11comp_targetILNS1_3genE4ELNS1_11target_archE910ELNS1_3gpuE8ELNS1_3repE0EEENS1_30default_config_static_selectorELNS0_4arch9wavefront6targetE0EEEvT1_.kd
    .uniform_work_group_size: 1
    .uses_dynamic_stack: false
    .vgpr_count:     0
    .vgpr_spill_count: 0
    .wavefront_size: 32
    .workgroup_processor_mode: 1
  - .args:
      - .offset:         0
        .size:           136
        .value_kind:     by_value
    .group_segment_fixed_size: 0
    .kernarg_segment_align: 8
    .kernarg_segment_size: 136
    .language:       OpenCL C
    .language_version:
      - 2
      - 0
    .max_flat_workgroup_size: 128
    .name:           _ZN7rocprim17ROCPRIM_400000_NS6detail17trampoline_kernelINS0_14default_configENS1_25partition_config_selectorILNS1_17partition_subalgoE9EyjbEEZZNS1_14partition_implILS5_9ELb0ES3_jN6thrust23THRUST_200600_302600_NS6detail15normal_iteratorINS9_10device_ptrIyEEEENSB_INSC_IjEEEEPNS0_10empty_typeENS0_5tupleIJNS9_16discard_iteratorINS9_11use_defaultEEESH_EEENSJ_IJSG_SI_EEENS0_18inequality_wrapperINS9_8equal_toIyEEEEPmJSH_EEE10hipError_tPvRmT3_T4_T5_T6_T7_T9_mT8_P12ihipStream_tbDpT10_ENKUlT_T0_E_clISt17integral_constantIbLb0EES1C_IbLb1EEEEDaS18_S19_EUlS18_E_NS1_11comp_targetILNS1_3genE3ELNS1_11target_archE908ELNS1_3gpuE7ELNS1_3repE0EEENS1_30default_config_static_selectorELNS0_4arch9wavefront6targetE0EEEvT1_
    .private_segment_fixed_size: 0
    .sgpr_count:     0
    .sgpr_spill_count: 0
    .symbol:         _ZN7rocprim17ROCPRIM_400000_NS6detail17trampoline_kernelINS0_14default_configENS1_25partition_config_selectorILNS1_17partition_subalgoE9EyjbEEZZNS1_14partition_implILS5_9ELb0ES3_jN6thrust23THRUST_200600_302600_NS6detail15normal_iteratorINS9_10device_ptrIyEEEENSB_INSC_IjEEEEPNS0_10empty_typeENS0_5tupleIJNS9_16discard_iteratorINS9_11use_defaultEEESH_EEENSJ_IJSG_SI_EEENS0_18inequality_wrapperINS9_8equal_toIyEEEEPmJSH_EEE10hipError_tPvRmT3_T4_T5_T6_T7_T9_mT8_P12ihipStream_tbDpT10_ENKUlT_T0_E_clISt17integral_constantIbLb0EES1C_IbLb1EEEEDaS18_S19_EUlS18_E_NS1_11comp_targetILNS1_3genE3ELNS1_11target_archE908ELNS1_3gpuE7ELNS1_3repE0EEENS1_30default_config_static_selectorELNS0_4arch9wavefront6targetE0EEEvT1_.kd
    .uniform_work_group_size: 1
    .uses_dynamic_stack: false
    .vgpr_count:     0
    .vgpr_spill_count: 0
    .wavefront_size: 32
    .workgroup_processor_mode: 1
  - .args:
      - .offset:         0
        .size:           136
        .value_kind:     by_value
    .group_segment_fixed_size: 0
    .kernarg_segment_align: 8
    .kernarg_segment_size: 136
    .language:       OpenCL C
    .language_version:
      - 2
      - 0
    .max_flat_workgroup_size: 256
    .name:           _ZN7rocprim17ROCPRIM_400000_NS6detail17trampoline_kernelINS0_14default_configENS1_25partition_config_selectorILNS1_17partition_subalgoE9EyjbEEZZNS1_14partition_implILS5_9ELb0ES3_jN6thrust23THRUST_200600_302600_NS6detail15normal_iteratorINS9_10device_ptrIyEEEENSB_INSC_IjEEEEPNS0_10empty_typeENS0_5tupleIJNS9_16discard_iteratorINS9_11use_defaultEEESH_EEENSJ_IJSG_SI_EEENS0_18inequality_wrapperINS9_8equal_toIyEEEEPmJSH_EEE10hipError_tPvRmT3_T4_T5_T6_T7_T9_mT8_P12ihipStream_tbDpT10_ENKUlT_T0_E_clISt17integral_constantIbLb0EES1C_IbLb1EEEEDaS18_S19_EUlS18_E_NS1_11comp_targetILNS1_3genE2ELNS1_11target_archE906ELNS1_3gpuE6ELNS1_3repE0EEENS1_30default_config_static_selectorELNS0_4arch9wavefront6targetE0EEEvT1_
    .private_segment_fixed_size: 0
    .sgpr_count:     0
    .sgpr_spill_count: 0
    .symbol:         _ZN7rocprim17ROCPRIM_400000_NS6detail17trampoline_kernelINS0_14default_configENS1_25partition_config_selectorILNS1_17partition_subalgoE9EyjbEEZZNS1_14partition_implILS5_9ELb0ES3_jN6thrust23THRUST_200600_302600_NS6detail15normal_iteratorINS9_10device_ptrIyEEEENSB_INSC_IjEEEEPNS0_10empty_typeENS0_5tupleIJNS9_16discard_iteratorINS9_11use_defaultEEESH_EEENSJ_IJSG_SI_EEENS0_18inequality_wrapperINS9_8equal_toIyEEEEPmJSH_EEE10hipError_tPvRmT3_T4_T5_T6_T7_T9_mT8_P12ihipStream_tbDpT10_ENKUlT_T0_E_clISt17integral_constantIbLb0EES1C_IbLb1EEEEDaS18_S19_EUlS18_E_NS1_11comp_targetILNS1_3genE2ELNS1_11target_archE906ELNS1_3gpuE6ELNS1_3repE0EEENS1_30default_config_static_selectorELNS0_4arch9wavefront6targetE0EEEvT1_.kd
    .uniform_work_group_size: 1
    .uses_dynamic_stack: false
    .vgpr_count:     0
    .vgpr_spill_count: 0
    .wavefront_size: 32
    .workgroup_processor_mode: 1
  - .args:
      - .offset:         0
        .size:           136
        .value_kind:     by_value
    .group_segment_fixed_size: 0
    .kernarg_segment_align: 8
    .kernarg_segment_size: 136
    .language:       OpenCL C
    .language_version:
      - 2
      - 0
    .max_flat_workgroup_size: 384
    .name:           _ZN7rocprim17ROCPRIM_400000_NS6detail17trampoline_kernelINS0_14default_configENS1_25partition_config_selectorILNS1_17partition_subalgoE9EyjbEEZZNS1_14partition_implILS5_9ELb0ES3_jN6thrust23THRUST_200600_302600_NS6detail15normal_iteratorINS9_10device_ptrIyEEEENSB_INSC_IjEEEEPNS0_10empty_typeENS0_5tupleIJNS9_16discard_iteratorINS9_11use_defaultEEESH_EEENSJ_IJSG_SI_EEENS0_18inequality_wrapperINS9_8equal_toIyEEEEPmJSH_EEE10hipError_tPvRmT3_T4_T5_T6_T7_T9_mT8_P12ihipStream_tbDpT10_ENKUlT_T0_E_clISt17integral_constantIbLb0EES1C_IbLb1EEEEDaS18_S19_EUlS18_E_NS1_11comp_targetILNS1_3genE10ELNS1_11target_archE1200ELNS1_3gpuE4ELNS1_3repE0EEENS1_30default_config_static_selectorELNS0_4arch9wavefront6targetE0EEEvT1_
    .private_segment_fixed_size: 0
    .sgpr_count:     0
    .sgpr_spill_count: 0
    .symbol:         _ZN7rocprim17ROCPRIM_400000_NS6detail17trampoline_kernelINS0_14default_configENS1_25partition_config_selectorILNS1_17partition_subalgoE9EyjbEEZZNS1_14partition_implILS5_9ELb0ES3_jN6thrust23THRUST_200600_302600_NS6detail15normal_iteratorINS9_10device_ptrIyEEEENSB_INSC_IjEEEEPNS0_10empty_typeENS0_5tupleIJNS9_16discard_iteratorINS9_11use_defaultEEESH_EEENSJ_IJSG_SI_EEENS0_18inequality_wrapperINS9_8equal_toIyEEEEPmJSH_EEE10hipError_tPvRmT3_T4_T5_T6_T7_T9_mT8_P12ihipStream_tbDpT10_ENKUlT_T0_E_clISt17integral_constantIbLb0EES1C_IbLb1EEEEDaS18_S19_EUlS18_E_NS1_11comp_targetILNS1_3genE10ELNS1_11target_archE1200ELNS1_3gpuE4ELNS1_3repE0EEENS1_30default_config_static_selectorELNS0_4arch9wavefront6targetE0EEEvT1_.kd
    .uniform_work_group_size: 1
    .uses_dynamic_stack: false
    .vgpr_count:     0
    .vgpr_spill_count: 0
    .wavefront_size: 32
    .workgroup_processor_mode: 1
  - .args:
      - .offset:         0
        .size:           136
        .value_kind:     by_value
    .group_segment_fixed_size: 33800
    .kernarg_segment_align: 8
    .kernarg_segment_size: 136
    .language:       OpenCL C
    .language_version:
      - 2
      - 0
    .max_flat_workgroup_size: 512
    .name:           _ZN7rocprim17ROCPRIM_400000_NS6detail17trampoline_kernelINS0_14default_configENS1_25partition_config_selectorILNS1_17partition_subalgoE9EyjbEEZZNS1_14partition_implILS5_9ELb0ES3_jN6thrust23THRUST_200600_302600_NS6detail15normal_iteratorINS9_10device_ptrIyEEEENSB_INSC_IjEEEEPNS0_10empty_typeENS0_5tupleIJNS9_16discard_iteratorINS9_11use_defaultEEESH_EEENSJ_IJSG_SI_EEENS0_18inequality_wrapperINS9_8equal_toIyEEEEPmJSH_EEE10hipError_tPvRmT3_T4_T5_T6_T7_T9_mT8_P12ihipStream_tbDpT10_ENKUlT_T0_E_clISt17integral_constantIbLb0EES1C_IbLb1EEEEDaS18_S19_EUlS18_E_NS1_11comp_targetILNS1_3genE9ELNS1_11target_archE1100ELNS1_3gpuE3ELNS1_3repE0EEENS1_30default_config_static_selectorELNS0_4arch9wavefront6targetE0EEEvT1_
    .private_segment_fixed_size: 0
    .sgpr_count:     28
    .sgpr_spill_count: 0
    .symbol:         _ZN7rocprim17ROCPRIM_400000_NS6detail17trampoline_kernelINS0_14default_configENS1_25partition_config_selectorILNS1_17partition_subalgoE9EyjbEEZZNS1_14partition_implILS5_9ELb0ES3_jN6thrust23THRUST_200600_302600_NS6detail15normal_iteratorINS9_10device_ptrIyEEEENSB_INSC_IjEEEEPNS0_10empty_typeENS0_5tupleIJNS9_16discard_iteratorINS9_11use_defaultEEESH_EEENSJ_IJSG_SI_EEENS0_18inequality_wrapperINS9_8equal_toIyEEEEPmJSH_EEE10hipError_tPvRmT3_T4_T5_T6_T7_T9_mT8_P12ihipStream_tbDpT10_ENKUlT_T0_E_clISt17integral_constantIbLb0EES1C_IbLb1EEEEDaS18_S19_EUlS18_E_NS1_11comp_targetILNS1_3genE9ELNS1_11target_archE1100ELNS1_3gpuE3ELNS1_3repE0EEENS1_30default_config_static_selectorELNS0_4arch9wavefront6targetE0EEEvT1_.kd
    .uniform_work_group_size: 1
    .uses_dynamic_stack: false
    .vgpr_count:     61
    .vgpr_spill_count: 0
    .wavefront_size: 32
    .workgroup_processor_mode: 1
  - .args:
      - .offset:         0
        .size:           136
        .value_kind:     by_value
    .group_segment_fixed_size: 0
    .kernarg_segment_align: 8
    .kernarg_segment_size: 136
    .language:       OpenCL C
    .language_version:
      - 2
      - 0
    .max_flat_workgroup_size: 512
    .name:           _ZN7rocprim17ROCPRIM_400000_NS6detail17trampoline_kernelINS0_14default_configENS1_25partition_config_selectorILNS1_17partition_subalgoE9EyjbEEZZNS1_14partition_implILS5_9ELb0ES3_jN6thrust23THRUST_200600_302600_NS6detail15normal_iteratorINS9_10device_ptrIyEEEENSB_INSC_IjEEEEPNS0_10empty_typeENS0_5tupleIJNS9_16discard_iteratorINS9_11use_defaultEEESH_EEENSJ_IJSG_SI_EEENS0_18inequality_wrapperINS9_8equal_toIyEEEEPmJSH_EEE10hipError_tPvRmT3_T4_T5_T6_T7_T9_mT8_P12ihipStream_tbDpT10_ENKUlT_T0_E_clISt17integral_constantIbLb0EES1C_IbLb1EEEEDaS18_S19_EUlS18_E_NS1_11comp_targetILNS1_3genE8ELNS1_11target_archE1030ELNS1_3gpuE2ELNS1_3repE0EEENS1_30default_config_static_selectorELNS0_4arch9wavefront6targetE0EEEvT1_
    .private_segment_fixed_size: 0
    .sgpr_count:     0
    .sgpr_spill_count: 0
    .symbol:         _ZN7rocprim17ROCPRIM_400000_NS6detail17trampoline_kernelINS0_14default_configENS1_25partition_config_selectorILNS1_17partition_subalgoE9EyjbEEZZNS1_14partition_implILS5_9ELb0ES3_jN6thrust23THRUST_200600_302600_NS6detail15normal_iteratorINS9_10device_ptrIyEEEENSB_INSC_IjEEEEPNS0_10empty_typeENS0_5tupleIJNS9_16discard_iteratorINS9_11use_defaultEEESH_EEENSJ_IJSG_SI_EEENS0_18inequality_wrapperINS9_8equal_toIyEEEEPmJSH_EEE10hipError_tPvRmT3_T4_T5_T6_T7_T9_mT8_P12ihipStream_tbDpT10_ENKUlT_T0_E_clISt17integral_constantIbLb0EES1C_IbLb1EEEEDaS18_S19_EUlS18_E_NS1_11comp_targetILNS1_3genE8ELNS1_11target_archE1030ELNS1_3gpuE2ELNS1_3repE0EEENS1_30default_config_static_selectorELNS0_4arch9wavefront6targetE0EEEvT1_.kd
    .uniform_work_group_size: 1
    .uses_dynamic_stack: false
    .vgpr_count:     0
    .vgpr_spill_count: 0
    .wavefront_size: 32
    .workgroup_processor_mode: 1
  - .args:
      - .offset:         0
        .size:           128
        .value_kind:     by_value
    .group_segment_fixed_size: 0
    .kernarg_segment_align: 8
    .kernarg_segment_size: 128
    .language:       OpenCL C
    .language_version:
      - 2
      - 0
    .max_flat_workgroup_size: 256
    .name:           _ZN7rocprim17ROCPRIM_400000_NS6detail17trampoline_kernelINS0_14default_configENS1_25partition_config_selectorILNS1_17partition_subalgoE9EjjbEEZZNS1_14partition_implILS5_9ELb0ES3_jN6thrust23THRUST_200600_302600_NS6detail15normal_iteratorINS9_10device_ptrIjEEEESE_PNS0_10empty_typeENS0_5tupleIJNS9_16discard_iteratorINS9_11use_defaultEEESF_EEENSH_IJSK_SG_EEENS0_18inequality_wrapperINS9_8equal_toIjEEEEPmJSF_EEE10hipError_tPvRmT3_T4_T5_T6_T7_T9_mT8_P12ihipStream_tbDpT10_ENKUlT_T0_E_clISt17integral_constantIbLb0EES1B_EEDaS16_S17_EUlS16_E_NS1_11comp_targetILNS1_3genE0ELNS1_11target_archE4294967295ELNS1_3gpuE0ELNS1_3repE0EEENS1_30default_config_static_selectorELNS0_4arch9wavefront6targetE0EEEvT1_
    .private_segment_fixed_size: 0
    .sgpr_count:     0
    .sgpr_spill_count: 0
    .symbol:         _ZN7rocprim17ROCPRIM_400000_NS6detail17trampoline_kernelINS0_14default_configENS1_25partition_config_selectorILNS1_17partition_subalgoE9EjjbEEZZNS1_14partition_implILS5_9ELb0ES3_jN6thrust23THRUST_200600_302600_NS6detail15normal_iteratorINS9_10device_ptrIjEEEESE_PNS0_10empty_typeENS0_5tupleIJNS9_16discard_iteratorINS9_11use_defaultEEESF_EEENSH_IJSK_SG_EEENS0_18inequality_wrapperINS9_8equal_toIjEEEEPmJSF_EEE10hipError_tPvRmT3_T4_T5_T6_T7_T9_mT8_P12ihipStream_tbDpT10_ENKUlT_T0_E_clISt17integral_constantIbLb0EES1B_EEDaS16_S17_EUlS16_E_NS1_11comp_targetILNS1_3genE0ELNS1_11target_archE4294967295ELNS1_3gpuE0ELNS1_3repE0EEENS1_30default_config_static_selectorELNS0_4arch9wavefront6targetE0EEEvT1_.kd
    .uniform_work_group_size: 1
    .uses_dynamic_stack: false
    .vgpr_count:     0
    .vgpr_spill_count: 0
    .wavefront_size: 32
    .workgroup_processor_mode: 1
  - .args:
      - .offset:         0
        .size:           128
        .value_kind:     by_value
    .group_segment_fixed_size: 0
    .kernarg_segment_align: 8
    .kernarg_segment_size: 128
    .language:       OpenCL C
    .language_version:
      - 2
      - 0
    .max_flat_workgroup_size: 512
    .name:           _ZN7rocprim17ROCPRIM_400000_NS6detail17trampoline_kernelINS0_14default_configENS1_25partition_config_selectorILNS1_17partition_subalgoE9EjjbEEZZNS1_14partition_implILS5_9ELb0ES3_jN6thrust23THRUST_200600_302600_NS6detail15normal_iteratorINS9_10device_ptrIjEEEESE_PNS0_10empty_typeENS0_5tupleIJNS9_16discard_iteratorINS9_11use_defaultEEESF_EEENSH_IJSK_SG_EEENS0_18inequality_wrapperINS9_8equal_toIjEEEEPmJSF_EEE10hipError_tPvRmT3_T4_T5_T6_T7_T9_mT8_P12ihipStream_tbDpT10_ENKUlT_T0_E_clISt17integral_constantIbLb0EES1B_EEDaS16_S17_EUlS16_E_NS1_11comp_targetILNS1_3genE5ELNS1_11target_archE942ELNS1_3gpuE9ELNS1_3repE0EEENS1_30default_config_static_selectorELNS0_4arch9wavefront6targetE0EEEvT1_
    .private_segment_fixed_size: 0
    .sgpr_count:     0
    .sgpr_spill_count: 0
    .symbol:         _ZN7rocprim17ROCPRIM_400000_NS6detail17trampoline_kernelINS0_14default_configENS1_25partition_config_selectorILNS1_17partition_subalgoE9EjjbEEZZNS1_14partition_implILS5_9ELb0ES3_jN6thrust23THRUST_200600_302600_NS6detail15normal_iteratorINS9_10device_ptrIjEEEESE_PNS0_10empty_typeENS0_5tupleIJNS9_16discard_iteratorINS9_11use_defaultEEESF_EEENSH_IJSK_SG_EEENS0_18inequality_wrapperINS9_8equal_toIjEEEEPmJSF_EEE10hipError_tPvRmT3_T4_T5_T6_T7_T9_mT8_P12ihipStream_tbDpT10_ENKUlT_T0_E_clISt17integral_constantIbLb0EES1B_EEDaS16_S17_EUlS16_E_NS1_11comp_targetILNS1_3genE5ELNS1_11target_archE942ELNS1_3gpuE9ELNS1_3repE0EEENS1_30default_config_static_selectorELNS0_4arch9wavefront6targetE0EEEvT1_.kd
    .uniform_work_group_size: 1
    .uses_dynamic_stack: false
    .vgpr_count:     0
    .vgpr_spill_count: 0
    .wavefront_size: 32
    .workgroup_processor_mode: 1
  - .args:
      - .offset:         0
        .size:           128
        .value_kind:     by_value
    .group_segment_fixed_size: 0
    .kernarg_segment_align: 8
    .kernarg_segment_size: 128
    .language:       OpenCL C
    .language_version:
      - 2
      - 0
    .max_flat_workgroup_size: 192
    .name:           _ZN7rocprim17ROCPRIM_400000_NS6detail17trampoline_kernelINS0_14default_configENS1_25partition_config_selectorILNS1_17partition_subalgoE9EjjbEEZZNS1_14partition_implILS5_9ELb0ES3_jN6thrust23THRUST_200600_302600_NS6detail15normal_iteratorINS9_10device_ptrIjEEEESE_PNS0_10empty_typeENS0_5tupleIJNS9_16discard_iteratorINS9_11use_defaultEEESF_EEENSH_IJSK_SG_EEENS0_18inequality_wrapperINS9_8equal_toIjEEEEPmJSF_EEE10hipError_tPvRmT3_T4_T5_T6_T7_T9_mT8_P12ihipStream_tbDpT10_ENKUlT_T0_E_clISt17integral_constantIbLb0EES1B_EEDaS16_S17_EUlS16_E_NS1_11comp_targetILNS1_3genE4ELNS1_11target_archE910ELNS1_3gpuE8ELNS1_3repE0EEENS1_30default_config_static_selectorELNS0_4arch9wavefront6targetE0EEEvT1_
    .private_segment_fixed_size: 0
    .sgpr_count:     0
    .sgpr_spill_count: 0
    .symbol:         _ZN7rocprim17ROCPRIM_400000_NS6detail17trampoline_kernelINS0_14default_configENS1_25partition_config_selectorILNS1_17partition_subalgoE9EjjbEEZZNS1_14partition_implILS5_9ELb0ES3_jN6thrust23THRUST_200600_302600_NS6detail15normal_iteratorINS9_10device_ptrIjEEEESE_PNS0_10empty_typeENS0_5tupleIJNS9_16discard_iteratorINS9_11use_defaultEEESF_EEENSH_IJSK_SG_EEENS0_18inequality_wrapperINS9_8equal_toIjEEEEPmJSF_EEE10hipError_tPvRmT3_T4_T5_T6_T7_T9_mT8_P12ihipStream_tbDpT10_ENKUlT_T0_E_clISt17integral_constantIbLb0EES1B_EEDaS16_S17_EUlS16_E_NS1_11comp_targetILNS1_3genE4ELNS1_11target_archE910ELNS1_3gpuE8ELNS1_3repE0EEENS1_30default_config_static_selectorELNS0_4arch9wavefront6targetE0EEEvT1_.kd
    .uniform_work_group_size: 1
    .uses_dynamic_stack: false
    .vgpr_count:     0
    .vgpr_spill_count: 0
    .wavefront_size: 32
    .workgroup_processor_mode: 1
  - .args:
      - .offset:         0
        .size:           128
        .value_kind:     by_value
    .group_segment_fixed_size: 0
    .kernarg_segment_align: 8
    .kernarg_segment_size: 128
    .language:       OpenCL C
    .language_version:
      - 2
      - 0
    .max_flat_workgroup_size: 256
    .name:           _ZN7rocprim17ROCPRIM_400000_NS6detail17trampoline_kernelINS0_14default_configENS1_25partition_config_selectorILNS1_17partition_subalgoE9EjjbEEZZNS1_14partition_implILS5_9ELb0ES3_jN6thrust23THRUST_200600_302600_NS6detail15normal_iteratorINS9_10device_ptrIjEEEESE_PNS0_10empty_typeENS0_5tupleIJNS9_16discard_iteratorINS9_11use_defaultEEESF_EEENSH_IJSK_SG_EEENS0_18inequality_wrapperINS9_8equal_toIjEEEEPmJSF_EEE10hipError_tPvRmT3_T4_T5_T6_T7_T9_mT8_P12ihipStream_tbDpT10_ENKUlT_T0_E_clISt17integral_constantIbLb0EES1B_EEDaS16_S17_EUlS16_E_NS1_11comp_targetILNS1_3genE3ELNS1_11target_archE908ELNS1_3gpuE7ELNS1_3repE0EEENS1_30default_config_static_selectorELNS0_4arch9wavefront6targetE0EEEvT1_
    .private_segment_fixed_size: 0
    .sgpr_count:     0
    .sgpr_spill_count: 0
    .symbol:         _ZN7rocprim17ROCPRIM_400000_NS6detail17trampoline_kernelINS0_14default_configENS1_25partition_config_selectorILNS1_17partition_subalgoE9EjjbEEZZNS1_14partition_implILS5_9ELb0ES3_jN6thrust23THRUST_200600_302600_NS6detail15normal_iteratorINS9_10device_ptrIjEEEESE_PNS0_10empty_typeENS0_5tupleIJNS9_16discard_iteratorINS9_11use_defaultEEESF_EEENSH_IJSK_SG_EEENS0_18inequality_wrapperINS9_8equal_toIjEEEEPmJSF_EEE10hipError_tPvRmT3_T4_T5_T6_T7_T9_mT8_P12ihipStream_tbDpT10_ENKUlT_T0_E_clISt17integral_constantIbLb0EES1B_EEDaS16_S17_EUlS16_E_NS1_11comp_targetILNS1_3genE3ELNS1_11target_archE908ELNS1_3gpuE7ELNS1_3repE0EEENS1_30default_config_static_selectorELNS0_4arch9wavefront6targetE0EEEvT1_.kd
    .uniform_work_group_size: 1
    .uses_dynamic_stack: false
    .vgpr_count:     0
    .vgpr_spill_count: 0
    .wavefront_size: 32
    .workgroup_processor_mode: 1
  - .args:
      - .offset:         0
        .size:           128
        .value_kind:     by_value
    .group_segment_fixed_size: 0
    .kernarg_segment_align: 8
    .kernarg_segment_size: 128
    .language:       OpenCL C
    .language_version:
      - 2
      - 0
    .max_flat_workgroup_size: 256
    .name:           _ZN7rocprim17ROCPRIM_400000_NS6detail17trampoline_kernelINS0_14default_configENS1_25partition_config_selectorILNS1_17partition_subalgoE9EjjbEEZZNS1_14partition_implILS5_9ELb0ES3_jN6thrust23THRUST_200600_302600_NS6detail15normal_iteratorINS9_10device_ptrIjEEEESE_PNS0_10empty_typeENS0_5tupleIJNS9_16discard_iteratorINS9_11use_defaultEEESF_EEENSH_IJSK_SG_EEENS0_18inequality_wrapperINS9_8equal_toIjEEEEPmJSF_EEE10hipError_tPvRmT3_T4_T5_T6_T7_T9_mT8_P12ihipStream_tbDpT10_ENKUlT_T0_E_clISt17integral_constantIbLb0EES1B_EEDaS16_S17_EUlS16_E_NS1_11comp_targetILNS1_3genE2ELNS1_11target_archE906ELNS1_3gpuE6ELNS1_3repE0EEENS1_30default_config_static_selectorELNS0_4arch9wavefront6targetE0EEEvT1_
    .private_segment_fixed_size: 0
    .sgpr_count:     0
    .sgpr_spill_count: 0
    .symbol:         _ZN7rocprim17ROCPRIM_400000_NS6detail17trampoline_kernelINS0_14default_configENS1_25partition_config_selectorILNS1_17partition_subalgoE9EjjbEEZZNS1_14partition_implILS5_9ELb0ES3_jN6thrust23THRUST_200600_302600_NS6detail15normal_iteratorINS9_10device_ptrIjEEEESE_PNS0_10empty_typeENS0_5tupleIJNS9_16discard_iteratorINS9_11use_defaultEEESF_EEENSH_IJSK_SG_EEENS0_18inequality_wrapperINS9_8equal_toIjEEEEPmJSF_EEE10hipError_tPvRmT3_T4_T5_T6_T7_T9_mT8_P12ihipStream_tbDpT10_ENKUlT_T0_E_clISt17integral_constantIbLb0EES1B_EEDaS16_S17_EUlS16_E_NS1_11comp_targetILNS1_3genE2ELNS1_11target_archE906ELNS1_3gpuE6ELNS1_3repE0EEENS1_30default_config_static_selectorELNS0_4arch9wavefront6targetE0EEEvT1_.kd
    .uniform_work_group_size: 1
    .uses_dynamic_stack: false
    .vgpr_count:     0
    .vgpr_spill_count: 0
    .wavefront_size: 32
    .workgroup_processor_mode: 1
  - .args:
      - .offset:         0
        .size:           128
        .value_kind:     by_value
    .group_segment_fixed_size: 0
    .kernarg_segment_align: 8
    .kernarg_segment_size: 128
    .language:       OpenCL C
    .language_version:
      - 2
      - 0
    .max_flat_workgroup_size: 384
    .name:           _ZN7rocprim17ROCPRIM_400000_NS6detail17trampoline_kernelINS0_14default_configENS1_25partition_config_selectorILNS1_17partition_subalgoE9EjjbEEZZNS1_14partition_implILS5_9ELb0ES3_jN6thrust23THRUST_200600_302600_NS6detail15normal_iteratorINS9_10device_ptrIjEEEESE_PNS0_10empty_typeENS0_5tupleIJNS9_16discard_iteratorINS9_11use_defaultEEESF_EEENSH_IJSK_SG_EEENS0_18inequality_wrapperINS9_8equal_toIjEEEEPmJSF_EEE10hipError_tPvRmT3_T4_T5_T6_T7_T9_mT8_P12ihipStream_tbDpT10_ENKUlT_T0_E_clISt17integral_constantIbLb0EES1B_EEDaS16_S17_EUlS16_E_NS1_11comp_targetILNS1_3genE10ELNS1_11target_archE1200ELNS1_3gpuE4ELNS1_3repE0EEENS1_30default_config_static_selectorELNS0_4arch9wavefront6targetE0EEEvT1_
    .private_segment_fixed_size: 0
    .sgpr_count:     0
    .sgpr_spill_count: 0
    .symbol:         _ZN7rocprim17ROCPRIM_400000_NS6detail17trampoline_kernelINS0_14default_configENS1_25partition_config_selectorILNS1_17partition_subalgoE9EjjbEEZZNS1_14partition_implILS5_9ELb0ES3_jN6thrust23THRUST_200600_302600_NS6detail15normal_iteratorINS9_10device_ptrIjEEEESE_PNS0_10empty_typeENS0_5tupleIJNS9_16discard_iteratorINS9_11use_defaultEEESF_EEENSH_IJSK_SG_EEENS0_18inequality_wrapperINS9_8equal_toIjEEEEPmJSF_EEE10hipError_tPvRmT3_T4_T5_T6_T7_T9_mT8_P12ihipStream_tbDpT10_ENKUlT_T0_E_clISt17integral_constantIbLb0EES1B_EEDaS16_S17_EUlS16_E_NS1_11comp_targetILNS1_3genE10ELNS1_11target_archE1200ELNS1_3gpuE4ELNS1_3repE0EEENS1_30default_config_static_selectorELNS0_4arch9wavefront6targetE0EEEvT1_.kd
    .uniform_work_group_size: 1
    .uses_dynamic_stack: false
    .vgpr_count:     0
    .vgpr_spill_count: 0
    .wavefront_size: 32
    .workgroup_processor_mode: 1
  - .args:
      - .offset:         0
        .size:           128
        .value_kind:     by_value
    .group_segment_fixed_size: 12680
    .kernarg_segment_align: 8
    .kernarg_segment_size: 128
    .language:       OpenCL C
    .language_version:
      - 2
      - 0
    .max_flat_workgroup_size: 384
    .name:           _ZN7rocprim17ROCPRIM_400000_NS6detail17trampoline_kernelINS0_14default_configENS1_25partition_config_selectorILNS1_17partition_subalgoE9EjjbEEZZNS1_14partition_implILS5_9ELb0ES3_jN6thrust23THRUST_200600_302600_NS6detail15normal_iteratorINS9_10device_ptrIjEEEESE_PNS0_10empty_typeENS0_5tupleIJNS9_16discard_iteratorINS9_11use_defaultEEESF_EEENSH_IJSK_SG_EEENS0_18inequality_wrapperINS9_8equal_toIjEEEEPmJSF_EEE10hipError_tPvRmT3_T4_T5_T6_T7_T9_mT8_P12ihipStream_tbDpT10_ENKUlT_T0_E_clISt17integral_constantIbLb0EES1B_EEDaS16_S17_EUlS16_E_NS1_11comp_targetILNS1_3genE9ELNS1_11target_archE1100ELNS1_3gpuE3ELNS1_3repE0EEENS1_30default_config_static_selectorELNS0_4arch9wavefront6targetE0EEEvT1_
    .private_segment_fixed_size: 0
    .sgpr_count:     27
    .sgpr_spill_count: 0
    .symbol:         _ZN7rocprim17ROCPRIM_400000_NS6detail17trampoline_kernelINS0_14default_configENS1_25partition_config_selectorILNS1_17partition_subalgoE9EjjbEEZZNS1_14partition_implILS5_9ELb0ES3_jN6thrust23THRUST_200600_302600_NS6detail15normal_iteratorINS9_10device_ptrIjEEEESE_PNS0_10empty_typeENS0_5tupleIJNS9_16discard_iteratorINS9_11use_defaultEEESF_EEENSH_IJSK_SG_EEENS0_18inequality_wrapperINS9_8equal_toIjEEEEPmJSF_EEE10hipError_tPvRmT3_T4_T5_T6_T7_T9_mT8_P12ihipStream_tbDpT10_ENKUlT_T0_E_clISt17integral_constantIbLb0EES1B_EEDaS16_S17_EUlS16_E_NS1_11comp_targetILNS1_3genE9ELNS1_11target_archE1100ELNS1_3gpuE3ELNS1_3repE0EEENS1_30default_config_static_selectorELNS0_4arch9wavefront6targetE0EEEvT1_.kd
    .uniform_work_group_size: 1
    .uses_dynamic_stack: false
    .vgpr_count:     51
    .vgpr_spill_count: 0
    .wavefront_size: 32
    .workgroup_processor_mode: 1
  - .args:
      - .offset:         0
        .size:           128
        .value_kind:     by_value
    .group_segment_fixed_size: 0
    .kernarg_segment_align: 8
    .kernarg_segment_size: 128
    .language:       OpenCL C
    .language_version:
      - 2
      - 0
    .max_flat_workgroup_size: 512
    .name:           _ZN7rocprim17ROCPRIM_400000_NS6detail17trampoline_kernelINS0_14default_configENS1_25partition_config_selectorILNS1_17partition_subalgoE9EjjbEEZZNS1_14partition_implILS5_9ELb0ES3_jN6thrust23THRUST_200600_302600_NS6detail15normal_iteratorINS9_10device_ptrIjEEEESE_PNS0_10empty_typeENS0_5tupleIJNS9_16discard_iteratorINS9_11use_defaultEEESF_EEENSH_IJSK_SG_EEENS0_18inequality_wrapperINS9_8equal_toIjEEEEPmJSF_EEE10hipError_tPvRmT3_T4_T5_T6_T7_T9_mT8_P12ihipStream_tbDpT10_ENKUlT_T0_E_clISt17integral_constantIbLb0EES1B_EEDaS16_S17_EUlS16_E_NS1_11comp_targetILNS1_3genE8ELNS1_11target_archE1030ELNS1_3gpuE2ELNS1_3repE0EEENS1_30default_config_static_selectorELNS0_4arch9wavefront6targetE0EEEvT1_
    .private_segment_fixed_size: 0
    .sgpr_count:     0
    .sgpr_spill_count: 0
    .symbol:         _ZN7rocprim17ROCPRIM_400000_NS6detail17trampoline_kernelINS0_14default_configENS1_25partition_config_selectorILNS1_17partition_subalgoE9EjjbEEZZNS1_14partition_implILS5_9ELb0ES3_jN6thrust23THRUST_200600_302600_NS6detail15normal_iteratorINS9_10device_ptrIjEEEESE_PNS0_10empty_typeENS0_5tupleIJNS9_16discard_iteratorINS9_11use_defaultEEESF_EEENSH_IJSK_SG_EEENS0_18inequality_wrapperINS9_8equal_toIjEEEEPmJSF_EEE10hipError_tPvRmT3_T4_T5_T6_T7_T9_mT8_P12ihipStream_tbDpT10_ENKUlT_T0_E_clISt17integral_constantIbLb0EES1B_EEDaS16_S17_EUlS16_E_NS1_11comp_targetILNS1_3genE8ELNS1_11target_archE1030ELNS1_3gpuE2ELNS1_3repE0EEENS1_30default_config_static_selectorELNS0_4arch9wavefront6targetE0EEEvT1_.kd
    .uniform_work_group_size: 1
    .uses_dynamic_stack: false
    .vgpr_count:     0
    .vgpr_spill_count: 0
    .wavefront_size: 32
    .workgroup_processor_mode: 1
  - .args:
      - .offset:         0
        .size:           144
        .value_kind:     by_value
    .group_segment_fixed_size: 0
    .kernarg_segment_align: 8
    .kernarg_segment_size: 144
    .language:       OpenCL C
    .language_version:
      - 2
      - 0
    .max_flat_workgroup_size: 256
    .name:           _ZN7rocprim17ROCPRIM_400000_NS6detail17trampoline_kernelINS0_14default_configENS1_25partition_config_selectorILNS1_17partition_subalgoE9EjjbEEZZNS1_14partition_implILS5_9ELb0ES3_jN6thrust23THRUST_200600_302600_NS6detail15normal_iteratorINS9_10device_ptrIjEEEESE_PNS0_10empty_typeENS0_5tupleIJNS9_16discard_iteratorINS9_11use_defaultEEESF_EEENSH_IJSK_SG_EEENS0_18inequality_wrapperINS9_8equal_toIjEEEEPmJSF_EEE10hipError_tPvRmT3_T4_T5_T6_T7_T9_mT8_P12ihipStream_tbDpT10_ENKUlT_T0_E_clISt17integral_constantIbLb1EES1B_EEDaS16_S17_EUlS16_E_NS1_11comp_targetILNS1_3genE0ELNS1_11target_archE4294967295ELNS1_3gpuE0ELNS1_3repE0EEENS1_30default_config_static_selectorELNS0_4arch9wavefront6targetE0EEEvT1_
    .private_segment_fixed_size: 0
    .sgpr_count:     0
    .sgpr_spill_count: 0
    .symbol:         _ZN7rocprim17ROCPRIM_400000_NS6detail17trampoline_kernelINS0_14default_configENS1_25partition_config_selectorILNS1_17partition_subalgoE9EjjbEEZZNS1_14partition_implILS5_9ELb0ES3_jN6thrust23THRUST_200600_302600_NS6detail15normal_iteratorINS9_10device_ptrIjEEEESE_PNS0_10empty_typeENS0_5tupleIJNS9_16discard_iteratorINS9_11use_defaultEEESF_EEENSH_IJSK_SG_EEENS0_18inequality_wrapperINS9_8equal_toIjEEEEPmJSF_EEE10hipError_tPvRmT3_T4_T5_T6_T7_T9_mT8_P12ihipStream_tbDpT10_ENKUlT_T0_E_clISt17integral_constantIbLb1EES1B_EEDaS16_S17_EUlS16_E_NS1_11comp_targetILNS1_3genE0ELNS1_11target_archE4294967295ELNS1_3gpuE0ELNS1_3repE0EEENS1_30default_config_static_selectorELNS0_4arch9wavefront6targetE0EEEvT1_.kd
    .uniform_work_group_size: 1
    .uses_dynamic_stack: false
    .vgpr_count:     0
    .vgpr_spill_count: 0
    .wavefront_size: 32
    .workgroup_processor_mode: 1
  - .args:
      - .offset:         0
        .size:           144
        .value_kind:     by_value
    .group_segment_fixed_size: 0
    .kernarg_segment_align: 8
    .kernarg_segment_size: 144
    .language:       OpenCL C
    .language_version:
      - 2
      - 0
    .max_flat_workgroup_size: 512
    .name:           _ZN7rocprim17ROCPRIM_400000_NS6detail17trampoline_kernelINS0_14default_configENS1_25partition_config_selectorILNS1_17partition_subalgoE9EjjbEEZZNS1_14partition_implILS5_9ELb0ES3_jN6thrust23THRUST_200600_302600_NS6detail15normal_iteratorINS9_10device_ptrIjEEEESE_PNS0_10empty_typeENS0_5tupleIJNS9_16discard_iteratorINS9_11use_defaultEEESF_EEENSH_IJSK_SG_EEENS0_18inequality_wrapperINS9_8equal_toIjEEEEPmJSF_EEE10hipError_tPvRmT3_T4_T5_T6_T7_T9_mT8_P12ihipStream_tbDpT10_ENKUlT_T0_E_clISt17integral_constantIbLb1EES1B_EEDaS16_S17_EUlS16_E_NS1_11comp_targetILNS1_3genE5ELNS1_11target_archE942ELNS1_3gpuE9ELNS1_3repE0EEENS1_30default_config_static_selectorELNS0_4arch9wavefront6targetE0EEEvT1_
    .private_segment_fixed_size: 0
    .sgpr_count:     0
    .sgpr_spill_count: 0
    .symbol:         _ZN7rocprim17ROCPRIM_400000_NS6detail17trampoline_kernelINS0_14default_configENS1_25partition_config_selectorILNS1_17partition_subalgoE9EjjbEEZZNS1_14partition_implILS5_9ELb0ES3_jN6thrust23THRUST_200600_302600_NS6detail15normal_iteratorINS9_10device_ptrIjEEEESE_PNS0_10empty_typeENS0_5tupleIJNS9_16discard_iteratorINS9_11use_defaultEEESF_EEENSH_IJSK_SG_EEENS0_18inequality_wrapperINS9_8equal_toIjEEEEPmJSF_EEE10hipError_tPvRmT3_T4_T5_T6_T7_T9_mT8_P12ihipStream_tbDpT10_ENKUlT_T0_E_clISt17integral_constantIbLb1EES1B_EEDaS16_S17_EUlS16_E_NS1_11comp_targetILNS1_3genE5ELNS1_11target_archE942ELNS1_3gpuE9ELNS1_3repE0EEENS1_30default_config_static_selectorELNS0_4arch9wavefront6targetE0EEEvT1_.kd
    .uniform_work_group_size: 1
    .uses_dynamic_stack: false
    .vgpr_count:     0
    .vgpr_spill_count: 0
    .wavefront_size: 32
    .workgroup_processor_mode: 1
  - .args:
      - .offset:         0
        .size:           144
        .value_kind:     by_value
    .group_segment_fixed_size: 0
    .kernarg_segment_align: 8
    .kernarg_segment_size: 144
    .language:       OpenCL C
    .language_version:
      - 2
      - 0
    .max_flat_workgroup_size: 192
    .name:           _ZN7rocprim17ROCPRIM_400000_NS6detail17trampoline_kernelINS0_14default_configENS1_25partition_config_selectorILNS1_17partition_subalgoE9EjjbEEZZNS1_14partition_implILS5_9ELb0ES3_jN6thrust23THRUST_200600_302600_NS6detail15normal_iteratorINS9_10device_ptrIjEEEESE_PNS0_10empty_typeENS0_5tupleIJNS9_16discard_iteratorINS9_11use_defaultEEESF_EEENSH_IJSK_SG_EEENS0_18inequality_wrapperINS9_8equal_toIjEEEEPmJSF_EEE10hipError_tPvRmT3_T4_T5_T6_T7_T9_mT8_P12ihipStream_tbDpT10_ENKUlT_T0_E_clISt17integral_constantIbLb1EES1B_EEDaS16_S17_EUlS16_E_NS1_11comp_targetILNS1_3genE4ELNS1_11target_archE910ELNS1_3gpuE8ELNS1_3repE0EEENS1_30default_config_static_selectorELNS0_4arch9wavefront6targetE0EEEvT1_
    .private_segment_fixed_size: 0
    .sgpr_count:     0
    .sgpr_spill_count: 0
    .symbol:         _ZN7rocprim17ROCPRIM_400000_NS6detail17trampoline_kernelINS0_14default_configENS1_25partition_config_selectorILNS1_17partition_subalgoE9EjjbEEZZNS1_14partition_implILS5_9ELb0ES3_jN6thrust23THRUST_200600_302600_NS6detail15normal_iteratorINS9_10device_ptrIjEEEESE_PNS0_10empty_typeENS0_5tupleIJNS9_16discard_iteratorINS9_11use_defaultEEESF_EEENSH_IJSK_SG_EEENS0_18inequality_wrapperINS9_8equal_toIjEEEEPmJSF_EEE10hipError_tPvRmT3_T4_T5_T6_T7_T9_mT8_P12ihipStream_tbDpT10_ENKUlT_T0_E_clISt17integral_constantIbLb1EES1B_EEDaS16_S17_EUlS16_E_NS1_11comp_targetILNS1_3genE4ELNS1_11target_archE910ELNS1_3gpuE8ELNS1_3repE0EEENS1_30default_config_static_selectorELNS0_4arch9wavefront6targetE0EEEvT1_.kd
    .uniform_work_group_size: 1
    .uses_dynamic_stack: false
    .vgpr_count:     0
    .vgpr_spill_count: 0
    .wavefront_size: 32
    .workgroup_processor_mode: 1
  - .args:
      - .offset:         0
        .size:           144
        .value_kind:     by_value
    .group_segment_fixed_size: 0
    .kernarg_segment_align: 8
    .kernarg_segment_size: 144
    .language:       OpenCL C
    .language_version:
      - 2
      - 0
    .max_flat_workgroup_size: 256
    .name:           _ZN7rocprim17ROCPRIM_400000_NS6detail17trampoline_kernelINS0_14default_configENS1_25partition_config_selectorILNS1_17partition_subalgoE9EjjbEEZZNS1_14partition_implILS5_9ELb0ES3_jN6thrust23THRUST_200600_302600_NS6detail15normal_iteratorINS9_10device_ptrIjEEEESE_PNS0_10empty_typeENS0_5tupleIJNS9_16discard_iteratorINS9_11use_defaultEEESF_EEENSH_IJSK_SG_EEENS0_18inequality_wrapperINS9_8equal_toIjEEEEPmJSF_EEE10hipError_tPvRmT3_T4_T5_T6_T7_T9_mT8_P12ihipStream_tbDpT10_ENKUlT_T0_E_clISt17integral_constantIbLb1EES1B_EEDaS16_S17_EUlS16_E_NS1_11comp_targetILNS1_3genE3ELNS1_11target_archE908ELNS1_3gpuE7ELNS1_3repE0EEENS1_30default_config_static_selectorELNS0_4arch9wavefront6targetE0EEEvT1_
    .private_segment_fixed_size: 0
    .sgpr_count:     0
    .sgpr_spill_count: 0
    .symbol:         _ZN7rocprim17ROCPRIM_400000_NS6detail17trampoline_kernelINS0_14default_configENS1_25partition_config_selectorILNS1_17partition_subalgoE9EjjbEEZZNS1_14partition_implILS5_9ELb0ES3_jN6thrust23THRUST_200600_302600_NS6detail15normal_iteratorINS9_10device_ptrIjEEEESE_PNS0_10empty_typeENS0_5tupleIJNS9_16discard_iteratorINS9_11use_defaultEEESF_EEENSH_IJSK_SG_EEENS0_18inequality_wrapperINS9_8equal_toIjEEEEPmJSF_EEE10hipError_tPvRmT3_T4_T5_T6_T7_T9_mT8_P12ihipStream_tbDpT10_ENKUlT_T0_E_clISt17integral_constantIbLb1EES1B_EEDaS16_S17_EUlS16_E_NS1_11comp_targetILNS1_3genE3ELNS1_11target_archE908ELNS1_3gpuE7ELNS1_3repE0EEENS1_30default_config_static_selectorELNS0_4arch9wavefront6targetE0EEEvT1_.kd
    .uniform_work_group_size: 1
    .uses_dynamic_stack: false
    .vgpr_count:     0
    .vgpr_spill_count: 0
    .wavefront_size: 32
    .workgroup_processor_mode: 1
  - .args:
      - .offset:         0
        .size:           144
        .value_kind:     by_value
    .group_segment_fixed_size: 0
    .kernarg_segment_align: 8
    .kernarg_segment_size: 144
    .language:       OpenCL C
    .language_version:
      - 2
      - 0
    .max_flat_workgroup_size: 256
    .name:           _ZN7rocprim17ROCPRIM_400000_NS6detail17trampoline_kernelINS0_14default_configENS1_25partition_config_selectorILNS1_17partition_subalgoE9EjjbEEZZNS1_14partition_implILS5_9ELb0ES3_jN6thrust23THRUST_200600_302600_NS6detail15normal_iteratorINS9_10device_ptrIjEEEESE_PNS0_10empty_typeENS0_5tupleIJNS9_16discard_iteratorINS9_11use_defaultEEESF_EEENSH_IJSK_SG_EEENS0_18inequality_wrapperINS9_8equal_toIjEEEEPmJSF_EEE10hipError_tPvRmT3_T4_T5_T6_T7_T9_mT8_P12ihipStream_tbDpT10_ENKUlT_T0_E_clISt17integral_constantIbLb1EES1B_EEDaS16_S17_EUlS16_E_NS1_11comp_targetILNS1_3genE2ELNS1_11target_archE906ELNS1_3gpuE6ELNS1_3repE0EEENS1_30default_config_static_selectorELNS0_4arch9wavefront6targetE0EEEvT1_
    .private_segment_fixed_size: 0
    .sgpr_count:     0
    .sgpr_spill_count: 0
    .symbol:         _ZN7rocprim17ROCPRIM_400000_NS6detail17trampoline_kernelINS0_14default_configENS1_25partition_config_selectorILNS1_17partition_subalgoE9EjjbEEZZNS1_14partition_implILS5_9ELb0ES3_jN6thrust23THRUST_200600_302600_NS6detail15normal_iteratorINS9_10device_ptrIjEEEESE_PNS0_10empty_typeENS0_5tupleIJNS9_16discard_iteratorINS9_11use_defaultEEESF_EEENSH_IJSK_SG_EEENS0_18inequality_wrapperINS9_8equal_toIjEEEEPmJSF_EEE10hipError_tPvRmT3_T4_T5_T6_T7_T9_mT8_P12ihipStream_tbDpT10_ENKUlT_T0_E_clISt17integral_constantIbLb1EES1B_EEDaS16_S17_EUlS16_E_NS1_11comp_targetILNS1_3genE2ELNS1_11target_archE906ELNS1_3gpuE6ELNS1_3repE0EEENS1_30default_config_static_selectorELNS0_4arch9wavefront6targetE0EEEvT1_.kd
    .uniform_work_group_size: 1
    .uses_dynamic_stack: false
    .vgpr_count:     0
    .vgpr_spill_count: 0
    .wavefront_size: 32
    .workgroup_processor_mode: 1
  - .args:
      - .offset:         0
        .size:           144
        .value_kind:     by_value
    .group_segment_fixed_size: 0
    .kernarg_segment_align: 8
    .kernarg_segment_size: 144
    .language:       OpenCL C
    .language_version:
      - 2
      - 0
    .max_flat_workgroup_size: 384
    .name:           _ZN7rocprim17ROCPRIM_400000_NS6detail17trampoline_kernelINS0_14default_configENS1_25partition_config_selectorILNS1_17partition_subalgoE9EjjbEEZZNS1_14partition_implILS5_9ELb0ES3_jN6thrust23THRUST_200600_302600_NS6detail15normal_iteratorINS9_10device_ptrIjEEEESE_PNS0_10empty_typeENS0_5tupleIJNS9_16discard_iteratorINS9_11use_defaultEEESF_EEENSH_IJSK_SG_EEENS0_18inequality_wrapperINS9_8equal_toIjEEEEPmJSF_EEE10hipError_tPvRmT3_T4_T5_T6_T7_T9_mT8_P12ihipStream_tbDpT10_ENKUlT_T0_E_clISt17integral_constantIbLb1EES1B_EEDaS16_S17_EUlS16_E_NS1_11comp_targetILNS1_3genE10ELNS1_11target_archE1200ELNS1_3gpuE4ELNS1_3repE0EEENS1_30default_config_static_selectorELNS0_4arch9wavefront6targetE0EEEvT1_
    .private_segment_fixed_size: 0
    .sgpr_count:     0
    .sgpr_spill_count: 0
    .symbol:         _ZN7rocprim17ROCPRIM_400000_NS6detail17trampoline_kernelINS0_14default_configENS1_25partition_config_selectorILNS1_17partition_subalgoE9EjjbEEZZNS1_14partition_implILS5_9ELb0ES3_jN6thrust23THRUST_200600_302600_NS6detail15normal_iteratorINS9_10device_ptrIjEEEESE_PNS0_10empty_typeENS0_5tupleIJNS9_16discard_iteratorINS9_11use_defaultEEESF_EEENSH_IJSK_SG_EEENS0_18inequality_wrapperINS9_8equal_toIjEEEEPmJSF_EEE10hipError_tPvRmT3_T4_T5_T6_T7_T9_mT8_P12ihipStream_tbDpT10_ENKUlT_T0_E_clISt17integral_constantIbLb1EES1B_EEDaS16_S17_EUlS16_E_NS1_11comp_targetILNS1_3genE10ELNS1_11target_archE1200ELNS1_3gpuE4ELNS1_3repE0EEENS1_30default_config_static_selectorELNS0_4arch9wavefront6targetE0EEEvT1_.kd
    .uniform_work_group_size: 1
    .uses_dynamic_stack: false
    .vgpr_count:     0
    .vgpr_spill_count: 0
    .wavefront_size: 32
    .workgroup_processor_mode: 1
  - .args:
      - .offset:         0
        .size:           144
        .value_kind:     by_value
    .group_segment_fixed_size: 12680
    .kernarg_segment_align: 8
    .kernarg_segment_size: 144
    .language:       OpenCL C
    .language_version:
      - 2
      - 0
    .max_flat_workgroup_size: 384
    .name:           _ZN7rocprim17ROCPRIM_400000_NS6detail17trampoline_kernelINS0_14default_configENS1_25partition_config_selectorILNS1_17partition_subalgoE9EjjbEEZZNS1_14partition_implILS5_9ELb0ES3_jN6thrust23THRUST_200600_302600_NS6detail15normal_iteratorINS9_10device_ptrIjEEEESE_PNS0_10empty_typeENS0_5tupleIJNS9_16discard_iteratorINS9_11use_defaultEEESF_EEENSH_IJSK_SG_EEENS0_18inequality_wrapperINS9_8equal_toIjEEEEPmJSF_EEE10hipError_tPvRmT3_T4_T5_T6_T7_T9_mT8_P12ihipStream_tbDpT10_ENKUlT_T0_E_clISt17integral_constantIbLb1EES1B_EEDaS16_S17_EUlS16_E_NS1_11comp_targetILNS1_3genE9ELNS1_11target_archE1100ELNS1_3gpuE3ELNS1_3repE0EEENS1_30default_config_static_selectorELNS0_4arch9wavefront6targetE0EEEvT1_
    .private_segment_fixed_size: 0
    .sgpr_count:     26
    .sgpr_spill_count: 0
    .symbol:         _ZN7rocprim17ROCPRIM_400000_NS6detail17trampoline_kernelINS0_14default_configENS1_25partition_config_selectorILNS1_17partition_subalgoE9EjjbEEZZNS1_14partition_implILS5_9ELb0ES3_jN6thrust23THRUST_200600_302600_NS6detail15normal_iteratorINS9_10device_ptrIjEEEESE_PNS0_10empty_typeENS0_5tupleIJNS9_16discard_iteratorINS9_11use_defaultEEESF_EEENSH_IJSK_SG_EEENS0_18inequality_wrapperINS9_8equal_toIjEEEEPmJSF_EEE10hipError_tPvRmT3_T4_T5_T6_T7_T9_mT8_P12ihipStream_tbDpT10_ENKUlT_T0_E_clISt17integral_constantIbLb1EES1B_EEDaS16_S17_EUlS16_E_NS1_11comp_targetILNS1_3genE9ELNS1_11target_archE1100ELNS1_3gpuE3ELNS1_3repE0EEENS1_30default_config_static_selectorELNS0_4arch9wavefront6targetE0EEEvT1_.kd
    .uniform_work_group_size: 1
    .uses_dynamic_stack: false
    .vgpr_count:     53
    .vgpr_spill_count: 0
    .wavefront_size: 32
    .workgroup_processor_mode: 1
  - .args:
      - .offset:         0
        .size:           144
        .value_kind:     by_value
    .group_segment_fixed_size: 0
    .kernarg_segment_align: 8
    .kernarg_segment_size: 144
    .language:       OpenCL C
    .language_version:
      - 2
      - 0
    .max_flat_workgroup_size: 512
    .name:           _ZN7rocprim17ROCPRIM_400000_NS6detail17trampoline_kernelINS0_14default_configENS1_25partition_config_selectorILNS1_17partition_subalgoE9EjjbEEZZNS1_14partition_implILS5_9ELb0ES3_jN6thrust23THRUST_200600_302600_NS6detail15normal_iteratorINS9_10device_ptrIjEEEESE_PNS0_10empty_typeENS0_5tupleIJNS9_16discard_iteratorINS9_11use_defaultEEESF_EEENSH_IJSK_SG_EEENS0_18inequality_wrapperINS9_8equal_toIjEEEEPmJSF_EEE10hipError_tPvRmT3_T4_T5_T6_T7_T9_mT8_P12ihipStream_tbDpT10_ENKUlT_T0_E_clISt17integral_constantIbLb1EES1B_EEDaS16_S17_EUlS16_E_NS1_11comp_targetILNS1_3genE8ELNS1_11target_archE1030ELNS1_3gpuE2ELNS1_3repE0EEENS1_30default_config_static_selectorELNS0_4arch9wavefront6targetE0EEEvT1_
    .private_segment_fixed_size: 0
    .sgpr_count:     0
    .sgpr_spill_count: 0
    .symbol:         _ZN7rocprim17ROCPRIM_400000_NS6detail17trampoline_kernelINS0_14default_configENS1_25partition_config_selectorILNS1_17partition_subalgoE9EjjbEEZZNS1_14partition_implILS5_9ELb0ES3_jN6thrust23THRUST_200600_302600_NS6detail15normal_iteratorINS9_10device_ptrIjEEEESE_PNS0_10empty_typeENS0_5tupleIJNS9_16discard_iteratorINS9_11use_defaultEEESF_EEENSH_IJSK_SG_EEENS0_18inequality_wrapperINS9_8equal_toIjEEEEPmJSF_EEE10hipError_tPvRmT3_T4_T5_T6_T7_T9_mT8_P12ihipStream_tbDpT10_ENKUlT_T0_E_clISt17integral_constantIbLb1EES1B_EEDaS16_S17_EUlS16_E_NS1_11comp_targetILNS1_3genE8ELNS1_11target_archE1030ELNS1_3gpuE2ELNS1_3repE0EEENS1_30default_config_static_selectorELNS0_4arch9wavefront6targetE0EEEvT1_.kd
    .uniform_work_group_size: 1
    .uses_dynamic_stack: false
    .vgpr_count:     0
    .vgpr_spill_count: 0
    .wavefront_size: 32
    .workgroup_processor_mode: 1
  - .args:
      - .offset:         0
        .size:           128
        .value_kind:     by_value
    .group_segment_fixed_size: 0
    .kernarg_segment_align: 8
    .kernarg_segment_size: 128
    .language:       OpenCL C
    .language_version:
      - 2
      - 0
    .max_flat_workgroup_size: 256
    .name:           _ZN7rocprim17ROCPRIM_400000_NS6detail17trampoline_kernelINS0_14default_configENS1_25partition_config_selectorILNS1_17partition_subalgoE9EjjbEEZZNS1_14partition_implILS5_9ELb0ES3_jN6thrust23THRUST_200600_302600_NS6detail15normal_iteratorINS9_10device_ptrIjEEEESE_PNS0_10empty_typeENS0_5tupleIJNS9_16discard_iteratorINS9_11use_defaultEEESF_EEENSH_IJSK_SG_EEENS0_18inequality_wrapperINS9_8equal_toIjEEEEPmJSF_EEE10hipError_tPvRmT3_T4_T5_T6_T7_T9_mT8_P12ihipStream_tbDpT10_ENKUlT_T0_E_clISt17integral_constantIbLb1EES1A_IbLb0EEEEDaS16_S17_EUlS16_E_NS1_11comp_targetILNS1_3genE0ELNS1_11target_archE4294967295ELNS1_3gpuE0ELNS1_3repE0EEENS1_30default_config_static_selectorELNS0_4arch9wavefront6targetE0EEEvT1_
    .private_segment_fixed_size: 0
    .sgpr_count:     0
    .sgpr_spill_count: 0
    .symbol:         _ZN7rocprim17ROCPRIM_400000_NS6detail17trampoline_kernelINS0_14default_configENS1_25partition_config_selectorILNS1_17partition_subalgoE9EjjbEEZZNS1_14partition_implILS5_9ELb0ES3_jN6thrust23THRUST_200600_302600_NS6detail15normal_iteratorINS9_10device_ptrIjEEEESE_PNS0_10empty_typeENS0_5tupleIJNS9_16discard_iteratorINS9_11use_defaultEEESF_EEENSH_IJSK_SG_EEENS0_18inequality_wrapperINS9_8equal_toIjEEEEPmJSF_EEE10hipError_tPvRmT3_T4_T5_T6_T7_T9_mT8_P12ihipStream_tbDpT10_ENKUlT_T0_E_clISt17integral_constantIbLb1EES1A_IbLb0EEEEDaS16_S17_EUlS16_E_NS1_11comp_targetILNS1_3genE0ELNS1_11target_archE4294967295ELNS1_3gpuE0ELNS1_3repE0EEENS1_30default_config_static_selectorELNS0_4arch9wavefront6targetE0EEEvT1_.kd
    .uniform_work_group_size: 1
    .uses_dynamic_stack: false
    .vgpr_count:     0
    .vgpr_spill_count: 0
    .wavefront_size: 32
    .workgroup_processor_mode: 1
  - .args:
      - .offset:         0
        .size:           128
        .value_kind:     by_value
    .group_segment_fixed_size: 0
    .kernarg_segment_align: 8
    .kernarg_segment_size: 128
    .language:       OpenCL C
    .language_version:
      - 2
      - 0
    .max_flat_workgroup_size: 512
    .name:           _ZN7rocprim17ROCPRIM_400000_NS6detail17trampoline_kernelINS0_14default_configENS1_25partition_config_selectorILNS1_17partition_subalgoE9EjjbEEZZNS1_14partition_implILS5_9ELb0ES3_jN6thrust23THRUST_200600_302600_NS6detail15normal_iteratorINS9_10device_ptrIjEEEESE_PNS0_10empty_typeENS0_5tupleIJNS9_16discard_iteratorINS9_11use_defaultEEESF_EEENSH_IJSK_SG_EEENS0_18inequality_wrapperINS9_8equal_toIjEEEEPmJSF_EEE10hipError_tPvRmT3_T4_T5_T6_T7_T9_mT8_P12ihipStream_tbDpT10_ENKUlT_T0_E_clISt17integral_constantIbLb1EES1A_IbLb0EEEEDaS16_S17_EUlS16_E_NS1_11comp_targetILNS1_3genE5ELNS1_11target_archE942ELNS1_3gpuE9ELNS1_3repE0EEENS1_30default_config_static_selectorELNS0_4arch9wavefront6targetE0EEEvT1_
    .private_segment_fixed_size: 0
    .sgpr_count:     0
    .sgpr_spill_count: 0
    .symbol:         _ZN7rocprim17ROCPRIM_400000_NS6detail17trampoline_kernelINS0_14default_configENS1_25partition_config_selectorILNS1_17partition_subalgoE9EjjbEEZZNS1_14partition_implILS5_9ELb0ES3_jN6thrust23THRUST_200600_302600_NS6detail15normal_iteratorINS9_10device_ptrIjEEEESE_PNS0_10empty_typeENS0_5tupleIJNS9_16discard_iteratorINS9_11use_defaultEEESF_EEENSH_IJSK_SG_EEENS0_18inequality_wrapperINS9_8equal_toIjEEEEPmJSF_EEE10hipError_tPvRmT3_T4_T5_T6_T7_T9_mT8_P12ihipStream_tbDpT10_ENKUlT_T0_E_clISt17integral_constantIbLb1EES1A_IbLb0EEEEDaS16_S17_EUlS16_E_NS1_11comp_targetILNS1_3genE5ELNS1_11target_archE942ELNS1_3gpuE9ELNS1_3repE0EEENS1_30default_config_static_selectorELNS0_4arch9wavefront6targetE0EEEvT1_.kd
    .uniform_work_group_size: 1
    .uses_dynamic_stack: false
    .vgpr_count:     0
    .vgpr_spill_count: 0
    .wavefront_size: 32
    .workgroup_processor_mode: 1
  - .args:
      - .offset:         0
        .size:           128
        .value_kind:     by_value
    .group_segment_fixed_size: 0
    .kernarg_segment_align: 8
    .kernarg_segment_size: 128
    .language:       OpenCL C
    .language_version:
      - 2
      - 0
    .max_flat_workgroup_size: 192
    .name:           _ZN7rocprim17ROCPRIM_400000_NS6detail17trampoline_kernelINS0_14default_configENS1_25partition_config_selectorILNS1_17partition_subalgoE9EjjbEEZZNS1_14partition_implILS5_9ELb0ES3_jN6thrust23THRUST_200600_302600_NS6detail15normal_iteratorINS9_10device_ptrIjEEEESE_PNS0_10empty_typeENS0_5tupleIJNS9_16discard_iteratorINS9_11use_defaultEEESF_EEENSH_IJSK_SG_EEENS0_18inequality_wrapperINS9_8equal_toIjEEEEPmJSF_EEE10hipError_tPvRmT3_T4_T5_T6_T7_T9_mT8_P12ihipStream_tbDpT10_ENKUlT_T0_E_clISt17integral_constantIbLb1EES1A_IbLb0EEEEDaS16_S17_EUlS16_E_NS1_11comp_targetILNS1_3genE4ELNS1_11target_archE910ELNS1_3gpuE8ELNS1_3repE0EEENS1_30default_config_static_selectorELNS0_4arch9wavefront6targetE0EEEvT1_
    .private_segment_fixed_size: 0
    .sgpr_count:     0
    .sgpr_spill_count: 0
    .symbol:         _ZN7rocprim17ROCPRIM_400000_NS6detail17trampoline_kernelINS0_14default_configENS1_25partition_config_selectorILNS1_17partition_subalgoE9EjjbEEZZNS1_14partition_implILS5_9ELb0ES3_jN6thrust23THRUST_200600_302600_NS6detail15normal_iteratorINS9_10device_ptrIjEEEESE_PNS0_10empty_typeENS0_5tupleIJNS9_16discard_iteratorINS9_11use_defaultEEESF_EEENSH_IJSK_SG_EEENS0_18inequality_wrapperINS9_8equal_toIjEEEEPmJSF_EEE10hipError_tPvRmT3_T4_T5_T6_T7_T9_mT8_P12ihipStream_tbDpT10_ENKUlT_T0_E_clISt17integral_constantIbLb1EES1A_IbLb0EEEEDaS16_S17_EUlS16_E_NS1_11comp_targetILNS1_3genE4ELNS1_11target_archE910ELNS1_3gpuE8ELNS1_3repE0EEENS1_30default_config_static_selectorELNS0_4arch9wavefront6targetE0EEEvT1_.kd
    .uniform_work_group_size: 1
    .uses_dynamic_stack: false
    .vgpr_count:     0
    .vgpr_spill_count: 0
    .wavefront_size: 32
    .workgroup_processor_mode: 1
  - .args:
      - .offset:         0
        .size:           128
        .value_kind:     by_value
    .group_segment_fixed_size: 0
    .kernarg_segment_align: 8
    .kernarg_segment_size: 128
    .language:       OpenCL C
    .language_version:
      - 2
      - 0
    .max_flat_workgroup_size: 256
    .name:           _ZN7rocprim17ROCPRIM_400000_NS6detail17trampoline_kernelINS0_14default_configENS1_25partition_config_selectorILNS1_17partition_subalgoE9EjjbEEZZNS1_14partition_implILS5_9ELb0ES3_jN6thrust23THRUST_200600_302600_NS6detail15normal_iteratorINS9_10device_ptrIjEEEESE_PNS0_10empty_typeENS0_5tupleIJNS9_16discard_iteratorINS9_11use_defaultEEESF_EEENSH_IJSK_SG_EEENS0_18inequality_wrapperINS9_8equal_toIjEEEEPmJSF_EEE10hipError_tPvRmT3_T4_T5_T6_T7_T9_mT8_P12ihipStream_tbDpT10_ENKUlT_T0_E_clISt17integral_constantIbLb1EES1A_IbLb0EEEEDaS16_S17_EUlS16_E_NS1_11comp_targetILNS1_3genE3ELNS1_11target_archE908ELNS1_3gpuE7ELNS1_3repE0EEENS1_30default_config_static_selectorELNS0_4arch9wavefront6targetE0EEEvT1_
    .private_segment_fixed_size: 0
    .sgpr_count:     0
    .sgpr_spill_count: 0
    .symbol:         _ZN7rocprim17ROCPRIM_400000_NS6detail17trampoline_kernelINS0_14default_configENS1_25partition_config_selectorILNS1_17partition_subalgoE9EjjbEEZZNS1_14partition_implILS5_9ELb0ES3_jN6thrust23THRUST_200600_302600_NS6detail15normal_iteratorINS9_10device_ptrIjEEEESE_PNS0_10empty_typeENS0_5tupleIJNS9_16discard_iteratorINS9_11use_defaultEEESF_EEENSH_IJSK_SG_EEENS0_18inequality_wrapperINS9_8equal_toIjEEEEPmJSF_EEE10hipError_tPvRmT3_T4_T5_T6_T7_T9_mT8_P12ihipStream_tbDpT10_ENKUlT_T0_E_clISt17integral_constantIbLb1EES1A_IbLb0EEEEDaS16_S17_EUlS16_E_NS1_11comp_targetILNS1_3genE3ELNS1_11target_archE908ELNS1_3gpuE7ELNS1_3repE0EEENS1_30default_config_static_selectorELNS0_4arch9wavefront6targetE0EEEvT1_.kd
    .uniform_work_group_size: 1
    .uses_dynamic_stack: false
    .vgpr_count:     0
    .vgpr_spill_count: 0
    .wavefront_size: 32
    .workgroup_processor_mode: 1
  - .args:
      - .offset:         0
        .size:           128
        .value_kind:     by_value
    .group_segment_fixed_size: 0
    .kernarg_segment_align: 8
    .kernarg_segment_size: 128
    .language:       OpenCL C
    .language_version:
      - 2
      - 0
    .max_flat_workgroup_size: 256
    .name:           _ZN7rocprim17ROCPRIM_400000_NS6detail17trampoline_kernelINS0_14default_configENS1_25partition_config_selectorILNS1_17partition_subalgoE9EjjbEEZZNS1_14partition_implILS5_9ELb0ES3_jN6thrust23THRUST_200600_302600_NS6detail15normal_iteratorINS9_10device_ptrIjEEEESE_PNS0_10empty_typeENS0_5tupleIJNS9_16discard_iteratorINS9_11use_defaultEEESF_EEENSH_IJSK_SG_EEENS0_18inequality_wrapperINS9_8equal_toIjEEEEPmJSF_EEE10hipError_tPvRmT3_T4_T5_T6_T7_T9_mT8_P12ihipStream_tbDpT10_ENKUlT_T0_E_clISt17integral_constantIbLb1EES1A_IbLb0EEEEDaS16_S17_EUlS16_E_NS1_11comp_targetILNS1_3genE2ELNS1_11target_archE906ELNS1_3gpuE6ELNS1_3repE0EEENS1_30default_config_static_selectorELNS0_4arch9wavefront6targetE0EEEvT1_
    .private_segment_fixed_size: 0
    .sgpr_count:     0
    .sgpr_spill_count: 0
    .symbol:         _ZN7rocprim17ROCPRIM_400000_NS6detail17trampoline_kernelINS0_14default_configENS1_25partition_config_selectorILNS1_17partition_subalgoE9EjjbEEZZNS1_14partition_implILS5_9ELb0ES3_jN6thrust23THRUST_200600_302600_NS6detail15normal_iteratorINS9_10device_ptrIjEEEESE_PNS0_10empty_typeENS0_5tupleIJNS9_16discard_iteratorINS9_11use_defaultEEESF_EEENSH_IJSK_SG_EEENS0_18inequality_wrapperINS9_8equal_toIjEEEEPmJSF_EEE10hipError_tPvRmT3_T4_T5_T6_T7_T9_mT8_P12ihipStream_tbDpT10_ENKUlT_T0_E_clISt17integral_constantIbLb1EES1A_IbLb0EEEEDaS16_S17_EUlS16_E_NS1_11comp_targetILNS1_3genE2ELNS1_11target_archE906ELNS1_3gpuE6ELNS1_3repE0EEENS1_30default_config_static_selectorELNS0_4arch9wavefront6targetE0EEEvT1_.kd
    .uniform_work_group_size: 1
    .uses_dynamic_stack: false
    .vgpr_count:     0
    .vgpr_spill_count: 0
    .wavefront_size: 32
    .workgroup_processor_mode: 1
  - .args:
      - .offset:         0
        .size:           128
        .value_kind:     by_value
    .group_segment_fixed_size: 0
    .kernarg_segment_align: 8
    .kernarg_segment_size: 128
    .language:       OpenCL C
    .language_version:
      - 2
      - 0
    .max_flat_workgroup_size: 384
    .name:           _ZN7rocprim17ROCPRIM_400000_NS6detail17trampoline_kernelINS0_14default_configENS1_25partition_config_selectorILNS1_17partition_subalgoE9EjjbEEZZNS1_14partition_implILS5_9ELb0ES3_jN6thrust23THRUST_200600_302600_NS6detail15normal_iteratorINS9_10device_ptrIjEEEESE_PNS0_10empty_typeENS0_5tupleIJNS9_16discard_iteratorINS9_11use_defaultEEESF_EEENSH_IJSK_SG_EEENS0_18inequality_wrapperINS9_8equal_toIjEEEEPmJSF_EEE10hipError_tPvRmT3_T4_T5_T6_T7_T9_mT8_P12ihipStream_tbDpT10_ENKUlT_T0_E_clISt17integral_constantIbLb1EES1A_IbLb0EEEEDaS16_S17_EUlS16_E_NS1_11comp_targetILNS1_3genE10ELNS1_11target_archE1200ELNS1_3gpuE4ELNS1_3repE0EEENS1_30default_config_static_selectorELNS0_4arch9wavefront6targetE0EEEvT1_
    .private_segment_fixed_size: 0
    .sgpr_count:     0
    .sgpr_spill_count: 0
    .symbol:         _ZN7rocprim17ROCPRIM_400000_NS6detail17trampoline_kernelINS0_14default_configENS1_25partition_config_selectorILNS1_17partition_subalgoE9EjjbEEZZNS1_14partition_implILS5_9ELb0ES3_jN6thrust23THRUST_200600_302600_NS6detail15normal_iteratorINS9_10device_ptrIjEEEESE_PNS0_10empty_typeENS0_5tupleIJNS9_16discard_iteratorINS9_11use_defaultEEESF_EEENSH_IJSK_SG_EEENS0_18inequality_wrapperINS9_8equal_toIjEEEEPmJSF_EEE10hipError_tPvRmT3_T4_T5_T6_T7_T9_mT8_P12ihipStream_tbDpT10_ENKUlT_T0_E_clISt17integral_constantIbLb1EES1A_IbLb0EEEEDaS16_S17_EUlS16_E_NS1_11comp_targetILNS1_3genE10ELNS1_11target_archE1200ELNS1_3gpuE4ELNS1_3repE0EEENS1_30default_config_static_selectorELNS0_4arch9wavefront6targetE0EEEvT1_.kd
    .uniform_work_group_size: 1
    .uses_dynamic_stack: false
    .vgpr_count:     0
    .vgpr_spill_count: 0
    .wavefront_size: 32
    .workgroup_processor_mode: 1
  - .args:
      - .offset:         0
        .size:           128
        .value_kind:     by_value
    .group_segment_fixed_size: 12680
    .kernarg_segment_align: 8
    .kernarg_segment_size: 128
    .language:       OpenCL C
    .language_version:
      - 2
      - 0
    .max_flat_workgroup_size: 384
    .name:           _ZN7rocprim17ROCPRIM_400000_NS6detail17trampoline_kernelINS0_14default_configENS1_25partition_config_selectorILNS1_17partition_subalgoE9EjjbEEZZNS1_14partition_implILS5_9ELb0ES3_jN6thrust23THRUST_200600_302600_NS6detail15normal_iteratorINS9_10device_ptrIjEEEESE_PNS0_10empty_typeENS0_5tupleIJNS9_16discard_iteratorINS9_11use_defaultEEESF_EEENSH_IJSK_SG_EEENS0_18inequality_wrapperINS9_8equal_toIjEEEEPmJSF_EEE10hipError_tPvRmT3_T4_T5_T6_T7_T9_mT8_P12ihipStream_tbDpT10_ENKUlT_T0_E_clISt17integral_constantIbLb1EES1A_IbLb0EEEEDaS16_S17_EUlS16_E_NS1_11comp_targetILNS1_3genE9ELNS1_11target_archE1100ELNS1_3gpuE3ELNS1_3repE0EEENS1_30default_config_static_selectorELNS0_4arch9wavefront6targetE0EEEvT1_
    .private_segment_fixed_size: 0
    .sgpr_count:     27
    .sgpr_spill_count: 0
    .symbol:         _ZN7rocprim17ROCPRIM_400000_NS6detail17trampoline_kernelINS0_14default_configENS1_25partition_config_selectorILNS1_17partition_subalgoE9EjjbEEZZNS1_14partition_implILS5_9ELb0ES3_jN6thrust23THRUST_200600_302600_NS6detail15normal_iteratorINS9_10device_ptrIjEEEESE_PNS0_10empty_typeENS0_5tupleIJNS9_16discard_iteratorINS9_11use_defaultEEESF_EEENSH_IJSK_SG_EEENS0_18inequality_wrapperINS9_8equal_toIjEEEEPmJSF_EEE10hipError_tPvRmT3_T4_T5_T6_T7_T9_mT8_P12ihipStream_tbDpT10_ENKUlT_T0_E_clISt17integral_constantIbLb1EES1A_IbLb0EEEEDaS16_S17_EUlS16_E_NS1_11comp_targetILNS1_3genE9ELNS1_11target_archE1100ELNS1_3gpuE3ELNS1_3repE0EEENS1_30default_config_static_selectorELNS0_4arch9wavefront6targetE0EEEvT1_.kd
    .uniform_work_group_size: 1
    .uses_dynamic_stack: false
    .vgpr_count:     51
    .vgpr_spill_count: 0
    .wavefront_size: 32
    .workgroup_processor_mode: 1
  - .args:
      - .offset:         0
        .size:           128
        .value_kind:     by_value
    .group_segment_fixed_size: 0
    .kernarg_segment_align: 8
    .kernarg_segment_size: 128
    .language:       OpenCL C
    .language_version:
      - 2
      - 0
    .max_flat_workgroup_size: 512
    .name:           _ZN7rocprim17ROCPRIM_400000_NS6detail17trampoline_kernelINS0_14default_configENS1_25partition_config_selectorILNS1_17partition_subalgoE9EjjbEEZZNS1_14partition_implILS5_9ELb0ES3_jN6thrust23THRUST_200600_302600_NS6detail15normal_iteratorINS9_10device_ptrIjEEEESE_PNS0_10empty_typeENS0_5tupleIJNS9_16discard_iteratorINS9_11use_defaultEEESF_EEENSH_IJSK_SG_EEENS0_18inequality_wrapperINS9_8equal_toIjEEEEPmJSF_EEE10hipError_tPvRmT3_T4_T5_T6_T7_T9_mT8_P12ihipStream_tbDpT10_ENKUlT_T0_E_clISt17integral_constantIbLb1EES1A_IbLb0EEEEDaS16_S17_EUlS16_E_NS1_11comp_targetILNS1_3genE8ELNS1_11target_archE1030ELNS1_3gpuE2ELNS1_3repE0EEENS1_30default_config_static_selectorELNS0_4arch9wavefront6targetE0EEEvT1_
    .private_segment_fixed_size: 0
    .sgpr_count:     0
    .sgpr_spill_count: 0
    .symbol:         _ZN7rocprim17ROCPRIM_400000_NS6detail17trampoline_kernelINS0_14default_configENS1_25partition_config_selectorILNS1_17partition_subalgoE9EjjbEEZZNS1_14partition_implILS5_9ELb0ES3_jN6thrust23THRUST_200600_302600_NS6detail15normal_iteratorINS9_10device_ptrIjEEEESE_PNS0_10empty_typeENS0_5tupleIJNS9_16discard_iteratorINS9_11use_defaultEEESF_EEENSH_IJSK_SG_EEENS0_18inequality_wrapperINS9_8equal_toIjEEEEPmJSF_EEE10hipError_tPvRmT3_T4_T5_T6_T7_T9_mT8_P12ihipStream_tbDpT10_ENKUlT_T0_E_clISt17integral_constantIbLb1EES1A_IbLb0EEEEDaS16_S17_EUlS16_E_NS1_11comp_targetILNS1_3genE8ELNS1_11target_archE1030ELNS1_3gpuE2ELNS1_3repE0EEENS1_30default_config_static_selectorELNS0_4arch9wavefront6targetE0EEEvT1_.kd
    .uniform_work_group_size: 1
    .uses_dynamic_stack: false
    .vgpr_count:     0
    .vgpr_spill_count: 0
    .wavefront_size: 32
    .workgroup_processor_mode: 1
  - .args:
      - .offset:         0
        .size:           144
        .value_kind:     by_value
    .group_segment_fixed_size: 0
    .kernarg_segment_align: 8
    .kernarg_segment_size: 144
    .language:       OpenCL C
    .language_version:
      - 2
      - 0
    .max_flat_workgroup_size: 256
    .name:           _ZN7rocprim17ROCPRIM_400000_NS6detail17trampoline_kernelINS0_14default_configENS1_25partition_config_selectorILNS1_17partition_subalgoE9EjjbEEZZNS1_14partition_implILS5_9ELb0ES3_jN6thrust23THRUST_200600_302600_NS6detail15normal_iteratorINS9_10device_ptrIjEEEESE_PNS0_10empty_typeENS0_5tupleIJNS9_16discard_iteratorINS9_11use_defaultEEESF_EEENSH_IJSK_SG_EEENS0_18inequality_wrapperINS9_8equal_toIjEEEEPmJSF_EEE10hipError_tPvRmT3_T4_T5_T6_T7_T9_mT8_P12ihipStream_tbDpT10_ENKUlT_T0_E_clISt17integral_constantIbLb0EES1A_IbLb1EEEEDaS16_S17_EUlS16_E_NS1_11comp_targetILNS1_3genE0ELNS1_11target_archE4294967295ELNS1_3gpuE0ELNS1_3repE0EEENS1_30default_config_static_selectorELNS0_4arch9wavefront6targetE0EEEvT1_
    .private_segment_fixed_size: 0
    .sgpr_count:     0
    .sgpr_spill_count: 0
    .symbol:         _ZN7rocprim17ROCPRIM_400000_NS6detail17trampoline_kernelINS0_14default_configENS1_25partition_config_selectorILNS1_17partition_subalgoE9EjjbEEZZNS1_14partition_implILS5_9ELb0ES3_jN6thrust23THRUST_200600_302600_NS6detail15normal_iteratorINS9_10device_ptrIjEEEESE_PNS0_10empty_typeENS0_5tupleIJNS9_16discard_iteratorINS9_11use_defaultEEESF_EEENSH_IJSK_SG_EEENS0_18inequality_wrapperINS9_8equal_toIjEEEEPmJSF_EEE10hipError_tPvRmT3_T4_T5_T6_T7_T9_mT8_P12ihipStream_tbDpT10_ENKUlT_T0_E_clISt17integral_constantIbLb0EES1A_IbLb1EEEEDaS16_S17_EUlS16_E_NS1_11comp_targetILNS1_3genE0ELNS1_11target_archE4294967295ELNS1_3gpuE0ELNS1_3repE0EEENS1_30default_config_static_selectorELNS0_4arch9wavefront6targetE0EEEvT1_.kd
    .uniform_work_group_size: 1
    .uses_dynamic_stack: false
    .vgpr_count:     0
    .vgpr_spill_count: 0
    .wavefront_size: 32
    .workgroup_processor_mode: 1
  - .args:
      - .offset:         0
        .size:           144
        .value_kind:     by_value
    .group_segment_fixed_size: 0
    .kernarg_segment_align: 8
    .kernarg_segment_size: 144
    .language:       OpenCL C
    .language_version:
      - 2
      - 0
    .max_flat_workgroup_size: 512
    .name:           _ZN7rocprim17ROCPRIM_400000_NS6detail17trampoline_kernelINS0_14default_configENS1_25partition_config_selectorILNS1_17partition_subalgoE9EjjbEEZZNS1_14partition_implILS5_9ELb0ES3_jN6thrust23THRUST_200600_302600_NS6detail15normal_iteratorINS9_10device_ptrIjEEEESE_PNS0_10empty_typeENS0_5tupleIJNS9_16discard_iteratorINS9_11use_defaultEEESF_EEENSH_IJSK_SG_EEENS0_18inequality_wrapperINS9_8equal_toIjEEEEPmJSF_EEE10hipError_tPvRmT3_T4_T5_T6_T7_T9_mT8_P12ihipStream_tbDpT10_ENKUlT_T0_E_clISt17integral_constantIbLb0EES1A_IbLb1EEEEDaS16_S17_EUlS16_E_NS1_11comp_targetILNS1_3genE5ELNS1_11target_archE942ELNS1_3gpuE9ELNS1_3repE0EEENS1_30default_config_static_selectorELNS0_4arch9wavefront6targetE0EEEvT1_
    .private_segment_fixed_size: 0
    .sgpr_count:     0
    .sgpr_spill_count: 0
    .symbol:         _ZN7rocprim17ROCPRIM_400000_NS6detail17trampoline_kernelINS0_14default_configENS1_25partition_config_selectorILNS1_17partition_subalgoE9EjjbEEZZNS1_14partition_implILS5_9ELb0ES3_jN6thrust23THRUST_200600_302600_NS6detail15normal_iteratorINS9_10device_ptrIjEEEESE_PNS0_10empty_typeENS0_5tupleIJNS9_16discard_iteratorINS9_11use_defaultEEESF_EEENSH_IJSK_SG_EEENS0_18inequality_wrapperINS9_8equal_toIjEEEEPmJSF_EEE10hipError_tPvRmT3_T4_T5_T6_T7_T9_mT8_P12ihipStream_tbDpT10_ENKUlT_T0_E_clISt17integral_constantIbLb0EES1A_IbLb1EEEEDaS16_S17_EUlS16_E_NS1_11comp_targetILNS1_3genE5ELNS1_11target_archE942ELNS1_3gpuE9ELNS1_3repE0EEENS1_30default_config_static_selectorELNS0_4arch9wavefront6targetE0EEEvT1_.kd
    .uniform_work_group_size: 1
    .uses_dynamic_stack: false
    .vgpr_count:     0
    .vgpr_spill_count: 0
    .wavefront_size: 32
    .workgroup_processor_mode: 1
  - .args:
      - .offset:         0
        .size:           144
        .value_kind:     by_value
    .group_segment_fixed_size: 0
    .kernarg_segment_align: 8
    .kernarg_segment_size: 144
    .language:       OpenCL C
    .language_version:
      - 2
      - 0
    .max_flat_workgroup_size: 192
    .name:           _ZN7rocprim17ROCPRIM_400000_NS6detail17trampoline_kernelINS0_14default_configENS1_25partition_config_selectorILNS1_17partition_subalgoE9EjjbEEZZNS1_14partition_implILS5_9ELb0ES3_jN6thrust23THRUST_200600_302600_NS6detail15normal_iteratorINS9_10device_ptrIjEEEESE_PNS0_10empty_typeENS0_5tupleIJNS9_16discard_iteratorINS9_11use_defaultEEESF_EEENSH_IJSK_SG_EEENS0_18inequality_wrapperINS9_8equal_toIjEEEEPmJSF_EEE10hipError_tPvRmT3_T4_T5_T6_T7_T9_mT8_P12ihipStream_tbDpT10_ENKUlT_T0_E_clISt17integral_constantIbLb0EES1A_IbLb1EEEEDaS16_S17_EUlS16_E_NS1_11comp_targetILNS1_3genE4ELNS1_11target_archE910ELNS1_3gpuE8ELNS1_3repE0EEENS1_30default_config_static_selectorELNS0_4arch9wavefront6targetE0EEEvT1_
    .private_segment_fixed_size: 0
    .sgpr_count:     0
    .sgpr_spill_count: 0
    .symbol:         _ZN7rocprim17ROCPRIM_400000_NS6detail17trampoline_kernelINS0_14default_configENS1_25partition_config_selectorILNS1_17partition_subalgoE9EjjbEEZZNS1_14partition_implILS5_9ELb0ES3_jN6thrust23THRUST_200600_302600_NS6detail15normal_iteratorINS9_10device_ptrIjEEEESE_PNS0_10empty_typeENS0_5tupleIJNS9_16discard_iteratorINS9_11use_defaultEEESF_EEENSH_IJSK_SG_EEENS0_18inequality_wrapperINS9_8equal_toIjEEEEPmJSF_EEE10hipError_tPvRmT3_T4_T5_T6_T7_T9_mT8_P12ihipStream_tbDpT10_ENKUlT_T0_E_clISt17integral_constantIbLb0EES1A_IbLb1EEEEDaS16_S17_EUlS16_E_NS1_11comp_targetILNS1_3genE4ELNS1_11target_archE910ELNS1_3gpuE8ELNS1_3repE0EEENS1_30default_config_static_selectorELNS0_4arch9wavefront6targetE0EEEvT1_.kd
    .uniform_work_group_size: 1
    .uses_dynamic_stack: false
    .vgpr_count:     0
    .vgpr_spill_count: 0
    .wavefront_size: 32
    .workgroup_processor_mode: 1
  - .args:
      - .offset:         0
        .size:           144
        .value_kind:     by_value
    .group_segment_fixed_size: 0
    .kernarg_segment_align: 8
    .kernarg_segment_size: 144
    .language:       OpenCL C
    .language_version:
      - 2
      - 0
    .max_flat_workgroup_size: 256
    .name:           _ZN7rocprim17ROCPRIM_400000_NS6detail17trampoline_kernelINS0_14default_configENS1_25partition_config_selectorILNS1_17partition_subalgoE9EjjbEEZZNS1_14partition_implILS5_9ELb0ES3_jN6thrust23THRUST_200600_302600_NS6detail15normal_iteratorINS9_10device_ptrIjEEEESE_PNS0_10empty_typeENS0_5tupleIJNS9_16discard_iteratorINS9_11use_defaultEEESF_EEENSH_IJSK_SG_EEENS0_18inequality_wrapperINS9_8equal_toIjEEEEPmJSF_EEE10hipError_tPvRmT3_T4_T5_T6_T7_T9_mT8_P12ihipStream_tbDpT10_ENKUlT_T0_E_clISt17integral_constantIbLb0EES1A_IbLb1EEEEDaS16_S17_EUlS16_E_NS1_11comp_targetILNS1_3genE3ELNS1_11target_archE908ELNS1_3gpuE7ELNS1_3repE0EEENS1_30default_config_static_selectorELNS0_4arch9wavefront6targetE0EEEvT1_
    .private_segment_fixed_size: 0
    .sgpr_count:     0
    .sgpr_spill_count: 0
    .symbol:         _ZN7rocprim17ROCPRIM_400000_NS6detail17trampoline_kernelINS0_14default_configENS1_25partition_config_selectorILNS1_17partition_subalgoE9EjjbEEZZNS1_14partition_implILS5_9ELb0ES3_jN6thrust23THRUST_200600_302600_NS6detail15normal_iteratorINS9_10device_ptrIjEEEESE_PNS0_10empty_typeENS0_5tupleIJNS9_16discard_iteratorINS9_11use_defaultEEESF_EEENSH_IJSK_SG_EEENS0_18inequality_wrapperINS9_8equal_toIjEEEEPmJSF_EEE10hipError_tPvRmT3_T4_T5_T6_T7_T9_mT8_P12ihipStream_tbDpT10_ENKUlT_T0_E_clISt17integral_constantIbLb0EES1A_IbLb1EEEEDaS16_S17_EUlS16_E_NS1_11comp_targetILNS1_3genE3ELNS1_11target_archE908ELNS1_3gpuE7ELNS1_3repE0EEENS1_30default_config_static_selectorELNS0_4arch9wavefront6targetE0EEEvT1_.kd
    .uniform_work_group_size: 1
    .uses_dynamic_stack: false
    .vgpr_count:     0
    .vgpr_spill_count: 0
    .wavefront_size: 32
    .workgroup_processor_mode: 1
  - .args:
      - .offset:         0
        .size:           144
        .value_kind:     by_value
    .group_segment_fixed_size: 0
    .kernarg_segment_align: 8
    .kernarg_segment_size: 144
    .language:       OpenCL C
    .language_version:
      - 2
      - 0
    .max_flat_workgroup_size: 256
    .name:           _ZN7rocprim17ROCPRIM_400000_NS6detail17trampoline_kernelINS0_14default_configENS1_25partition_config_selectorILNS1_17partition_subalgoE9EjjbEEZZNS1_14partition_implILS5_9ELb0ES3_jN6thrust23THRUST_200600_302600_NS6detail15normal_iteratorINS9_10device_ptrIjEEEESE_PNS0_10empty_typeENS0_5tupleIJNS9_16discard_iteratorINS9_11use_defaultEEESF_EEENSH_IJSK_SG_EEENS0_18inequality_wrapperINS9_8equal_toIjEEEEPmJSF_EEE10hipError_tPvRmT3_T4_T5_T6_T7_T9_mT8_P12ihipStream_tbDpT10_ENKUlT_T0_E_clISt17integral_constantIbLb0EES1A_IbLb1EEEEDaS16_S17_EUlS16_E_NS1_11comp_targetILNS1_3genE2ELNS1_11target_archE906ELNS1_3gpuE6ELNS1_3repE0EEENS1_30default_config_static_selectorELNS0_4arch9wavefront6targetE0EEEvT1_
    .private_segment_fixed_size: 0
    .sgpr_count:     0
    .sgpr_spill_count: 0
    .symbol:         _ZN7rocprim17ROCPRIM_400000_NS6detail17trampoline_kernelINS0_14default_configENS1_25partition_config_selectorILNS1_17partition_subalgoE9EjjbEEZZNS1_14partition_implILS5_9ELb0ES3_jN6thrust23THRUST_200600_302600_NS6detail15normal_iteratorINS9_10device_ptrIjEEEESE_PNS0_10empty_typeENS0_5tupleIJNS9_16discard_iteratorINS9_11use_defaultEEESF_EEENSH_IJSK_SG_EEENS0_18inequality_wrapperINS9_8equal_toIjEEEEPmJSF_EEE10hipError_tPvRmT3_T4_T5_T6_T7_T9_mT8_P12ihipStream_tbDpT10_ENKUlT_T0_E_clISt17integral_constantIbLb0EES1A_IbLb1EEEEDaS16_S17_EUlS16_E_NS1_11comp_targetILNS1_3genE2ELNS1_11target_archE906ELNS1_3gpuE6ELNS1_3repE0EEENS1_30default_config_static_selectorELNS0_4arch9wavefront6targetE0EEEvT1_.kd
    .uniform_work_group_size: 1
    .uses_dynamic_stack: false
    .vgpr_count:     0
    .vgpr_spill_count: 0
    .wavefront_size: 32
    .workgroup_processor_mode: 1
  - .args:
      - .offset:         0
        .size:           144
        .value_kind:     by_value
    .group_segment_fixed_size: 0
    .kernarg_segment_align: 8
    .kernarg_segment_size: 144
    .language:       OpenCL C
    .language_version:
      - 2
      - 0
    .max_flat_workgroup_size: 384
    .name:           _ZN7rocprim17ROCPRIM_400000_NS6detail17trampoline_kernelINS0_14default_configENS1_25partition_config_selectorILNS1_17partition_subalgoE9EjjbEEZZNS1_14partition_implILS5_9ELb0ES3_jN6thrust23THRUST_200600_302600_NS6detail15normal_iteratorINS9_10device_ptrIjEEEESE_PNS0_10empty_typeENS0_5tupleIJNS9_16discard_iteratorINS9_11use_defaultEEESF_EEENSH_IJSK_SG_EEENS0_18inequality_wrapperINS9_8equal_toIjEEEEPmJSF_EEE10hipError_tPvRmT3_T4_T5_T6_T7_T9_mT8_P12ihipStream_tbDpT10_ENKUlT_T0_E_clISt17integral_constantIbLb0EES1A_IbLb1EEEEDaS16_S17_EUlS16_E_NS1_11comp_targetILNS1_3genE10ELNS1_11target_archE1200ELNS1_3gpuE4ELNS1_3repE0EEENS1_30default_config_static_selectorELNS0_4arch9wavefront6targetE0EEEvT1_
    .private_segment_fixed_size: 0
    .sgpr_count:     0
    .sgpr_spill_count: 0
    .symbol:         _ZN7rocprim17ROCPRIM_400000_NS6detail17trampoline_kernelINS0_14default_configENS1_25partition_config_selectorILNS1_17partition_subalgoE9EjjbEEZZNS1_14partition_implILS5_9ELb0ES3_jN6thrust23THRUST_200600_302600_NS6detail15normal_iteratorINS9_10device_ptrIjEEEESE_PNS0_10empty_typeENS0_5tupleIJNS9_16discard_iteratorINS9_11use_defaultEEESF_EEENSH_IJSK_SG_EEENS0_18inequality_wrapperINS9_8equal_toIjEEEEPmJSF_EEE10hipError_tPvRmT3_T4_T5_T6_T7_T9_mT8_P12ihipStream_tbDpT10_ENKUlT_T0_E_clISt17integral_constantIbLb0EES1A_IbLb1EEEEDaS16_S17_EUlS16_E_NS1_11comp_targetILNS1_3genE10ELNS1_11target_archE1200ELNS1_3gpuE4ELNS1_3repE0EEENS1_30default_config_static_selectorELNS0_4arch9wavefront6targetE0EEEvT1_.kd
    .uniform_work_group_size: 1
    .uses_dynamic_stack: false
    .vgpr_count:     0
    .vgpr_spill_count: 0
    .wavefront_size: 32
    .workgroup_processor_mode: 1
  - .args:
      - .offset:         0
        .size:           144
        .value_kind:     by_value
    .group_segment_fixed_size: 12680
    .kernarg_segment_align: 8
    .kernarg_segment_size: 144
    .language:       OpenCL C
    .language_version:
      - 2
      - 0
    .max_flat_workgroup_size: 384
    .name:           _ZN7rocprim17ROCPRIM_400000_NS6detail17trampoline_kernelINS0_14default_configENS1_25partition_config_selectorILNS1_17partition_subalgoE9EjjbEEZZNS1_14partition_implILS5_9ELb0ES3_jN6thrust23THRUST_200600_302600_NS6detail15normal_iteratorINS9_10device_ptrIjEEEESE_PNS0_10empty_typeENS0_5tupleIJNS9_16discard_iteratorINS9_11use_defaultEEESF_EEENSH_IJSK_SG_EEENS0_18inequality_wrapperINS9_8equal_toIjEEEEPmJSF_EEE10hipError_tPvRmT3_T4_T5_T6_T7_T9_mT8_P12ihipStream_tbDpT10_ENKUlT_T0_E_clISt17integral_constantIbLb0EES1A_IbLb1EEEEDaS16_S17_EUlS16_E_NS1_11comp_targetILNS1_3genE9ELNS1_11target_archE1100ELNS1_3gpuE3ELNS1_3repE0EEENS1_30default_config_static_selectorELNS0_4arch9wavefront6targetE0EEEvT1_
    .private_segment_fixed_size: 0
    .sgpr_count:     26
    .sgpr_spill_count: 0
    .symbol:         _ZN7rocprim17ROCPRIM_400000_NS6detail17trampoline_kernelINS0_14default_configENS1_25partition_config_selectorILNS1_17partition_subalgoE9EjjbEEZZNS1_14partition_implILS5_9ELb0ES3_jN6thrust23THRUST_200600_302600_NS6detail15normal_iteratorINS9_10device_ptrIjEEEESE_PNS0_10empty_typeENS0_5tupleIJNS9_16discard_iteratorINS9_11use_defaultEEESF_EEENSH_IJSK_SG_EEENS0_18inequality_wrapperINS9_8equal_toIjEEEEPmJSF_EEE10hipError_tPvRmT3_T4_T5_T6_T7_T9_mT8_P12ihipStream_tbDpT10_ENKUlT_T0_E_clISt17integral_constantIbLb0EES1A_IbLb1EEEEDaS16_S17_EUlS16_E_NS1_11comp_targetILNS1_3genE9ELNS1_11target_archE1100ELNS1_3gpuE3ELNS1_3repE0EEENS1_30default_config_static_selectorELNS0_4arch9wavefront6targetE0EEEvT1_.kd
    .uniform_work_group_size: 1
    .uses_dynamic_stack: false
    .vgpr_count:     53
    .vgpr_spill_count: 0
    .wavefront_size: 32
    .workgroup_processor_mode: 1
  - .args:
      - .offset:         0
        .size:           144
        .value_kind:     by_value
    .group_segment_fixed_size: 0
    .kernarg_segment_align: 8
    .kernarg_segment_size: 144
    .language:       OpenCL C
    .language_version:
      - 2
      - 0
    .max_flat_workgroup_size: 512
    .name:           _ZN7rocprim17ROCPRIM_400000_NS6detail17trampoline_kernelINS0_14default_configENS1_25partition_config_selectorILNS1_17partition_subalgoE9EjjbEEZZNS1_14partition_implILS5_9ELb0ES3_jN6thrust23THRUST_200600_302600_NS6detail15normal_iteratorINS9_10device_ptrIjEEEESE_PNS0_10empty_typeENS0_5tupleIJNS9_16discard_iteratorINS9_11use_defaultEEESF_EEENSH_IJSK_SG_EEENS0_18inequality_wrapperINS9_8equal_toIjEEEEPmJSF_EEE10hipError_tPvRmT3_T4_T5_T6_T7_T9_mT8_P12ihipStream_tbDpT10_ENKUlT_T0_E_clISt17integral_constantIbLb0EES1A_IbLb1EEEEDaS16_S17_EUlS16_E_NS1_11comp_targetILNS1_3genE8ELNS1_11target_archE1030ELNS1_3gpuE2ELNS1_3repE0EEENS1_30default_config_static_selectorELNS0_4arch9wavefront6targetE0EEEvT1_
    .private_segment_fixed_size: 0
    .sgpr_count:     0
    .sgpr_spill_count: 0
    .symbol:         _ZN7rocprim17ROCPRIM_400000_NS6detail17trampoline_kernelINS0_14default_configENS1_25partition_config_selectorILNS1_17partition_subalgoE9EjjbEEZZNS1_14partition_implILS5_9ELb0ES3_jN6thrust23THRUST_200600_302600_NS6detail15normal_iteratorINS9_10device_ptrIjEEEESE_PNS0_10empty_typeENS0_5tupleIJNS9_16discard_iteratorINS9_11use_defaultEEESF_EEENSH_IJSK_SG_EEENS0_18inequality_wrapperINS9_8equal_toIjEEEEPmJSF_EEE10hipError_tPvRmT3_T4_T5_T6_T7_T9_mT8_P12ihipStream_tbDpT10_ENKUlT_T0_E_clISt17integral_constantIbLb0EES1A_IbLb1EEEEDaS16_S17_EUlS16_E_NS1_11comp_targetILNS1_3genE8ELNS1_11target_archE1030ELNS1_3gpuE2ELNS1_3repE0EEENS1_30default_config_static_selectorELNS0_4arch9wavefront6targetE0EEEvT1_.kd
    .uniform_work_group_size: 1
    .uses_dynamic_stack: false
    .vgpr_count:     0
    .vgpr_spill_count: 0
    .wavefront_size: 32
    .workgroup_processor_mode: 1
  - .args:
      - .offset:         0
        .size:           120
        .value_kind:     by_value
    .group_segment_fixed_size: 0
    .kernarg_segment_align: 8
    .kernarg_segment_size: 120
    .language:       OpenCL C
    .language_version:
      - 2
      - 0
    .max_flat_workgroup_size: 256
    .name:           _ZN7rocprim17ROCPRIM_400000_NS6detail17trampoline_kernelINS0_14default_configENS1_25partition_config_selectorILNS1_17partition_subalgoE9EjjbEEZZNS1_14partition_implILS5_9ELb0ES3_jN6thrust23THRUST_200600_302600_NS6detail15normal_iteratorINS9_10device_ptrIjEEEESE_PNS0_10empty_typeENS0_5tupleIJSE_SF_EEENSH_IJNS9_16discard_iteratorINS9_11use_defaultEEESG_EEENS0_18inequality_wrapperINS9_8equal_toIjEEEEPmJSF_EEE10hipError_tPvRmT3_T4_T5_T6_T7_T9_mT8_P12ihipStream_tbDpT10_ENKUlT_T0_E_clISt17integral_constantIbLb0EES1B_EEDaS16_S17_EUlS16_E_NS1_11comp_targetILNS1_3genE0ELNS1_11target_archE4294967295ELNS1_3gpuE0ELNS1_3repE0EEENS1_30default_config_static_selectorELNS0_4arch9wavefront6targetE0EEEvT1_
    .private_segment_fixed_size: 0
    .sgpr_count:     0
    .sgpr_spill_count: 0
    .symbol:         _ZN7rocprim17ROCPRIM_400000_NS6detail17trampoline_kernelINS0_14default_configENS1_25partition_config_selectorILNS1_17partition_subalgoE9EjjbEEZZNS1_14partition_implILS5_9ELb0ES3_jN6thrust23THRUST_200600_302600_NS6detail15normal_iteratorINS9_10device_ptrIjEEEESE_PNS0_10empty_typeENS0_5tupleIJSE_SF_EEENSH_IJNS9_16discard_iteratorINS9_11use_defaultEEESG_EEENS0_18inequality_wrapperINS9_8equal_toIjEEEEPmJSF_EEE10hipError_tPvRmT3_T4_T5_T6_T7_T9_mT8_P12ihipStream_tbDpT10_ENKUlT_T0_E_clISt17integral_constantIbLb0EES1B_EEDaS16_S17_EUlS16_E_NS1_11comp_targetILNS1_3genE0ELNS1_11target_archE4294967295ELNS1_3gpuE0ELNS1_3repE0EEENS1_30default_config_static_selectorELNS0_4arch9wavefront6targetE0EEEvT1_.kd
    .uniform_work_group_size: 1
    .uses_dynamic_stack: false
    .vgpr_count:     0
    .vgpr_spill_count: 0
    .wavefront_size: 32
    .workgroup_processor_mode: 1
  - .args:
      - .offset:         0
        .size:           120
        .value_kind:     by_value
    .group_segment_fixed_size: 0
    .kernarg_segment_align: 8
    .kernarg_segment_size: 120
    .language:       OpenCL C
    .language_version:
      - 2
      - 0
    .max_flat_workgroup_size: 512
    .name:           _ZN7rocprim17ROCPRIM_400000_NS6detail17trampoline_kernelINS0_14default_configENS1_25partition_config_selectorILNS1_17partition_subalgoE9EjjbEEZZNS1_14partition_implILS5_9ELb0ES3_jN6thrust23THRUST_200600_302600_NS6detail15normal_iteratorINS9_10device_ptrIjEEEESE_PNS0_10empty_typeENS0_5tupleIJSE_SF_EEENSH_IJNS9_16discard_iteratorINS9_11use_defaultEEESG_EEENS0_18inequality_wrapperINS9_8equal_toIjEEEEPmJSF_EEE10hipError_tPvRmT3_T4_T5_T6_T7_T9_mT8_P12ihipStream_tbDpT10_ENKUlT_T0_E_clISt17integral_constantIbLb0EES1B_EEDaS16_S17_EUlS16_E_NS1_11comp_targetILNS1_3genE5ELNS1_11target_archE942ELNS1_3gpuE9ELNS1_3repE0EEENS1_30default_config_static_selectorELNS0_4arch9wavefront6targetE0EEEvT1_
    .private_segment_fixed_size: 0
    .sgpr_count:     0
    .sgpr_spill_count: 0
    .symbol:         _ZN7rocprim17ROCPRIM_400000_NS6detail17trampoline_kernelINS0_14default_configENS1_25partition_config_selectorILNS1_17partition_subalgoE9EjjbEEZZNS1_14partition_implILS5_9ELb0ES3_jN6thrust23THRUST_200600_302600_NS6detail15normal_iteratorINS9_10device_ptrIjEEEESE_PNS0_10empty_typeENS0_5tupleIJSE_SF_EEENSH_IJNS9_16discard_iteratorINS9_11use_defaultEEESG_EEENS0_18inequality_wrapperINS9_8equal_toIjEEEEPmJSF_EEE10hipError_tPvRmT3_T4_T5_T6_T7_T9_mT8_P12ihipStream_tbDpT10_ENKUlT_T0_E_clISt17integral_constantIbLb0EES1B_EEDaS16_S17_EUlS16_E_NS1_11comp_targetILNS1_3genE5ELNS1_11target_archE942ELNS1_3gpuE9ELNS1_3repE0EEENS1_30default_config_static_selectorELNS0_4arch9wavefront6targetE0EEEvT1_.kd
    .uniform_work_group_size: 1
    .uses_dynamic_stack: false
    .vgpr_count:     0
    .vgpr_spill_count: 0
    .wavefront_size: 32
    .workgroup_processor_mode: 1
  - .args:
      - .offset:         0
        .size:           120
        .value_kind:     by_value
    .group_segment_fixed_size: 0
    .kernarg_segment_align: 8
    .kernarg_segment_size: 120
    .language:       OpenCL C
    .language_version:
      - 2
      - 0
    .max_flat_workgroup_size: 192
    .name:           _ZN7rocprim17ROCPRIM_400000_NS6detail17trampoline_kernelINS0_14default_configENS1_25partition_config_selectorILNS1_17partition_subalgoE9EjjbEEZZNS1_14partition_implILS5_9ELb0ES3_jN6thrust23THRUST_200600_302600_NS6detail15normal_iteratorINS9_10device_ptrIjEEEESE_PNS0_10empty_typeENS0_5tupleIJSE_SF_EEENSH_IJNS9_16discard_iteratorINS9_11use_defaultEEESG_EEENS0_18inequality_wrapperINS9_8equal_toIjEEEEPmJSF_EEE10hipError_tPvRmT3_T4_T5_T6_T7_T9_mT8_P12ihipStream_tbDpT10_ENKUlT_T0_E_clISt17integral_constantIbLb0EES1B_EEDaS16_S17_EUlS16_E_NS1_11comp_targetILNS1_3genE4ELNS1_11target_archE910ELNS1_3gpuE8ELNS1_3repE0EEENS1_30default_config_static_selectorELNS0_4arch9wavefront6targetE0EEEvT1_
    .private_segment_fixed_size: 0
    .sgpr_count:     0
    .sgpr_spill_count: 0
    .symbol:         _ZN7rocprim17ROCPRIM_400000_NS6detail17trampoline_kernelINS0_14default_configENS1_25partition_config_selectorILNS1_17partition_subalgoE9EjjbEEZZNS1_14partition_implILS5_9ELb0ES3_jN6thrust23THRUST_200600_302600_NS6detail15normal_iteratorINS9_10device_ptrIjEEEESE_PNS0_10empty_typeENS0_5tupleIJSE_SF_EEENSH_IJNS9_16discard_iteratorINS9_11use_defaultEEESG_EEENS0_18inequality_wrapperINS9_8equal_toIjEEEEPmJSF_EEE10hipError_tPvRmT3_T4_T5_T6_T7_T9_mT8_P12ihipStream_tbDpT10_ENKUlT_T0_E_clISt17integral_constantIbLb0EES1B_EEDaS16_S17_EUlS16_E_NS1_11comp_targetILNS1_3genE4ELNS1_11target_archE910ELNS1_3gpuE8ELNS1_3repE0EEENS1_30default_config_static_selectorELNS0_4arch9wavefront6targetE0EEEvT1_.kd
    .uniform_work_group_size: 1
    .uses_dynamic_stack: false
    .vgpr_count:     0
    .vgpr_spill_count: 0
    .wavefront_size: 32
    .workgroup_processor_mode: 1
  - .args:
      - .offset:         0
        .size:           120
        .value_kind:     by_value
    .group_segment_fixed_size: 0
    .kernarg_segment_align: 8
    .kernarg_segment_size: 120
    .language:       OpenCL C
    .language_version:
      - 2
      - 0
    .max_flat_workgroup_size: 256
    .name:           _ZN7rocprim17ROCPRIM_400000_NS6detail17trampoline_kernelINS0_14default_configENS1_25partition_config_selectorILNS1_17partition_subalgoE9EjjbEEZZNS1_14partition_implILS5_9ELb0ES3_jN6thrust23THRUST_200600_302600_NS6detail15normal_iteratorINS9_10device_ptrIjEEEESE_PNS0_10empty_typeENS0_5tupleIJSE_SF_EEENSH_IJNS9_16discard_iteratorINS9_11use_defaultEEESG_EEENS0_18inequality_wrapperINS9_8equal_toIjEEEEPmJSF_EEE10hipError_tPvRmT3_T4_T5_T6_T7_T9_mT8_P12ihipStream_tbDpT10_ENKUlT_T0_E_clISt17integral_constantIbLb0EES1B_EEDaS16_S17_EUlS16_E_NS1_11comp_targetILNS1_3genE3ELNS1_11target_archE908ELNS1_3gpuE7ELNS1_3repE0EEENS1_30default_config_static_selectorELNS0_4arch9wavefront6targetE0EEEvT1_
    .private_segment_fixed_size: 0
    .sgpr_count:     0
    .sgpr_spill_count: 0
    .symbol:         _ZN7rocprim17ROCPRIM_400000_NS6detail17trampoline_kernelINS0_14default_configENS1_25partition_config_selectorILNS1_17partition_subalgoE9EjjbEEZZNS1_14partition_implILS5_9ELb0ES3_jN6thrust23THRUST_200600_302600_NS6detail15normal_iteratorINS9_10device_ptrIjEEEESE_PNS0_10empty_typeENS0_5tupleIJSE_SF_EEENSH_IJNS9_16discard_iteratorINS9_11use_defaultEEESG_EEENS0_18inequality_wrapperINS9_8equal_toIjEEEEPmJSF_EEE10hipError_tPvRmT3_T4_T5_T6_T7_T9_mT8_P12ihipStream_tbDpT10_ENKUlT_T0_E_clISt17integral_constantIbLb0EES1B_EEDaS16_S17_EUlS16_E_NS1_11comp_targetILNS1_3genE3ELNS1_11target_archE908ELNS1_3gpuE7ELNS1_3repE0EEENS1_30default_config_static_selectorELNS0_4arch9wavefront6targetE0EEEvT1_.kd
    .uniform_work_group_size: 1
    .uses_dynamic_stack: false
    .vgpr_count:     0
    .vgpr_spill_count: 0
    .wavefront_size: 32
    .workgroup_processor_mode: 1
  - .args:
      - .offset:         0
        .size:           120
        .value_kind:     by_value
    .group_segment_fixed_size: 0
    .kernarg_segment_align: 8
    .kernarg_segment_size: 120
    .language:       OpenCL C
    .language_version:
      - 2
      - 0
    .max_flat_workgroup_size: 256
    .name:           _ZN7rocprim17ROCPRIM_400000_NS6detail17trampoline_kernelINS0_14default_configENS1_25partition_config_selectorILNS1_17partition_subalgoE9EjjbEEZZNS1_14partition_implILS5_9ELb0ES3_jN6thrust23THRUST_200600_302600_NS6detail15normal_iteratorINS9_10device_ptrIjEEEESE_PNS0_10empty_typeENS0_5tupleIJSE_SF_EEENSH_IJNS9_16discard_iteratorINS9_11use_defaultEEESG_EEENS0_18inequality_wrapperINS9_8equal_toIjEEEEPmJSF_EEE10hipError_tPvRmT3_T4_T5_T6_T7_T9_mT8_P12ihipStream_tbDpT10_ENKUlT_T0_E_clISt17integral_constantIbLb0EES1B_EEDaS16_S17_EUlS16_E_NS1_11comp_targetILNS1_3genE2ELNS1_11target_archE906ELNS1_3gpuE6ELNS1_3repE0EEENS1_30default_config_static_selectorELNS0_4arch9wavefront6targetE0EEEvT1_
    .private_segment_fixed_size: 0
    .sgpr_count:     0
    .sgpr_spill_count: 0
    .symbol:         _ZN7rocprim17ROCPRIM_400000_NS6detail17trampoline_kernelINS0_14default_configENS1_25partition_config_selectorILNS1_17partition_subalgoE9EjjbEEZZNS1_14partition_implILS5_9ELb0ES3_jN6thrust23THRUST_200600_302600_NS6detail15normal_iteratorINS9_10device_ptrIjEEEESE_PNS0_10empty_typeENS0_5tupleIJSE_SF_EEENSH_IJNS9_16discard_iteratorINS9_11use_defaultEEESG_EEENS0_18inequality_wrapperINS9_8equal_toIjEEEEPmJSF_EEE10hipError_tPvRmT3_T4_T5_T6_T7_T9_mT8_P12ihipStream_tbDpT10_ENKUlT_T0_E_clISt17integral_constantIbLb0EES1B_EEDaS16_S17_EUlS16_E_NS1_11comp_targetILNS1_3genE2ELNS1_11target_archE906ELNS1_3gpuE6ELNS1_3repE0EEENS1_30default_config_static_selectorELNS0_4arch9wavefront6targetE0EEEvT1_.kd
    .uniform_work_group_size: 1
    .uses_dynamic_stack: false
    .vgpr_count:     0
    .vgpr_spill_count: 0
    .wavefront_size: 32
    .workgroup_processor_mode: 1
  - .args:
      - .offset:         0
        .size:           120
        .value_kind:     by_value
    .group_segment_fixed_size: 0
    .kernarg_segment_align: 8
    .kernarg_segment_size: 120
    .language:       OpenCL C
    .language_version:
      - 2
      - 0
    .max_flat_workgroup_size: 384
    .name:           _ZN7rocprim17ROCPRIM_400000_NS6detail17trampoline_kernelINS0_14default_configENS1_25partition_config_selectorILNS1_17partition_subalgoE9EjjbEEZZNS1_14partition_implILS5_9ELb0ES3_jN6thrust23THRUST_200600_302600_NS6detail15normal_iteratorINS9_10device_ptrIjEEEESE_PNS0_10empty_typeENS0_5tupleIJSE_SF_EEENSH_IJNS9_16discard_iteratorINS9_11use_defaultEEESG_EEENS0_18inequality_wrapperINS9_8equal_toIjEEEEPmJSF_EEE10hipError_tPvRmT3_T4_T5_T6_T7_T9_mT8_P12ihipStream_tbDpT10_ENKUlT_T0_E_clISt17integral_constantIbLb0EES1B_EEDaS16_S17_EUlS16_E_NS1_11comp_targetILNS1_3genE10ELNS1_11target_archE1200ELNS1_3gpuE4ELNS1_3repE0EEENS1_30default_config_static_selectorELNS0_4arch9wavefront6targetE0EEEvT1_
    .private_segment_fixed_size: 0
    .sgpr_count:     0
    .sgpr_spill_count: 0
    .symbol:         _ZN7rocprim17ROCPRIM_400000_NS6detail17trampoline_kernelINS0_14default_configENS1_25partition_config_selectorILNS1_17partition_subalgoE9EjjbEEZZNS1_14partition_implILS5_9ELb0ES3_jN6thrust23THRUST_200600_302600_NS6detail15normal_iteratorINS9_10device_ptrIjEEEESE_PNS0_10empty_typeENS0_5tupleIJSE_SF_EEENSH_IJNS9_16discard_iteratorINS9_11use_defaultEEESG_EEENS0_18inequality_wrapperINS9_8equal_toIjEEEEPmJSF_EEE10hipError_tPvRmT3_T4_T5_T6_T7_T9_mT8_P12ihipStream_tbDpT10_ENKUlT_T0_E_clISt17integral_constantIbLb0EES1B_EEDaS16_S17_EUlS16_E_NS1_11comp_targetILNS1_3genE10ELNS1_11target_archE1200ELNS1_3gpuE4ELNS1_3repE0EEENS1_30default_config_static_selectorELNS0_4arch9wavefront6targetE0EEEvT1_.kd
    .uniform_work_group_size: 1
    .uses_dynamic_stack: false
    .vgpr_count:     0
    .vgpr_spill_count: 0
    .wavefront_size: 32
    .workgroup_processor_mode: 1
  - .args:
      - .offset:         0
        .size:           120
        .value_kind:     by_value
    .group_segment_fixed_size: 12680
    .kernarg_segment_align: 8
    .kernarg_segment_size: 120
    .language:       OpenCL C
    .language_version:
      - 2
      - 0
    .max_flat_workgroup_size: 384
    .name:           _ZN7rocprim17ROCPRIM_400000_NS6detail17trampoline_kernelINS0_14default_configENS1_25partition_config_selectorILNS1_17partition_subalgoE9EjjbEEZZNS1_14partition_implILS5_9ELb0ES3_jN6thrust23THRUST_200600_302600_NS6detail15normal_iteratorINS9_10device_ptrIjEEEESE_PNS0_10empty_typeENS0_5tupleIJSE_SF_EEENSH_IJNS9_16discard_iteratorINS9_11use_defaultEEESG_EEENS0_18inequality_wrapperINS9_8equal_toIjEEEEPmJSF_EEE10hipError_tPvRmT3_T4_T5_T6_T7_T9_mT8_P12ihipStream_tbDpT10_ENKUlT_T0_E_clISt17integral_constantIbLb0EES1B_EEDaS16_S17_EUlS16_E_NS1_11comp_targetILNS1_3genE9ELNS1_11target_archE1100ELNS1_3gpuE3ELNS1_3repE0EEENS1_30default_config_static_selectorELNS0_4arch9wavefront6targetE0EEEvT1_
    .private_segment_fixed_size: 0
    .sgpr_count:     27
    .sgpr_spill_count: 0
    .symbol:         _ZN7rocprim17ROCPRIM_400000_NS6detail17trampoline_kernelINS0_14default_configENS1_25partition_config_selectorILNS1_17partition_subalgoE9EjjbEEZZNS1_14partition_implILS5_9ELb0ES3_jN6thrust23THRUST_200600_302600_NS6detail15normal_iteratorINS9_10device_ptrIjEEEESE_PNS0_10empty_typeENS0_5tupleIJSE_SF_EEENSH_IJNS9_16discard_iteratorINS9_11use_defaultEEESG_EEENS0_18inequality_wrapperINS9_8equal_toIjEEEEPmJSF_EEE10hipError_tPvRmT3_T4_T5_T6_T7_T9_mT8_P12ihipStream_tbDpT10_ENKUlT_T0_E_clISt17integral_constantIbLb0EES1B_EEDaS16_S17_EUlS16_E_NS1_11comp_targetILNS1_3genE9ELNS1_11target_archE1100ELNS1_3gpuE3ELNS1_3repE0EEENS1_30default_config_static_selectorELNS0_4arch9wavefront6targetE0EEEvT1_.kd
    .uniform_work_group_size: 1
    .uses_dynamic_stack: false
    .vgpr_count:     51
    .vgpr_spill_count: 0
    .wavefront_size: 32
    .workgroup_processor_mode: 1
  - .args:
      - .offset:         0
        .size:           120
        .value_kind:     by_value
    .group_segment_fixed_size: 0
    .kernarg_segment_align: 8
    .kernarg_segment_size: 120
    .language:       OpenCL C
    .language_version:
      - 2
      - 0
    .max_flat_workgroup_size: 512
    .name:           _ZN7rocprim17ROCPRIM_400000_NS6detail17trampoline_kernelINS0_14default_configENS1_25partition_config_selectorILNS1_17partition_subalgoE9EjjbEEZZNS1_14partition_implILS5_9ELb0ES3_jN6thrust23THRUST_200600_302600_NS6detail15normal_iteratorINS9_10device_ptrIjEEEESE_PNS0_10empty_typeENS0_5tupleIJSE_SF_EEENSH_IJNS9_16discard_iteratorINS9_11use_defaultEEESG_EEENS0_18inequality_wrapperINS9_8equal_toIjEEEEPmJSF_EEE10hipError_tPvRmT3_T4_T5_T6_T7_T9_mT8_P12ihipStream_tbDpT10_ENKUlT_T0_E_clISt17integral_constantIbLb0EES1B_EEDaS16_S17_EUlS16_E_NS1_11comp_targetILNS1_3genE8ELNS1_11target_archE1030ELNS1_3gpuE2ELNS1_3repE0EEENS1_30default_config_static_selectorELNS0_4arch9wavefront6targetE0EEEvT1_
    .private_segment_fixed_size: 0
    .sgpr_count:     0
    .sgpr_spill_count: 0
    .symbol:         _ZN7rocprim17ROCPRIM_400000_NS6detail17trampoline_kernelINS0_14default_configENS1_25partition_config_selectorILNS1_17partition_subalgoE9EjjbEEZZNS1_14partition_implILS5_9ELb0ES3_jN6thrust23THRUST_200600_302600_NS6detail15normal_iteratorINS9_10device_ptrIjEEEESE_PNS0_10empty_typeENS0_5tupleIJSE_SF_EEENSH_IJNS9_16discard_iteratorINS9_11use_defaultEEESG_EEENS0_18inequality_wrapperINS9_8equal_toIjEEEEPmJSF_EEE10hipError_tPvRmT3_T4_T5_T6_T7_T9_mT8_P12ihipStream_tbDpT10_ENKUlT_T0_E_clISt17integral_constantIbLb0EES1B_EEDaS16_S17_EUlS16_E_NS1_11comp_targetILNS1_3genE8ELNS1_11target_archE1030ELNS1_3gpuE2ELNS1_3repE0EEENS1_30default_config_static_selectorELNS0_4arch9wavefront6targetE0EEEvT1_.kd
    .uniform_work_group_size: 1
    .uses_dynamic_stack: false
    .vgpr_count:     0
    .vgpr_spill_count: 0
    .wavefront_size: 32
    .workgroup_processor_mode: 1
  - .args:
      - .offset:         0
        .size:           136
        .value_kind:     by_value
    .group_segment_fixed_size: 0
    .kernarg_segment_align: 8
    .kernarg_segment_size: 136
    .language:       OpenCL C
    .language_version:
      - 2
      - 0
    .max_flat_workgroup_size: 256
    .name:           _ZN7rocprim17ROCPRIM_400000_NS6detail17trampoline_kernelINS0_14default_configENS1_25partition_config_selectorILNS1_17partition_subalgoE9EjjbEEZZNS1_14partition_implILS5_9ELb0ES3_jN6thrust23THRUST_200600_302600_NS6detail15normal_iteratorINS9_10device_ptrIjEEEESE_PNS0_10empty_typeENS0_5tupleIJSE_SF_EEENSH_IJNS9_16discard_iteratorINS9_11use_defaultEEESG_EEENS0_18inequality_wrapperINS9_8equal_toIjEEEEPmJSF_EEE10hipError_tPvRmT3_T4_T5_T6_T7_T9_mT8_P12ihipStream_tbDpT10_ENKUlT_T0_E_clISt17integral_constantIbLb1EES1B_EEDaS16_S17_EUlS16_E_NS1_11comp_targetILNS1_3genE0ELNS1_11target_archE4294967295ELNS1_3gpuE0ELNS1_3repE0EEENS1_30default_config_static_selectorELNS0_4arch9wavefront6targetE0EEEvT1_
    .private_segment_fixed_size: 0
    .sgpr_count:     0
    .sgpr_spill_count: 0
    .symbol:         _ZN7rocprim17ROCPRIM_400000_NS6detail17trampoline_kernelINS0_14default_configENS1_25partition_config_selectorILNS1_17partition_subalgoE9EjjbEEZZNS1_14partition_implILS5_9ELb0ES3_jN6thrust23THRUST_200600_302600_NS6detail15normal_iteratorINS9_10device_ptrIjEEEESE_PNS0_10empty_typeENS0_5tupleIJSE_SF_EEENSH_IJNS9_16discard_iteratorINS9_11use_defaultEEESG_EEENS0_18inequality_wrapperINS9_8equal_toIjEEEEPmJSF_EEE10hipError_tPvRmT3_T4_T5_T6_T7_T9_mT8_P12ihipStream_tbDpT10_ENKUlT_T0_E_clISt17integral_constantIbLb1EES1B_EEDaS16_S17_EUlS16_E_NS1_11comp_targetILNS1_3genE0ELNS1_11target_archE4294967295ELNS1_3gpuE0ELNS1_3repE0EEENS1_30default_config_static_selectorELNS0_4arch9wavefront6targetE0EEEvT1_.kd
    .uniform_work_group_size: 1
    .uses_dynamic_stack: false
    .vgpr_count:     0
    .vgpr_spill_count: 0
    .wavefront_size: 32
    .workgroup_processor_mode: 1
  - .args:
      - .offset:         0
        .size:           136
        .value_kind:     by_value
    .group_segment_fixed_size: 0
    .kernarg_segment_align: 8
    .kernarg_segment_size: 136
    .language:       OpenCL C
    .language_version:
      - 2
      - 0
    .max_flat_workgroup_size: 512
    .name:           _ZN7rocprim17ROCPRIM_400000_NS6detail17trampoline_kernelINS0_14default_configENS1_25partition_config_selectorILNS1_17partition_subalgoE9EjjbEEZZNS1_14partition_implILS5_9ELb0ES3_jN6thrust23THRUST_200600_302600_NS6detail15normal_iteratorINS9_10device_ptrIjEEEESE_PNS0_10empty_typeENS0_5tupleIJSE_SF_EEENSH_IJNS9_16discard_iteratorINS9_11use_defaultEEESG_EEENS0_18inequality_wrapperINS9_8equal_toIjEEEEPmJSF_EEE10hipError_tPvRmT3_T4_T5_T6_T7_T9_mT8_P12ihipStream_tbDpT10_ENKUlT_T0_E_clISt17integral_constantIbLb1EES1B_EEDaS16_S17_EUlS16_E_NS1_11comp_targetILNS1_3genE5ELNS1_11target_archE942ELNS1_3gpuE9ELNS1_3repE0EEENS1_30default_config_static_selectorELNS0_4arch9wavefront6targetE0EEEvT1_
    .private_segment_fixed_size: 0
    .sgpr_count:     0
    .sgpr_spill_count: 0
    .symbol:         _ZN7rocprim17ROCPRIM_400000_NS6detail17trampoline_kernelINS0_14default_configENS1_25partition_config_selectorILNS1_17partition_subalgoE9EjjbEEZZNS1_14partition_implILS5_9ELb0ES3_jN6thrust23THRUST_200600_302600_NS6detail15normal_iteratorINS9_10device_ptrIjEEEESE_PNS0_10empty_typeENS0_5tupleIJSE_SF_EEENSH_IJNS9_16discard_iteratorINS9_11use_defaultEEESG_EEENS0_18inequality_wrapperINS9_8equal_toIjEEEEPmJSF_EEE10hipError_tPvRmT3_T4_T5_T6_T7_T9_mT8_P12ihipStream_tbDpT10_ENKUlT_T0_E_clISt17integral_constantIbLb1EES1B_EEDaS16_S17_EUlS16_E_NS1_11comp_targetILNS1_3genE5ELNS1_11target_archE942ELNS1_3gpuE9ELNS1_3repE0EEENS1_30default_config_static_selectorELNS0_4arch9wavefront6targetE0EEEvT1_.kd
    .uniform_work_group_size: 1
    .uses_dynamic_stack: false
    .vgpr_count:     0
    .vgpr_spill_count: 0
    .wavefront_size: 32
    .workgroup_processor_mode: 1
  - .args:
      - .offset:         0
        .size:           136
        .value_kind:     by_value
    .group_segment_fixed_size: 0
    .kernarg_segment_align: 8
    .kernarg_segment_size: 136
    .language:       OpenCL C
    .language_version:
      - 2
      - 0
    .max_flat_workgroup_size: 192
    .name:           _ZN7rocprim17ROCPRIM_400000_NS6detail17trampoline_kernelINS0_14default_configENS1_25partition_config_selectorILNS1_17partition_subalgoE9EjjbEEZZNS1_14partition_implILS5_9ELb0ES3_jN6thrust23THRUST_200600_302600_NS6detail15normal_iteratorINS9_10device_ptrIjEEEESE_PNS0_10empty_typeENS0_5tupleIJSE_SF_EEENSH_IJNS9_16discard_iteratorINS9_11use_defaultEEESG_EEENS0_18inequality_wrapperINS9_8equal_toIjEEEEPmJSF_EEE10hipError_tPvRmT3_T4_T5_T6_T7_T9_mT8_P12ihipStream_tbDpT10_ENKUlT_T0_E_clISt17integral_constantIbLb1EES1B_EEDaS16_S17_EUlS16_E_NS1_11comp_targetILNS1_3genE4ELNS1_11target_archE910ELNS1_3gpuE8ELNS1_3repE0EEENS1_30default_config_static_selectorELNS0_4arch9wavefront6targetE0EEEvT1_
    .private_segment_fixed_size: 0
    .sgpr_count:     0
    .sgpr_spill_count: 0
    .symbol:         _ZN7rocprim17ROCPRIM_400000_NS6detail17trampoline_kernelINS0_14default_configENS1_25partition_config_selectorILNS1_17partition_subalgoE9EjjbEEZZNS1_14partition_implILS5_9ELb0ES3_jN6thrust23THRUST_200600_302600_NS6detail15normal_iteratorINS9_10device_ptrIjEEEESE_PNS0_10empty_typeENS0_5tupleIJSE_SF_EEENSH_IJNS9_16discard_iteratorINS9_11use_defaultEEESG_EEENS0_18inequality_wrapperINS9_8equal_toIjEEEEPmJSF_EEE10hipError_tPvRmT3_T4_T5_T6_T7_T9_mT8_P12ihipStream_tbDpT10_ENKUlT_T0_E_clISt17integral_constantIbLb1EES1B_EEDaS16_S17_EUlS16_E_NS1_11comp_targetILNS1_3genE4ELNS1_11target_archE910ELNS1_3gpuE8ELNS1_3repE0EEENS1_30default_config_static_selectorELNS0_4arch9wavefront6targetE0EEEvT1_.kd
    .uniform_work_group_size: 1
    .uses_dynamic_stack: false
    .vgpr_count:     0
    .vgpr_spill_count: 0
    .wavefront_size: 32
    .workgroup_processor_mode: 1
  - .args:
      - .offset:         0
        .size:           136
        .value_kind:     by_value
    .group_segment_fixed_size: 0
    .kernarg_segment_align: 8
    .kernarg_segment_size: 136
    .language:       OpenCL C
    .language_version:
      - 2
      - 0
    .max_flat_workgroup_size: 256
    .name:           _ZN7rocprim17ROCPRIM_400000_NS6detail17trampoline_kernelINS0_14default_configENS1_25partition_config_selectorILNS1_17partition_subalgoE9EjjbEEZZNS1_14partition_implILS5_9ELb0ES3_jN6thrust23THRUST_200600_302600_NS6detail15normal_iteratorINS9_10device_ptrIjEEEESE_PNS0_10empty_typeENS0_5tupleIJSE_SF_EEENSH_IJNS9_16discard_iteratorINS9_11use_defaultEEESG_EEENS0_18inequality_wrapperINS9_8equal_toIjEEEEPmJSF_EEE10hipError_tPvRmT3_T4_T5_T6_T7_T9_mT8_P12ihipStream_tbDpT10_ENKUlT_T0_E_clISt17integral_constantIbLb1EES1B_EEDaS16_S17_EUlS16_E_NS1_11comp_targetILNS1_3genE3ELNS1_11target_archE908ELNS1_3gpuE7ELNS1_3repE0EEENS1_30default_config_static_selectorELNS0_4arch9wavefront6targetE0EEEvT1_
    .private_segment_fixed_size: 0
    .sgpr_count:     0
    .sgpr_spill_count: 0
    .symbol:         _ZN7rocprim17ROCPRIM_400000_NS6detail17trampoline_kernelINS0_14default_configENS1_25partition_config_selectorILNS1_17partition_subalgoE9EjjbEEZZNS1_14partition_implILS5_9ELb0ES3_jN6thrust23THRUST_200600_302600_NS6detail15normal_iteratorINS9_10device_ptrIjEEEESE_PNS0_10empty_typeENS0_5tupleIJSE_SF_EEENSH_IJNS9_16discard_iteratorINS9_11use_defaultEEESG_EEENS0_18inequality_wrapperINS9_8equal_toIjEEEEPmJSF_EEE10hipError_tPvRmT3_T4_T5_T6_T7_T9_mT8_P12ihipStream_tbDpT10_ENKUlT_T0_E_clISt17integral_constantIbLb1EES1B_EEDaS16_S17_EUlS16_E_NS1_11comp_targetILNS1_3genE3ELNS1_11target_archE908ELNS1_3gpuE7ELNS1_3repE0EEENS1_30default_config_static_selectorELNS0_4arch9wavefront6targetE0EEEvT1_.kd
    .uniform_work_group_size: 1
    .uses_dynamic_stack: false
    .vgpr_count:     0
    .vgpr_spill_count: 0
    .wavefront_size: 32
    .workgroup_processor_mode: 1
  - .args:
      - .offset:         0
        .size:           136
        .value_kind:     by_value
    .group_segment_fixed_size: 0
    .kernarg_segment_align: 8
    .kernarg_segment_size: 136
    .language:       OpenCL C
    .language_version:
      - 2
      - 0
    .max_flat_workgroup_size: 256
    .name:           _ZN7rocprim17ROCPRIM_400000_NS6detail17trampoline_kernelINS0_14default_configENS1_25partition_config_selectorILNS1_17partition_subalgoE9EjjbEEZZNS1_14partition_implILS5_9ELb0ES3_jN6thrust23THRUST_200600_302600_NS6detail15normal_iteratorINS9_10device_ptrIjEEEESE_PNS0_10empty_typeENS0_5tupleIJSE_SF_EEENSH_IJNS9_16discard_iteratorINS9_11use_defaultEEESG_EEENS0_18inequality_wrapperINS9_8equal_toIjEEEEPmJSF_EEE10hipError_tPvRmT3_T4_T5_T6_T7_T9_mT8_P12ihipStream_tbDpT10_ENKUlT_T0_E_clISt17integral_constantIbLb1EES1B_EEDaS16_S17_EUlS16_E_NS1_11comp_targetILNS1_3genE2ELNS1_11target_archE906ELNS1_3gpuE6ELNS1_3repE0EEENS1_30default_config_static_selectorELNS0_4arch9wavefront6targetE0EEEvT1_
    .private_segment_fixed_size: 0
    .sgpr_count:     0
    .sgpr_spill_count: 0
    .symbol:         _ZN7rocprim17ROCPRIM_400000_NS6detail17trampoline_kernelINS0_14default_configENS1_25partition_config_selectorILNS1_17partition_subalgoE9EjjbEEZZNS1_14partition_implILS5_9ELb0ES3_jN6thrust23THRUST_200600_302600_NS6detail15normal_iteratorINS9_10device_ptrIjEEEESE_PNS0_10empty_typeENS0_5tupleIJSE_SF_EEENSH_IJNS9_16discard_iteratorINS9_11use_defaultEEESG_EEENS0_18inequality_wrapperINS9_8equal_toIjEEEEPmJSF_EEE10hipError_tPvRmT3_T4_T5_T6_T7_T9_mT8_P12ihipStream_tbDpT10_ENKUlT_T0_E_clISt17integral_constantIbLb1EES1B_EEDaS16_S17_EUlS16_E_NS1_11comp_targetILNS1_3genE2ELNS1_11target_archE906ELNS1_3gpuE6ELNS1_3repE0EEENS1_30default_config_static_selectorELNS0_4arch9wavefront6targetE0EEEvT1_.kd
    .uniform_work_group_size: 1
    .uses_dynamic_stack: false
    .vgpr_count:     0
    .vgpr_spill_count: 0
    .wavefront_size: 32
    .workgroup_processor_mode: 1
  - .args:
      - .offset:         0
        .size:           136
        .value_kind:     by_value
    .group_segment_fixed_size: 0
    .kernarg_segment_align: 8
    .kernarg_segment_size: 136
    .language:       OpenCL C
    .language_version:
      - 2
      - 0
    .max_flat_workgroup_size: 384
    .name:           _ZN7rocprim17ROCPRIM_400000_NS6detail17trampoline_kernelINS0_14default_configENS1_25partition_config_selectorILNS1_17partition_subalgoE9EjjbEEZZNS1_14partition_implILS5_9ELb0ES3_jN6thrust23THRUST_200600_302600_NS6detail15normal_iteratorINS9_10device_ptrIjEEEESE_PNS0_10empty_typeENS0_5tupleIJSE_SF_EEENSH_IJNS9_16discard_iteratorINS9_11use_defaultEEESG_EEENS0_18inequality_wrapperINS9_8equal_toIjEEEEPmJSF_EEE10hipError_tPvRmT3_T4_T5_T6_T7_T9_mT8_P12ihipStream_tbDpT10_ENKUlT_T0_E_clISt17integral_constantIbLb1EES1B_EEDaS16_S17_EUlS16_E_NS1_11comp_targetILNS1_3genE10ELNS1_11target_archE1200ELNS1_3gpuE4ELNS1_3repE0EEENS1_30default_config_static_selectorELNS0_4arch9wavefront6targetE0EEEvT1_
    .private_segment_fixed_size: 0
    .sgpr_count:     0
    .sgpr_spill_count: 0
    .symbol:         _ZN7rocprim17ROCPRIM_400000_NS6detail17trampoline_kernelINS0_14default_configENS1_25partition_config_selectorILNS1_17partition_subalgoE9EjjbEEZZNS1_14partition_implILS5_9ELb0ES3_jN6thrust23THRUST_200600_302600_NS6detail15normal_iteratorINS9_10device_ptrIjEEEESE_PNS0_10empty_typeENS0_5tupleIJSE_SF_EEENSH_IJNS9_16discard_iteratorINS9_11use_defaultEEESG_EEENS0_18inequality_wrapperINS9_8equal_toIjEEEEPmJSF_EEE10hipError_tPvRmT3_T4_T5_T6_T7_T9_mT8_P12ihipStream_tbDpT10_ENKUlT_T0_E_clISt17integral_constantIbLb1EES1B_EEDaS16_S17_EUlS16_E_NS1_11comp_targetILNS1_3genE10ELNS1_11target_archE1200ELNS1_3gpuE4ELNS1_3repE0EEENS1_30default_config_static_selectorELNS0_4arch9wavefront6targetE0EEEvT1_.kd
    .uniform_work_group_size: 1
    .uses_dynamic_stack: false
    .vgpr_count:     0
    .vgpr_spill_count: 0
    .wavefront_size: 32
    .workgroup_processor_mode: 1
  - .args:
      - .offset:         0
        .size:           136
        .value_kind:     by_value
    .group_segment_fixed_size: 12680
    .kernarg_segment_align: 8
    .kernarg_segment_size: 136
    .language:       OpenCL C
    .language_version:
      - 2
      - 0
    .max_flat_workgroup_size: 384
    .name:           _ZN7rocprim17ROCPRIM_400000_NS6detail17trampoline_kernelINS0_14default_configENS1_25partition_config_selectorILNS1_17partition_subalgoE9EjjbEEZZNS1_14partition_implILS5_9ELb0ES3_jN6thrust23THRUST_200600_302600_NS6detail15normal_iteratorINS9_10device_ptrIjEEEESE_PNS0_10empty_typeENS0_5tupleIJSE_SF_EEENSH_IJNS9_16discard_iteratorINS9_11use_defaultEEESG_EEENS0_18inequality_wrapperINS9_8equal_toIjEEEEPmJSF_EEE10hipError_tPvRmT3_T4_T5_T6_T7_T9_mT8_P12ihipStream_tbDpT10_ENKUlT_T0_E_clISt17integral_constantIbLb1EES1B_EEDaS16_S17_EUlS16_E_NS1_11comp_targetILNS1_3genE9ELNS1_11target_archE1100ELNS1_3gpuE3ELNS1_3repE0EEENS1_30default_config_static_selectorELNS0_4arch9wavefront6targetE0EEEvT1_
    .private_segment_fixed_size: 0
    .sgpr_count:     28
    .sgpr_spill_count: 0
    .symbol:         _ZN7rocprim17ROCPRIM_400000_NS6detail17trampoline_kernelINS0_14default_configENS1_25partition_config_selectorILNS1_17partition_subalgoE9EjjbEEZZNS1_14partition_implILS5_9ELb0ES3_jN6thrust23THRUST_200600_302600_NS6detail15normal_iteratorINS9_10device_ptrIjEEEESE_PNS0_10empty_typeENS0_5tupleIJSE_SF_EEENSH_IJNS9_16discard_iteratorINS9_11use_defaultEEESG_EEENS0_18inequality_wrapperINS9_8equal_toIjEEEEPmJSF_EEE10hipError_tPvRmT3_T4_T5_T6_T7_T9_mT8_P12ihipStream_tbDpT10_ENKUlT_T0_E_clISt17integral_constantIbLb1EES1B_EEDaS16_S17_EUlS16_E_NS1_11comp_targetILNS1_3genE9ELNS1_11target_archE1100ELNS1_3gpuE3ELNS1_3repE0EEENS1_30default_config_static_selectorELNS0_4arch9wavefront6targetE0EEEvT1_.kd
    .uniform_work_group_size: 1
    .uses_dynamic_stack: false
    .vgpr_count:     53
    .vgpr_spill_count: 0
    .wavefront_size: 32
    .workgroup_processor_mode: 1
  - .args:
      - .offset:         0
        .size:           136
        .value_kind:     by_value
    .group_segment_fixed_size: 0
    .kernarg_segment_align: 8
    .kernarg_segment_size: 136
    .language:       OpenCL C
    .language_version:
      - 2
      - 0
    .max_flat_workgroup_size: 512
    .name:           _ZN7rocprim17ROCPRIM_400000_NS6detail17trampoline_kernelINS0_14default_configENS1_25partition_config_selectorILNS1_17partition_subalgoE9EjjbEEZZNS1_14partition_implILS5_9ELb0ES3_jN6thrust23THRUST_200600_302600_NS6detail15normal_iteratorINS9_10device_ptrIjEEEESE_PNS0_10empty_typeENS0_5tupleIJSE_SF_EEENSH_IJNS9_16discard_iteratorINS9_11use_defaultEEESG_EEENS0_18inequality_wrapperINS9_8equal_toIjEEEEPmJSF_EEE10hipError_tPvRmT3_T4_T5_T6_T7_T9_mT8_P12ihipStream_tbDpT10_ENKUlT_T0_E_clISt17integral_constantIbLb1EES1B_EEDaS16_S17_EUlS16_E_NS1_11comp_targetILNS1_3genE8ELNS1_11target_archE1030ELNS1_3gpuE2ELNS1_3repE0EEENS1_30default_config_static_selectorELNS0_4arch9wavefront6targetE0EEEvT1_
    .private_segment_fixed_size: 0
    .sgpr_count:     0
    .sgpr_spill_count: 0
    .symbol:         _ZN7rocprim17ROCPRIM_400000_NS6detail17trampoline_kernelINS0_14default_configENS1_25partition_config_selectorILNS1_17partition_subalgoE9EjjbEEZZNS1_14partition_implILS5_9ELb0ES3_jN6thrust23THRUST_200600_302600_NS6detail15normal_iteratorINS9_10device_ptrIjEEEESE_PNS0_10empty_typeENS0_5tupleIJSE_SF_EEENSH_IJNS9_16discard_iteratorINS9_11use_defaultEEESG_EEENS0_18inequality_wrapperINS9_8equal_toIjEEEEPmJSF_EEE10hipError_tPvRmT3_T4_T5_T6_T7_T9_mT8_P12ihipStream_tbDpT10_ENKUlT_T0_E_clISt17integral_constantIbLb1EES1B_EEDaS16_S17_EUlS16_E_NS1_11comp_targetILNS1_3genE8ELNS1_11target_archE1030ELNS1_3gpuE2ELNS1_3repE0EEENS1_30default_config_static_selectorELNS0_4arch9wavefront6targetE0EEEvT1_.kd
    .uniform_work_group_size: 1
    .uses_dynamic_stack: false
    .vgpr_count:     0
    .vgpr_spill_count: 0
    .wavefront_size: 32
    .workgroup_processor_mode: 1
  - .args:
      - .offset:         0
        .size:           120
        .value_kind:     by_value
    .group_segment_fixed_size: 0
    .kernarg_segment_align: 8
    .kernarg_segment_size: 120
    .language:       OpenCL C
    .language_version:
      - 2
      - 0
    .max_flat_workgroup_size: 256
    .name:           _ZN7rocprim17ROCPRIM_400000_NS6detail17trampoline_kernelINS0_14default_configENS1_25partition_config_selectorILNS1_17partition_subalgoE9EjjbEEZZNS1_14partition_implILS5_9ELb0ES3_jN6thrust23THRUST_200600_302600_NS6detail15normal_iteratorINS9_10device_ptrIjEEEESE_PNS0_10empty_typeENS0_5tupleIJSE_SF_EEENSH_IJNS9_16discard_iteratorINS9_11use_defaultEEESG_EEENS0_18inequality_wrapperINS9_8equal_toIjEEEEPmJSF_EEE10hipError_tPvRmT3_T4_T5_T6_T7_T9_mT8_P12ihipStream_tbDpT10_ENKUlT_T0_E_clISt17integral_constantIbLb1EES1A_IbLb0EEEEDaS16_S17_EUlS16_E_NS1_11comp_targetILNS1_3genE0ELNS1_11target_archE4294967295ELNS1_3gpuE0ELNS1_3repE0EEENS1_30default_config_static_selectorELNS0_4arch9wavefront6targetE0EEEvT1_
    .private_segment_fixed_size: 0
    .sgpr_count:     0
    .sgpr_spill_count: 0
    .symbol:         _ZN7rocprim17ROCPRIM_400000_NS6detail17trampoline_kernelINS0_14default_configENS1_25partition_config_selectorILNS1_17partition_subalgoE9EjjbEEZZNS1_14partition_implILS5_9ELb0ES3_jN6thrust23THRUST_200600_302600_NS6detail15normal_iteratorINS9_10device_ptrIjEEEESE_PNS0_10empty_typeENS0_5tupleIJSE_SF_EEENSH_IJNS9_16discard_iteratorINS9_11use_defaultEEESG_EEENS0_18inequality_wrapperINS9_8equal_toIjEEEEPmJSF_EEE10hipError_tPvRmT3_T4_T5_T6_T7_T9_mT8_P12ihipStream_tbDpT10_ENKUlT_T0_E_clISt17integral_constantIbLb1EES1A_IbLb0EEEEDaS16_S17_EUlS16_E_NS1_11comp_targetILNS1_3genE0ELNS1_11target_archE4294967295ELNS1_3gpuE0ELNS1_3repE0EEENS1_30default_config_static_selectorELNS0_4arch9wavefront6targetE0EEEvT1_.kd
    .uniform_work_group_size: 1
    .uses_dynamic_stack: false
    .vgpr_count:     0
    .vgpr_spill_count: 0
    .wavefront_size: 32
    .workgroup_processor_mode: 1
  - .args:
      - .offset:         0
        .size:           120
        .value_kind:     by_value
    .group_segment_fixed_size: 0
    .kernarg_segment_align: 8
    .kernarg_segment_size: 120
    .language:       OpenCL C
    .language_version:
      - 2
      - 0
    .max_flat_workgroup_size: 512
    .name:           _ZN7rocprim17ROCPRIM_400000_NS6detail17trampoline_kernelINS0_14default_configENS1_25partition_config_selectorILNS1_17partition_subalgoE9EjjbEEZZNS1_14partition_implILS5_9ELb0ES3_jN6thrust23THRUST_200600_302600_NS6detail15normal_iteratorINS9_10device_ptrIjEEEESE_PNS0_10empty_typeENS0_5tupleIJSE_SF_EEENSH_IJNS9_16discard_iteratorINS9_11use_defaultEEESG_EEENS0_18inequality_wrapperINS9_8equal_toIjEEEEPmJSF_EEE10hipError_tPvRmT3_T4_T5_T6_T7_T9_mT8_P12ihipStream_tbDpT10_ENKUlT_T0_E_clISt17integral_constantIbLb1EES1A_IbLb0EEEEDaS16_S17_EUlS16_E_NS1_11comp_targetILNS1_3genE5ELNS1_11target_archE942ELNS1_3gpuE9ELNS1_3repE0EEENS1_30default_config_static_selectorELNS0_4arch9wavefront6targetE0EEEvT1_
    .private_segment_fixed_size: 0
    .sgpr_count:     0
    .sgpr_spill_count: 0
    .symbol:         _ZN7rocprim17ROCPRIM_400000_NS6detail17trampoline_kernelINS0_14default_configENS1_25partition_config_selectorILNS1_17partition_subalgoE9EjjbEEZZNS1_14partition_implILS5_9ELb0ES3_jN6thrust23THRUST_200600_302600_NS6detail15normal_iteratorINS9_10device_ptrIjEEEESE_PNS0_10empty_typeENS0_5tupleIJSE_SF_EEENSH_IJNS9_16discard_iteratorINS9_11use_defaultEEESG_EEENS0_18inequality_wrapperINS9_8equal_toIjEEEEPmJSF_EEE10hipError_tPvRmT3_T4_T5_T6_T7_T9_mT8_P12ihipStream_tbDpT10_ENKUlT_T0_E_clISt17integral_constantIbLb1EES1A_IbLb0EEEEDaS16_S17_EUlS16_E_NS1_11comp_targetILNS1_3genE5ELNS1_11target_archE942ELNS1_3gpuE9ELNS1_3repE0EEENS1_30default_config_static_selectorELNS0_4arch9wavefront6targetE0EEEvT1_.kd
    .uniform_work_group_size: 1
    .uses_dynamic_stack: false
    .vgpr_count:     0
    .vgpr_spill_count: 0
    .wavefront_size: 32
    .workgroup_processor_mode: 1
  - .args:
      - .offset:         0
        .size:           120
        .value_kind:     by_value
    .group_segment_fixed_size: 0
    .kernarg_segment_align: 8
    .kernarg_segment_size: 120
    .language:       OpenCL C
    .language_version:
      - 2
      - 0
    .max_flat_workgroup_size: 192
    .name:           _ZN7rocprim17ROCPRIM_400000_NS6detail17trampoline_kernelINS0_14default_configENS1_25partition_config_selectorILNS1_17partition_subalgoE9EjjbEEZZNS1_14partition_implILS5_9ELb0ES3_jN6thrust23THRUST_200600_302600_NS6detail15normal_iteratorINS9_10device_ptrIjEEEESE_PNS0_10empty_typeENS0_5tupleIJSE_SF_EEENSH_IJNS9_16discard_iteratorINS9_11use_defaultEEESG_EEENS0_18inequality_wrapperINS9_8equal_toIjEEEEPmJSF_EEE10hipError_tPvRmT3_T4_T5_T6_T7_T9_mT8_P12ihipStream_tbDpT10_ENKUlT_T0_E_clISt17integral_constantIbLb1EES1A_IbLb0EEEEDaS16_S17_EUlS16_E_NS1_11comp_targetILNS1_3genE4ELNS1_11target_archE910ELNS1_3gpuE8ELNS1_3repE0EEENS1_30default_config_static_selectorELNS0_4arch9wavefront6targetE0EEEvT1_
    .private_segment_fixed_size: 0
    .sgpr_count:     0
    .sgpr_spill_count: 0
    .symbol:         _ZN7rocprim17ROCPRIM_400000_NS6detail17trampoline_kernelINS0_14default_configENS1_25partition_config_selectorILNS1_17partition_subalgoE9EjjbEEZZNS1_14partition_implILS5_9ELb0ES3_jN6thrust23THRUST_200600_302600_NS6detail15normal_iteratorINS9_10device_ptrIjEEEESE_PNS0_10empty_typeENS0_5tupleIJSE_SF_EEENSH_IJNS9_16discard_iteratorINS9_11use_defaultEEESG_EEENS0_18inequality_wrapperINS9_8equal_toIjEEEEPmJSF_EEE10hipError_tPvRmT3_T4_T5_T6_T7_T9_mT8_P12ihipStream_tbDpT10_ENKUlT_T0_E_clISt17integral_constantIbLb1EES1A_IbLb0EEEEDaS16_S17_EUlS16_E_NS1_11comp_targetILNS1_3genE4ELNS1_11target_archE910ELNS1_3gpuE8ELNS1_3repE0EEENS1_30default_config_static_selectorELNS0_4arch9wavefront6targetE0EEEvT1_.kd
    .uniform_work_group_size: 1
    .uses_dynamic_stack: false
    .vgpr_count:     0
    .vgpr_spill_count: 0
    .wavefront_size: 32
    .workgroup_processor_mode: 1
  - .args:
      - .offset:         0
        .size:           120
        .value_kind:     by_value
    .group_segment_fixed_size: 0
    .kernarg_segment_align: 8
    .kernarg_segment_size: 120
    .language:       OpenCL C
    .language_version:
      - 2
      - 0
    .max_flat_workgroup_size: 256
    .name:           _ZN7rocprim17ROCPRIM_400000_NS6detail17trampoline_kernelINS0_14default_configENS1_25partition_config_selectorILNS1_17partition_subalgoE9EjjbEEZZNS1_14partition_implILS5_9ELb0ES3_jN6thrust23THRUST_200600_302600_NS6detail15normal_iteratorINS9_10device_ptrIjEEEESE_PNS0_10empty_typeENS0_5tupleIJSE_SF_EEENSH_IJNS9_16discard_iteratorINS9_11use_defaultEEESG_EEENS0_18inequality_wrapperINS9_8equal_toIjEEEEPmJSF_EEE10hipError_tPvRmT3_T4_T5_T6_T7_T9_mT8_P12ihipStream_tbDpT10_ENKUlT_T0_E_clISt17integral_constantIbLb1EES1A_IbLb0EEEEDaS16_S17_EUlS16_E_NS1_11comp_targetILNS1_3genE3ELNS1_11target_archE908ELNS1_3gpuE7ELNS1_3repE0EEENS1_30default_config_static_selectorELNS0_4arch9wavefront6targetE0EEEvT1_
    .private_segment_fixed_size: 0
    .sgpr_count:     0
    .sgpr_spill_count: 0
    .symbol:         _ZN7rocprim17ROCPRIM_400000_NS6detail17trampoline_kernelINS0_14default_configENS1_25partition_config_selectorILNS1_17partition_subalgoE9EjjbEEZZNS1_14partition_implILS5_9ELb0ES3_jN6thrust23THRUST_200600_302600_NS6detail15normal_iteratorINS9_10device_ptrIjEEEESE_PNS0_10empty_typeENS0_5tupleIJSE_SF_EEENSH_IJNS9_16discard_iteratorINS9_11use_defaultEEESG_EEENS0_18inequality_wrapperINS9_8equal_toIjEEEEPmJSF_EEE10hipError_tPvRmT3_T4_T5_T6_T7_T9_mT8_P12ihipStream_tbDpT10_ENKUlT_T0_E_clISt17integral_constantIbLb1EES1A_IbLb0EEEEDaS16_S17_EUlS16_E_NS1_11comp_targetILNS1_3genE3ELNS1_11target_archE908ELNS1_3gpuE7ELNS1_3repE0EEENS1_30default_config_static_selectorELNS0_4arch9wavefront6targetE0EEEvT1_.kd
    .uniform_work_group_size: 1
    .uses_dynamic_stack: false
    .vgpr_count:     0
    .vgpr_spill_count: 0
    .wavefront_size: 32
    .workgroup_processor_mode: 1
  - .args:
      - .offset:         0
        .size:           120
        .value_kind:     by_value
    .group_segment_fixed_size: 0
    .kernarg_segment_align: 8
    .kernarg_segment_size: 120
    .language:       OpenCL C
    .language_version:
      - 2
      - 0
    .max_flat_workgroup_size: 256
    .name:           _ZN7rocprim17ROCPRIM_400000_NS6detail17trampoline_kernelINS0_14default_configENS1_25partition_config_selectorILNS1_17partition_subalgoE9EjjbEEZZNS1_14partition_implILS5_9ELb0ES3_jN6thrust23THRUST_200600_302600_NS6detail15normal_iteratorINS9_10device_ptrIjEEEESE_PNS0_10empty_typeENS0_5tupleIJSE_SF_EEENSH_IJNS9_16discard_iteratorINS9_11use_defaultEEESG_EEENS0_18inequality_wrapperINS9_8equal_toIjEEEEPmJSF_EEE10hipError_tPvRmT3_T4_T5_T6_T7_T9_mT8_P12ihipStream_tbDpT10_ENKUlT_T0_E_clISt17integral_constantIbLb1EES1A_IbLb0EEEEDaS16_S17_EUlS16_E_NS1_11comp_targetILNS1_3genE2ELNS1_11target_archE906ELNS1_3gpuE6ELNS1_3repE0EEENS1_30default_config_static_selectorELNS0_4arch9wavefront6targetE0EEEvT1_
    .private_segment_fixed_size: 0
    .sgpr_count:     0
    .sgpr_spill_count: 0
    .symbol:         _ZN7rocprim17ROCPRIM_400000_NS6detail17trampoline_kernelINS0_14default_configENS1_25partition_config_selectorILNS1_17partition_subalgoE9EjjbEEZZNS1_14partition_implILS5_9ELb0ES3_jN6thrust23THRUST_200600_302600_NS6detail15normal_iteratorINS9_10device_ptrIjEEEESE_PNS0_10empty_typeENS0_5tupleIJSE_SF_EEENSH_IJNS9_16discard_iteratorINS9_11use_defaultEEESG_EEENS0_18inequality_wrapperINS9_8equal_toIjEEEEPmJSF_EEE10hipError_tPvRmT3_T4_T5_T6_T7_T9_mT8_P12ihipStream_tbDpT10_ENKUlT_T0_E_clISt17integral_constantIbLb1EES1A_IbLb0EEEEDaS16_S17_EUlS16_E_NS1_11comp_targetILNS1_3genE2ELNS1_11target_archE906ELNS1_3gpuE6ELNS1_3repE0EEENS1_30default_config_static_selectorELNS0_4arch9wavefront6targetE0EEEvT1_.kd
    .uniform_work_group_size: 1
    .uses_dynamic_stack: false
    .vgpr_count:     0
    .vgpr_spill_count: 0
    .wavefront_size: 32
    .workgroup_processor_mode: 1
  - .args:
      - .offset:         0
        .size:           120
        .value_kind:     by_value
    .group_segment_fixed_size: 0
    .kernarg_segment_align: 8
    .kernarg_segment_size: 120
    .language:       OpenCL C
    .language_version:
      - 2
      - 0
    .max_flat_workgroup_size: 384
    .name:           _ZN7rocprim17ROCPRIM_400000_NS6detail17trampoline_kernelINS0_14default_configENS1_25partition_config_selectorILNS1_17partition_subalgoE9EjjbEEZZNS1_14partition_implILS5_9ELb0ES3_jN6thrust23THRUST_200600_302600_NS6detail15normal_iteratorINS9_10device_ptrIjEEEESE_PNS0_10empty_typeENS0_5tupleIJSE_SF_EEENSH_IJNS9_16discard_iteratorINS9_11use_defaultEEESG_EEENS0_18inequality_wrapperINS9_8equal_toIjEEEEPmJSF_EEE10hipError_tPvRmT3_T4_T5_T6_T7_T9_mT8_P12ihipStream_tbDpT10_ENKUlT_T0_E_clISt17integral_constantIbLb1EES1A_IbLb0EEEEDaS16_S17_EUlS16_E_NS1_11comp_targetILNS1_3genE10ELNS1_11target_archE1200ELNS1_3gpuE4ELNS1_3repE0EEENS1_30default_config_static_selectorELNS0_4arch9wavefront6targetE0EEEvT1_
    .private_segment_fixed_size: 0
    .sgpr_count:     0
    .sgpr_spill_count: 0
    .symbol:         _ZN7rocprim17ROCPRIM_400000_NS6detail17trampoline_kernelINS0_14default_configENS1_25partition_config_selectorILNS1_17partition_subalgoE9EjjbEEZZNS1_14partition_implILS5_9ELb0ES3_jN6thrust23THRUST_200600_302600_NS6detail15normal_iteratorINS9_10device_ptrIjEEEESE_PNS0_10empty_typeENS0_5tupleIJSE_SF_EEENSH_IJNS9_16discard_iteratorINS9_11use_defaultEEESG_EEENS0_18inequality_wrapperINS9_8equal_toIjEEEEPmJSF_EEE10hipError_tPvRmT3_T4_T5_T6_T7_T9_mT8_P12ihipStream_tbDpT10_ENKUlT_T0_E_clISt17integral_constantIbLb1EES1A_IbLb0EEEEDaS16_S17_EUlS16_E_NS1_11comp_targetILNS1_3genE10ELNS1_11target_archE1200ELNS1_3gpuE4ELNS1_3repE0EEENS1_30default_config_static_selectorELNS0_4arch9wavefront6targetE0EEEvT1_.kd
    .uniform_work_group_size: 1
    .uses_dynamic_stack: false
    .vgpr_count:     0
    .vgpr_spill_count: 0
    .wavefront_size: 32
    .workgroup_processor_mode: 1
  - .args:
      - .offset:         0
        .size:           120
        .value_kind:     by_value
    .group_segment_fixed_size: 12680
    .kernarg_segment_align: 8
    .kernarg_segment_size: 120
    .language:       OpenCL C
    .language_version:
      - 2
      - 0
    .max_flat_workgroup_size: 384
    .name:           _ZN7rocprim17ROCPRIM_400000_NS6detail17trampoline_kernelINS0_14default_configENS1_25partition_config_selectorILNS1_17partition_subalgoE9EjjbEEZZNS1_14partition_implILS5_9ELb0ES3_jN6thrust23THRUST_200600_302600_NS6detail15normal_iteratorINS9_10device_ptrIjEEEESE_PNS0_10empty_typeENS0_5tupleIJSE_SF_EEENSH_IJNS9_16discard_iteratorINS9_11use_defaultEEESG_EEENS0_18inequality_wrapperINS9_8equal_toIjEEEEPmJSF_EEE10hipError_tPvRmT3_T4_T5_T6_T7_T9_mT8_P12ihipStream_tbDpT10_ENKUlT_T0_E_clISt17integral_constantIbLb1EES1A_IbLb0EEEEDaS16_S17_EUlS16_E_NS1_11comp_targetILNS1_3genE9ELNS1_11target_archE1100ELNS1_3gpuE3ELNS1_3repE0EEENS1_30default_config_static_selectorELNS0_4arch9wavefront6targetE0EEEvT1_
    .private_segment_fixed_size: 0
    .sgpr_count:     27
    .sgpr_spill_count: 0
    .symbol:         _ZN7rocprim17ROCPRIM_400000_NS6detail17trampoline_kernelINS0_14default_configENS1_25partition_config_selectorILNS1_17partition_subalgoE9EjjbEEZZNS1_14partition_implILS5_9ELb0ES3_jN6thrust23THRUST_200600_302600_NS6detail15normal_iteratorINS9_10device_ptrIjEEEESE_PNS0_10empty_typeENS0_5tupleIJSE_SF_EEENSH_IJNS9_16discard_iteratorINS9_11use_defaultEEESG_EEENS0_18inequality_wrapperINS9_8equal_toIjEEEEPmJSF_EEE10hipError_tPvRmT3_T4_T5_T6_T7_T9_mT8_P12ihipStream_tbDpT10_ENKUlT_T0_E_clISt17integral_constantIbLb1EES1A_IbLb0EEEEDaS16_S17_EUlS16_E_NS1_11comp_targetILNS1_3genE9ELNS1_11target_archE1100ELNS1_3gpuE3ELNS1_3repE0EEENS1_30default_config_static_selectorELNS0_4arch9wavefront6targetE0EEEvT1_.kd
    .uniform_work_group_size: 1
    .uses_dynamic_stack: false
    .vgpr_count:     51
    .vgpr_spill_count: 0
    .wavefront_size: 32
    .workgroup_processor_mode: 1
  - .args:
      - .offset:         0
        .size:           120
        .value_kind:     by_value
    .group_segment_fixed_size: 0
    .kernarg_segment_align: 8
    .kernarg_segment_size: 120
    .language:       OpenCL C
    .language_version:
      - 2
      - 0
    .max_flat_workgroup_size: 512
    .name:           _ZN7rocprim17ROCPRIM_400000_NS6detail17trampoline_kernelINS0_14default_configENS1_25partition_config_selectorILNS1_17partition_subalgoE9EjjbEEZZNS1_14partition_implILS5_9ELb0ES3_jN6thrust23THRUST_200600_302600_NS6detail15normal_iteratorINS9_10device_ptrIjEEEESE_PNS0_10empty_typeENS0_5tupleIJSE_SF_EEENSH_IJNS9_16discard_iteratorINS9_11use_defaultEEESG_EEENS0_18inequality_wrapperINS9_8equal_toIjEEEEPmJSF_EEE10hipError_tPvRmT3_T4_T5_T6_T7_T9_mT8_P12ihipStream_tbDpT10_ENKUlT_T0_E_clISt17integral_constantIbLb1EES1A_IbLb0EEEEDaS16_S17_EUlS16_E_NS1_11comp_targetILNS1_3genE8ELNS1_11target_archE1030ELNS1_3gpuE2ELNS1_3repE0EEENS1_30default_config_static_selectorELNS0_4arch9wavefront6targetE0EEEvT1_
    .private_segment_fixed_size: 0
    .sgpr_count:     0
    .sgpr_spill_count: 0
    .symbol:         _ZN7rocprim17ROCPRIM_400000_NS6detail17trampoline_kernelINS0_14default_configENS1_25partition_config_selectorILNS1_17partition_subalgoE9EjjbEEZZNS1_14partition_implILS5_9ELb0ES3_jN6thrust23THRUST_200600_302600_NS6detail15normal_iteratorINS9_10device_ptrIjEEEESE_PNS0_10empty_typeENS0_5tupleIJSE_SF_EEENSH_IJNS9_16discard_iteratorINS9_11use_defaultEEESG_EEENS0_18inequality_wrapperINS9_8equal_toIjEEEEPmJSF_EEE10hipError_tPvRmT3_T4_T5_T6_T7_T9_mT8_P12ihipStream_tbDpT10_ENKUlT_T0_E_clISt17integral_constantIbLb1EES1A_IbLb0EEEEDaS16_S17_EUlS16_E_NS1_11comp_targetILNS1_3genE8ELNS1_11target_archE1030ELNS1_3gpuE2ELNS1_3repE0EEENS1_30default_config_static_selectorELNS0_4arch9wavefront6targetE0EEEvT1_.kd
    .uniform_work_group_size: 1
    .uses_dynamic_stack: false
    .vgpr_count:     0
    .vgpr_spill_count: 0
    .wavefront_size: 32
    .workgroup_processor_mode: 1
  - .args:
      - .offset:         0
        .size:           136
        .value_kind:     by_value
    .group_segment_fixed_size: 0
    .kernarg_segment_align: 8
    .kernarg_segment_size: 136
    .language:       OpenCL C
    .language_version:
      - 2
      - 0
    .max_flat_workgroup_size: 256
    .name:           _ZN7rocprim17ROCPRIM_400000_NS6detail17trampoline_kernelINS0_14default_configENS1_25partition_config_selectorILNS1_17partition_subalgoE9EjjbEEZZNS1_14partition_implILS5_9ELb0ES3_jN6thrust23THRUST_200600_302600_NS6detail15normal_iteratorINS9_10device_ptrIjEEEESE_PNS0_10empty_typeENS0_5tupleIJSE_SF_EEENSH_IJNS9_16discard_iteratorINS9_11use_defaultEEESG_EEENS0_18inequality_wrapperINS9_8equal_toIjEEEEPmJSF_EEE10hipError_tPvRmT3_T4_T5_T6_T7_T9_mT8_P12ihipStream_tbDpT10_ENKUlT_T0_E_clISt17integral_constantIbLb0EES1A_IbLb1EEEEDaS16_S17_EUlS16_E_NS1_11comp_targetILNS1_3genE0ELNS1_11target_archE4294967295ELNS1_3gpuE0ELNS1_3repE0EEENS1_30default_config_static_selectorELNS0_4arch9wavefront6targetE0EEEvT1_
    .private_segment_fixed_size: 0
    .sgpr_count:     0
    .sgpr_spill_count: 0
    .symbol:         _ZN7rocprim17ROCPRIM_400000_NS6detail17trampoline_kernelINS0_14default_configENS1_25partition_config_selectorILNS1_17partition_subalgoE9EjjbEEZZNS1_14partition_implILS5_9ELb0ES3_jN6thrust23THRUST_200600_302600_NS6detail15normal_iteratorINS9_10device_ptrIjEEEESE_PNS0_10empty_typeENS0_5tupleIJSE_SF_EEENSH_IJNS9_16discard_iteratorINS9_11use_defaultEEESG_EEENS0_18inequality_wrapperINS9_8equal_toIjEEEEPmJSF_EEE10hipError_tPvRmT3_T4_T5_T6_T7_T9_mT8_P12ihipStream_tbDpT10_ENKUlT_T0_E_clISt17integral_constantIbLb0EES1A_IbLb1EEEEDaS16_S17_EUlS16_E_NS1_11comp_targetILNS1_3genE0ELNS1_11target_archE4294967295ELNS1_3gpuE0ELNS1_3repE0EEENS1_30default_config_static_selectorELNS0_4arch9wavefront6targetE0EEEvT1_.kd
    .uniform_work_group_size: 1
    .uses_dynamic_stack: false
    .vgpr_count:     0
    .vgpr_spill_count: 0
    .wavefront_size: 32
    .workgroup_processor_mode: 1
  - .args:
      - .offset:         0
        .size:           136
        .value_kind:     by_value
    .group_segment_fixed_size: 0
    .kernarg_segment_align: 8
    .kernarg_segment_size: 136
    .language:       OpenCL C
    .language_version:
      - 2
      - 0
    .max_flat_workgroup_size: 512
    .name:           _ZN7rocprim17ROCPRIM_400000_NS6detail17trampoline_kernelINS0_14default_configENS1_25partition_config_selectorILNS1_17partition_subalgoE9EjjbEEZZNS1_14partition_implILS5_9ELb0ES3_jN6thrust23THRUST_200600_302600_NS6detail15normal_iteratorINS9_10device_ptrIjEEEESE_PNS0_10empty_typeENS0_5tupleIJSE_SF_EEENSH_IJNS9_16discard_iteratorINS9_11use_defaultEEESG_EEENS0_18inequality_wrapperINS9_8equal_toIjEEEEPmJSF_EEE10hipError_tPvRmT3_T4_T5_T6_T7_T9_mT8_P12ihipStream_tbDpT10_ENKUlT_T0_E_clISt17integral_constantIbLb0EES1A_IbLb1EEEEDaS16_S17_EUlS16_E_NS1_11comp_targetILNS1_3genE5ELNS1_11target_archE942ELNS1_3gpuE9ELNS1_3repE0EEENS1_30default_config_static_selectorELNS0_4arch9wavefront6targetE0EEEvT1_
    .private_segment_fixed_size: 0
    .sgpr_count:     0
    .sgpr_spill_count: 0
    .symbol:         _ZN7rocprim17ROCPRIM_400000_NS6detail17trampoline_kernelINS0_14default_configENS1_25partition_config_selectorILNS1_17partition_subalgoE9EjjbEEZZNS1_14partition_implILS5_9ELb0ES3_jN6thrust23THRUST_200600_302600_NS6detail15normal_iteratorINS9_10device_ptrIjEEEESE_PNS0_10empty_typeENS0_5tupleIJSE_SF_EEENSH_IJNS9_16discard_iteratorINS9_11use_defaultEEESG_EEENS0_18inequality_wrapperINS9_8equal_toIjEEEEPmJSF_EEE10hipError_tPvRmT3_T4_T5_T6_T7_T9_mT8_P12ihipStream_tbDpT10_ENKUlT_T0_E_clISt17integral_constantIbLb0EES1A_IbLb1EEEEDaS16_S17_EUlS16_E_NS1_11comp_targetILNS1_3genE5ELNS1_11target_archE942ELNS1_3gpuE9ELNS1_3repE0EEENS1_30default_config_static_selectorELNS0_4arch9wavefront6targetE0EEEvT1_.kd
    .uniform_work_group_size: 1
    .uses_dynamic_stack: false
    .vgpr_count:     0
    .vgpr_spill_count: 0
    .wavefront_size: 32
    .workgroup_processor_mode: 1
  - .args:
      - .offset:         0
        .size:           136
        .value_kind:     by_value
    .group_segment_fixed_size: 0
    .kernarg_segment_align: 8
    .kernarg_segment_size: 136
    .language:       OpenCL C
    .language_version:
      - 2
      - 0
    .max_flat_workgroup_size: 192
    .name:           _ZN7rocprim17ROCPRIM_400000_NS6detail17trampoline_kernelINS0_14default_configENS1_25partition_config_selectorILNS1_17partition_subalgoE9EjjbEEZZNS1_14partition_implILS5_9ELb0ES3_jN6thrust23THRUST_200600_302600_NS6detail15normal_iteratorINS9_10device_ptrIjEEEESE_PNS0_10empty_typeENS0_5tupleIJSE_SF_EEENSH_IJNS9_16discard_iteratorINS9_11use_defaultEEESG_EEENS0_18inequality_wrapperINS9_8equal_toIjEEEEPmJSF_EEE10hipError_tPvRmT3_T4_T5_T6_T7_T9_mT8_P12ihipStream_tbDpT10_ENKUlT_T0_E_clISt17integral_constantIbLb0EES1A_IbLb1EEEEDaS16_S17_EUlS16_E_NS1_11comp_targetILNS1_3genE4ELNS1_11target_archE910ELNS1_3gpuE8ELNS1_3repE0EEENS1_30default_config_static_selectorELNS0_4arch9wavefront6targetE0EEEvT1_
    .private_segment_fixed_size: 0
    .sgpr_count:     0
    .sgpr_spill_count: 0
    .symbol:         _ZN7rocprim17ROCPRIM_400000_NS6detail17trampoline_kernelINS0_14default_configENS1_25partition_config_selectorILNS1_17partition_subalgoE9EjjbEEZZNS1_14partition_implILS5_9ELb0ES3_jN6thrust23THRUST_200600_302600_NS6detail15normal_iteratorINS9_10device_ptrIjEEEESE_PNS0_10empty_typeENS0_5tupleIJSE_SF_EEENSH_IJNS9_16discard_iteratorINS9_11use_defaultEEESG_EEENS0_18inequality_wrapperINS9_8equal_toIjEEEEPmJSF_EEE10hipError_tPvRmT3_T4_T5_T6_T7_T9_mT8_P12ihipStream_tbDpT10_ENKUlT_T0_E_clISt17integral_constantIbLb0EES1A_IbLb1EEEEDaS16_S17_EUlS16_E_NS1_11comp_targetILNS1_3genE4ELNS1_11target_archE910ELNS1_3gpuE8ELNS1_3repE0EEENS1_30default_config_static_selectorELNS0_4arch9wavefront6targetE0EEEvT1_.kd
    .uniform_work_group_size: 1
    .uses_dynamic_stack: false
    .vgpr_count:     0
    .vgpr_spill_count: 0
    .wavefront_size: 32
    .workgroup_processor_mode: 1
  - .args:
      - .offset:         0
        .size:           136
        .value_kind:     by_value
    .group_segment_fixed_size: 0
    .kernarg_segment_align: 8
    .kernarg_segment_size: 136
    .language:       OpenCL C
    .language_version:
      - 2
      - 0
    .max_flat_workgroup_size: 256
    .name:           _ZN7rocprim17ROCPRIM_400000_NS6detail17trampoline_kernelINS0_14default_configENS1_25partition_config_selectorILNS1_17partition_subalgoE9EjjbEEZZNS1_14partition_implILS5_9ELb0ES3_jN6thrust23THRUST_200600_302600_NS6detail15normal_iteratorINS9_10device_ptrIjEEEESE_PNS0_10empty_typeENS0_5tupleIJSE_SF_EEENSH_IJNS9_16discard_iteratorINS9_11use_defaultEEESG_EEENS0_18inequality_wrapperINS9_8equal_toIjEEEEPmJSF_EEE10hipError_tPvRmT3_T4_T5_T6_T7_T9_mT8_P12ihipStream_tbDpT10_ENKUlT_T0_E_clISt17integral_constantIbLb0EES1A_IbLb1EEEEDaS16_S17_EUlS16_E_NS1_11comp_targetILNS1_3genE3ELNS1_11target_archE908ELNS1_3gpuE7ELNS1_3repE0EEENS1_30default_config_static_selectorELNS0_4arch9wavefront6targetE0EEEvT1_
    .private_segment_fixed_size: 0
    .sgpr_count:     0
    .sgpr_spill_count: 0
    .symbol:         _ZN7rocprim17ROCPRIM_400000_NS6detail17trampoline_kernelINS0_14default_configENS1_25partition_config_selectorILNS1_17partition_subalgoE9EjjbEEZZNS1_14partition_implILS5_9ELb0ES3_jN6thrust23THRUST_200600_302600_NS6detail15normal_iteratorINS9_10device_ptrIjEEEESE_PNS0_10empty_typeENS0_5tupleIJSE_SF_EEENSH_IJNS9_16discard_iteratorINS9_11use_defaultEEESG_EEENS0_18inequality_wrapperINS9_8equal_toIjEEEEPmJSF_EEE10hipError_tPvRmT3_T4_T5_T6_T7_T9_mT8_P12ihipStream_tbDpT10_ENKUlT_T0_E_clISt17integral_constantIbLb0EES1A_IbLb1EEEEDaS16_S17_EUlS16_E_NS1_11comp_targetILNS1_3genE3ELNS1_11target_archE908ELNS1_3gpuE7ELNS1_3repE0EEENS1_30default_config_static_selectorELNS0_4arch9wavefront6targetE0EEEvT1_.kd
    .uniform_work_group_size: 1
    .uses_dynamic_stack: false
    .vgpr_count:     0
    .vgpr_spill_count: 0
    .wavefront_size: 32
    .workgroup_processor_mode: 1
  - .args:
      - .offset:         0
        .size:           136
        .value_kind:     by_value
    .group_segment_fixed_size: 0
    .kernarg_segment_align: 8
    .kernarg_segment_size: 136
    .language:       OpenCL C
    .language_version:
      - 2
      - 0
    .max_flat_workgroup_size: 256
    .name:           _ZN7rocprim17ROCPRIM_400000_NS6detail17trampoline_kernelINS0_14default_configENS1_25partition_config_selectorILNS1_17partition_subalgoE9EjjbEEZZNS1_14partition_implILS5_9ELb0ES3_jN6thrust23THRUST_200600_302600_NS6detail15normal_iteratorINS9_10device_ptrIjEEEESE_PNS0_10empty_typeENS0_5tupleIJSE_SF_EEENSH_IJNS9_16discard_iteratorINS9_11use_defaultEEESG_EEENS0_18inequality_wrapperINS9_8equal_toIjEEEEPmJSF_EEE10hipError_tPvRmT3_T4_T5_T6_T7_T9_mT8_P12ihipStream_tbDpT10_ENKUlT_T0_E_clISt17integral_constantIbLb0EES1A_IbLb1EEEEDaS16_S17_EUlS16_E_NS1_11comp_targetILNS1_3genE2ELNS1_11target_archE906ELNS1_3gpuE6ELNS1_3repE0EEENS1_30default_config_static_selectorELNS0_4arch9wavefront6targetE0EEEvT1_
    .private_segment_fixed_size: 0
    .sgpr_count:     0
    .sgpr_spill_count: 0
    .symbol:         _ZN7rocprim17ROCPRIM_400000_NS6detail17trampoline_kernelINS0_14default_configENS1_25partition_config_selectorILNS1_17partition_subalgoE9EjjbEEZZNS1_14partition_implILS5_9ELb0ES3_jN6thrust23THRUST_200600_302600_NS6detail15normal_iteratorINS9_10device_ptrIjEEEESE_PNS0_10empty_typeENS0_5tupleIJSE_SF_EEENSH_IJNS9_16discard_iteratorINS9_11use_defaultEEESG_EEENS0_18inequality_wrapperINS9_8equal_toIjEEEEPmJSF_EEE10hipError_tPvRmT3_T4_T5_T6_T7_T9_mT8_P12ihipStream_tbDpT10_ENKUlT_T0_E_clISt17integral_constantIbLb0EES1A_IbLb1EEEEDaS16_S17_EUlS16_E_NS1_11comp_targetILNS1_3genE2ELNS1_11target_archE906ELNS1_3gpuE6ELNS1_3repE0EEENS1_30default_config_static_selectorELNS0_4arch9wavefront6targetE0EEEvT1_.kd
    .uniform_work_group_size: 1
    .uses_dynamic_stack: false
    .vgpr_count:     0
    .vgpr_spill_count: 0
    .wavefront_size: 32
    .workgroup_processor_mode: 1
  - .args:
      - .offset:         0
        .size:           136
        .value_kind:     by_value
    .group_segment_fixed_size: 0
    .kernarg_segment_align: 8
    .kernarg_segment_size: 136
    .language:       OpenCL C
    .language_version:
      - 2
      - 0
    .max_flat_workgroup_size: 384
    .name:           _ZN7rocprim17ROCPRIM_400000_NS6detail17trampoline_kernelINS0_14default_configENS1_25partition_config_selectorILNS1_17partition_subalgoE9EjjbEEZZNS1_14partition_implILS5_9ELb0ES3_jN6thrust23THRUST_200600_302600_NS6detail15normal_iteratorINS9_10device_ptrIjEEEESE_PNS0_10empty_typeENS0_5tupleIJSE_SF_EEENSH_IJNS9_16discard_iteratorINS9_11use_defaultEEESG_EEENS0_18inequality_wrapperINS9_8equal_toIjEEEEPmJSF_EEE10hipError_tPvRmT3_T4_T5_T6_T7_T9_mT8_P12ihipStream_tbDpT10_ENKUlT_T0_E_clISt17integral_constantIbLb0EES1A_IbLb1EEEEDaS16_S17_EUlS16_E_NS1_11comp_targetILNS1_3genE10ELNS1_11target_archE1200ELNS1_3gpuE4ELNS1_3repE0EEENS1_30default_config_static_selectorELNS0_4arch9wavefront6targetE0EEEvT1_
    .private_segment_fixed_size: 0
    .sgpr_count:     0
    .sgpr_spill_count: 0
    .symbol:         _ZN7rocprim17ROCPRIM_400000_NS6detail17trampoline_kernelINS0_14default_configENS1_25partition_config_selectorILNS1_17partition_subalgoE9EjjbEEZZNS1_14partition_implILS5_9ELb0ES3_jN6thrust23THRUST_200600_302600_NS6detail15normal_iteratorINS9_10device_ptrIjEEEESE_PNS0_10empty_typeENS0_5tupleIJSE_SF_EEENSH_IJNS9_16discard_iteratorINS9_11use_defaultEEESG_EEENS0_18inequality_wrapperINS9_8equal_toIjEEEEPmJSF_EEE10hipError_tPvRmT3_T4_T5_T6_T7_T9_mT8_P12ihipStream_tbDpT10_ENKUlT_T0_E_clISt17integral_constantIbLb0EES1A_IbLb1EEEEDaS16_S17_EUlS16_E_NS1_11comp_targetILNS1_3genE10ELNS1_11target_archE1200ELNS1_3gpuE4ELNS1_3repE0EEENS1_30default_config_static_selectorELNS0_4arch9wavefront6targetE0EEEvT1_.kd
    .uniform_work_group_size: 1
    .uses_dynamic_stack: false
    .vgpr_count:     0
    .vgpr_spill_count: 0
    .wavefront_size: 32
    .workgroup_processor_mode: 1
  - .args:
      - .offset:         0
        .size:           136
        .value_kind:     by_value
    .group_segment_fixed_size: 12680
    .kernarg_segment_align: 8
    .kernarg_segment_size: 136
    .language:       OpenCL C
    .language_version:
      - 2
      - 0
    .max_flat_workgroup_size: 384
    .name:           _ZN7rocprim17ROCPRIM_400000_NS6detail17trampoline_kernelINS0_14default_configENS1_25partition_config_selectorILNS1_17partition_subalgoE9EjjbEEZZNS1_14partition_implILS5_9ELb0ES3_jN6thrust23THRUST_200600_302600_NS6detail15normal_iteratorINS9_10device_ptrIjEEEESE_PNS0_10empty_typeENS0_5tupleIJSE_SF_EEENSH_IJNS9_16discard_iteratorINS9_11use_defaultEEESG_EEENS0_18inequality_wrapperINS9_8equal_toIjEEEEPmJSF_EEE10hipError_tPvRmT3_T4_T5_T6_T7_T9_mT8_P12ihipStream_tbDpT10_ENKUlT_T0_E_clISt17integral_constantIbLb0EES1A_IbLb1EEEEDaS16_S17_EUlS16_E_NS1_11comp_targetILNS1_3genE9ELNS1_11target_archE1100ELNS1_3gpuE3ELNS1_3repE0EEENS1_30default_config_static_selectorELNS0_4arch9wavefront6targetE0EEEvT1_
    .private_segment_fixed_size: 0
    .sgpr_count:     28
    .sgpr_spill_count: 0
    .symbol:         _ZN7rocprim17ROCPRIM_400000_NS6detail17trampoline_kernelINS0_14default_configENS1_25partition_config_selectorILNS1_17partition_subalgoE9EjjbEEZZNS1_14partition_implILS5_9ELb0ES3_jN6thrust23THRUST_200600_302600_NS6detail15normal_iteratorINS9_10device_ptrIjEEEESE_PNS0_10empty_typeENS0_5tupleIJSE_SF_EEENSH_IJNS9_16discard_iteratorINS9_11use_defaultEEESG_EEENS0_18inequality_wrapperINS9_8equal_toIjEEEEPmJSF_EEE10hipError_tPvRmT3_T4_T5_T6_T7_T9_mT8_P12ihipStream_tbDpT10_ENKUlT_T0_E_clISt17integral_constantIbLb0EES1A_IbLb1EEEEDaS16_S17_EUlS16_E_NS1_11comp_targetILNS1_3genE9ELNS1_11target_archE1100ELNS1_3gpuE3ELNS1_3repE0EEENS1_30default_config_static_selectorELNS0_4arch9wavefront6targetE0EEEvT1_.kd
    .uniform_work_group_size: 1
    .uses_dynamic_stack: false
    .vgpr_count:     53
    .vgpr_spill_count: 0
    .wavefront_size: 32
    .workgroup_processor_mode: 1
  - .args:
      - .offset:         0
        .size:           136
        .value_kind:     by_value
    .group_segment_fixed_size: 0
    .kernarg_segment_align: 8
    .kernarg_segment_size: 136
    .language:       OpenCL C
    .language_version:
      - 2
      - 0
    .max_flat_workgroup_size: 512
    .name:           _ZN7rocprim17ROCPRIM_400000_NS6detail17trampoline_kernelINS0_14default_configENS1_25partition_config_selectorILNS1_17partition_subalgoE9EjjbEEZZNS1_14partition_implILS5_9ELb0ES3_jN6thrust23THRUST_200600_302600_NS6detail15normal_iteratorINS9_10device_ptrIjEEEESE_PNS0_10empty_typeENS0_5tupleIJSE_SF_EEENSH_IJNS9_16discard_iteratorINS9_11use_defaultEEESG_EEENS0_18inequality_wrapperINS9_8equal_toIjEEEEPmJSF_EEE10hipError_tPvRmT3_T4_T5_T6_T7_T9_mT8_P12ihipStream_tbDpT10_ENKUlT_T0_E_clISt17integral_constantIbLb0EES1A_IbLb1EEEEDaS16_S17_EUlS16_E_NS1_11comp_targetILNS1_3genE8ELNS1_11target_archE1030ELNS1_3gpuE2ELNS1_3repE0EEENS1_30default_config_static_selectorELNS0_4arch9wavefront6targetE0EEEvT1_
    .private_segment_fixed_size: 0
    .sgpr_count:     0
    .sgpr_spill_count: 0
    .symbol:         _ZN7rocprim17ROCPRIM_400000_NS6detail17trampoline_kernelINS0_14default_configENS1_25partition_config_selectorILNS1_17partition_subalgoE9EjjbEEZZNS1_14partition_implILS5_9ELb0ES3_jN6thrust23THRUST_200600_302600_NS6detail15normal_iteratorINS9_10device_ptrIjEEEESE_PNS0_10empty_typeENS0_5tupleIJSE_SF_EEENSH_IJNS9_16discard_iteratorINS9_11use_defaultEEESG_EEENS0_18inequality_wrapperINS9_8equal_toIjEEEEPmJSF_EEE10hipError_tPvRmT3_T4_T5_T6_T7_T9_mT8_P12ihipStream_tbDpT10_ENKUlT_T0_E_clISt17integral_constantIbLb0EES1A_IbLb1EEEEDaS16_S17_EUlS16_E_NS1_11comp_targetILNS1_3genE8ELNS1_11target_archE1030ELNS1_3gpuE2ELNS1_3repE0EEENS1_30default_config_static_selectorELNS0_4arch9wavefront6targetE0EEEvT1_.kd
    .uniform_work_group_size: 1
    .uses_dynamic_stack: false
    .vgpr_count:     0
    .vgpr_spill_count: 0
    .wavefront_size: 32
    .workgroup_processor_mode: 1
  - .args:
      - .offset:         0
        .size:           120
        .value_kind:     by_value
    .group_segment_fixed_size: 0
    .kernarg_segment_align: 8
    .kernarg_segment_size: 120
    .language:       OpenCL C
    .language_version:
      - 2
      - 0
    .max_flat_workgroup_size: 256
    .name:           _ZN7rocprim17ROCPRIM_400000_NS6detail17trampoline_kernelINS0_14default_configENS1_25partition_config_selectorILNS1_17partition_subalgoE9EjjbEEZZNS1_14partition_implILS5_9ELb0ES3_jN6thrust23THRUST_200600_302600_NS6detail15normal_iteratorINS9_10device_ptrIjEEEESE_PNS0_10empty_typeENS0_5tupleIJNS9_16discard_iteratorINS9_11use_defaultEEESF_EEENSH_IJSE_SG_EEENS0_18inequality_wrapperINS9_8equal_toIjEEEEPmJSF_EEE10hipError_tPvRmT3_T4_T5_T6_T7_T9_mT8_P12ihipStream_tbDpT10_ENKUlT_T0_E_clISt17integral_constantIbLb0EES1B_EEDaS16_S17_EUlS16_E_NS1_11comp_targetILNS1_3genE0ELNS1_11target_archE4294967295ELNS1_3gpuE0ELNS1_3repE0EEENS1_30default_config_static_selectorELNS0_4arch9wavefront6targetE0EEEvT1_
    .private_segment_fixed_size: 0
    .sgpr_count:     0
    .sgpr_spill_count: 0
    .symbol:         _ZN7rocprim17ROCPRIM_400000_NS6detail17trampoline_kernelINS0_14default_configENS1_25partition_config_selectorILNS1_17partition_subalgoE9EjjbEEZZNS1_14partition_implILS5_9ELb0ES3_jN6thrust23THRUST_200600_302600_NS6detail15normal_iteratorINS9_10device_ptrIjEEEESE_PNS0_10empty_typeENS0_5tupleIJNS9_16discard_iteratorINS9_11use_defaultEEESF_EEENSH_IJSE_SG_EEENS0_18inequality_wrapperINS9_8equal_toIjEEEEPmJSF_EEE10hipError_tPvRmT3_T4_T5_T6_T7_T9_mT8_P12ihipStream_tbDpT10_ENKUlT_T0_E_clISt17integral_constantIbLb0EES1B_EEDaS16_S17_EUlS16_E_NS1_11comp_targetILNS1_3genE0ELNS1_11target_archE4294967295ELNS1_3gpuE0ELNS1_3repE0EEENS1_30default_config_static_selectorELNS0_4arch9wavefront6targetE0EEEvT1_.kd
    .uniform_work_group_size: 1
    .uses_dynamic_stack: false
    .vgpr_count:     0
    .vgpr_spill_count: 0
    .wavefront_size: 32
    .workgroup_processor_mode: 1
  - .args:
      - .offset:         0
        .size:           120
        .value_kind:     by_value
    .group_segment_fixed_size: 0
    .kernarg_segment_align: 8
    .kernarg_segment_size: 120
    .language:       OpenCL C
    .language_version:
      - 2
      - 0
    .max_flat_workgroup_size: 512
    .name:           _ZN7rocprim17ROCPRIM_400000_NS6detail17trampoline_kernelINS0_14default_configENS1_25partition_config_selectorILNS1_17partition_subalgoE9EjjbEEZZNS1_14partition_implILS5_9ELb0ES3_jN6thrust23THRUST_200600_302600_NS6detail15normal_iteratorINS9_10device_ptrIjEEEESE_PNS0_10empty_typeENS0_5tupleIJNS9_16discard_iteratorINS9_11use_defaultEEESF_EEENSH_IJSE_SG_EEENS0_18inequality_wrapperINS9_8equal_toIjEEEEPmJSF_EEE10hipError_tPvRmT3_T4_T5_T6_T7_T9_mT8_P12ihipStream_tbDpT10_ENKUlT_T0_E_clISt17integral_constantIbLb0EES1B_EEDaS16_S17_EUlS16_E_NS1_11comp_targetILNS1_3genE5ELNS1_11target_archE942ELNS1_3gpuE9ELNS1_3repE0EEENS1_30default_config_static_selectorELNS0_4arch9wavefront6targetE0EEEvT1_
    .private_segment_fixed_size: 0
    .sgpr_count:     0
    .sgpr_spill_count: 0
    .symbol:         _ZN7rocprim17ROCPRIM_400000_NS6detail17trampoline_kernelINS0_14default_configENS1_25partition_config_selectorILNS1_17partition_subalgoE9EjjbEEZZNS1_14partition_implILS5_9ELb0ES3_jN6thrust23THRUST_200600_302600_NS6detail15normal_iteratorINS9_10device_ptrIjEEEESE_PNS0_10empty_typeENS0_5tupleIJNS9_16discard_iteratorINS9_11use_defaultEEESF_EEENSH_IJSE_SG_EEENS0_18inequality_wrapperINS9_8equal_toIjEEEEPmJSF_EEE10hipError_tPvRmT3_T4_T5_T6_T7_T9_mT8_P12ihipStream_tbDpT10_ENKUlT_T0_E_clISt17integral_constantIbLb0EES1B_EEDaS16_S17_EUlS16_E_NS1_11comp_targetILNS1_3genE5ELNS1_11target_archE942ELNS1_3gpuE9ELNS1_3repE0EEENS1_30default_config_static_selectorELNS0_4arch9wavefront6targetE0EEEvT1_.kd
    .uniform_work_group_size: 1
    .uses_dynamic_stack: false
    .vgpr_count:     0
    .vgpr_spill_count: 0
    .wavefront_size: 32
    .workgroup_processor_mode: 1
  - .args:
      - .offset:         0
        .size:           120
        .value_kind:     by_value
    .group_segment_fixed_size: 0
    .kernarg_segment_align: 8
    .kernarg_segment_size: 120
    .language:       OpenCL C
    .language_version:
      - 2
      - 0
    .max_flat_workgroup_size: 192
    .name:           _ZN7rocprim17ROCPRIM_400000_NS6detail17trampoline_kernelINS0_14default_configENS1_25partition_config_selectorILNS1_17partition_subalgoE9EjjbEEZZNS1_14partition_implILS5_9ELb0ES3_jN6thrust23THRUST_200600_302600_NS6detail15normal_iteratorINS9_10device_ptrIjEEEESE_PNS0_10empty_typeENS0_5tupleIJNS9_16discard_iteratorINS9_11use_defaultEEESF_EEENSH_IJSE_SG_EEENS0_18inequality_wrapperINS9_8equal_toIjEEEEPmJSF_EEE10hipError_tPvRmT3_T4_T5_T6_T7_T9_mT8_P12ihipStream_tbDpT10_ENKUlT_T0_E_clISt17integral_constantIbLb0EES1B_EEDaS16_S17_EUlS16_E_NS1_11comp_targetILNS1_3genE4ELNS1_11target_archE910ELNS1_3gpuE8ELNS1_3repE0EEENS1_30default_config_static_selectorELNS0_4arch9wavefront6targetE0EEEvT1_
    .private_segment_fixed_size: 0
    .sgpr_count:     0
    .sgpr_spill_count: 0
    .symbol:         _ZN7rocprim17ROCPRIM_400000_NS6detail17trampoline_kernelINS0_14default_configENS1_25partition_config_selectorILNS1_17partition_subalgoE9EjjbEEZZNS1_14partition_implILS5_9ELb0ES3_jN6thrust23THRUST_200600_302600_NS6detail15normal_iteratorINS9_10device_ptrIjEEEESE_PNS0_10empty_typeENS0_5tupleIJNS9_16discard_iteratorINS9_11use_defaultEEESF_EEENSH_IJSE_SG_EEENS0_18inequality_wrapperINS9_8equal_toIjEEEEPmJSF_EEE10hipError_tPvRmT3_T4_T5_T6_T7_T9_mT8_P12ihipStream_tbDpT10_ENKUlT_T0_E_clISt17integral_constantIbLb0EES1B_EEDaS16_S17_EUlS16_E_NS1_11comp_targetILNS1_3genE4ELNS1_11target_archE910ELNS1_3gpuE8ELNS1_3repE0EEENS1_30default_config_static_selectorELNS0_4arch9wavefront6targetE0EEEvT1_.kd
    .uniform_work_group_size: 1
    .uses_dynamic_stack: false
    .vgpr_count:     0
    .vgpr_spill_count: 0
    .wavefront_size: 32
    .workgroup_processor_mode: 1
  - .args:
      - .offset:         0
        .size:           120
        .value_kind:     by_value
    .group_segment_fixed_size: 0
    .kernarg_segment_align: 8
    .kernarg_segment_size: 120
    .language:       OpenCL C
    .language_version:
      - 2
      - 0
    .max_flat_workgroup_size: 256
    .name:           _ZN7rocprim17ROCPRIM_400000_NS6detail17trampoline_kernelINS0_14default_configENS1_25partition_config_selectorILNS1_17partition_subalgoE9EjjbEEZZNS1_14partition_implILS5_9ELb0ES3_jN6thrust23THRUST_200600_302600_NS6detail15normal_iteratorINS9_10device_ptrIjEEEESE_PNS0_10empty_typeENS0_5tupleIJNS9_16discard_iteratorINS9_11use_defaultEEESF_EEENSH_IJSE_SG_EEENS0_18inequality_wrapperINS9_8equal_toIjEEEEPmJSF_EEE10hipError_tPvRmT3_T4_T5_T6_T7_T9_mT8_P12ihipStream_tbDpT10_ENKUlT_T0_E_clISt17integral_constantIbLb0EES1B_EEDaS16_S17_EUlS16_E_NS1_11comp_targetILNS1_3genE3ELNS1_11target_archE908ELNS1_3gpuE7ELNS1_3repE0EEENS1_30default_config_static_selectorELNS0_4arch9wavefront6targetE0EEEvT1_
    .private_segment_fixed_size: 0
    .sgpr_count:     0
    .sgpr_spill_count: 0
    .symbol:         _ZN7rocprim17ROCPRIM_400000_NS6detail17trampoline_kernelINS0_14default_configENS1_25partition_config_selectorILNS1_17partition_subalgoE9EjjbEEZZNS1_14partition_implILS5_9ELb0ES3_jN6thrust23THRUST_200600_302600_NS6detail15normal_iteratorINS9_10device_ptrIjEEEESE_PNS0_10empty_typeENS0_5tupleIJNS9_16discard_iteratorINS9_11use_defaultEEESF_EEENSH_IJSE_SG_EEENS0_18inequality_wrapperINS9_8equal_toIjEEEEPmJSF_EEE10hipError_tPvRmT3_T4_T5_T6_T7_T9_mT8_P12ihipStream_tbDpT10_ENKUlT_T0_E_clISt17integral_constantIbLb0EES1B_EEDaS16_S17_EUlS16_E_NS1_11comp_targetILNS1_3genE3ELNS1_11target_archE908ELNS1_3gpuE7ELNS1_3repE0EEENS1_30default_config_static_selectorELNS0_4arch9wavefront6targetE0EEEvT1_.kd
    .uniform_work_group_size: 1
    .uses_dynamic_stack: false
    .vgpr_count:     0
    .vgpr_spill_count: 0
    .wavefront_size: 32
    .workgroup_processor_mode: 1
  - .args:
      - .offset:         0
        .size:           120
        .value_kind:     by_value
    .group_segment_fixed_size: 0
    .kernarg_segment_align: 8
    .kernarg_segment_size: 120
    .language:       OpenCL C
    .language_version:
      - 2
      - 0
    .max_flat_workgroup_size: 256
    .name:           _ZN7rocprim17ROCPRIM_400000_NS6detail17trampoline_kernelINS0_14default_configENS1_25partition_config_selectorILNS1_17partition_subalgoE9EjjbEEZZNS1_14partition_implILS5_9ELb0ES3_jN6thrust23THRUST_200600_302600_NS6detail15normal_iteratorINS9_10device_ptrIjEEEESE_PNS0_10empty_typeENS0_5tupleIJNS9_16discard_iteratorINS9_11use_defaultEEESF_EEENSH_IJSE_SG_EEENS0_18inequality_wrapperINS9_8equal_toIjEEEEPmJSF_EEE10hipError_tPvRmT3_T4_T5_T6_T7_T9_mT8_P12ihipStream_tbDpT10_ENKUlT_T0_E_clISt17integral_constantIbLb0EES1B_EEDaS16_S17_EUlS16_E_NS1_11comp_targetILNS1_3genE2ELNS1_11target_archE906ELNS1_3gpuE6ELNS1_3repE0EEENS1_30default_config_static_selectorELNS0_4arch9wavefront6targetE0EEEvT1_
    .private_segment_fixed_size: 0
    .sgpr_count:     0
    .sgpr_spill_count: 0
    .symbol:         _ZN7rocprim17ROCPRIM_400000_NS6detail17trampoline_kernelINS0_14default_configENS1_25partition_config_selectorILNS1_17partition_subalgoE9EjjbEEZZNS1_14partition_implILS5_9ELb0ES3_jN6thrust23THRUST_200600_302600_NS6detail15normal_iteratorINS9_10device_ptrIjEEEESE_PNS0_10empty_typeENS0_5tupleIJNS9_16discard_iteratorINS9_11use_defaultEEESF_EEENSH_IJSE_SG_EEENS0_18inequality_wrapperINS9_8equal_toIjEEEEPmJSF_EEE10hipError_tPvRmT3_T4_T5_T6_T7_T9_mT8_P12ihipStream_tbDpT10_ENKUlT_T0_E_clISt17integral_constantIbLb0EES1B_EEDaS16_S17_EUlS16_E_NS1_11comp_targetILNS1_3genE2ELNS1_11target_archE906ELNS1_3gpuE6ELNS1_3repE0EEENS1_30default_config_static_selectorELNS0_4arch9wavefront6targetE0EEEvT1_.kd
    .uniform_work_group_size: 1
    .uses_dynamic_stack: false
    .vgpr_count:     0
    .vgpr_spill_count: 0
    .wavefront_size: 32
    .workgroup_processor_mode: 1
  - .args:
      - .offset:         0
        .size:           120
        .value_kind:     by_value
    .group_segment_fixed_size: 0
    .kernarg_segment_align: 8
    .kernarg_segment_size: 120
    .language:       OpenCL C
    .language_version:
      - 2
      - 0
    .max_flat_workgroup_size: 384
    .name:           _ZN7rocprim17ROCPRIM_400000_NS6detail17trampoline_kernelINS0_14default_configENS1_25partition_config_selectorILNS1_17partition_subalgoE9EjjbEEZZNS1_14partition_implILS5_9ELb0ES3_jN6thrust23THRUST_200600_302600_NS6detail15normal_iteratorINS9_10device_ptrIjEEEESE_PNS0_10empty_typeENS0_5tupleIJNS9_16discard_iteratorINS9_11use_defaultEEESF_EEENSH_IJSE_SG_EEENS0_18inequality_wrapperINS9_8equal_toIjEEEEPmJSF_EEE10hipError_tPvRmT3_T4_T5_T6_T7_T9_mT8_P12ihipStream_tbDpT10_ENKUlT_T0_E_clISt17integral_constantIbLb0EES1B_EEDaS16_S17_EUlS16_E_NS1_11comp_targetILNS1_3genE10ELNS1_11target_archE1200ELNS1_3gpuE4ELNS1_3repE0EEENS1_30default_config_static_selectorELNS0_4arch9wavefront6targetE0EEEvT1_
    .private_segment_fixed_size: 0
    .sgpr_count:     0
    .sgpr_spill_count: 0
    .symbol:         _ZN7rocprim17ROCPRIM_400000_NS6detail17trampoline_kernelINS0_14default_configENS1_25partition_config_selectorILNS1_17partition_subalgoE9EjjbEEZZNS1_14partition_implILS5_9ELb0ES3_jN6thrust23THRUST_200600_302600_NS6detail15normal_iteratorINS9_10device_ptrIjEEEESE_PNS0_10empty_typeENS0_5tupleIJNS9_16discard_iteratorINS9_11use_defaultEEESF_EEENSH_IJSE_SG_EEENS0_18inequality_wrapperINS9_8equal_toIjEEEEPmJSF_EEE10hipError_tPvRmT3_T4_T5_T6_T7_T9_mT8_P12ihipStream_tbDpT10_ENKUlT_T0_E_clISt17integral_constantIbLb0EES1B_EEDaS16_S17_EUlS16_E_NS1_11comp_targetILNS1_3genE10ELNS1_11target_archE1200ELNS1_3gpuE4ELNS1_3repE0EEENS1_30default_config_static_selectorELNS0_4arch9wavefront6targetE0EEEvT1_.kd
    .uniform_work_group_size: 1
    .uses_dynamic_stack: false
    .vgpr_count:     0
    .vgpr_spill_count: 0
    .wavefront_size: 32
    .workgroup_processor_mode: 1
  - .args:
      - .offset:         0
        .size:           120
        .value_kind:     by_value
    .group_segment_fixed_size: 12680
    .kernarg_segment_align: 8
    .kernarg_segment_size: 120
    .language:       OpenCL C
    .language_version:
      - 2
      - 0
    .max_flat_workgroup_size: 384
    .name:           _ZN7rocprim17ROCPRIM_400000_NS6detail17trampoline_kernelINS0_14default_configENS1_25partition_config_selectorILNS1_17partition_subalgoE9EjjbEEZZNS1_14partition_implILS5_9ELb0ES3_jN6thrust23THRUST_200600_302600_NS6detail15normal_iteratorINS9_10device_ptrIjEEEESE_PNS0_10empty_typeENS0_5tupleIJNS9_16discard_iteratorINS9_11use_defaultEEESF_EEENSH_IJSE_SG_EEENS0_18inequality_wrapperINS9_8equal_toIjEEEEPmJSF_EEE10hipError_tPvRmT3_T4_T5_T6_T7_T9_mT8_P12ihipStream_tbDpT10_ENKUlT_T0_E_clISt17integral_constantIbLb0EES1B_EEDaS16_S17_EUlS16_E_NS1_11comp_targetILNS1_3genE9ELNS1_11target_archE1100ELNS1_3gpuE3ELNS1_3repE0EEENS1_30default_config_static_selectorELNS0_4arch9wavefront6targetE0EEEvT1_
    .private_segment_fixed_size: 0
    .sgpr_count:     27
    .sgpr_spill_count: 0
    .symbol:         _ZN7rocprim17ROCPRIM_400000_NS6detail17trampoline_kernelINS0_14default_configENS1_25partition_config_selectorILNS1_17partition_subalgoE9EjjbEEZZNS1_14partition_implILS5_9ELb0ES3_jN6thrust23THRUST_200600_302600_NS6detail15normal_iteratorINS9_10device_ptrIjEEEESE_PNS0_10empty_typeENS0_5tupleIJNS9_16discard_iteratorINS9_11use_defaultEEESF_EEENSH_IJSE_SG_EEENS0_18inequality_wrapperINS9_8equal_toIjEEEEPmJSF_EEE10hipError_tPvRmT3_T4_T5_T6_T7_T9_mT8_P12ihipStream_tbDpT10_ENKUlT_T0_E_clISt17integral_constantIbLb0EES1B_EEDaS16_S17_EUlS16_E_NS1_11comp_targetILNS1_3genE9ELNS1_11target_archE1100ELNS1_3gpuE3ELNS1_3repE0EEENS1_30default_config_static_selectorELNS0_4arch9wavefront6targetE0EEEvT1_.kd
    .uniform_work_group_size: 1
    .uses_dynamic_stack: false
    .vgpr_count:     51
    .vgpr_spill_count: 0
    .wavefront_size: 32
    .workgroup_processor_mode: 1
  - .args:
      - .offset:         0
        .size:           120
        .value_kind:     by_value
    .group_segment_fixed_size: 0
    .kernarg_segment_align: 8
    .kernarg_segment_size: 120
    .language:       OpenCL C
    .language_version:
      - 2
      - 0
    .max_flat_workgroup_size: 512
    .name:           _ZN7rocprim17ROCPRIM_400000_NS6detail17trampoline_kernelINS0_14default_configENS1_25partition_config_selectorILNS1_17partition_subalgoE9EjjbEEZZNS1_14partition_implILS5_9ELb0ES3_jN6thrust23THRUST_200600_302600_NS6detail15normal_iteratorINS9_10device_ptrIjEEEESE_PNS0_10empty_typeENS0_5tupleIJNS9_16discard_iteratorINS9_11use_defaultEEESF_EEENSH_IJSE_SG_EEENS0_18inequality_wrapperINS9_8equal_toIjEEEEPmJSF_EEE10hipError_tPvRmT3_T4_T5_T6_T7_T9_mT8_P12ihipStream_tbDpT10_ENKUlT_T0_E_clISt17integral_constantIbLb0EES1B_EEDaS16_S17_EUlS16_E_NS1_11comp_targetILNS1_3genE8ELNS1_11target_archE1030ELNS1_3gpuE2ELNS1_3repE0EEENS1_30default_config_static_selectorELNS0_4arch9wavefront6targetE0EEEvT1_
    .private_segment_fixed_size: 0
    .sgpr_count:     0
    .sgpr_spill_count: 0
    .symbol:         _ZN7rocprim17ROCPRIM_400000_NS6detail17trampoline_kernelINS0_14default_configENS1_25partition_config_selectorILNS1_17partition_subalgoE9EjjbEEZZNS1_14partition_implILS5_9ELb0ES3_jN6thrust23THRUST_200600_302600_NS6detail15normal_iteratorINS9_10device_ptrIjEEEESE_PNS0_10empty_typeENS0_5tupleIJNS9_16discard_iteratorINS9_11use_defaultEEESF_EEENSH_IJSE_SG_EEENS0_18inequality_wrapperINS9_8equal_toIjEEEEPmJSF_EEE10hipError_tPvRmT3_T4_T5_T6_T7_T9_mT8_P12ihipStream_tbDpT10_ENKUlT_T0_E_clISt17integral_constantIbLb0EES1B_EEDaS16_S17_EUlS16_E_NS1_11comp_targetILNS1_3genE8ELNS1_11target_archE1030ELNS1_3gpuE2ELNS1_3repE0EEENS1_30default_config_static_selectorELNS0_4arch9wavefront6targetE0EEEvT1_.kd
    .uniform_work_group_size: 1
    .uses_dynamic_stack: false
    .vgpr_count:     0
    .vgpr_spill_count: 0
    .wavefront_size: 32
    .workgroup_processor_mode: 1
  - .args:
      - .offset:         0
        .size:           136
        .value_kind:     by_value
    .group_segment_fixed_size: 0
    .kernarg_segment_align: 8
    .kernarg_segment_size: 136
    .language:       OpenCL C
    .language_version:
      - 2
      - 0
    .max_flat_workgroup_size: 256
    .name:           _ZN7rocprim17ROCPRIM_400000_NS6detail17trampoline_kernelINS0_14default_configENS1_25partition_config_selectorILNS1_17partition_subalgoE9EjjbEEZZNS1_14partition_implILS5_9ELb0ES3_jN6thrust23THRUST_200600_302600_NS6detail15normal_iteratorINS9_10device_ptrIjEEEESE_PNS0_10empty_typeENS0_5tupleIJNS9_16discard_iteratorINS9_11use_defaultEEESF_EEENSH_IJSE_SG_EEENS0_18inequality_wrapperINS9_8equal_toIjEEEEPmJSF_EEE10hipError_tPvRmT3_T4_T5_T6_T7_T9_mT8_P12ihipStream_tbDpT10_ENKUlT_T0_E_clISt17integral_constantIbLb1EES1B_EEDaS16_S17_EUlS16_E_NS1_11comp_targetILNS1_3genE0ELNS1_11target_archE4294967295ELNS1_3gpuE0ELNS1_3repE0EEENS1_30default_config_static_selectorELNS0_4arch9wavefront6targetE0EEEvT1_
    .private_segment_fixed_size: 0
    .sgpr_count:     0
    .sgpr_spill_count: 0
    .symbol:         _ZN7rocprim17ROCPRIM_400000_NS6detail17trampoline_kernelINS0_14default_configENS1_25partition_config_selectorILNS1_17partition_subalgoE9EjjbEEZZNS1_14partition_implILS5_9ELb0ES3_jN6thrust23THRUST_200600_302600_NS6detail15normal_iteratorINS9_10device_ptrIjEEEESE_PNS0_10empty_typeENS0_5tupleIJNS9_16discard_iteratorINS9_11use_defaultEEESF_EEENSH_IJSE_SG_EEENS0_18inequality_wrapperINS9_8equal_toIjEEEEPmJSF_EEE10hipError_tPvRmT3_T4_T5_T6_T7_T9_mT8_P12ihipStream_tbDpT10_ENKUlT_T0_E_clISt17integral_constantIbLb1EES1B_EEDaS16_S17_EUlS16_E_NS1_11comp_targetILNS1_3genE0ELNS1_11target_archE4294967295ELNS1_3gpuE0ELNS1_3repE0EEENS1_30default_config_static_selectorELNS0_4arch9wavefront6targetE0EEEvT1_.kd
    .uniform_work_group_size: 1
    .uses_dynamic_stack: false
    .vgpr_count:     0
    .vgpr_spill_count: 0
    .wavefront_size: 32
    .workgroup_processor_mode: 1
  - .args:
      - .offset:         0
        .size:           136
        .value_kind:     by_value
    .group_segment_fixed_size: 0
    .kernarg_segment_align: 8
    .kernarg_segment_size: 136
    .language:       OpenCL C
    .language_version:
      - 2
      - 0
    .max_flat_workgroup_size: 512
    .name:           _ZN7rocprim17ROCPRIM_400000_NS6detail17trampoline_kernelINS0_14default_configENS1_25partition_config_selectorILNS1_17partition_subalgoE9EjjbEEZZNS1_14partition_implILS5_9ELb0ES3_jN6thrust23THRUST_200600_302600_NS6detail15normal_iteratorINS9_10device_ptrIjEEEESE_PNS0_10empty_typeENS0_5tupleIJNS9_16discard_iteratorINS9_11use_defaultEEESF_EEENSH_IJSE_SG_EEENS0_18inequality_wrapperINS9_8equal_toIjEEEEPmJSF_EEE10hipError_tPvRmT3_T4_T5_T6_T7_T9_mT8_P12ihipStream_tbDpT10_ENKUlT_T0_E_clISt17integral_constantIbLb1EES1B_EEDaS16_S17_EUlS16_E_NS1_11comp_targetILNS1_3genE5ELNS1_11target_archE942ELNS1_3gpuE9ELNS1_3repE0EEENS1_30default_config_static_selectorELNS0_4arch9wavefront6targetE0EEEvT1_
    .private_segment_fixed_size: 0
    .sgpr_count:     0
    .sgpr_spill_count: 0
    .symbol:         _ZN7rocprim17ROCPRIM_400000_NS6detail17trampoline_kernelINS0_14default_configENS1_25partition_config_selectorILNS1_17partition_subalgoE9EjjbEEZZNS1_14partition_implILS5_9ELb0ES3_jN6thrust23THRUST_200600_302600_NS6detail15normal_iteratorINS9_10device_ptrIjEEEESE_PNS0_10empty_typeENS0_5tupleIJNS9_16discard_iteratorINS9_11use_defaultEEESF_EEENSH_IJSE_SG_EEENS0_18inequality_wrapperINS9_8equal_toIjEEEEPmJSF_EEE10hipError_tPvRmT3_T4_T5_T6_T7_T9_mT8_P12ihipStream_tbDpT10_ENKUlT_T0_E_clISt17integral_constantIbLb1EES1B_EEDaS16_S17_EUlS16_E_NS1_11comp_targetILNS1_3genE5ELNS1_11target_archE942ELNS1_3gpuE9ELNS1_3repE0EEENS1_30default_config_static_selectorELNS0_4arch9wavefront6targetE0EEEvT1_.kd
    .uniform_work_group_size: 1
    .uses_dynamic_stack: false
    .vgpr_count:     0
    .vgpr_spill_count: 0
    .wavefront_size: 32
    .workgroup_processor_mode: 1
  - .args:
      - .offset:         0
        .size:           136
        .value_kind:     by_value
    .group_segment_fixed_size: 0
    .kernarg_segment_align: 8
    .kernarg_segment_size: 136
    .language:       OpenCL C
    .language_version:
      - 2
      - 0
    .max_flat_workgroup_size: 192
    .name:           _ZN7rocprim17ROCPRIM_400000_NS6detail17trampoline_kernelINS0_14default_configENS1_25partition_config_selectorILNS1_17partition_subalgoE9EjjbEEZZNS1_14partition_implILS5_9ELb0ES3_jN6thrust23THRUST_200600_302600_NS6detail15normal_iteratorINS9_10device_ptrIjEEEESE_PNS0_10empty_typeENS0_5tupleIJNS9_16discard_iteratorINS9_11use_defaultEEESF_EEENSH_IJSE_SG_EEENS0_18inequality_wrapperINS9_8equal_toIjEEEEPmJSF_EEE10hipError_tPvRmT3_T4_T5_T6_T7_T9_mT8_P12ihipStream_tbDpT10_ENKUlT_T0_E_clISt17integral_constantIbLb1EES1B_EEDaS16_S17_EUlS16_E_NS1_11comp_targetILNS1_3genE4ELNS1_11target_archE910ELNS1_3gpuE8ELNS1_3repE0EEENS1_30default_config_static_selectorELNS0_4arch9wavefront6targetE0EEEvT1_
    .private_segment_fixed_size: 0
    .sgpr_count:     0
    .sgpr_spill_count: 0
    .symbol:         _ZN7rocprim17ROCPRIM_400000_NS6detail17trampoline_kernelINS0_14default_configENS1_25partition_config_selectorILNS1_17partition_subalgoE9EjjbEEZZNS1_14partition_implILS5_9ELb0ES3_jN6thrust23THRUST_200600_302600_NS6detail15normal_iteratorINS9_10device_ptrIjEEEESE_PNS0_10empty_typeENS0_5tupleIJNS9_16discard_iteratorINS9_11use_defaultEEESF_EEENSH_IJSE_SG_EEENS0_18inequality_wrapperINS9_8equal_toIjEEEEPmJSF_EEE10hipError_tPvRmT3_T4_T5_T6_T7_T9_mT8_P12ihipStream_tbDpT10_ENKUlT_T0_E_clISt17integral_constantIbLb1EES1B_EEDaS16_S17_EUlS16_E_NS1_11comp_targetILNS1_3genE4ELNS1_11target_archE910ELNS1_3gpuE8ELNS1_3repE0EEENS1_30default_config_static_selectorELNS0_4arch9wavefront6targetE0EEEvT1_.kd
    .uniform_work_group_size: 1
    .uses_dynamic_stack: false
    .vgpr_count:     0
    .vgpr_spill_count: 0
    .wavefront_size: 32
    .workgroup_processor_mode: 1
  - .args:
      - .offset:         0
        .size:           136
        .value_kind:     by_value
    .group_segment_fixed_size: 0
    .kernarg_segment_align: 8
    .kernarg_segment_size: 136
    .language:       OpenCL C
    .language_version:
      - 2
      - 0
    .max_flat_workgroup_size: 256
    .name:           _ZN7rocprim17ROCPRIM_400000_NS6detail17trampoline_kernelINS0_14default_configENS1_25partition_config_selectorILNS1_17partition_subalgoE9EjjbEEZZNS1_14partition_implILS5_9ELb0ES3_jN6thrust23THRUST_200600_302600_NS6detail15normal_iteratorINS9_10device_ptrIjEEEESE_PNS0_10empty_typeENS0_5tupleIJNS9_16discard_iteratorINS9_11use_defaultEEESF_EEENSH_IJSE_SG_EEENS0_18inequality_wrapperINS9_8equal_toIjEEEEPmJSF_EEE10hipError_tPvRmT3_T4_T5_T6_T7_T9_mT8_P12ihipStream_tbDpT10_ENKUlT_T0_E_clISt17integral_constantIbLb1EES1B_EEDaS16_S17_EUlS16_E_NS1_11comp_targetILNS1_3genE3ELNS1_11target_archE908ELNS1_3gpuE7ELNS1_3repE0EEENS1_30default_config_static_selectorELNS0_4arch9wavefront6targetE0EEEvT1_
    .private_segment_fixed_size: 0
    .sgpr_count:     0
    .sgpr_spill_count: 0
    .symbol:         _ZN7rocprim17ROCPRIM_400000_NS6detail17trampoline_kernelINS0_14default_configENS1_25partition_config_selectorILNS1_17partition_subalgoE9EjjbEEZZNS1_14partition_implILS5_9ELb0ES3_jN6thrust23THRUST_200600_302600_NS6detail15normal_iteratorINS9_10device_ptrIjEEEESE_PNS0_10empty_typeENS0_5tupleIJNS9_16discard_iteratorINS9_11use_defaultEEESF_EEENSH_IJSE_SG_EEENS0_18inequality_wrapperINS9_8equal_toIjEEEEPmJSF_EEE10hipError_tPvRmT3_T4_T5_T6_T7_T9_mT8_P12ihipStream_tbDpT10_ENKUlT_T0_E_clISt17integral_constantIbLb1EES1B_EEDaS16_S17_EUlS16_E_NS1_11comp_targetILNS1_3genE3ELNS1_11target_archE908ELNS1_3gpuE7ELNS1_3repE0EEENS1_30default_config_static_selectorELNS0_4arch9wavefront6targetE0EEEvT1_.kd
    .uniform_work_group_size: 1
    .uses_dynamic_stack: false
    .vgpr_count:     0
    .vgpr_spill_count: 0
    .wavefront_size: 32
    .workgroup_processor_mode: 1
  - .args:
      - .offset:         0
        .size:           136
        .value_kind:     by_value
    .group_segment_fixed_size: 0
    .kernarg_segment_align: 8
    .kernarg_segment_size: 136
    .language:       OpenCL C
    .language_version:
      - 2
      - 0
    .max_flat_workgroup_size: 256
    .name:           _ZN7rocprim17ROCPRIM_400000_NS6detail17trampoline_kernelINS0_14default_configENS1_25partition_config_selectorILNS1_17partition_subalgoE9EjjbEEZZNS1_14partition_implILS5_9ELb0ES3_jN6thrust23THRUST_200600_302600_NS6detail15normal_iteratorINS9_10device_ptrIjEEEESE_PNS0_10empty_typeENS0_5tupleIJNS9_16discard_iteratorINS9_11use_defaultEEESF_EEENSH_IJSE_SG_EEENS0_18inequality_wrapperINS9_8equal_toIjEEEEPmJSF_EEE10hipError_tPvRmT3_T4_T5_T6_T7_T9_mT8_P12ihipStream_tbDpT10_ENKUlT_T0_E_clISt17integral_constantIbLb1EES1B_EEDaS16_S17_EUlS16_E_NS1_11comp_targetILNS1_3genE2ELNS1_11target_archE906ELNS1_3gpuE6ELNS1_3repE0EEENS1_30default_config_static_selectorELNS0_4arch9wavefront6targetE0EEEvT1_
    .private_segment_fixed_size: 0
    .sgpr_count:     0
    .sgpr_spill_count: 0
    .symbol:         _ZN7rocprim17ROCPRIM_400000_NS6detail17trampoline_kernelINS0_14default_configENS1_25partition_config_selectorILNS1_17partition_subalgoE9EjjbEEZZNS1_14partition_implILS5_9ELb0ES3_jN6thrust23THRUST_200600_302600_NS6detail15normal_iteratorINS9_10device_ptrIjEEEESE_PNS0_10empty_typeENS0_5tupleIJNS9_16discard_iteratorINS9_11use_defaultEEESF_EEENSH_IJSE_SG_EEENS0_18inequality_wrapperINS9_8equal_toIjEEEEPmJSF_EEE10hipError_tPvRmT3_T4_T5_T6_T7_T9_mT8_P12ihipStream_tbDpT10_ENKUlT_T0_E_clISt17integral_constantIbLb1EES1B_EEDaS16_S17_EUlS16_E_NS1_11comp_targetILNS1_3genE2ELNS1_11target_archE906ELNS1_3gpuE6ELNS1_3repE0EEENS1_30default_config_static_selectorELNS0_4arch9wavefront6targetE0EEEvT1_.kd
    .uniform_work_group_size: 1
    .uses_dynamic_stack: false
    .vgpr_count:     0
    .vgpr_spill_count: 0
    .wavefront_size: 32
    .workgroup_processor_mode: 1
  - .args:
      - .offset:         0
        .size:           136
        .value_kind:     by_value
    .group_segment_fixed_size: 0
    .kernarg_segment_align: 8
    .kernarg_segment_size: 136
    .language:       OpenCL C
    .language_version:
      - 2
      - 0
    .max_flat_workgroup_size: 384
    .name:           _ZN7rocprim17ROCPRIM_400000_NS6detail17trampoline_kernelINS0_14default_configENS1_25partition_config_selectorILNS1_17partition_subalgoE9EjjbEEZZNS1_14partition_implILS5_9ELb0ES3_jN6thrust23THRUST_200600_302600_NS6detail15normal_iteratorINS9_10device_ptrIjEEEESE_PNS0_10empty_typeENS0_5tupleIJNS9_16discard_iteratorINS9_11use_defaultEEESF_EEENSH_IJSE_SG_EEENS0_18inequality_wrapperINS9_8equal_toIjEEEEPmJSF_EEE10hipError_tPvRmT3_T4_T5_T6_T7_T9_mT8_P12ihipStream_tbDpT10_ENKUlT_T0_E_clISt17integral_constantIbLb1EES1B_EEDaS16_S17_EUlS16_E_NS1_11comp_targetILNS1_3genE10ELNS1_11target_archE1200ELNS1_3gpuE4ELNS1_3repE0EEENS1_30default_config_static_selectorELNS0_4arch9wavefront6targetE0EEEvT1_
    .private_segment_fixed_size: 0
    .sgpr_count:     0
    .sgpr_spill_count: 0
    .symbol:         _ZN7rocprim17ROCPRIM_400000_NS6detail17trampoline_kernelINS0_14default_configENS1_25partition_config_selectorILNS1_17partition_subalgoE9EjjbEEZZNS1_14partition_implILS5_9ELb0ES3_jN6thrust23THRUST_200600_302600_NS6detail15normal_iteratorINS9_10device_ptrIjEEEESE_PNS0_10empty_typeENS0_5tupleIJNS9_16discard_iteratorINS9_11use_defaultEEESF_EEENSH_IJSE_SG_EEENS0_18inequality_wrapperINS9_8equal_toIjEEEEPmJSF_EEE10hipError_tPvRmT3_T4_T5_T6_T7_T9_mT8_P12ihipStream_tbDpT10_ENKUlT_T0_E_clISt17integral_constantIbLb1EES1B_EEDaS16_S17_EUlS16_E_NS1_11comp_targetILNS1_3genE10ELNS1_11target_archE1200ELNS1_3gpuE4ELNS1_3repE0EEENS1_30default_config_static_selectorELNS0_4arch9wavefront6targetE0EEEvT1_.kd
    .uniform_work_group_size: 1
    .uses_dynamic_stack: false
    .vgpr_count:     0
    .vgpr_spill_count: 0
    .wavefront_size: 32
    .workgroup_processor_mode: 1
  - .args:
      - .offset:         0
        .size:           136
        .value_kind:     by_value
    .group_segment_fixed_size: 12680
    .kernarg_segment_align: 8
    .kernarg_segment_size: 136
    .language:       OpenCL C
    .language_version:
      - 2
      - 0
    .max_flat_workgroup_size: 384
    .name:           _ZN7rocprim17ROCPRIM_400000_NS6detail17trampoline_kernelINS0_14default_configENS1_25partition_config_selectorILNS1_17partition_subalgoE9EjjbEEZZNS1_14partition_implILS5_9ELb0ES3_jN6thrust23THRUST_200600_302600_NS6detail15normal_iteratorINS9_10device_ptrIjEEEESE_PNS0_10empty_typeENS0_5tupleIJNS9_16discard_iteratorINS9_11use_defaultEEESF_EEENSH_IJSE_SG_EEENS0_18inequality_wrapperINS9_8equal_toIjEEEEPmJSF_EEE10hipError_tPvRmT3_T4_T5_T6_T7_T9_mT8_P12ihipStream_tbDpT10_ENKUlT_T0_E_clISt17integral_constantIbLb1EES1B_EEDaS16_S17_EUlS16_E_NS1_11comp_targetILNS1_3genE9ELNS1_11target_archE1100ELNS1_3gpuE3ELNS1_3repE0EEENS1_30default_config_static_selectorELNS0_4arch9wavefront6targetE0EEEvT1_
    .private_segment_fixed_size: 0
    .sgpr_count:     28
    .sgpr_spill_count: 0
    .symbol:         _ZN7rocprim17ROCPRIM_400000_NS6detail17trampoline_kernelINS0_14default_configENS1_25partition_config_selectorILNS1_17partition_subalgoE9EjjbEEZZNS1_14partition_implILS5_9ELb0ES3_jN6thrust23THRUST_200600_302600_NS6detail15normal_iteratorINS9_10device_ptrIjEEEESE_PNS0_10empty_typeENS0_5tupleIJNS9_16discard_iteratorINS9_11use_defaultEEESF_EEENSH_IJSE_SG_EEENS0_18inequality_wrapperINS9_8equal_toIjEEEEPmJSF_EEE10hipError_tPvRmT3_T4_T5_T6_T7_T9_mT8_P12ihipStream_tbDpT10_ENKUlT_T0_E_clISt17integral_constantIbLb1EES1B_EEDaS16_S17_EUlS16_E_NS1_11comp_targetILNS1_3genE9ELNS1_11target_archE1100ELNS1_3gpuE3ELNS1_3repE0EEENS1_30default_config_static_selectorELNS0_4arch9wavefront6targetE0EEEvT1_.kd
    .uniform_work_group_size: 1
    .uses_dynamic_stack: false
    .vgpr_count:     53
    .vgpr_spill_count: 0
    .wavefront_size: 32
    .workgroup_processor_mode: 1
  - .args:
      - .offset:         0
        .size:           136
        .value_kind:     by_value
    .group_segment_fixed_size: 0
    .kernarg_segment_align: 8
    .kernarg_segment_size: 136
    .language:       OpenCL C
    .language_version:
      - 2
      - 0
    .max_flat_workgroup_size: 512
    .name:           _ZN7rocprim17ROCPRIM_400000_NS6detail17trampoline_kernelINS0_14default_configENS1_25partition_config_selectorILNS1_17partition_subalgoE9EjjbEEZZNS1_14partition_implILS5_9ELb0ES3_jN6thrust23THRUST_200600_302600_NS6detail15normal_iteratorINS9_10device_ptrIjEEEESE_PNS0_10empty_typeENS0_5tupleIJNS9_16discard_iteratorINS9_11use_defaultEEESF_EEENSH_IJSE_SG_EEENS0_18inequality_wrapperINS9_8equal_toIjEEEEPmJSF_EEE10hipError_tPvRmT3_T4_T5_T6_T7_T9_mT8_P12ihipStream_tbDpT10_ENKUlT_T0_E_clISt17integral_constantIbLb1EES1B_EEDaS16_S17_EUlS16_E_NS1_11comp_targetILNS1_3genE8ELNS1_11target_archE1030ELNS1_3gpuE2ELNS1_3repE0EEENS1_30default_config_static_selectorELNS0_4arch9wavefront6targetE0EEEvT1_
    .private_segment_fixed_size: 0
    .sgpr_count:     0
    .sgpr_spill_count: 0
    .symbol:         _ZN7rocprim17ROCPRIM_400000_NS6detail17trampoline_kernelINS0_14default_configENS1_25partition_config_selectorILNS1_17partition_subalgoE9EjjbEEZZNS1_14partition_implILS5_9ELb0ES3_jN6thrust23THRUST_200600_302600_NS6detail15normal_iteratorINS9_10device_ptrIjEEEESE_PNS0_10empty_typeENS0_5tupleIJNS9_16discard_iteratorINS9_11use_defaultEEESF_EEENSH_IJSE_SG_EEENS0_18inequality_wrapperINS9_8equal_toIjEEEEPmJSF_EEE10hipError_tPvRmT3_T4_T5_T6_T7_T9_mT8_P12ihipStream_tbDpT10_ENKUlT_T0_E_clISt17integral_constantIbLb1EES1B_EEDaS16_S17_EUlS16_E_NS1_11comp_targetILNS1_3genE8ELNS1_11target_archE1030ELNS1_3gpuE2ELNS1_3repE0EEENS1_30default_config_static_selectorELNS0_4arch9wavefront6targetE0EEEvT1_.kd
    .uniform_work_group_size: 1
    .uses_dynamic_stack: false
    .vgpr_count:     0
    .vgpr_spill_count: 0
    .wavefront_size: 32
    .workgroup_processor_mode: 1
  - .args:
      - .offset:         0
        .size:           120
        .value_kind:     by_value
    .group_segment_fixed_size: 0
    .kernarg_segment_align: 8
    .kernarg_segment_size: 120
    .language:       OpenCL C
    .language_version:
      - 2
      - 0
    .max_flat_workgroup_size: 256
    .name:           _ZN7rocprim17ROCPRIM_400000_NS6detail17trampoline_kernelINS0_14default_configENS1_25partition_config_selectorILNS1_17partition_subalgoE9EjjbEEZZNS1_14partition_implILS5_9ELb0ES3_jN6thrust23THRUST_200600_302600_NS6detail15normal_iteratorINS9_10device_ptrIjEEEESE_PNS0_10empty_typeENS0_5tupleIJNS9_16discard_iteratorINS9_11use_defaultEEESF_EEENSH_IJSE_SG_EEENS0_18inequality_wrapperINS9_8equal_toIjEEEEPmJSF_EEE10hipError_tPvRmT3_T4_T5_T6_T7_T9_mT8_P12ihipStream_tbDpT10_ENKUlT_T0_E_clISt17integral_constantIbLb1EES1A_IbLb0EEEEDaS16_S17_EUlS16_E_NS1_11comp_targetILNS1_3genE0ELNS1_11target_archE4294967295ELNS1_3gpuE0ELNS1_3repE0EEENS1_30default_config_static_selectorELNS0_4arch9wavefront6targetE0EEEvT1_
    .private_segment_fixed_size: 0
    .sgpr_count:     0
    .sgpr_spill_count: 0
    .symbol:         _ZN7rocprim17ROCPRIM_400000_NS6detail17trampoline_kernelINS0_14default_configENS1_25partition_config_selectorILNS1_17partition_subalgoE9EjjbEEZZNS1_14partition_implILS5_9ELb0ES3_jN6thrust23THRUST_200600_302600_NS6detail15normal_iteratorINS9_10device_ptrIjEEEESE_PNS0_10empty_typeENS0_5tupleIJNS9_16discard_iteratorINS9_11use_defaultEEESF_EEENSH_IJSE_SG_EEENS0_18inequality_wrapperINS9_8equal_toIjEEEEPmJSF_EEE10hipError_tPvRmT3_T4_T5_T6_T7_T9_mT8_P12ihipStream_tbDpT10_ENKUlT_T0_E_clISt17integral_constantIbLb1EES1A_IbLb0EEEEDaS16_S17_EUlS16_E_NS1_11comp_targetILNS1_3genE0ELNS1_11target_archE4294967295ELNS1_3gpuE0ELNS1_3repE0EEENS1_30default_config_static_selectorELNS0_4arch9wavefront6targetE0EEEvT1_.kd
    .uniform_work_group_size: 1
    .uses_dynamic_stack: false
    .vgpr_count:     0
    .vgpr_spill_count: 0
    .wavefront_size: 32
    .workgroup_processor_mode: 1
  - .args:
      - .offset:         0
        .size:           120
        .value_kind:     by_value
    .group_segment_fixed_size: 0
    .kernarg_segment_align: 8
    .kernarg_segment_size: 120
    .language:       OpenCL C
    .language_version:
      - 2
      - 0
    .max_flat_workgroup_size: 512
    .name:           _ZN7rocprim17ROCPRIM_400000_NS6detail17trampoline_kernelINS0_14default_configENS1_25partition_config_selectorILNS1_17partition_subalgoE9EjjbEEZZNS1_14partition_implILS5_9ELb0ES3_jN6thrust23THRUST_200600_302600_NS6detail15normal_iteratorINS9_10device_ptrIjEEEESE_PNS0_10empty_typeENS0_5tupleIJNS9_16discard_iteratorINS9_11use_defaultEEESF_EEENSH_IJSE_SG_EEENS0_18inequality_wrapperINS9_8equal_toIjEEEEPmJSF_EEE10hipError_tPvRmT3_T4_T5_T6_T7_T9_mT8_P12ihipStream_tbDpT10_ENKUlT_T0_E_clISt17integral_constantIbLb1EES1A_IbLb0EEEEDaS16_S17_EUlS16_E_NS1_11comp_targetILNS1_3genE5ELNS1_11target_archE942ELNS1_3gpuE9ELNS1_3repE0EEENS1_30default_config_static_selectorELNS0_4arch9wavefront6targetE0EEEvT1_
    .private_segment_fixed_size: 0
    .sgpr_count:     0
    .sgpr_spill_count: 0
    .symbol:         _ZN7rocprim17ROCPRIM_400000_NS6detail17trampoline_kernelINS0_14default_configENS1_25partition_config_selectorILNS1_17partition_subalgoE9EjjbEEZZNS1_14partition_implILS5_9ELb0ES3_jN6thrust23THRUST_200600_302600_NS6detail15normal_iteratorINS9_10device_ptrIjEEEESE_PNS0_10empty_typeENS0_5tupleIJNS9_16discard_iteratorINS9_11use_defaultEEESF_EEENSH_IJSE_SG_EEENS0_18inequality_wrapperINS9_8equal_toIjEEEEPmJSF_EEE10hipError_tPvRmT3_T4_T5_T6_T7_T9_mT8_P12ihipStream_tbDpT10_ENKUlT_T0_E_clISt17integral_constantIbLb1EES1A_IbLb0EEEEDaS16_S17_EUlS16_E_NS1_11comp_targetILNS1_3genE5ELNS1_11target_archE942ELNS1_3gpuE9ELNS1_3repE0EEENS1_30default_config_static_selectorELNS0_4arch9wavefront6targetE0EEEvT1_.kd
    .uniform_work_group_size: 1
    .uses_dynamic_stack: false
    .vgpr_count:     0
    .vgpr_spill_count: 0
    .wavefront_size: 32
    .workgroup_processor_mode: 1
  - .args:
      - .offset:         0
        .size:           120
        .value_kind:     by_value
    .group_segment_fixed_size: 0
    .kernarg_segment_align: 8
    .kernarg_segment_size: 120
    .language:       OpenCL C
    .language_version:
      - 2
      - 0
    .max_flat_workgroup_size: 192
    .name:           _ZN7rocprim17ROCPRIM_400000_NS6detail17trampoline_kernelINS0_14default_configENS1_25partition_config_selectorILNS1_17partition_subalgoE9EjjbEEZZNS1_14partition_implILS5_9ELb0ES3_jN6thrust23THRUST_200600_302600_NS6detail15normal_iteratorINS9_10device_ptrIjEEEESE_PNS0_10empty_typeENS0_5tupleIJNS9_16discard_iteratorINS9_11use_defaultEEESF_EEENSH_IJSE_SG_EEENS0_18inequality_wrapperINS9_8equal_toIjEEEEPmJSF_EEE10hipError_tPvRmT3_T4_T5_T6_T7_T9_mT8_P12ihipStream_tbDpT10_ENKUlT_T0_E_clISt17integral_constantIbLb1EES1A_IbLb0EEEEDaS16_S17_EUlS16_E_NS1_11comp_targetILNS1_3genE4ELNS1_11target_archE910ELNS1_3gpuE8ELNS1_3repE0EEENS1_30default_config_static_selectorELNS0_4arch9wavefront6targetE0EEEvT1_
    .private_segment_fixed_size: 0
    .sgpr_count:     0
    .sgpr_spill_count: 0
    .symbol:         _ZN7rocprim17ROCPRIM_400000_NS6detail17trampoline_kernelINS0_14default_configENS1_25partition_config_selectorILNS1_17partition_subalgoE9EjjbEEZZNS1_14partition_implILS5_9ELb0ES3_jN6thrust23THRUST_200600_302600_NS6detail15normal_iteratorINS9_10device_ptrIjEEEESE_PNS0_10empty_typeENS0_5tupleIJNS9_16discard_iteratorINS9_11use_defaultEEESF_EEENSH_IJSE_SG_EEENS0_18inequality_wrapperINS9_8equal_toIjEEEEPmJSF_EEE10hipError_tPvRmT3_T4_T5_T6_T7_T9_mT8_P12ihipStream_tbDpT10_ENKUlT_T0_E_clISt17integral_constantIbLb1EES1A_IbLb0EEEEDaS16_S17_EUlS16_E_NS1_11comp_targetILNS1_3genE4ELNS1_11target_archE910ELNS1_3gpuE8ELNS1_3repE0EEENS1_30default_config_static_selectorELNS0_4arch9wavefront6targetE0EEEvT1_.kd
    .uniform_work_group_size: 1
    .uses_dynamic_stack: false
    .vgpr_count:     0
    .vgpr_spill_count: 0
    .wavefront_size: 32
    .workgroup_processor_mode: 1
  - .args:
      - .offset:         0
        .size:           120
        .value_kind:     by_value
    .group_segment_fixed_size: 0
    .kernarg_segment_align: 8
    .kernarg_segment_size: 120
    .language:       OpenCL C
    .language_version:
      - 2
      - 0
    .max_flat_workgroup_size: 256
    .name:           _ZN7rocprim17ROCPRIM_400000_NS6detail17trampoline_kernelINS0_14default_configENS1_25partition_config_selectorILNS1_17partition_subalgoE9EjjbEEZZNS1_14partition_implILS5_9ELb0ES3_jN6thrust23THRUST_200600_302600_NS6detail15normal_iteratorINS9_10device_ptrIjEEEESE_PNS0_10empty_typeENS0_5tupleIJNS9_16discard_iteratorINS9_11use_defaultEEESF_EEENSH_IJSE_SG_EEENS0_18inequality_wrapperINS9_8equal_toIjEEEEPmJSF_EEE10hipError_tPvRmT3_T4_T5_T6_T7_T9_mT8_P12ihipStream_tbDpT10_ENKUlT_T0_E_clISt17integral_constantIbLb1EES1A_IbLb0EEEEDaS16_S17_EUlS16_E_NS1_11comp_targetILNS1_3genE3ELNS1_11target_archE908ELNS1_3gpuE7ELNS1_3repE0EEENS1_30default_config_static_selectorELNS0_4arch9wavefront6targetE0EEEvT1_
    .private_segment_fixed_size: 0
    .sgpr_count:     0
    .sgpr_spill_count: 0
    .symbol:         _ZN7rocprim17ROCPRIM_400000_NS6detail17trampoline_kernelINS0_14default_configENS1_25partition_config_selectorILNS1_17partition_subalgoE9EjjbEEZZNS1_14partition_implILS5_9ELb0ES3_jN6thrust23THRUST_200600_302600_NS6detail15normal_iteratorINS9_10device_ptrIjEEEESE_PNS0_10empty_typeENS0_5tupleIJNS9_16discard_iteratorINS9_11use_defaultEEESF_EEENSH_IJSE_SG_EEENS0_18inequality_wrapperINS9_8equal_toIjEEEEPmJSF_EEE10hipError_tPvRmT3_T4_T5_T6_T7_T9_mT8_P12ihipStream_tbDpT10_ENKUlT_T0_E_clISt17integral_constantIbLb1EES1A_IbLb0EEEEDaS16_S17_EUlS16_E_NS1_11comp_targetILNS1_3genE3ELNS1_11target_archE908ELNS1_3gpuE7ELNS1_3repE0EEENS1_30default_config_static_selectorELNS0_4arch9wavefront6targetE0EEEvT1_.kd
    .uniform_work_group_size: 1
    .uses_dynamic_stack: false
    .vgpr_count:     0
    .vgpr_spill_count: 0
    .wavefront_size: 32
    .workgroup_processor_mode: 1
  - .args:
      - .offset:         0
        .size:           120
        .value_kind:     by_value
    .group_segment_fixed_size: 0
    .kernarg_segment_align: 8
    .kernarg_segment_size: 120
    .language:       OpenCL C
    .language_version:
      - 2
      - 0
    .max_flat_workgroup_size: 256
    .name:           _ZN7rocprim17ROCPRIM_400000_NS6detail17trampoline_kernelINS0_14default_configENS1_25partition_config_selectorILNS1_17partition_subalgoE9EjjbEEZZNS1_14partition_implILS5_9ELb0ES3_jN6thrust23THRUST_200600_302600_NS6detail15normal_iteratorINS9_10device_ptrIjEEEESE_PNS0_10empty_typeENS0_5tupleIJNS9_16discard_iteratorINS9_11use_defaultEEESF_EEENSH_IJSE_SG_EEENS0_18inequality_wrapperINS9_8equal_toIjEEEEPmJSF_EEE10hipError_tPvRmT3_T4_T5_T6_T7_T9_mT8_P12ihipStream_tbDpT10_ENKUlT_T0_E_clISt17integral_constantIbLb1EES1A_IbLb0EEEEDaS16_S17_EUlS16_E_NS1_11comp_targetILNS1_3genE2ELNS1_11target_archE906ELNS1_3gpuE6ELNS1_3repE0EEENS1_30default_config_static_selectorELNS0_4arch9wavefront6targetE0EEEvT1_
    .private_segment_fixed_size: 0
    .sgpr_count:     0
    .sgpr_spill_count: 0
    .symbol:         _ZN7rocprim17ROCPRIM_400000_NS6detail17trampoline_kernelINS0_14default_configENS1_25partition_config_selectorILNS1_17partition_subalgoE9EjjbEEZZNS1_14partition_implILS5_9ELb0ES3_jN6thrust23THRUST_200600_302600_NS6detail15normal_iteratorINS9_10device_ptrIjEEEESE_PNS0_10empty_typeENS0_5tupleIJNS9_16discard_iteratorINS9_11use_defaultEEESF_EEENSH_IJSE_SG_EEENS0_18inequality_wrapperINS9_8equal_toIjEEEEPmJSF_EEE10hipError_tPvRmT3_T4_T5_T6_T7_T9_mT8_P12ihipStream_tbDpT10_ENKUlT_T0_E_clISt17integral_constantIbLb1EES1A_IbLb0EEEEDaS16_S17_EUlS16_E_NS1_11comp_targetILNS1_3genE2ELNS1_11target_archE906ELNS1_3gpuE6ELNS1_3repE0EEENS1_30default_config_static_selectorELNS0_4arch9wavefront6targetE0EEEvT1_.kd
    .uniform_work_group_size: 1
    .uses_dynamic_stack: false
    .vgpr_count:     0
    .vgpr_spill_count: 0
    .wavefront_size: 32
    .workgroup_processor_mode: 1
  - .args:
      - .offset:         0
        .size:           120
        .value_kind:     by_value
    .group_segment_fixed_size: 0
    .kernarg_segment_align: 8
    .kernarg_segment_size: 120
    .language:       OpenCL C
    .language_version:
      - 2
      - 0
    .max_flat_workgroup_size: 384
    .name:           _ZN7rocprim17ROCPRIM_400000_NS6detail17trampoline_kernelINS0_14default_configENS1_25partition_config_selectorILNS1_17partition_subalgoE9EjjbEEZZNS1_14partition_implILS5_9ELb0ES3_jN6thrust23THRUST_200600_302600_NS6detail15normal_iteratorINS9_10device_ptrIjEEEESE_PNS0_10empty_typeENS0_5tupleIJNS9_16discard_iteratorINS9_11use_defaultEEESF_EEENSH_IJSE_SG_EEENS0_18inequality_wrapperINS9_8equal_toIjEEEEPmJSF_EEE10hipError_tPvRmT3_T4_T5_T6_T7_T9_mT8_P12ihipStream_tbDpT10_ENKUlT_T0_E_clISt17integral_constantIbLb1EES1A_IbLb0EEEEDaS16_S17_EUlS16_E_NS1_11comp_targetILNS1_3genE10ELNS1_11target_archE1200ELNS1_3gpuE4ELNS1_3repE0EEENS1_30default_config_static_selectorELNS0_4arch9wavefront6targetE0EEEvT1_
    .private_segment_fixed_size: 0
    .sgpr_count:     0
    .sgpr_spill_count: 0
    .symbol:         _ZN7rocprim17ROCPRIM_400000_NS6detail17trampoline_kernelINS0_14default_configENS1_25partition_config_selectorILNS1_17partition_subalgoE9EjjbEEZZNS1_14partition_implILS5_9ELb0ES3_jN6thrust23THRUST_200600_302600_NS6detail15normal_iteratorINS9_10device_ptrIjEEEESE_PNS0_10empty_typeENS0_5tupleIJNS9_16discard_iteratorINS9_11use_defaultEEESF_EEENSH_IJSE_SG_EEENS0_18inequality_wrapperINS9_8equal_toIjEEEEPmJSF_EEE10hipError_tPvRmT3_T4_T5_T6_T7_T9_mT8_P12ihipStream_tbDpT10_ENKUlT_T0_E_clISt17integral_constantIbLb1EES1A_IbLb0EEEEDaS16_S17_EUlS16_E_NS1_11comp_targetILNS1_3genE10ELNS1_11target_archE1200ELNS1_3gpuE4ELNS1_3repE0EEENS1_30default_config_static_selectorELNS0_4arch9wavefront6targetE0EEEvT1_.kd
    .uniform_work_group_size: 1
    .uses_dynamic_stack: false
    .vgpr_count:     0
    .vgpr_spill_count: 0
    .wavefront_size: 32
    .workgroup_processor_mode: 1
  - .args:
      - .offset:         0
        .size:           120
        .value_kind:     by_value
    .group_segment_fixed_size: 12680
    .kernarg_segment_align: 8
    .kernarg_segment_size: 120
    .language:       OpenCL C
    .language_version:
      - 2
      - 0
    .max_flat_workgroup_size: 384
    .name:           _ZN7rocprim17ROCPRIM_400000_NS6detail17trampoline_kernelINS0_14default_configENS1_25partition_config_selectorILNS1_17partition_subalgoE9EjjbEEZZNS1_14partition_implILS5_9ELb0ES3_jN6thrust23THRUST_200600_302600_NS6detail15normal_iteratorINS9_10device_ptrIjEEEESE_PNS0_10empty_typeENS0_5tupleIJNS9_16discard_iteratorINS9_11use_defaultEEESF_EEENSH_IJSE_SG_EEENS0_18inequality_wrapperINS9_8equal_toIjEEEEPmJSF_EEE10hipError_tPvRmT3_T4_T5_T6_T7_T9_mT8_P12ihipStream_tbDpT10_ENKUlT_T0_E_clISt17integral_constantIbLb1EES1A_IbLb0EEEEDaS16_S17_EUlS16_E_NS1_11comp_targetILNS1_3genE9ELNS1_11target_archE1100ELNS1_3gpuE3ELNS1_3repE0EEENS1_30default_config_static_selectorELNS0_4arch9wavefront6targetE0EEEvT1_
    .private_segment_fixed_size: 0
    .sgpr_count:     27
    .sgpr_spill_count: 0
    .symbol:         _ZN7rocprim17ROCPRIM_400000_NS6detail17trampoline_kernelINS0_14default_configENS1_25partition_config_selectorILNS1_17partition_subalgoE9EjjbEEZZNS1_14partition_implILS5_9ELb0ES3_jN6thrust23THRUST_200600_302600_NS6detail15normal_iteratorINS9_10device_ptrIjEEEESE_PNS0_10empty_typeENS0_5tupleIJNS9_16discard_iteratorINS9_11use_defaultEEESF_EEENSH_IJSE_SG_EEENS0_18inequality_wrapperINS9_8equal_toIjEEEEPmJSF_EEE10hipError_tPvRmT3_T4_T5_T6_T7_T9_mT8_P12ihipStream_tbDpT10_ENKUlT_T0_E_clISt17integral_constantIbLb1EES1A_IbLb0EEEEDaS16_S17_EUlS16_E_NS1_11comp_targetILNS1_3genE9ELNS1_11target_archE1100ELNS1_3gpuE3ELNS1_3repE0EEENS1_30default_config_static_selectorELNS0_4arch9wavefront6targetE0EEEvT1_.kd
    .uniform_work_group_size: 1
    .uses_dynamic_stack: false
    .vgpr_count:     51
    .vgpr_spill_count: 0
    .wavefront_size: 32
    .workgroup_processor_mode: 1
  - .args:
      - .offset:         0
        .size:           120
        .value_kind:     by_value
    .group_segment_fixed_size: 0
    .kernarg_segment_align: 8
    .kernarg_segment_size: 120
    .language:       OpenCL C
    .language_version:
      - 2
      - 0
    .max_flat_workgroup_size: 512
    .name:           _ZN7rocprim17ROCPRIM_400000_NS6detail17trampoline_kernelINS0_14default_configENS1_25partition_config_selectorILNS1_17partition_subalgoE9EjjbEEZZNS1_14partition_implILS5_9ELb0ES3_jN6thrust23THRUST_200600_302600_NS6detail15normal_iteratorINS9_10device_ptrIjEEEESE_PNS0_10empty_typeENS0_5tupleIJNS9_16discard_iteratorINS9_11use_defaultEEESF_EEENSH_IJSE_SG_EEENS0_18inequality_wrapperINS9_8equal_toIjEEEEPmJSF_EEE10hipError_tPvRmT3_T4_T5_T6_T7_T9_mT8_P12ihipStream_tbDpT10_ENKUlT_T0_E_clISt17integral_constantIbLb1EES1A_IbLb0EEEEDaS16_S17_EUlS16_E_NS1_11comp_targetILNS1_3genE8ELNS1_11target_archE1030ELNS1_3gpuE2ELNS1_3repE0EEENS1_30default_config_static_selectorELNS0_4arch9wavefront6targetE0EEEvT1_
    .private_segment_fixed_size: 0
    .sgpr_count:     0
    .sgpr_spill_count: 0
    .symbol:         _ZN7rocprim17ROCPRIM_400000_NS6detail17trampoline_kernelINS0_14default_configENS1_25partition_config_selectorILNS1_17partition_subalgoE9EjjbEEZZNS1_14partition_implILS5_9ELb0ES3_jN6thrust23THRUST_200600_302600_NS6detail15normal_iteratorINS9_10device_ptrIjEEEESE_PNS0_10empty_typeENS0_5tupleIJNS9_16discard_iteratorINS9_11use_defaultEEESF_EEENSH_IJSE_SG_EEENS0_18inequality_wrapperINS9_8equal_toIjEEEEPmJSF_EEE10hipError_tPvRmT3_T4_T5_T6_T7_T9_mT8_P12ihipStream_tbDpT10_ENKUlT_T0_E_clISt17integral_constantIbLb1EES1A_IbLb0EEEEDaS16_S17_EUlS16_E_NS1_11comp_targetILNS1_3genE8ELNS1_11target_archE1030ELNS1_3gpuE2ELNS1_3repE0EEENS1_30default_config_static_selectorELNS0_4arch9wavefront6targetE0EEEvT1_.kd
    .uniform_work_group_size: 1
    .uses_dynamic_stack: false
    .vgpr_count:     0
    .vgpr_spill_count: 0
    .wavefront_size: 32
    .workgroup_processor_mode: 1
  - .args:
      - .offset:         0
        .size:           136
        .value_kind:     by_value
    .group_segment_fixed_size: 0
    .kernarg_segment_align: 8
    .kernarg_segment_size: 136
    .language:       OpenCL C
    .language_version:
      - 2
      - 0
    .max_flat_workgroup_size: 256
    .name:           _ZN7rocprim17ROCPRIM_400000_NS6detail17trampoline_kernelINS0_14default_configENS1_25partition_config_selectorILNS1_17partition_subalgoE9EjjbEEZZNS1_14partition_implILS5_9ELb0ES3_jN6thrust23THRUST_200600_302600_NS6detail15normal_iteratorINS9_10device_ptrIjEEEESE_PNS0_10empty_typeENS0_5tupleIJNS9_16discard_iteratorINS9_11use_defaultEEESF_EEENSH_IJSE_SG_EEENS0_18inequality_wrapperINS9_8equal_toIjEEEEPmJSF_EEE10hipError_tPvRmT3_T4_T5_T6_T7_T9_mT8_P12ihipStream_tbDpT10_ENKUlT_T0_E_clISt17integral_constantIbLb0EES1A_IbLb1EEEEDaS16_S17_EUlS16_E_NS1_11comp_targetILNS1_3genE0ELNS1_11target_archE4294967295ELNS1_3gpuE0ELNS1_3repE0EEENS1_30default_config_static_selectorELNS0_4arch9wavefront6targetE0EEEvT1_
    .private_segment_fixed_size: 0
    .sgpr_count:     0
    .sgpr_spill_count: 0
    .symbol:         _ZN7rocprim17ROCPRIM_400000_NS6detail17trampoline_kernelINS0_14default_configENS1_25partition_config_selectorILNS1_17partition_subalgoE9EjjbEEZZNS1_14partition_implILS5_9ELb0ES3_jN6thrust23THRUST_200600_302600_NS6detail15normal_iteratorINS9_10device_ptrIjEEEESE_PNS0_10empty_typeENS0_5tupleIJNS9_16discard_iteratorINS9_11use_defaultEEESF_EEENSH_IJSE_SG_EEENS0_18inequality_wrapperINS9_8equal_toIjEEEEPmJSF_EEE10hipError_tPvRmT3_T4_T5_T6_T7_T9_mT8_P12ihipStream_tbDpT10_ENKUlT_T0_E_clISt17integral_constantIbLb0EES1A_IbLb1EEEEDaS16_S17_EUlS16_E_NS1_11comp_targetILNS1_3genE0ELNS1_11target_archE4294967295ELNS1_3gpuE0ELNS1_3repE0EEENS1_30default_config_static_selectorELNS0_4arch9wavefront6targetE0EEEvT1_.kd
    .uniform_work_group_size: 1
    .uses_dynamic_stack: false
    .vgpr_count:     0
    .vgpr_spill_count: 0
    .wavefront_size: 32
    .workgroup_processor_mode: 1
  - .args:
      - .offset:         0
        .size:           136
        .value_kind:     by_value
    .group_segment_fixed_size: 0
    .kernarg_segment_align: 8
    .kernarg_segment_size: 136
    .language:       OpenCL C
    .language_version:
      - 2
      - 0
    .max_flat_workgroup_size: 512
    .name:           _ZN7rocprim17ROCPRIM_400000_NS6detail17trampoline_kernelINS0_14default_configENS1_25partition_config_selectorILNS1_17partition_subalgoE9EjjbEEZZNS1_14partition_implILS5_9ELb0ES3_jN6thrust23THRUST_200600_302600_NS6detail15normal_iteratorINS9_10device_ptrIjEEEESE_PNS0_10empty_typeENS0_5tupleIJNS9_16discard_iteratorINS9_11use_defaultEEESF_EEENSH_IJSE_SG_EEENS0_18inequality_wrapperINS9_8equal_toIjEEEEPmJSF_EEE10hipError_tPvRmT3_T4_T5_T6_T7_T9_mT8_P12ihipStream_tbDpT10_ENKUlT_T0_E_clISt17integral_constantIbLb0EES1A_IbLb1EEEEDaS16_S17_EUlS16_E_NS1_11comp_targetILNS1_3genE5ELNS1_11target_archE942ELNS1_3gpuE9ELNS1_3repE0EEENS1_30default_config_static_selectorELNS0_4arch9wavefront6targetE0EEEvT1_
    .private_segment_fixed_size: 0
    .sgpr_count:     0
    .sgpr_spill_count: 0
    .symbol:         _ZN7rocprim17ROCPRIM_400000_NS6detail17trampoline_kernelINS0_14default_configENS1_25partition_config_selectorILNS1_17partition_subalgoE9EjjbEEZZNS1_14partition_implILS5_9ELb0ES3_jN6thrust23THRUST_200600_302600_NS6detail15normal_iteratorINS9_10device_ptrIjEEEESE_PNS0_10empty_typeENS0_5tupleIJNS9_16discard_iteratorINS9_11use_defaultEEESF_EEENSH_IJSE_SG_EEENS0_18inequality_wrapperINS9_8equal_toIjEEEEPmJSF_EEE10hipError_tPvRmT3_T4_T5_T6_T7_T9_mT8_P12ihipStream_tbDpT10_ENKUlT_T0_E_clISt17integral_constantIbLb0EES1A_IbLb1EEEEDaS16_S17_EUlS16_E_NS1_11comp_targetILNS1_3genE5ELNS1_11target_archE942ELNS1_3gpuE9ELNS1_3repE0EEENS1_30default_config_static_selectorELNS0_4arch9wavefront6targetE0EEEvT1_.kd
    .uniform_work_group_size: 1
    .uses_dynamic_stack: false
    .vgpr_count:     0
    .vgpr_spill_count: 0
    .wavefront_size: 32
    .workgroup_processor_mode: 1
  - .args:
      - .offset:         0
        .size:           136
        .value_kind:     by_value
    .group_segment_fixed_size: 0
    .kernarg_segment_align: 8
    .kernarg_segment_size: 136
    .language:       OpenCL C
    .language_version:
      - 2
      - 0
    .max_flat_workgroup_size: 192
    .name:           _ZN7rocprim17ROCPRIM_400000_NS6detail17trampoline_kernelINS0_14default_configENS1_25partition_config_selectorILNS1_17partition_subalgoE9EjjbEEZZNS1_14partition_implILS5_9ELb0ES3_jN6thrust23THRUST_200600_302600_NS6detail15normal_iteratorINS9_10device_ptrIjEEEESE_PNS0_10empty_typeENS0_5tupleIJNS9_16discard_iteratorINS9_11use_defaultEEESF_EEENSH_IJSE_SG_EEENS0_18inequality_wrapperINS9_8equal_toIjEEEEPmJSF_EEE10hipError_tPvRmT3_T4_T5_T6_T7_T9_mT8_P12ihipStream_tbDpT10_ENKUlT_T0_E_clISt17integral_constantIbLb0EES1A_IbLb1EEEEDaS16_S17_EUlS16_E_NS1_11comp_targetILNS1_3genE4ELNS1_11target_archE910ELNS1_3gpuE8ELNS1_3repE0EEENS1_30default_config_static_selectorELNS0_4arch9wavefront6targetE0EEEvT1_
    .private_segment_fixed_size: 0
    .sgpr_count:     0
    .sgpr_spill_count: 0
    .symbol:         _ZN7rocprim17ROCPRIM_400000_NS6detail17trampoline_kernelINS0_14default_configENS1_25partition_config_selectorILNS1_17partition_subalgoE9EjjbEEZZNS1_14partition_implILS5_9ELb0ES3_jN6thrust23THRUST_200600_302600_NS6detail15normal_iteratorINS9_10device_ptrIjEEEESE_PNS0_10empty_typeENS0_5tupleIJNS9_16discard_iteratorINS9_11use_defaultEEESF_EEENSH_IJSE_SG_EEENS0_18inequality_wrapperINS9_8equal_toIjEEEEPmJSF_EEE10hipError_tPvRmT3_T4_T5_T6_T7_T9_mT8_P12ihipStream_tbDpT10_ENKUlT_T0_E_clISt17integral_constantIbLb0EES1A_IbLb1EEEEDaS16_S17_EUlS16_E_NS1_11comp_targetILNS1_3genE4ELNS1_11target_archE910ELNS1_3gpuE8ELNS1_3repE0EEENS1_30default_config_static_selectorELNS0_4arch9wavefront6targetE0EEEvT1_.kd
    .uniform_work_group_size: 1
    .uses_dynamic_stack: false
    .vgpr_count:     0
    .vgpr_spill_count: 0
    .wavefront_size: 32
    .workgroup_processor_mode: 1
  - .args:
      - .offset:         0
        .size:           136
        .value_kind:     by_value
    .group_segment_fixed_size: 0
    .kernarg_segment_align: 8
    .kernarg_segment_size: 136
    .language:       OpenCL C
    .language_version:
      - 2
      - 0
    .max_flat_workgroup_size: 256
    .name:           _ZN7rocprim17ROCPRIM_400000_NS6detail17trampoline_kernelINS0_14default_configENS1_25partition_config_selectorILNS1_17partition_subalgoE9EjjbEEZZNS1_14partition_implILS5_9ELb0ES3_jN6thrust23THRUST_200600_302600_NS6detail15normal_iteratorINS9_10device_ptrIjEEEESE_PNS0_10empty_typeENS0_5tupleIJNS9_16discard_iteratorINS9_11use_defaultEEESF_EEENSH_IJSE_SG_EEENS0_18inequality_wrapperINS9_8equal_toIjEEEEPmJSF_EEE10hipError_tPvRmT3_T4_T5_T6_T7_T9_mT8_P12ihipStream_tbDpT10_ENKUlT_T0_E_clISt17integral_constantIbLb0EES1A_IbLb1EEEEDaS16_S17_EUlS16_E_NS1_11comp_targetILNS1_3genE3ELNS1_11target_archE908ELNS1_3gpuE7ELNS1_3repE0EEENS1_30default_config_static_selectorELNS0_4arch9wavefront6targetE0EEEvT1_
    .private_segment_fixed_size: 0
    .sgpr_count:     0
    .sgpr_spill_count: 0
    .symbol:         _ZN7rocprim17ROCPRIM_400000_NS6detail17trampoline_kernelINS0_14default_configENS1_25partition_config_selectorILNS1_17partition_subalgoE9EjjbEEZZNS1_14partition_implILS5_9ELb0ES3_jN6thrust23THRUST_200600_302600_NS6detail15normal_iteratorINS9_10device_ptrIjEEEESE_PNS0_10empty_typeENS0_5tupleIJNS9_16discard_iteratorINS9_11use_defaultEEESF_EEENSH_IJSE_SG_EEENS0_18inequality_wrapperINS9_8equal_toIjEEEEPmJSF_EEE10hipError_tPvRmT3_T4_T5_T6_T7_T9_mT8_P12ihipStream_tbDpT10_ENKUlT_T0_E_clISt17integral_constantIbLb0EES1A_IbLb1EEEEDaS16_S17_EUlS16_E_NS1_11comp_targetILNS1_3genE3ELNS1_11target_archE908ELNS1_3gpuE7ELNS1_3repE0EEENS1_30default_config_static_selectorELNS0_4arch9wavefront6targetE0EEEvT1_.kd
    .uniform_work_group_size: 1
    .uses_dynamic_stack: false
    .vgpr_count:     0
    .vgpr_spill_count: 0
    .wavefront_size: 32
    .workgroup_processor_mode: 1
  - .args:
      - .offset:         0
        .size:           136
        .value_kind:     by_value
    .group_segment_fixed_size: 0
    .kernarg_segment_align: 8
    .kernarg_segment_size: 136
    .language:       OpenCL C
    .language_version:
      - 2
      - 0
    .max_flat_workgroup_size: 256
    .name:           _ZN7rocprim17ROCPRIM_400000_NS6detail17trampoline_kernelINS0_14default_configENS1_25partition_config_selectorILNS1_17partition_subalgoE9EjjbEEZZNS1_14partition_implILS5_9ELb0ES3_jN6thrust23THRUST_200600_302600_NS6detail15normal_iteratorINS9_10device_ptrIjEEEESE_PNS0_10empty_typeENS0_5tupleIJNS9_16discard_iteratorINS9_11use_defaultEEESF_EEENSH_IJSE_SG_EEENS0_18inequality_wrapperINS9_8equal_toIjEEEEPmJSF_EEE10hipError_tPvRmT3_T4_T5_T6_T7_T9_mT8_P12ihipStream_tbDpT10_ENKUlT_T0_E_clISt17integral_constantIbLb0EES1A_IbLb1EEEEDaS16_S17_EUlS16_E_NS1_11comp_targetILNS1_3genE2ELNS1_11target_archE906ELNS1_3gpuE6ELNS1_3repE0EEENS1_30default_config_static_selectorELNS0_4arch9wavefront6targetE0EEEvT1_
    .private_segment_fixed_size: 0
    .sgpr_count:     0
    .sgpr_spill_count: 0
    .symbol:         _ZN7rocprim17ROCPRIM_400000_NS6detail17trampoline_kernelINS0_14default_configENS1_25partition_config_selectorILNS1_17partition_subalgoE9EjjbEEZZNS1_14partition_implILS5_9ELb0ES3_jN6thrust23THRUST_200600_302600_NS6detail15normal_iteratorINS9_10device_ptrIjEEEESE_PNS0_10empty_typeENS0_5tupleIJNS9_16discard_iteratorINS9_11use_defaultEEESF_EEENSH_IJSE_SG_EEENS0_18inequality_wrapperINS9_8equal_toIjEEEEPmJSF_EEE10hipError_tPvRmT3_T4_T5_T6_T7_T9_mT8_P12ihipStream_tbDpT10_ENKUlT_T0_E_clISt17integral_constantIbLb0EES1A_IbLb1EEEEDaS16_S17_EUlS16_E_NS1_11comp_targetILNS1_3genE2ELNS1_11target_archE906ELNS1_3gpuE6ELNS1_3repE0EEENS1_30default_config_static_selectorELNS0_4arch9wavefront6targetE0EEEvT1_.kd
    .uniform_work_group_size: 1
    .uses_dynamic_stack: false
    .vgpr_count:     0
    .vgpr_spill_count: 0
    .wavefront_size: 32
    .workgroup_processor_mode: 1
  - .args:
      - .offset:         0
        .size:           136
        .value_kind:     by_value
    .group_segment_fixed_size: 0
    .kernarg_segment_align: 8
    .kernarg_segment_size: 136
    .language:       OpenCL C
    .language_version:
      - 2
      - 0
    .max_flat_workgroup_size: 384
    .name:           _ZN7rocprim17ROCPRIM_400000_NS6detail17trampoline_kernelINS0_14default_configENS1_25partition_config_selectorILNS1_17partition_subalgoE9EjjbEEZZNS1_14partition_implILS5_9ELb0ES3_jN6thrust23THRUST_200600_302600_NS6detail15normal_iteratorINS9_10device_ptrIjEEEESE_PNS0_10empty_typeENS0_5tupleIJNS9_16discard_iteratorINS9_11use_defaultEEESF_EEENSH_IJSE_SG_EEENS0_18inequality_wrapperINS9_8equal_toIjEEEEPmJSF_EEE10hipError_tPvRmT3_T4_T5_T6_T7_T9_mT8_P12ihipStream_tbDpT10_ENKUlT_T0_E_clISt17integral_constantIbLb0EES1A_IbLb1EEEEDaS16_S17_EUlS16_E_NS1_11comp_targetILNS1_3genE10ELNS1_11target_archE1200ELNS1_3gpuE4ELNS1_3repE0EEENS1_30default_config_static_selectorELNS0_4arch9wavefront6targetE0EEEvT1_
    .private_segment_fixed_size: 0
    .sgpr_count:     0
    .sgpr_spill_count: 0
    .symbol:         _ZN7rocprim17ROCPRIM_400000_NS6detail17trampoline_kernelINS0_14default_configENS1_25partition_config_selectorILNS1_17partition_subalgoE9EjjbEEZZNS1_14partition_implILS5_9ELb0ES3_jN6thrust23THRUST_200600_302600_NS6detail15normal_iteratorINS9_10device_ptrIjEEEESE_PNS0_10empty_typeENS0_5tupleIJNS9_16discard_iteratorINS9_11use_defaultEEESF_EEENSH_IJSE_SG_EEENS0_18inequality_wrapperINS9_8equal_toIjEEEEPmJSF_EEE10hipError_tPvRmT3_T4_T5_T6_T7_T9_mT8_P12ihipStream_tbDpT10_ENKUlT_T0_E_clISt17integral_constantIbLb0EES1A_IbLb1EEEEDaS16_S17_EUlS16_E_NS1_11comp_targetILNS1_3genE10ELNS1_11target_archE1200ELNS1_3gpuE4ELNS1_3repE0EEENS1_30default_config_static_selectorELNS0_4arch9wavefront6targetE0EEEvT1_.kd
    .uniform_work_group_size: 1
    .uses_dynamic_stack: false
    .vgpr_count:     0
    .vgpr_spill_count: 0
    .wavefront_size: 32
    .workgroup_processor_mode: 1
  - .args:
      - .offset:         0
        .size:           136
        .value_kind:     by_value
    .group_segment_fixed_size: 12680
    .kernarg_segment_align: 8
    .kernarg_segment_size: 136
    .language:       OpenCL C
    .language_version:
      - 2
      - 0
    .max_flat_workgroup_size: 384
    .name:           _ZN7rocprim17ROCPRIM_400000_NS6detail17trampoline_kernelINS0_14default_configENS1_25partition_config_selectorILNS1_17partition_subalgoE9EjjbEEZZNS1_14partition_implILS5_9ELb0ES3_jN6thrust23THRUST_200600_302600_NS6detail15normal_iteratorINS9_10device_ptrIjEEEESE_PNS0_10empty_typeENS0_5tupleIJNS9_16discard_iteratorINS9_11use_defaultEEESF_EEENSH_IJSE_SG_EEENS0_18inequality_wrapperINS9_8equal_toIjEEEEPmJSF_EEE10hipError_tPvRmT3_T4_T5_T6_T7_T9_mT8_P12ihipStream_tbDpT10_ENKUlT_T0_E_clISt17integral_constantIbLb0EES1A_IbLb1EEEEDaS16_S17_EUlS16_E_NS1_11comp_targetILNS1_3genE9ELNS1_11target_archE1100ELNS1_3gpuE3ELNS1_3repE0EEENS1_30default_config_static_selectorELNS0_4arch9wavefront6targetE0EEEvT1_
    .private_segment_fixed_size: 0
    .sgpr_count:     28
    .sgpr_spill_count: 0
    .symbol:         _ZN7rocprim17ROCPRIM_400000_NS6detail17trampoline_kernelINS0_14default_configENS1_25partition_config_selectorILNS1_17partition_subalgoE9EjjbEEZZNS1_14partition_implILS5_9ELb0ES3_jN6thrust23THRUST_200600_302600_NS6detail15normal_iteratorINS9_10device_ptrIjEEEESE_PNS0_10empty_typeENS0_5tupleIJNS9_16discard_iteratorINS9_11use_defaultEEESF_EEENSH_IJSE_SG_EEENS0_18inequality_wrapperINS9_8equal_toIjEEEEPmJSF_EEE10hipError_tPvRmT3_T4_T5_T6_T7_T9_mT8_P12ihipStream_tbDpT10_ENKUlT_T0_E_clISt17integral_constantIbLb0EES1A_IbLb1EEEEDaS16_S17_EUlS16_E_NS1_11comp_targetILNS1_3genE9ELNS1_11target_archE1100ELNS1_3gpuE3ELNS1_3repE0EEENS1_30default_config_static_selectorELNS0_4arch9wavefront6targetE0EEEvT1_.kd
    .uniform_work_group_size: 1
    .uses_dynamic_stack: false
    .vgpr_count:     53
    .vgpr_spill_count: 0
    .wavefront_size: 32
    .workgroup_processor_mode: 1
  - .args:
      - .offset:         0
        .size:           136
        .value_kind:     by_value
    .group_segment_fixed_size: 0
    .kernarg_segment_align: 8
    .kernarg_segment_size: 136
    .language:       OpenCL C
    .language_version:
      - 2
      - 0
    .max_flat_workgroup_size: 512
    .name:           _ZN7rocprim17ROCPRIM_400000_NS6detail17trampoline_kernelINS0_14default_configENS1_25partition_config_selectorILNS1_17partition_subalgoE9EjjbEEZZNS1_14partition_implILS5_9ELb0ES3_jN6thrust23THRUST_200600_302600_NS6detail15normal_iteratorINS9_10device_ptrIjEEEESE_PNS0_10empty_typeENS0_5tupleIJNS9_16discard_iteratorINS9_11use_defaultEEESF_EEENSH_IJSE_SG_EEENS0_18inequality_wrapperINS9_8equal_toIjEEEEPmJSF_EEE10hipError_tPvRmT3_T4_T5_T6_T7_T9_mT8_P12ihipStream_tbDpT10_ENKUlT_T0_E_clISt17integral_constantIbLb0EES1A_IbLb1EEEEDaS16_S17_EUlS16_E_NS1_11comp_targetILNS1_3genE8ELNS1_11target_archE1030ELNS1_3gpuE2ELNS1_3repE0EEENS1_30default_config_static_selectorELNS0_4arch9wavefront6targetE0EEEvT1_
    .private_segment_fixed_size: 0
    .sgpr_count:     0
    .sgpr_spill_count: 0
    .symbol:         _ZN7rocprim17ROCPRIM_400000_NS6detail17trampoline_kernelINS0_14default_configENS1_25partition_config_selectorILNS1_17partition_subalgoE9EjjbEEZZNS1_14partition_implILS5_9ELb0ES3_jN6thrust23THRUST_200600_302600_NS6detail15normal_iteratorINS9_10device_ptrIjEEEESE_PNS0_10empty_typeENS0_5tupleIJNS9_16discard_iteratorINS9_11use_defaultEEESF_EEENSH_IJSE_SG_EEENS0_18inequality_wrapperINS9_8equal_toIjEEEEPmJSF_EEE10hipError_tPvRmT3_T4_T5_T6_T7_T9_mT8_P12ihipStream_tbDpT10_ENKUlT_T0_E_clISt17integral_constantIbLb0EES1A_IbLb1EEEEDaS16_S17_EUlS16_E_NS1_11comp_targetILNS1_3genE8ELNS1_11target_archE1030ELNS1_3gpuE2ELNS1_3repE0EEENS1_30default_config_static_selectorELNS0_4arch9wavefront6targetE0EEEvT1_.kd
    .uniform_work_group_size: 1
    .uses_dynamic_stack: false
    .vgpr_count:     0
    .vgpr_spill_count: 0
    .wavefront_size: 32
    .workgroup_processor_mode: 1
  - .args:
      - .offset:         0
        .size:           128
        .value_kind:     by_value
    .group_segment_fixed_size: 0
    .kernarg_segment_align: 8
    .kernarg_segment_size: 128
    .language:       OpenCL C
    .language_version:
      - 2
      - 0
    .max_flat_workgroup_size: 256
    .name:           _ZN7rocprim17ROCPRIM_400000_NS6detail17trampoline_kernelINS0_14default_configENS1_25partition_config_selectorILNS1_17partition_subalgoE9EtjbEEZZNS1_14partition_implILS5_9ELb0ES3_jN6thrust23THRUST_200600_302600_NS6detail15normal_iteratorINS9_10device_ptrItEEEENSB_INSC_IjEEEEPNS0_10empty_typeENS0_5tupleIJNS9_16discard_iteratorINS9_11use_defaultEEESH_EEENSJ_IJSM_SI_EEENS0_18inequality_wrapperINS9_8equal_toItEEEEPmJSH_EEE10hipError_tPvRmT3_T4_T5_T6_T7_T9_mT8_P12ihipStream_tbDpT10_ENKUlT_T0_E_clISt17integral_constantIbLb0EES1D_EEDaS18_S19_EUlS18_E_NS1_11comp_targetILNS1_3genE0ELNS1_11target_archE4294967295ELNS1_3gpuE0ELNS1_3repE0EEENS1_30default_config_static_selectorELNS0_4arch9wavefront6targetE0EEEvT1_
    .private_segment_fixed_size: 0
    .sgpr_count:     0
    .sgpr_spill_count: 0
    .symbol:         _ZN7rocprim17ROCPRIM_400000_NS6detail17trampoline_kernelINS0_14default_configENS1_25partition_config_selectorILNS1_17partition_subalgoE9EtjbEEZZNS1_14partition_implILS5_9ELb0ES3_jN6thrust23THRUST_200600_302600_NS6detail15normal_iteratorINS9_10device_ptrItEEEENSB_INSC_IjEEEEPNS0_10empty_typeENS0_5tupleIJNS9_16discard_iteratorINS9_11use_defaultEEESH_EEENSJ_IJSM_SI_EEENS0_18inequality_wrapperINS9_8equal_toItEEEEPmJSH_EEE10hipError_tPvRmT3_T4_T5_T6_T7_T9_mT8_P12ihipStream_tbDpT10_ENKUlT_T0_E_clISt17integral_constantIbLb0EES1D_EEDaS18_S19_EUlS18_E_NS1_11comp_targetILNS1_3genE0ELNS1_11target_archE4294967295ELNS1_3gpuE0ELNS1_3repE0EEENS1_30default_config_static_selectorELNS0_4arch9wavefront6targetE0EEEvT1_.kd
    .uniform_work_group_size: 1
    .uses_dynamic_stack: false
    .vgpr_count:     0
    .vgpr_spill_count: 0
    .wavefront_size: 32
    .workgroup_processor_mode: 1
  - .args:
      - .offset:         0
        .size:           128
        .value_kind:     by_value
    .group_segment_fixed_size: 0
    .kernarg_segment_align: 8
    .kernarg_segment_size: 128
    .language:       OpenCL C
    .language_version:
      - 2
      - 0
    .max_flat_workgroup_size: 512
    .name:           _ZN7rocprim17ROCPRIM_400000_NS6detail17trampoline_kernelINS0_14default_configENS1_25partition_config_selectorILNS1_17partition_subalgoE9EtjbEEZZNS1_14partition_implILS5_9ELb0ES3_jN6thrust23THRUST_200600_302600_NS6detail15normal_iteratorINS9_10device_ptrItEEEENSB_INSC_IjEEEEPNS0_10empty_typeENS0_5tupleIJNS9_16discard_iteratorINS9_11use_defaultEEESH_EEENSJ_IJSM_SI_EEENS0_18inequality_wrapperINS9_8equal_toItEEEEPmJSH_EEE10hipError_tPvRmT3_T4_T5_T6_T7_T9_mT8_P12ihipStream_tbDpT10_ENKUlT_T0_E_clISt17integral_constantIbLb0EES1D_EEDaS18_S19_EUlS18_E_NS1_11comp_targetILNS1_3genE5ELNS1_11target_archE942ELNS1_3gpuE9ELNS1_3repE0EEENS1_30default_config_static_selectorELNS0_4arch9wavefront6targetE0EEEvT1_
    .private_segment_fixed_size: 0
    .sgpr_count:     0
    .sgpr_spill_count: 0
    .symbol:         _ZN7rocprim17ROCPRIM_400000_NS6detail17trampoline_kernelINS0_14default_configENS1_25partition_config_selectorILNS1_17partition_subalgoE9EtjbEEZZNS1_14partition_implILS5_9ELb0ES3_jN6thrust23THRUST_200600_302600_NS6detail15normal_iteratorINS9_10device_ptrItEEEENSB_INSC_IjEEEEPNS0_10empty_typeENS0_5tupleIJNS9_16discard_iteratorINS9_11use_defaultEEESH_EEENSJ_IJSM_SI_EEENS0_18inequality_wrapperINS9_8equal_toItEEEEPmJSH_EEE10hipError_tPvRmT3_T4_T5_T6_T7_T9_mT8_P12ihipStream_tbDpT10_ENKUlT_T0_E_clISt17integral_constantIbLb0EES1D_EEDaS18_S19_EUlS18_E_NS1_11comp_targetILNS1_3genE5ELNS1_11target_archE942ELNS1_3gpuE9ELNS1_3repE0EEENS1_30default_config_static_selectorELNS0_4arch9wavefront6targetE0EEEvT1_.kd
    .uniform_work_group_size: 1
    .uses_dynamic_stack: false
    .vgpr_count:     0
    .vgpr_spill_count: 0
    .wavefront_size: 32
    .workgroup_processor_mode: 1
  - .args:
      - .offset:         0
        .size:           128
        .value_kind:     by_value
    .group_segment_fixed_size: 0
    .kernarg_segment_align: 8
    .kernarg_segment_size: 128
    .language:       OpenCL C
    .language_version:
      - 2
      - 0
    .max_flat_workgroup_size: 192
    .name:           _ZN7rocprim17ROCPRIM_400000_NS6detail17trampoline_kernelINS0_14default_configENS1_25partition_config_selectorILNS1_17partition_subalgoE9EtjbEEZZNS1_14partition_implILS5_9ELb0ES3_jN6thrust23THRUST_200600_302600_NS6detail15normal_iteratorINS9_10device_ptrItEEEENSB_INSC_IjEEEEPNS0_10empty_typeENS0_5tupleIJNS9_16discard_iteratorINS9_11use_defaultEEESH_EEENSJ_IJSM_SI_EEENS0_18inequality_wrapperINS9_8equal_toItEEEEPmJSH_EEE10hipError_tPvRmT3_T4_T5_T6_T7_T9_mT8_P12ihipStream_tbDpT10_ENKUlT_T0_E_clISt17integral_constantIbLb0EES1D_EEDaS18_S19_EUlS18_E_NS1_11comp_targetILNS1_3genE4ELNS1_11target_archE910ELNS1_3gpuE8ELNS1_3repE0EEENS1_30default_config_static_selectorELNS0_4arch9wavefront6targetE0EEEvT1_
    .private_segment_fixed_size: 0
    .sgpr_count:     0
    .sgpr_spill_count: 0
    .symbol:         _ZN7rocprim17ROCPRIM_400000_NS6detail17trampoline_kernelINS0_14default_configENS1_25partition_config_selectorILNS1_17partition_subalgoE9EtjbEEZZNS1_14partition_implILS5_9ELb0ES3_jN6thrust23THRUST_200600_302600_NS6detail15normal_iteratorINS9_10device_ptrItEEEENSB_INSC_IjEEEEPNS0_10empty_typeENS0_5tupleIJNS9_16discard_iteratorINS9_11use_defaultEEESH_EEENSJ_IJSM_SI_EEENS0_18inequality_wrapperINS9_8equal_toItEEEEPmJSH_EEE10hipError_tPvRmT3_T4_T5_T6_T7_T9_mT8_P12ihipStream_tbDpT10_ENKUlT_T0_E_clISt17integral_constantIbLb0EES1D_EEDaS18_S19_EUlS18_E_NS1_11comp_targetILNS1_3genE4ELNS1_11target_archE910ELNS1_3gpuE8ELNS1_3repE0EEENS1_30default_config_static_selectorELNS0_4arch9wavefront6targetE0EEEvT1_.kd
    .uniform_work_group_size: 1
    .uses_dynamic_stack: false
    .vgpr_count:     0
    .vgpr_spill_count: 0
    .wavefront_size: 32
    .workgroup_processor_mode: 1
  - .args:
      - .offset:         0
        .size:           128
        .value_kind:     by_value
    .group_segment_fixed_size: 0
    .kernarg_segment_align: 8
    .kernarg_segment_size: 128
    .language:       OpenCL C
    .language_version:
      - 2
      - 0
    .max_flat_workgroup_size: 256
    .name:           _ZN7rocprim17ROCPRIM_400000_NS6detail17trampoline_kernelINS0_14default_configENS1_25partition_config_selectorILNS1_17partition_subalgoE9EtjbEEZZNS1_14partition_implILS5_9ELb0ES3_jN6thrust23THRUST_200600_302600_NS6detail15normal_iteratorINS9_10device_ptrItEEEENSB_INSC_IjEEEEPNS0_10empty_typeENS0_5tupleIJNS9_16discard_iteratorINS9_11use_defaultEEESH_EEENSJ_IJSM_SI_EEENS0_18inequality_wrapperINS9_8equal_toItEEEEPmJSH_EEE10hipError_tPvRmT3_T4_T5_T6_T7_T9_mT8_P12ihipStream_tbDpT10_ENKUlT_T0_E_clISt17integral_constantIbLb0EES1D_EEDaS18_S19_EUlS18_E_NS1_11comp_targetILNS1_3genE3ELNS1_11target_archE908ELNS1_3gpuE7ELNS1_3repE0EEENS1_30default_config_static_selectorELNS0_4arch9wavefront6targetE0EEEvT1_
    .private_segment_fixed_size: 0
    .sgpr_count:     0
    .sgpr_spill_count: 0
    .symbol:         _ZN7rocprim17ROCPRIM_400000_NS6detail17trampoline_kernelINS0_14default_configENS1_25partition_config_selectorILNS1_17partition_subalgoE9EtjbEEZZNS1_14partition_implILS5_9ELb0ES3_jN6thrust23THRUST_200600_302600_NS6detail15normal_iteratorINS9_10device_ptrItEEEENSB_INSC_IjEEEEPNS0_10empty_typeENS0_5tupleIJNS9_16discard_iteratorINS9_11use_defaultEEESH_EEENSJ_IJSM_SI_EEENS0_18inequality_wrapperINS9_8equal_toItEEEEPmJSH_EEE10hipError_tPvRmT3_T4_T5_T6_T7_T9_mT8_P12ihipStream_tbDpT10_ENKUlT_T0_E_clISt17integral_constantIbLb0EES1D_EEDaS18_S19_EUlS18_E_NS1_11comp_targetILNS1_3genE3ELNS1_11target_archE908ELNS1_3gpuE7ELNS1_3repE0EEENS1_30default_config_static_selectorELNS0_4arch9wavefront6targetE0EEEvT1_.kd
    .uniform_work_group_size: 1
    .uses_dynamic_stack: false
    .vgpr_count:     0
    .vgpr_spill_count: 0
    .wavefront_size: 32
    .workgroup_processor_mode: 1
  - .args:
      - .offset:         0
        .size:           128
        .value_kind:     by_value
    .group_segment_fixed_size: 0
    .kernarg_segment_align: 8
    .kernarg_segment_size: 128
    .language:       OpenCL C
    .language_version:
      - 2
      - 0
    .max_flat_workgroup_size: 256
    .name:           _ZN7rocprim17ROCPRIM_400000_NS6detail17trampoline_kernelINS0_14default_configENS1_25partition_config_selectorILNS1_17partition_subalgoE9EtjbEEZZNS1_14partition_implILS5_9ELb0ES3_jN6thrust23THRUST_200600_302600_NS6detail15normal_iteratorINS9_10device_ptrItEEEENSB_INSC_IjEEEEPNS0_10empty_typeENS0_5tupleIJNS9_16discard_iteratorINS9_11use_defaultEEESH_EEENSJ_IJSM_SI_EEENS0_18inequality_wrapperINS9_8equal_toItEEEEPmJSH_EEE10hipError_tPvRmT3_T4_T5_T6_T7_T9_mT8_P12ihipStream_tbDpT10_ENKUlT_T0_E_clISt17integral_constantIbLb0EES1D_EEDaS18_S19_EUlS18_E_NS1_11comp_targetILNS1_3genE2ELNS1_11target_archE906ELNS1_3gpuE6ELNS1_3repE0EEENS1_30default_config_static_selectorELNS0_4arch9wavefront6targetE0EEEvT1_
    .private_segment_fixed_size: 0
    .sgpr_count:     0
    .sgpr_spill_count: 0
    .symbol:         _ZN7rocprim17ROCPRIM_400000_NS6detail17trampoline_kernelINS0_14default_configENS1_25partition_config_selectorILNS1_17partition_subalgoE9EtjbEEZZNS1_14partition_implILS5_9ELb0ES3_jN6thrust23THRUST_200600_302600_NS6detail15normal_iteratorINS9_10device_ptrItEEEENSB_INSC_IjEEEEPNS0_10empty_typeENS0_5tupleIJNS9_16discard_iteratorINS9_11use_defaultEEESH_EEENSJ_IJSM_SI_EEENS0_18inequality_wrapperINS9_8equal_toItEEEEPmJSH_EEE10hipError_tPvRmT3_T4_T5_T6_T7_T9_mT8_P12ihipStream_tbDpT10_ENKUlT_T0_E_clISt17integral_constantIbLb0EES1D_EEDaS18_S19_EUlS18_E_NS1_11comp_targetILNS1_3genE2ELNS1_11target_archE906ELNS1_3gpuE6ELNS1_3repE0EEENS1_30default_config_static_selectorELNS0_4arch9wavefront6targetE0EEEvT1_.kd
    .uniform_work_group_size: 1
    .uses_dynamic_stack: false
    .vgpr_count:     0
    .vgpr_spill_count: 0
    .wavefront_size: 32
    .workgroup_processor_mode: 1
  - .args:
      - .offset:         0
        .size:           128
        .value_kind:     by_value
    .group_segment_fixed_size: 0
    .kernarg_segment_align: 8
    .kernarg_segment_size: 128
    .language:       OpenCL C
    .language_version:
      - 2
      - 0
    .max_flat_workgroup_size: 512
    .name:           _ZN7rocprim17ROCPRIM_400000_NS6detail17trampoline_kernelINS0_14default_configENS1_25partition_config_selectorILNS1_17partition_subalgoE9EtjbEEZZNS1_14partition_implILS5_9ELb0ES3_jN6thrust23THRUST_200600_302600_NS6detail15normal_iteratorINS9_10device_ptrItEEEENSB_INSC_IjEEEEPNS0_10empty_typeENS0_5tupleIJNS9_16discard_iteratorINS9_11use_defaultEEESH_EEENSJ_IJSM_SI_EEENS0_18inequality_wrapperINS9_8equal_toItEEEEPmJSH_EEE10hipError_tPvRmT3_T4_T5_T6_T7_T9_mT8_P12ihipStream_tbDpT10_ENKUlT_T0_E_clISt17integral_constantIbLb0EES1D_EEDaS18_S19_EUlS18_E_NS1_11comp_targetILNS1_3genE10ELNS1_11target_archE1200ELNS1_3gpuE4ELNS1_3repE0EEENS1_30default_config_static_selectorELNS0_4arch9wavefront6targetE0EEEvT1_
    .private_segment_fixed_size: 0
    .sgpr_count:     0
    .sgpr_spill_count: 0
    .symbol:         _ZN7rocprim17ROCPRIM_400000_NS6detail17trampoline_kernelINS0_14default_configENS1_25partition_config_selectorILNS1_17partition_subalgoE9EtjbEEZZNS1_14partition_implILS5_9ELb0ES3_jN6thrust23THRUST_200600_302600_NS6detail15normal_iteratorINS9_10device_ptrItEEEENSB_INSC_IjEEEEPNS0_10empty_typeENS0_5tupleIJNS9_16discard_iteratorINS9_11use_defaultEEESH_EEENSJ_IJSM_SI_EEENS0_18inequality_wrapperINS9_8equal_toItEEEEPmJSH_EEE10hipError_tPvRmT3_T4_T5_T6_T7_T9_mT8_P12ihipStream_tbDpT10_ENKUlT_T0_E_clISt17integral_constantIbLb0EES1D_EEDaS18_S19_EUlS18_E_NS1_11comp_targetILNS1_3genE10ELNS1_11target_archE1200ELNS1_3gpuE4ELNS1_3repE0EEENS1_30default_config_static_selectorELNS0_4arch9wavefront6targetE0EEEvT1_.kd
    .uniform_work_group_size: 1
    .uses_dynamic_stack: false
    .vgpr_count:     0
    .vgpr_spill_count: 0
    .wavefront_size: 32
    .workgroup_processor_mode: 1
  - .args:
      - .offset:         0
        .size:           128
        .value_kind:     by_value
    .group_segment_fixed_size: 5640
    .kernarg_segment_align: 8
    .kernarg_segment_size: 128
    .language:       OpenCL C
    .language_version:
      - 2
      - 0
    .max_flat_workgroup_size: 128
    .name:           _ZN7rocprim17ROCPRIM_400000_NS6detail17trampoline_kernelINS0_14default_configENS1_25partition_config_selectorILNS1_17partition_subalgoE9EtjbEEZZNS1_14partition_implILS5_9ELb0ES3_jN6thrust23THRUST_200600_302600_NS6detail15normal_iteratorINS9_10device_ptrItEEEENSB_INSC_IjEEEEPNS0_10empty_typeENS0_5tupleIJNS9_16discard_iteratorINS9_11use_defaultEEESH_EEENSJ_IJSM_SI_EEENS0_18inequality_wrapperINS9_8equal_toItEEEEPmJSH_EEE10hipError_tPvRmT3_T4_T5_T6_T7_T9_mT8_P12ihipStream_tbDpT10_ENKUlT_T0_E_clISt17integral_constantIbLb0EES1D_EEDaS18_S19_EUlS18_E_NS1_11comp_targetILNS1_3genE9ELNS1_11target_archE1100ELNS1_3gpuE3ELNS1_3repE0EEENS1_30default_config_static_selectorELNS0_4arch9wavefront6targetE0EEEvT1_
    .private_segment_fixed_size: 0
    .sgpr_count:     25
    .sgpr_spill_count: 0
    .symbol:         _ZN7rocprim17ROCPRIM_400000_NS6detail17trampoline_kernelINS0_14default_configENS1_25partition_config_selectorILNS1_17partition_subalgoE9EtjbEEZZNS1_14partition_implILS5_9ELb0ES3_jN6thrust23THRUST_200600_302600_NS6detail15normal_iteratorINS9_10device_ptrItEEEENSB_INSC_IjEEEEPNS0_10empty_typeENS0_5tupleIJNS9_16discard_iteratorINS9_11use_defaultEEESH_EEENSJ_IJSM_SI_EEENS0_18inequality_wrapperINS9_8equal_toItEEEEPmJSH_EEE10hipError_tPvRmT3_T4_T5_T6_T7_T9_mT8_P12ihipStream_tbDpT10_ENKUlT_T0_E_clISt17integral_constantIbLb0EES1D_EEDaS18_S19_EUlS18_E_NS1_11comp_targetILNS1_3genE9ELNS1_11target_archE1100ELNS1_3gpuE3ELNS1_3repE0EEENS1_30default_config_static_selectorELNS0_4arch9wavefront6targetE0EEEvT1_.kd
    .uniform_work_group_size: 1
    .uses_dynamic_stack: false
    .vgpr_count:     61
    .vgpr_spill_count: 0
    .wavefront_size: 32
    .workgroup_processor_mode: 1
  - .args:
      - .offset:         0
        .size:           128
        .value_kind:     by_value
    .group_segment_fixed_size: 0
    .kernarg_segment_align: 8
    .kernarg_segment_size: 128
    .language:       OpenCL C
    .language_version:
      - 2
      - 0
    .max_flat_workgroup_size: 512
    .name:           _ZN7rocprim17ROCPRIM_400000_NS6detail17trampoline_kernelINS0_14default_configENS1_25partition_config_selectorILNS1_17partition_subalgoE9EtjbEEZZNS1_14partition_implILS5_9ELb0ES3_jN6thrust23THRUST_200600_302600_NS6detail15normal_iteratorINS9_10device_ptrItEEEENSB_INSC_IjEEEEPNS0_10empty_typeENS0_5tupleIJNS9_16discard_iteratorINS9_11use_defaultEEESH_EEENSJ_IJSM_SI_EEENS0_18inequality_wrapperINS9_8equal_toItEEEEPmJSH_EEE10hipError_tPvRmT3_T4_T5_T6_T7_T9_mT8_P12ihipStream_tbDpT10_ENKUlT_T0_E_clISt17integral_constantIbLb0EES1D_EEDaS18_S19_EUlS18_E_NS1_11comp_targetILNS1_3genE8ELNS1_11target_archE1030ELNS1_3gpuE2ELNS1_3repE0EEENS1_30default_config_static_selectorELNS0_4arch9wavefront6targetE0EEEvT1_
    .private_segment_fixed_size: 0
    .sgpr_count:     0
    .sgpr_spill_count: 0
    .symbol:         _ZN7rocprim17ROCPRIM_400000_NS6detail17trampoline_kernelINS0_14default_configENS1_25partition_config_selectorILNS1_17partition_subalgoE9EtjbEEZZNS1_14partition_implILS5_9ELb0ES3_jN6thrust23THRUST_200600_302600_NS6detail15normal_iteratorINS9_10device_ptrItEEEENSB_INSC_IjEEEEPNS0_10empty_typeENS0_5tupleIJNS9_16discard_iteratorINS9_11use_defaultEEESH_EEENSJ_IJSM_SI_EEENS0_18inequality_wrapperINS9_8equal_toItEEEEPmJSH_EEE10hipError_tPvRmT3_T4_T5_T6_T7_T9_mT8_P12ihipStream_tbDpT10_ENKUlT_T0_E_clISt17integral_constantIbLb0EES1D_EEDaS18_S19_EUlS18_E_NS1_11comp_targetILNS1_3genE8ELNS1_11target_archE1030ELNS1_3gpuE2ELNS1_3repE0EEENS1_30default_config_static_selectorELNS0_4arch9wavefront6targetE0EEEvT1_.kd
    .uniform_work_group_size: 1
    .uses_dynamic_stack: false
    .vgpr_count:     0
    .vgpr_spill_count: 0
    .wavefront_size: 32
    .workgroup_processor_mode: 1
  - .args:
      - .offset:         0
        .size:           144
        .value_kind:     by_value
    .group_segment_fixed_size: 0
    .kernarg_segment_align: 8
    .kernarg_segment_size: 144
    .language:       OpenCL C
    .language_version:
      - 2
      - 0
    .max_flat_workgroup_size: 256
    .name:           _ZN7rocprim17ROCPRIM_400000_NS6detail17trampoline_kernelINS0_14default_configENS1_25partition_config_selectorILNS1_17partition_subalgoE9EtjbEEZZNS1_14partition_implILS5_9ELb0ES3_jN6thrust23THRUST_200600_302600_NS6detail15normal_iteratorINS9_10device_ptrItEEEENSB_INSC_IjEEEEPNS0_10empty_typeENS0_5tupleIJNS9_16discard_iteratorINS9_11use_defaultEEESH_EEENSJ_IJSM_SI_EEENS0_18inequality_wrapperINS9_8equal_toItEEEEPmJSH_EEE10hipError_tPvRmT3_T4_T5_T6_T7_T9_mT8_P12ihipStream_tbDpT10_ENKUlT_T0_E_clISt17integral_constantIbLb1EES1D_EEDaS18_S19_EUlS18_E_NS1_11comp_targetILNS1_3genE0ELNS1_11target_archE4294967295ELNS1_3gpuE0ELNS1_3repE0EEENS1_30default_config_static_selectorELNS0_4arch9wavefront6targetE0EEEvT1_
    .private_segment_fixed_size: 0
    .sgpr_count:     0
    .sgpr_spill_count: 0
    .symbol:         _ZN7rocprim17ROCPRIM_400000_NS6detail17trampoline_kernelINS0_14default_configENS1_25partition_config_selectorILNS1_17partition_subalgoE9EtjbEEZZNS1_14partition_implILS5_9ELb0ES3_jN6thrust23THRUST_200600_302600_NS6detail15normal_iteratorINS9_10device_ptrItEEEENSB_INSC_IjEEEEPNS0_10empty_typeENS0_5tupleIJNS9_16discard_iteratorINS9_11use_defaultEEESH_EEENSJ_IJSM_SI_EEENS0_18inequality_wrapperINS9_8equal_toItEEEEPmJSH_EEE10hipError_tPvRmT3_T4_T5_T6_T7_T9_mT8_P12ihipStream_tbDpT10_ENKUlT_T0_E_clISt17integral_constantIbLb1EES1D_EEDaS18_S19_EUlS18_E_NS1_11comp_targetILNS1_3genE0ELNS1_11target_archE4294967295ELNS1_3gpuE0ELNS1_3repE0EEENS1_30default_config_static_selectorELNS0_4arch9wavefront6targetE0EEEvT1_.kd
    .uniform_work_group_size: 1
    .uses_dynamic_stack: false
    .vgpr_count:     0
    .vgpr_spill_count: 0
    .wavefront_size: 32
    .workgroup_processor_mode: 1
  - .args:
      - .offset:         0
        .size:           144
        .value_kind:     by_value
    .group_segment_fixed_size: 0
    .kernarg_segment_align: 8
    .kernarg_segment_size: 144
    .language:       OpenCL C
    .language_version:
      - 2
      - 0
    .max_flat_workgroup_size: 512
    .name:           _ZN7rocprim17ROCPRIM_400000_NS6detail17trampoline_kernelINS0_14default_configENS1_25partition_config_selectorILNS1_17partition_subalgoE9EtjbEEZZNS1_14partition_implILS5_9ELb0ES3_jN6thrust23THRUST_200600_302600_NS6detail15normal_iteratorINS9_10device_ptrItEEEENSB_INSC_IjEEEEPNS0_10empty_typeENS0_5tupleIJNS9_16discard_iteratorINS9_11use_defaultEEESH_EEENSJ_IJSM_SI_EEENS0_18inequality_wrapperINS9_8equal_toItEEEEPmJSH_EEE10hipError_tPvRmT3_T4_T5_T6_T7_T9_mT8_P12ihipStream_tbDpT10_ENKUlT_T0_E_clISt17integral_constantIbLb1EES1D_EEDaS18_S19_EUlS18_E_NS1_11comp_targetILNS1_3genE5ELNS1_11target_archE942ELNS1_3gpuE9ELNS1_3repE0EEENS1_30default_config_static_selectorELNS0_4arch9wavefront6targetE0EEEvT1_
    .private_segment_fixed_size: 0
    .sgpr_count:     0
    .sgpr_spill_count: 0
    .symbol:         _ZN7rocprim17ROCPRIM_400000_NS6detail17trampoline_kernelINS0_14default_configENS1_25partition_config_selectorILNS1_17partition_subalgoE9EtjbEEZZNS1_14partition_implILS5_9ELb0ES3_jN6thrust23THRUST_200600_302600_NS6detail15normal_iteratorINS9_10device_ptrItEEEENSB_INSC_IjEEEEPNS0_10empty_typeENS0_5tupleIJNS9_16discard_iteratorINS9_11use_defaultEEESH_EEENSJ_IJSM_SI_EEENS0_18inequality_wrapperINS9_8equal_toItEEEEPmJSH_EEE10hipError_tPvRmT3_T4_T5_T6_T7_T9_mT8_P12ihipStream_tbDpT10_ENKUlT_T0_E_clISt17integral_constantIbLb1EES1D_EEDaS18_S19_EUlS18_E_NS1_11comp_targetILNS1_3genE5ELNS1_11target_archE942ELNS1_3gpuE9ELNS1_3repE0EEENS1_30default_config_static_selectorELNS0_4arch9wavefront6targetE0EEEvT1_.kd
    .uniform_work_group_size: 1
    .uses_dynamic_stack: false
    .vgpr_count:     0
    .vgpr_spill_count: 0
    .wavefront_size: 32
    .workgroup_processor_mode: 1
  - .args:
      - .offset:         0
        .size:           144
        .value_kind:     by_value
    .group_segment_fixed_size: 0
    .kernarg_segment_align: 8
    .kernarg_segment_size: 144
    .language:       OpenCL C
    .language_version:
      - 2
      - 0
    .max_flat_workgroup_size: 192
    .name:           _ZN7rocprim17ROCPRIM_400000_NS6detail17trampoline_kernelINS0_14default_configENS1_25partition_config_selectorILNS1_17partition_subalgoE9EtjbEEZZNS1_14partition_implILS5_9ELb0ES3_jN6thrust23THRUST_200600_302600_NS6detail15normal_iteratorINS9_10device_ptrItEEEENSB_INSC_IjEEEEPNS0_10empty_typeENS0_5tupleIJNS9_16discard_iteratorINS9_11use_defaultEEESH_EEENSJ_IJSM_SI_EEENS0_18inequality_wrapperINS9_8equal_toItEEEEPmJSH_EEE10hipError_tPvRmT3_T4_T5_T6_T7_T9_mT8_P12ihipStream_tbDpT10_ENKUlT_T0_E_clISt17integral_constantIbLb1EES1D_EEDaS18_S19_EUlS18_E_NS1_11comp_targetILNS1_3genE4ELNS1_11target_archE910ELNS1_3gpuE8ELNS1_3repE0EEENS1_30default_config_static_selectorELNS0_4arch9wavefront6targetE0EEEvT1_
    .private_segment_fixed_size: 0
    .sgpr_count:     0
    .sgpr_spill_count: 0
    .symbol:         _ZN7rocprim17ROCPRIM_400000_NS6detail17trampoline_kernelINS0_14default_configENS1_25partition_config_selectorILNS1_17partition_subalgoE9EtjbEEZZNS1_14partition_implILS5_9ELb0ES3_jN6thrust23THRUST_200600_302600_NS6detail15normal_iteratorINS9_10device_ptrItEEEENSB_INSC_IjEEEEPNS0_10empty_typeENS0_5tupleIJNS9_16discard_iteratorINS9_11use_defaultEEESH_EEENSJ_IJSM_SI_EEENS0_18inequality_wrapperINS9_8equal_toItEEEEPmJSH_EEE10hipError_tPvRmT3_T4_T5_T6_T7_T9_mT8_P12ihipStream_tbDpT10_ENKUlT_T0_E_clISt17integral_constantIbLb1EES1D_EEDaS18_S19_EUlS18_E_NS1_11comp_targetILNS1_3genE4ELNS1_11target_archE910ELNS1_3gpuE8ELNS1_3repE0EEENS1_30default_config_static_selectorELNS0_4arch9wavefront6targetE0EEEvT1_.kd
    .uniform_work_group_size: 1
    .uses_dynamic_stack: false
    .vgpr_count:     0
    .vgpr_spill_count: 0
    .wavefront_size: 32
    .workgroup_processor_mode: 1
  - .args:
      - .offset:         0
        .size:           144
        .value_kind:     by_value
    .group_segment_fixed_size: 0
    .kernarg_segment_align: 8
    .kernarg_segment_size: 144
    .language:       OpenCL C
    .language_version:
      - 2
      - 0
    .max_flat_workgroup_size: 256
    .name:           _ZN7rocprim17ROCPRIM_400000_NS6detail17trampoline_kernelINS0_14default_configENS1_25partition_config_selectorILNS1_17partition_subalgoE9EtjbEEZZNS1_14partition_implILS5_9ELb0ES3_jN6thrust23THRUST_200600_302600_NS6detail15normal_iteratorINS9_10device_ptrItEEEENSB_INSC_IjEEEEPNS0_10empty_typeENS0_5tupleIJNS9_16discard_iteratorINS9_11use_defaultEEESH_EEENSJ_IJSM_SI_EEENS0_18inequality_wrapperINS9_8equal_toItEEEEPmJSH_EEE10hipError_tPvRmT3_T4_T5_T6_T7_T9_mT8_P12ihipStream_tbDpT10_ENKUlT_T0_E_clISt17integral_constantIbLb1EES1D_EEDaS18_S19_EUlS18_E_NS1_11comp_targetILNS1_3genE3ELNS1_11target_archE908ELNS1_3gpuE7ELNS1_3repE0EEENS1_30default_config_static_selectorELNS0_4arch9wavefront6targetE0EEEvT1_
    .private_segment_fixed_size: 0
    .sgpr_count:     0
    .sgpr_spill_count: 0
    .symbol:         _ZN7rocprim17ROCPRIM_400000_NS6detail17trampoline_kernelINS0_14default_configENS1_25partition_config_selectorILNS1_17partition_subalgoE9EtjbEEZZNS1_14partition_implILS5_9ELb0ES3_jN6thrust23THRUST_200600_302600_NS6detail15normal_iteratorINS9_10device_ptrItEEEENSB_INSC_IjEEEEPNS0_10empty_typeENS0_5tupleIJNS9_16discard_iteratorINS9_11use_defaultEEESH_EEENSJ_IJSM_SI_EEENS0_18inequality_wrapperINS9_8equal_toItEEEEPmJSH_EEE10hipError_tPvRmT3_T4_T5_T6_T7_T9_mT8_P12ihipStream_tbDpT10_ENKUlT_T0_E_clISt17integral_constantIbLb1EES1D_EEDaS18_S19_EUlS18_E_NS1_11comp_targetILNS1_3genE3ELNS1_11target_archE908ELNS1_3gpuE7ELNS1_3repE0EEENS1_30default_config_static_selectorELNS0_4arch9wavefront6targetE0EEEvT1_.kd
    .uniform_work_group_size: 1
    .uses_dynamic_stack: false
    .vgpr_count:     0
    .vgpr_spill_count: 0
    .wavefront_size: 32
    .workgroup_processor_mode: 1
  - .args:
      - .offset:         0
        .size:           144
        .value_kind:     by_value
    .group_segment_fixed_size: 0
    .kernarg_segment_align: 8
    .kernarg_segment_size: 144
    .language:       OpenCL C
    .language_version:
      - 2
      - 0
    .max_flat_workgroup_size: 256
    .name:           _ZN7rocprim17ROCPRIM_400000_NS6detail17trampoline_kernelINS0_14default_configENS1_25partition_config_selectorILNS1_17partition_subalgoE9EtjbEEZZNS1_14partition_implILS5_9ELb0ES3_jN6thrust23THRUST_200600_302600_NS6detail15normal_iteratorINS9_10device_ptrItEEEENSB_INSC_IjEEEEPNS0_10empty_typeENS0_5tupleIJNS9_16discard_iteratorINS9_11use_defaultEEESH_EEENSJ_IJSM_SI_EEENS0_18inequality_wrapperINS9_8equal_toItEEEEPmJSH_EEE10hipError_tPvRmT3_T4_T5_T6_T7_T9_mT8_P12ihipStream_tbDpT10_ENKUlT_T0_E_clISt17integral_constantIbLb1EES1D_EEDaS18_S19_EUlS18_E_NS1_11comp_targetILNS1_3genE2ELNS1_11target_archE906ELNS1_3gpuE6ELNS1_3repE0EEENS1_30default_config_static_selectorELNS0_4arch9wavefront6targetE0EEEvT1_
    .private_segment_fixed_size: 0
    .sgpr_count:     0
    .sgpr_spill_count: 0
    .symbol:         _ZN7rocprim17ROCPRIM_400000_NS6detail17trampoline_kernelINS0_14default_configENS1_25partition_config_selectorILNS1_17partition_subalgoE9EtjbEEZZNS1_14partition_implILS5_9ELb0ES3_jN6thrust23THRUST_200600_302600_NS6detail15normal_iteratorINS9_10device_ptrItEEEENSB_INSC_IjEEEEPNS0_10empty_typeENS0_5tupleIJNS9_16discard_iteratorINS9_11use_defaultEEESH_EEENSJ_IJSM_SI_EEENS0_18inequality_wrapperINS9_8equal_toItEEEEPmJSH_EEE10hipError_tPvRmT3_T4_T5_T6_T7_T9_mT8_P12ihipStream_tbDpT10_ENKUlT_T0_E_clISt17integral_constantIbLb1EES1D_EEDaS18_S19_EUlS18_E_NS1_11comp_targetILNS1_3genE2ELNS1_11target_archE906ELNS1_3gpuE6ELNS1_3repE0EEENS1_30default_config_static_selectorELNS0_4arch9wavefront6targetE0EEEvT1_.kd
    .uniform_work_group_size: 1
    .uses_dynamic_stack: false
    .vgpr_count:     0
    .vgpr_spill_count: 0
    .wavefront_size: 32
    .workgroup_processor_mode: 1
  - .args:
      - .offset:         0
        .size:           144
        .value_kind:     by_value
    .group_segment_fixed_size: 0
    .kernarg_segment_align: 8
    .kernarg_segment_size: 144
    .language:       OpenCL C
    .language_version:
      - 2
      - 0
    .max_flat_workgroup_size: 512
    .name:           _ZN7rocprim17ROCPRIM_400000_NS6detail17trampoline_kernelINS0_14default_configENS1_25partition_config_selectorILNS1_17partition_subalgoE9EtjbEEZZNS1_14partition_implILS5_9ELb0ES3_jN6thrust23THRUST_200600_302600_NS6detail15normal_iteratorINS9_10device_ptrItEEEENSB_INSC_IjEEEEPNS0_10empty_typeENS0_5tupleIJNS9_16discard_iteratorINS9_11use_defaultEEESH_EEENSJ_IJSM_SI_EEENS0_18inequality_wrapperINS9_8equal_toItEEEEPmJSH_EEE10hipError_tPvRmT3_T4_T5_T6_T7_T9_mT8_P12ihipStream_tbDpT10_ENKUlT_T0_E_clISt17integral_constantIbLb1EES1D_EEDaS18_S19_EUlS18_E_NS1_11comp_targetILNS1_3genE10ELNS1_11target_archE1200ELNS1_3gpuE4ELNS1_3repE0EEENS1_30default_config_static_selectorELNS0_4arch9wavefront6targetE0EEEvT1_
    .private_segment_fixed_size: 0
    .sgpr_count:     0
    .sgpr_spill_count: 0
    .symbol:         _ZN7rocprim17ROCPRIM_400000_NS6detail17trampoline_kernelINS0_14default_configENS1_25partition_config_selectorILNS1_17partition_subalgoE9EtjbEEZZNS1_14partition_implILS5_9ELb0ES3_jN6thrust23THRUST_200600_302600_NS6detail15normal_iteratorINS9_10device_ptrItEEEENSB_INSC_IjEEEEPNS0_10empty_typeENS0_5tupleIJNS9_16discard_iteratorINS9_11use_defaultEEESH_EEENSJ_IJSM_SI_EEENS0_18inequality_wrapperINS9_8equal_toItEEEEPmJSH_EEE10hipError_tPvRmT3_T4_T5_T6_T7_T9_mT8_P12ihipStream_tbDpT10_ENKUlT_T0_E_clISt17integral_constantIbLb1EES1D_EEDaS18_S19_EUlS18_E_NS1_11comp_targetILNS1_3genE10ELNS1_11target_archE1200ELNS1_3gpuE4ELNS1_3repE0EEENS1_30default_config_static_selectorELNS0_4arch9wavefront6targetE0EEEvT1_.kd
    .uniform_work_group_size: 1
    .uses_dynamic_stack: false
    .vgpr_count:     0
    .vgpr_spill_count: 0
    .wavefront_size: 32
    .workgroup_processor_mode: 1
  - .args:
      - .offset:         0
        .size:           144
        .value_kind:     by_value
    .group_segment_fixed_size: 5640
    .kernarg_segment_align: 8
    .kernarg_segment_size: 144
    .language:       OpenCL C
    .language_version:
      - 2
      - 0
    .max_flat_workgroup_size: 128
    .name:           _ZN7rocprim17ROCPRIM_400000_NS6detail17trampoline_kernelINS0_14default_configENS1_25partition_config_selectorILNS1_17partition_subalgoE9EtjbEEZZNS1_14partition_implILS5_9ELb0ES3_jN6thrust23THRUST_200600_302600_NS6detail15normal_iteratorINS9_10device_ptrItEEEENSB_INSC_IjEEEEPNS0_10empty_typeENS0_5tupleIJNS9_16discard_iteratorINS9_11use_defaultEEESH_EEENSJ_IJSM_SI_EEENS0_18inequality_wrapperINS9_8equal_toItEEEEPmJSH_EEE10hipError_tPvRmT3_T4_T5_T6_T7_T9_mT8_P12ihipStream_tbDpT10_ENKUlT_T0_E_clISt17integral_constantIbLb1EES1D_EEDaS18_S19_EUlS18_E_NS1_11comp_targetILNS1_3genE9ELNS1_11target_archE1100ELNS1_3gpuE3ELNS1_3repE0EEENS1_30default_config_static_selectorELNS0_4arch9wavefront6targetE0EEEvT1_
    .private_segment_fixed_size: 0
    .sgpr_count:     26
    .sgpr_spill_count: 0
    .symbol:         _ZN7rocprim17ROCPRIM_400000_NS6detail17trampoline_kernelINS0_14default_configENS1_25partition_config_selectorILNS1_17partition_subalgoE9EtjbEEZZNS1_14partition_implILS5_9ELb0ES3_jN6thrust23THRUST_200600_302600_NS6detail15normal_iteratorINS9_10device_ptrItEEEENSB_INSC_IjEEEEPNS0_10empty_typeENS0_5tupleIJNS9_16discard_iteratorINS9_11use_defaultEEESH_EEENSJ_IJSM_SI_EEENS0_18inequality_wrapperINS9_8equal_toItEEEEPmJSH_EEE10hipError_tPvRmT3_T4_T5_T6_T7_T9_mT8_P12ihipStream_tbDpT10_ENKUlT_T0_E_clISt17integral_constantIbLb1EES1D_EEDaS18_S19_EUlS18_E_NS1_11comp_targetILNS1_3genE9ELNS1_11target_archE1100ELNS1_3gpuE3ELNS1_3repE0EEENS1_30default_config_static_selectorELNS0_4arch9wavefront6targetE0EEEvT1_.kd
    .uniform_work_group_size: 1
    .uses_dynamic_stack: false
    .vgpr_count:     63
    .vgpr_spill_count: 0
    .wavefront_size: 32
    .workgroup_processor_mode: 1
  - .args:
      - .offset:         0
        .size:           144
        .value_kind:     by_value
    .group_segment_fixed_size: 0
    .kernarg_segment_align: 8
    .kernarg_segment_size: 144
    .language:       OpenCL C
    .language_version:
      - 2
      - 0
    .max_flat_workgroup_size: 512
    .name:           _ZN7rocprim17ROCPRIM_400000_NS6detail17trampoline_kernelINS0_14default_configENS1_25partition_config_selectorILNS1_17partition_subalgoE9EtjbEEZZNS1_14partition_implILS5_9ELb0ES3_jN6thrust23THRUST_200600_302600_NS6detail15normal_iteratorINS9_10device_ptrItEEEENSB_INSC_IjEEEEPNS0_10empty_typeENS0_5tupleIJNS9_16discard_iteratorINS9_11use_defaultEEESH_EEENSJ_IJSM_SI_EEENS0_18inequality_wrapperINS9_8equal_toItEEEEPmJSH_EEE10hipError_tPvRmT3_T4_T5_T6_T7_T9_mT8_P12ihipStream_tbDpT10_ENKUlT_T0_E_clISt17integral_constantIbLb1EES1D_EEDaS18_S19_EUlS18_E_NS1_11comp_targetILNS1_3genE8ELNS1_11target_archE1030ELNS1_3gpuE2ELNS1_3repE0EEENS1_30default_config_static_selectorELNS0_4arch9wavefront6targetE0EEEvT1_
    .private_segment_fixed_size: 0
    .sgpr_count:     0
    .sgpr_spill_count: 0
    .symbol:         _ZN7rocprim17ROCPRIM_400000_NS6detail17trampoline_kernelINS0_14default_configENS1_25partition_config_selectorILNS1_17partition_subalgoE9EtjbEEZZNS1_14partition_implILS5_9ELb0ES3_jN6thrust23THRUST_200600_302600_NS6detail15normal_iteratorINS9_10device_ptrItEEEENSB_INSC_IjEEEEPNS0_10empty_typeENS0_5tupleIJNS9_16discard_iteratorINS9_11use_defaultEEESH_EEENSJ_IJSM_SI_EEENS0_18inequality_wrapperINS9_8equal_toItEEEEPmJSH_EEE10hipError_tPvRmT3_T4_T5_T6_T7_T9_mT8_P12ihipStream_tbDpT10_ENKUlT_T0_E_clISt17integral_constantIbLb1EES1D_EEDaS18_S19_EUlS18_E_NS1_11comp_targetILNS1_3genE8ELNS1_11target_archE1030ELNS1_3gpuE2ELNS1_3repE0EEENS1_30default_config_static_selectorELNS0_4arch9wavefront6targetE0EEEvT1_.kd
    .uniform_work_group_size: 1
    .uses_dynamic_stack: false
    .vgpr_count:     0
    .vgpr_spill_count: 0
    .wavefront_size: 32
    .workgroup_processor_mode: 1
  - .args:
      - .offset:         0
        .size:           128
        .value_kind:     by_value
    .group_segment_fixed_size: 0
    .kernarg_segment_align: 8
    .kernarg_segment_size: 128
    .language:       OpenCL C
    .language_version:
      - 2
      - 0
    .max_flat_workgroup_size: 256
    .name:           _ZN7rocprim17ROCPRIM_400000_NS6detail17trampoline_kernelINS0_14default_configENS1_25partition_config_selectorILNS1_17partition_subalgoE9EtjbEEZZNS1_14partition_implILS5_9ELb0ES3_jN6thrust23THRUST_200600_302600_NS6detail15normal_iteratorINS9_10device_ptrItEEEENSB_INSC_IjEEEEPNS0_10empty_typeENS0_5tupleIJNS9_16discard_iteratorINS9_11use_defaultEEESH_EEENSJ_IJSM_SI_EEENS0_18inequality_wrapperINS9_8equal_toItEEEEPmJSH_EEE10hipError_tPvRmT3_T4_T5_T6_T7_T9_mT8_P12ihipStream_tbDpT10_ENKUlT_T0_E_clISt17integral_constantIbLb1EES1C_IbLb0EEEEDaS18_S19_EUlS18_E_NS1_11comp_targetILNS1_3genE0ELNS1_11target_archE4294967295ELNS1_3gpuE0ELNS1_3repE0EEENS1_30default_config_static_selectorELNS0_4arch9wavefront6targetE0EEEvT1_
    .private_segment_fixed_size: 0
    .sgpr_count:     0
    .sgpr_spill_count: 0
    .symbol:         _ZN7rocprim17ROCPRIM_400000_NS6detail17trampoline_kernelINS0_14default_configENS1_25partition_config_selectorILNS1_17partition_subalgoE9EtjbEEZZNS1_14partition_implILS5_9ELb0ES3_jN6thrust23THRUST_200600_302600_NS6detail15normal_iteratorINS9_10device_ptrItEEEENSB_INSC_IjEEEEPNS0_10empty_typeENS0_5tupleIJNS9_16discard_iteratorINS9_11use_defaultEEESH_EEENSJ_IJSM_SI_EEENS0_18inequality_wrapperINS9_8equal_toItEEEEPmJSH_EEE10hipError_tPvRmT3_T4_T5_T6_T7_T9_mT8_P12ihipStream_tbDpT10_ENKUlT_T0_E_clISt17integral_constantIbLb1EES1C_IbLb0EEEEDaS18_S19_EUlS18_E_NS1_11comp_targetILNS1_3genE0ELNS1_11target_archE4294967295ELNS1_3gpuE0ELNS1_3repE0EEENS1_30default_config_static_selectorELNS0_4arch9wavefront6targetE0EEEvT1_.kd
    .uniform_work_group_size: 1
    .uses_dynamic_stack: false
    .vgpr_count:     0
    .vgpr_spill_count: 0
    .wavefront_size: 32
    .workgroup_processor_mode: 1
  - .args:
      - .offset:         0
        .size:           128
        .value_kind:     by_value
    .group_segment_fixed_size: 0
    .kernarg_segment_align: 8
    .kernarg_segment_size: 128
    .language:       OpenCL C
    .language_version:
      - 2
      - 0
    .max_flat_workgroup_size: 512
    .name:           _ZN7rocprim17ROCPRIM_400000_NS6detail17trampoline_kernelINS0_14default_configENS1_25partition_config_selectorILNS1_17partition_subalgoE9EtjbEEZZNS1_14partition_implILS5_9ELb0ES3_jN6thrust23THRUST_200600_302600_NS6detail15normal_iteratorINS9_10device_ptrItEEEENSB_INSC_IjEEEEPNS0_10empty_typeENS0_5tupleIJNS9_16discard_iteratorINS9_11use_defaultEEESH_EEENSJ_IJSM_SI_EEENS0_18inequality_wrapperINS9_8equal_toItEEEEPmJSH_EEE10hipError_tPvRmT3_T4_T5_T6_T7_T9_mT8_P12ihipStream_tbDpT10_ENKUlT_T0_E_clISt17integral_constantIbLb1EES1C_IbLb0EEEEDaS18_S19_EUlS18_E_NS1_11comp_targetILNS1_3genE5ELNS1_11target_archE942ELNS1_3gpuE9ELNS1_3repE0EEENS1_30default_config_static_selectorELNS0_4arch9wavefront6targetE0EEEvT1_
    .private_segment_fixed_size: 0
    .sgpr_count:     0
    .sgpr_spill_count: 0
    .symbol:         _ZN7rocprim17ROCPRIM_400000_NS6detail17trampoline_kernelINS0_14default_configENS1_25partition_config_selectorILNS1_17partition_subalgoE9EtjbEEZZNS1_14partition_implILS5_9ELb0ES3_jN6thrust23THRUST_200600_302600_NS6detail15normal_iteratorINS9_10device_ptrItEEEENSB_INSC_IjEEEEPNS0_10empty_typeENS0_5tupleIJNS9_16discard_iteratorINS9_11use_defaultEEESH_EEENSJ_IJSM_SI_EEENS0_18inequality_wrapperINS9_8equal_toItEEEEPmJSH_EEE10hipError_tPvRmT3_T4_T5_T6_T7_T9_mT8_P12ihipStream_tbDpT10_ENKUlT_T0_E_clISt17integral_constantIbLb1EES1C_IbLb0EEEEDaS18_S19_EUlS18_E_NS1_11comp_targetILNS1_3genE5ELNS1_11target_archE942ELNS1_3gpuE9ELNS1_3repE0EEENS1_30default_config_static_selectorELNS0_4arch9wavefront6targetE0EEEvT1_.kd
    .uniform_work_group_size: 1
    .uses_dynamic_stack: false
    .vgpr_count:     0
    .vgpr_spill_count: 0
    .wavefront_size: 32
    .workgroup_processor_mode: 1
  - .args:
      - .offset:         0
        .size:           128
        .value_kind:     by_value
    .group_segment_fixed_size: 0
    .kernarg_segment_align: 8
    .kernarg_segment_size: 128
    .language:       OpenCL C
    .language_version:
      - 2
      - 0
    .max_flat_workgroup_size: 192
    .name:           _ZN7rocprim17ROCPRIM_400000_NS6detail17trampoline_kernelINS0_14default_configENS1_25partition_config_selectorILNS1_17partition_subalgoE9EtjbEEZZNS1_14partition_implILS5_9ELb0ES3_jN6thrust23THRUST_200600_302600_NS6detail15normal_iteratorINS9_10device_ptrItEEEENSB_INSC_IjEEEEPNS0_10empty_typeENS0_5tupleIJNS9_16discard_iteratorINS9_11use_defaultEEESH_EEENSJ_IJSM_SI_EEENS0_18inequality_wrapperINS9_8equal_toItEEEEPmJSH_EEE10hipError_tPvRmT3_T4_T5_T6_T7_T9_mT8_P12ihipStream_tbDpT10_ENKUlT_T0_E_clISt17integral_constantIbLb1EES1C_IbLb0EEEEDaS18_S19_EUlS18_E_NS1_11comp_targetILNS1_3genE4ELNS1_11target_archE910ELNS1_3gpuE8ELNS1_3repE0EEENS1_30default_config_static_selectorELNS0_4arch9wavefront6targetE0EEEvT1_
    .private_segment_fixed_size: 0
    .sgpr_count:     0
    .sgpr_spill_count: 0
    .symbol:         _ZN7rocprim17ROCPRIM_400000_NS6detail17trampoline_kernelINS0_14default_configENS1_25partition_config_selectorILNS1_17partition_subalgoE9EtjbEEZZNS1_14partition_implILS5_9ELb0ES3_jN6thrust23THRUST_200600_302600_NS6detail15normal_iteratorINS9_10device_ptrItEEEENSB_INSC_IjEEEEPNS0_10empty_typeENS0_5tupleIJNS9_16discard_iteratorINS9_11use_defaultEEESH_EEENSJ_IJSM_SI_EEENS0_18inequality_wrapperINS9_8equal_toItEEEEPmJSH_EEE10hipError_tPvRmT3_T4_T5_T6_T7_T9_mT8_P12ihipStream_tbDpT10_ENKUlT_T0_E_clISt17integral_constantIbLb1EES1C_IbLb0EEEEDaS18_S19_EUlS18_E_NS1_11comp_targetILNS1_3genE4ELNS1_11target_archE910ELNS1_3gpuE8ELNS1_3repE0EEENS1_30default_config_static_selectorELNS0_4arch9wavefront6targetE0EEEvT1_.kd
    .uniform_work_group_size: 1
    .uses_dynamic_stack: false
    .vgpr_count:     0
    .vgpr_spill_count: 0
    .wavefront_size: 32
    .workgroup_processor_mode: 1
  - .args:
      - .offset:         0
        .size:           128
        .value_kind:     by_value
    .group_segment_fixed_size: 0
    .kernarg_segment_align: 8
    .kernarg_segment_size: 128
    .language:       OpenCL C
    .language_version:
      - 2
      - 0
    .max_flat_workgroup_size: 256
    .name:           _ZN7rocprim17ROCPRIM_400000_NS6detail17trampoline_kernelINS0_14default_configENS1_25partition_config_selectorILNS1_17partition_subalgoE9EtjbEEZZNS1_14partition_implILS5_9ELb0ES3_jN6thrust23THRUST_200600_302600_NS6detail15normal_iteratorINS9_10device_ptrItEEEENSB_INSC_IjEEEEPNS0_10empty_typeENS0_5tupleIJNS9_16discard_iteratorINS9_11use_defaultEEESH_EEENSJ_IJSM_SI_EEENS0_18inequality_wrapperINS9_8equal_toItEEEEPmJSH_EEE10hipError_tPvRmT3_T4_T5_T6_T7_T9_mT8_P12ihipStream_tbDpT10_ENKUlT_T0_E_clISt17integral_constantIbLb1EES1C_IbLb0EEEEDaS18_S19_EUlS18_E_NS1_11comp_targetILNS1_3genE3ELNS1_11target_archE908ELNS1_3gpuE7ELNS1_3repE0EEENS1_30default_config_static_selectorELNS0_4arch9wavefront6targetE0EEEvT1_
    .private_segment_fixed_size: 0
    .sgpr_count:     0
    .sgpr_spill_count: 0
    .symbol:         _ZN7rocprim17ROCPRIM_400000_NS6detail17trampoline_kernelINS0_14default_configENS1_25partition_config_selectorILNS1_17partition_subalgoE9EtjbEEZZNS1_14partition_implILS5_9ELb0ES3_jN6thrust23THRUST_200600_302600_NS6detail15normal_iteratorINS9_10device_ptrItEEEENSB_INSC_IjEEEEPNS0_10empty_typeENS0_5tupleIJNS9_16discard_iteratorINS9_11use_defaultEEESH_EEENSJ_IJSM_SI_EEENS0_18inequality_wrapperINS9_8equal_toItEEEEPmJSH_EEE10hipError_tPvRmT3_T4_T5_T6_T7_T9_mT8_P12ihipStream_tbDpT10_ENKUlT_T0_E_clISt17integral_constantIbLb1EES1C_IbLb0EEEEDaS18_S19_EUlS18_E_NS1_11comp_targetILNS1_3genE3ELNS1_11target_archE908ELNS1_3gpuE7ELNS1_3repE0EEENS1_30default_config_static_selectorELNS0_4arch9wavefront6targetE0EEEvT1_.kd
    .uniform_work_group_size: 1
    .uses_dynamic_stack: false
    .vgpr_count:     0
    .vgpr_spill_count: 0
    .wavefront_size: 32
    .workgroup_processor_mode: 1
  - .args:
      - .offset:         0
        .size:           128
        .value_kind:     by_value
    .group_segment_fixed_size: 0
    .kernarg_segment_align: 8
    .kernarg_segment_size: 128
    .language:       OpenCL C
    .language_version:
      - 2
      - 0
    .max_flat_workgroup_size: 256
    .name:           _ZN7rocprim17ROCPRIM_400000_NS6detail17trampoline_kernelINS0_14default_configENS1_25partition_config_selectorILNS1_17partition_subalgoE9EtjbEEZZNS1_14partition_implILS5_9ELb0ES3_jN6thrust23THRUST_200600_302600_NS6detail15normal_iteratorINS9_10device_ptrItEEEENSB_INSC_IjEEEEPNS0_10empty_typeENS0_5tupleIJNS9_16discard_iteratorINS9_11use_defaultEEESH_EEENSJ_IJSM_SI_EEENS0_18inequality_wrapperINS9_8equal_toItEEEEPmJSH_EEE10hipError_tPvRmT3_T4_T5_T6_T7_T9_mT8_P12ihipStream_tbDpT10_ENKUlT_T0_E_clISt17integral_constantIbLb1EES1C_IbLb0EEEEDaS18_S19_EUlS18_E_NS1_11comp_targetILNS1_3genE2ELNS1_11target_archE906ELNS1_3gpuE6ELNS1_3repE0EEENS1_30default_config_static_selectorELNS0_4arch9wavefront6targetE0EEEvT1_
    .private_segment_fixed_size: 0
    .sgpr_count:     0
    .sgpr_spill_count: 0
    .symbol:         _ZN7rocprim17ROCPRIM_400000_NS6detail17trampoline_kernelINS0_14default_configENS1_25partition_config_selectorILNS1_17partition_subalgoE9EtjbEEZZNS1_14partition_implILS5_9ELb0ES3_jN6thrust23THRUST_200600_302600_NS6detail15normal_iteratorINS9_10device_ptrItEEEENSB_INSC_IjEEEEPNS0_10empty_typeENS0_5tupleIJNS9_16discard_iteratorINS9_11use_defaultEEESH_EEENSJ_IJSM_SI_EEENS0_18inequality_wrapperINS9_8equal_toItEEEEPmJSH_EEE10hipError_tPvRmT3_T4_T5_T6_T7_T9_mT8_P12ihipStream_tbDpT10_ENKUlT_T0_E_clISt17integral_constantIbLb1EES1C_IbLb0EEEEDaS18_S19_EUlS18_E_NS1_11comp_targetILNS1_3genE2ELNS1_11target_archE906ELNS1_3gpuE6ELNS1_3repE0EEENS1_30default_config_static_selectorELNS0_4arch9wavefront6targetE0EEEvT1_.kd
    .uniform_work_group_size: 1
    .uses_dynamic_stack: false
    .vgpr_count:     0
    .vgpr_spill_count: 0
    .wavefront_size: 32
    .workgroup_processor_mode: 1
  - .args:
      - .offset:         0
        .size:           128
        .value_kind:     by_value
    .group_segment_fixed_size: 0
    .kernarg_segment_align: 8
    .kernarg_segment_size: 128
    .language:       OpenCL C
    .language_version:
      - 2
      - 0
    .max_flat_workgroup_size: 512
    .name:           _ZN7rocprim17ROCPRIM_400000_NS6detail17trampoline_kernelINS0_14default_configENS1_25partition_config_selectorILNS1_17partition_subalgoE9EtjbEEZZNS1_14partition_implILS5_9ELb0ES3_jN6thrust23THRUST_200600_302600_NS6detail15normal_iteratorINS9_10device_ptrItEEEENSB_INSC_IjEEEEPNS0_10empty_typeENS0_5tupleIJNS9_16discard_iteratorINS9_11use_defaultEEESH_EEENSJ_IJSM_SI_EEENS0_18inequality_wrapperINS9_8equal_toItEEEEPmJSH_EEE10hipError_tPvRmT3_T4_T5_T6_T7_T9_mT8_P12ihipStream_tbDpT10_ENKUlT_T0_E_clISt17integral_constantIbLb1EES1C_IbLb0EEEEDaS18_S19_EUlS18_E_NS1_11comp_targetILNS1_3genE10ELNS1_11target_archE1200ELNS1_3gpuE4ELNS1_3repE0EEENS1_30default_config_static_selectorELNS0_4arch9wavefront6targetE0EEEvT1_
    .private_segment_fixed_size: 0
    .sgpr_count:     0
    .sgpr_spill_count: 0
    .symbol:         _ZN7rocprim17ROCPRIM_400000_NS6detail17trampoline_kernelINS0_14default_configENS1_25partition_config_selectorILNS1_17partition_subalgoE9EtjbEEZZNS1_14partition_implILS5_9ELb0ES3_jN6thrust23THRUST_200600_302600_NS6detail15normal_iteratorINS9_10device_ptrItEEEENSB_INSC_IjEEEEPNS0_10empty_typeENS0_5tupleIJNS9_16discard_iteratorINS9_11use_defaultEEESH_EEENSJ_IJSM_SI_EEENS0_18inequality_wrapperINS9_8equal_toItEEEEPmJSH_EEE10hipError_tPvRmT3_T4_T5_T6_T7_T9_mT8_P12ihipStream_tbDpT10_ENKUlT_T0_E_clISt17integral_constantIbLb1EES1C_IbLb0EEEEDaS18_S19_EUlS18_E_NS1_11comp_targetILNS1_3genE10ELNS1_11target_archE1200ELNS1_3gpuE4ELNS1_3repE0EEENS1_30default_config_static_selectorELNS0_4arch9wavefront6targetE0EEEvT1_.kd
    .uniform_work_group_size: 1
    .uses_dynamic_stack: false
    .vgpr_count:     0
    .vgpr_spill_count: 0
    .wavefront_size: 32
    .workgroup_processor_mode: 1
  - .args:
      - .offset:         0
        .size:           128
        .value_kind:     by_value
    .group_segment_fixed_size: 5640
    .kernarg_segment_align: 8
    .kernarg_segment_size: 128
    .language:       OpenCL C
    .language_version:
      - 2
      - 0
    .max_flat_workgroup_size: 128
    .name:           _ZN7rocprim17ROCPRIM_400000_NS6detail17trampoline_kernelINS0_14default_configENS1_25partition_config_selectorILNS1_17partition_subalgoE9EtjbEEZZNS1_14partition_implILS5_9ELb0ES3_jN6thrust23THRUST_200600_302600_NS6detail15normal_iteratorINS9_10device_ptrItEEEENSB_INSC_IjEEEEPNS0_10empty_typeENS0_5tupleIJNS9_16discard_iteratorINS9_11use_defaultEEESH_EEENSJ_IJSM_SI_EEENS0_18inequality_wrapperINS9_8equal_toItEEEEPmJSH_EEE10hipError_tPvRmT3_T4_T5_T6_T7_T9_mT8_P12ihipStream_tbDpT10_ENKUlT_T0_E_clISt17integral_constantIbLb1EES1C_IbLb0EEEEDaS18_S19_EUlS18_E_NS1_11comp_targetILNS1_3genE9ELNS1_11target_archE1100ELNS1_3gpuE3ELNS1_3repE0EEENS1_30default_config_static_selectorELNS0_4arch9wavefront6targetE0EEEvT1_
    .private_segment_fixed_size: 0
    .sgpr_count:     25
    .sgpr_spill_count: 0
    .symbol:         _ZN7rocprim17ROCPRIM_400000_NS6detail17trampoline_kernelINS0_14default_configENS1_25partition_config_selectorILNS1_17partition_subalgoE9EtjbEEZZNS1_14partition_implILS5_9ELb0ES3_jN6thrust23THRUST_200600_302600_NS6detail15normal_iteratorINS9_10device_ptrItEEEENSB_INSC_IjEEEEPNS0_10empty_typeENS0_5tupleIJNS9_16discard_iteratorINS9_11use_defaultEEESH_EEENSJ_IJSM_SI_EEENS0_18inequality_wrapperINS9_8equal_toItEEEEPmJSH_EEE10hipError_tPvRmT3_T4_T5_T6_T7_T9_mT8_P12ihipStream_tbDpT10_ENKUlT_T0_E_clISt17integral_constantIbLb1EES1C_IbLb0EEEEDaS18_S19_EUlS18_E_NS1_11comp_targetILNS1_3genE9ELNS1_11target_archE1100ELNS1_3gpuE3ELNS1_3repE0EEENS1_30default_config_static_selectorELNS0_4arch9wavefront6targetE0EEEvT1_.kd
    .uniform_work_group_size: 1
    .uses_dynamic_stack: false
    .vgpr_count:     61
    .vgpr_spill_count: 0
    .wavefront_size: 32
    .workgroup_processor_mode: 1
  - .args:
      - .offset:         0
        .size:           128
        .value_kind:     by_value
    .group_segment_fixed_size: 0
    .kernarg_segment_align: 8
    .kernarg_segment_size: 128
    .language:       OpenCL C
    .language_version:
      - 2
      - 0
    .max_flat_workgroup_size: 512
    .name:           _ZN7rocprim17ROCPRIM_400000_NS6detail17trampoline_kernelINS0_14default_configENS1_25partition_config_selectorILNS1_17partition_subalgoE9EtjbEEZZNS1_14partition_implILS5_9ELb0ES3_jN6thrust23THRUST_200600_302600_NS6detail15normal_iteratorINS9_10device_ptrItEEEENSB_INSC_IjEEEEPNS0_10empty_typeENS0_5tupleIJNS9_16discard_iteratorINS9_11use_defaultEEESH_EEENSJ_IJSM_SI_EEENS0_18inequality_wrapperINS9_8equal_toItEEEEPmJSH_EEE10hipError_tPvRmT3_T4_T5_T6_T7_T9_mT8_P12ihipStream_tbDpT10_ENKUlT_T0_E_clISt17integral_constantIbLb1EES1C_IbLb0EEEEDaS18_S19_EUlS18_E_NS1_11comp_targetILNS1_3genE8ELNS1_11target_archE1030ELNS1_3gpuE2ELNS1_3repE0EEENS1_30default_config_static_selectorELNS0_4arch9wavefront6targetE0EEEvT1_
    .private_segment_fixed_size: 0
    .sgpr_count:     0
    .sgpr_spill_count: 0
    .symbol:         _ZN7rocprim17ROCPRIM_400000_NS6detail17trampoline_kernelINS0_14default_configENS1_25partition_config_selectorILNS1_17partition_subalgoE9EtjbEEZZNS1_14partition_implILS5_9ELb0ES3_jN6thrust23THRUST_200600_302600_NS6detail15normal_iteratorINS9_10device_ptrItEEEENSB_INSC_IjEEEEPNS0_10empty_typeENS0_5tupleIJNS9_16discard_iteratorINS9_11use_defaultEEESH_EEENSJ_IJSM_SI_EEENS0_18inequality_wrapperINS9_8equal_toItEEEEPmJSH_EEE10hipError_tPvRmT3_T4_T5_T6_T7_T9_mT8_P12ihipStream_tbDpT10_ENKUlT_T0_E_clISt17integral_constantIbLb1EES1C_IbLb0EEEEDaS18_S19_EUlS18_E_NS1_11comp_targetILNS1_3genE8ELNS1_11target_archE1030ELNS1_3gpuE2ELNS1_3repE0EEENS1_30default_config_static_selectorELNS0_4arch9wavefront6targetE0EEEvT1_.kd
    .uniform_work_group_size: 1
    .uses_dynamic_stack: false
    .vgpr_count:     0
    .vgpr_spill_count: 0
    .wavefront_size: 32
    .workgroup_processor_mode: 1
  - .args:
      - .offset:         0
        .size:           144
        .value_kind:     by_value
    .group_segment_fixed_size: 0
    .kernarg_segment_align: 8
    .kernarg_segment_size: 144
    .language:       OpenCL C
    .language_version:
      - 2
      - 0
    .max_flat_workgroup_size: 256
    .name:           _ZN7rocprim17ROCPRIM_400000_NS6detail17trampoline_kernelINS0_14default_configENS1_25partition_config_selectorILNS1_17partition_subalgoE9EtjbEEZZNS1_14partition_implILS5_9ELb0ES3_jN6thrust23THRUST_200600_302600_NS6detail15normal_iteratorINS9_10device_ptrItEEEENSB_INSC_IjEEEEPNS0_10empty_typeENS0_5tupleIJNS9_16discard_iteratorINS9_11use_defaultEEESH_EEENSJ_IJSM_SI_EEENS0_18inequality_wrapperINS9_8equal_toItEEEEPmJSH_EEE10hipError_tPvRmT3_T4_T5_T6_T7_T9_mT8_P12ihipStream_tbDpT10_ENKUlT_T0_E_clISt17integral_constantIbLb0EES1C_IbLb1EEEEDaS18_S19_EUlS18_E_NS1_11comp_targetILNS1_3genE0ELNS1_11target_archE4294967295ELNS1_3gpuE0ELNS1_3repE0EEENS1_30default_config_static_selectorELNS0_4arch9wavefront6targetE0EEEvT1_
    .private_segment_fixed_size: 0
    .sgpr_count:     0
    .sgpr_spill_count: 0
    .symbol:         _ZN7rocprim17ROCPRIM_400000_NS6detail17trampoline_kernelINS0_14default_configENS1_25partition_config_selectorILNS1_17partition_subalgoE9EtjbEEZZNS1_14partition_implILS5_9ELb0ES3_jN6thrust23THRUST_200600_302600_NS6detail15normal_iteratorINS9_10device_ptrItEEEENSB_INSC_IjEEEEPNS0_10empty_typeENS0_5tupleIJNS9_16discard_iteratorINS9_11use_defaultEEESH_EEENSJ_IJSM_SI_EEENS0_18inequality_wrapperINS9_8equal_toItEEEEPmJSH_EEE10hipError_tPvRmT3_T4_T5_T6_T7_T9_mT8_P12ihipStream_tbDpT10_ENKUlT_T0_E_clISt17integral_constantIbLb0EES1C_IbLb1EEEEDaS18_S19_EUlS18_E_NS1_11comp_targetILNS1_3genE0ELNS1_11target_archE4294967295ELNS1_3gpuE0ELNS1_3repE0EEENS1_30default_config_static_selectorELNS0_4arch9wavefront6targetE0EEEvT1_.kd
    .uniform_work_group_size: 1
    .uses_dynamic_stack: false
    .vgpr_count:     0
    .vgpr_spill_count: 0
    .wavefront_size: 32
    .workgroup_processor_mode: 1
  - .args:
      - .offset:         0
        .size:           144
        .value_kind:     by_value
    .group_segment_fixed_size: 0
    .kernarg_segment_align: 8
    .kernarg_segment_size: 144
    .language:       OpenCL C
    .language_version:
      - 2
      - 0
    .max_flat_workgroup_size: 512
    .name:           _ZN7rocprim17ROCPRIM_400000_NS6detail17trampoline_kernelINS0_14default_configENS1_25partition_config_selectorILNS1_17partition_subalgoE9EtjbEEZZNS1_14partition_implILS5_9ELb0ES3_jN6thrust23THRUST_200600_302600_NS6detail15normal_iteratorINS9_10device_ptrItEEEENSB_INSC_IjEEEEPNS0_10empty_typeENS0_5tupleIJNS9_16discard_iteratorINS9_11use_defaultEEESH_EEENSJ_IJSM_SI_EEENS0_18inequality_wrapperINS9_8equal_toItEEEEPmJSH_EEE10hipError_tPvRmT3_T4_T5_T6_T7_T9_mT8_P12ihipStream_tbDpT10_ENKUlT_T0_E_clISt17integral_constantIbLb0EES1C_IbLb1EEEEDaS18_S19_EUlS18_E_NS1_11comp_targetILNS1_3genE5ELNS1_11target_archE942ELNS1_3gpuE9ELNS1_3repE0EEENS1_30default_config_static_selectorELNS0_4arch9wavefront6targetE0EEEvT1_
    .private_segment_fixed_size: 0
    .sgpr_count:     0
    .sgpr_spill_count: 0
    .symbol:         _ZN7rocprim17ROCPRIM_400000_NS6detail17trampoline_kernelINS0_14default_configENS1_25partition_config_selectorILNS1_17partition_subalgoE9EtjbEEZZNS1_14partition_implILS5_9ELb0ES3_jN6thrust23THRUST_200600_302600_NS6detail15normal_iteratorINS9_10device_ptrItEEEENSB_INSC_IjEEEEPNS0_10empty_typeENS0_5tupleIJNS9_16discard_iteratorINS9_11use_defaultEEESH_EEENSJ_IJSM_SI_EEENS0_18inequality_wrapperINS9_8equal_toItEEEEPmJSH_EEE10hipError_tPvRmT3_T4_T5_T6_T7_T9_mT8_P12ihipStream_tbDpT10_ENKUlT_T0_E_clISt17integral_constantIbLb0EES1C_IbLb1EEEEDaS18_S19_EUlS18_E_NS1_11comp_targetILNS1_3genE5ELNS1_11target_archE942ELNS1_3gpuE9ELNS1_3repE0EEENS1_30default_config_static_selectorELNS0_4arch9wavefront6targetE0EEEvT1_.kd
    .uniform_work_group_size: 1
    .uses_dynamic_stack: false
    .vgpr_count:     0
    .vgpr_spill_count: 0
    .wavefront_size: 32
    .workgroup_processor_mode: 1
  - .args:
      - .offset:         0
        .size:           144
        .value_kind:     by_value
    .group_segment_fixed_size: 0
    .kernarg_segment_align: 8
    .kernarg_segment_size: 144
    .language:       OpenCL C
    .language_version:
      - 2
      - 0
    .max_flat_workgroup_size: 192
    .name:           _ZN7rocprim17ROCPRIM_400000_NS6detail17trampoline_kernelINS0_14default_configENS1_25partition_config_selectorILNS1_17partition_subalgoE9EtjbEEZZNS1_14partition_implILS5_9ELb0ES3_jN6thrust23THRUST_200600_302600_NS6detail15normal_iteratorINS9_10device_ptrItEEEENSB_INSC_IjEEEEPNS0_10empty_typeENS0_5tupleIJNS9_16discard_iteratorINS9_11use_defaultEEESH_EEENSJ_IJSM_SI_EEENS0_18inequality_wrapperINS9_8equal_toItEEEEPmJSH_EEE10hipError_tPvRmT3_T4_T5_T6_T7_T9_mT8_P12ihipStream_tbDpT10_ENKUlT_T0_E_clISt17integral_constantIbLb0EES1C_IbLb1EEEEDaS18_S19_EUlS18_E_NS1_11comp_targetILNS1_3genE4ELNS1_11target_archE910ELNS1_3gpuE8ELNS1_3repE0EEENS1_30default_config_static_selectorELNS0_4arch9wavefront6targetE0EEEvT1_
    .private_segment_fixed_size: 0
    .sgpr_count:     0
    .sgpr_spill_count: 0
    .symbol:         _ZN7rocprim17ROCPRIM_400000_NS6detail17trampoline_kernelINS0_14default_configENS1_25partition_config_selectorILNS1_17partition_subalgoE9EtjbEEZZNS1_14partition_implILS5_9ELb0ES3_jN6thrust23THRUST_200600_302600_NS6detail15normal_iteratorINS9_10device_ptrItEEEENSB_INSC_IjEEEEPNS0_10empty_typeENS0_5tupleIJNS9_16discard_iteratorINS9_11use_defaultEEESH_EEENSJ_IJSM_SI_EEENS0_18inequality_wrapperINS9_8equal_toItEEEEPmJSH_EEE10hipError_tPvRmT3_T4_T5_T6_T7_T9_mT8_P12ihipStream_tbDpT10_ENKUlT_T0_E_clISt17integral_constantIbLb0EES1C_IbLb1EEEEDaS18_S19_EUlS18_E_NS1_11comp_targetILNS1_3genE4ELNS1_11target_archE910ELNS1_3gpuE8ELNS1_3repE0EEENS1_30default_config_static_selectorELNS0_4arch9wavefront6targetE0EEEvT1_.kd
    .uniform_work_group_size: 1
    .uses_dynamic_stack: false
    .vgpr_count:     0
    .vgpr_spill_count: 0
    .wavefront_size: 32
    .workgroup_processor_mode: 1
  - .args:
      - .offset:         0
        .size:           144
        .value_kind:     by_value
    .group_segment_fixed_size: 0
    .kernarg_segment_align: 8
    .kernarg_segment_size: 144
    .language:       OpenCL C
    .language_version:
      - 2
      - 0
    .max_flat_workgroup_size: 256
    .name:           _ZN7rocprim17ROCPRIM_400000_NS6detail17trampoline_kernelINS0_14default_configENS1_25partition_config_selectorILNS1_17partition_subalgoE9EtjbEEZZNS1_14partition_implILS5_9ELb0ES3_jN6thrust23THRUST_200600_302600_NS6detail15normal_iteratorINS9_10device_ptrItEEEENSB_INSC_IjEEEEPNS0_10empty_typeENS0_5tupleIJNS9_16discard_iteratorINS9_11use_defaultEEESH_EEENSJ_IJSM_SI_EEENS0_18inequality_wrapperINS9_8equal_toItEEEEPmJSH_EEE10hipError_tPvRmT3_T4_T5_T6_T7_T9_mT8_P12ihipStream_tbDpT10_ENKUlT_T0_E_clISt17integral_constantIbLb0EES1C_IbLb1EEEEDaS18_S19_EUlS18_E_NS1_11comp_targetILNS1_3genE3ELNS1_11target_archE908ELNS1_3gpuE7ELNS1_3repE0EEENS1_30default_config_static_selectorELNS0_4arch9wavefront6targetE0EEEvT1_
    .private_segment_fixed_size: 0
    .sgpr_count:     0
    .sgpr_spill_count: 0
    .symbol:         _ZN7rocprim17ROCPRIM_400000_NS6detail17trampoline_kernelINS0_14default_configENS1_25partition_config_selectorILNS1_17partition_subalgoE9EtjbEEZZNS1_14partition_implILS5_9ELb0ES3_jN6thrust23THRUST_200600_302600_NS6detail15normal_iteratorINS9_10device_ptrItEEEENSB_INSC_IjEEEEPNS0_10empty_typeENS0_5tupleIJNS9_16discard_iteratorINS9_11use_defaultEEESH_EEENSJ_IJSM_SI_EEENS0_18inequality_wrapperINS9_8equal_toItEEEEPmJSH_EEE10hipError_tPvRmT3_T4_T5_T6_T7_T9_mT8_P12ihipStream_tbDpT10_ENKUlT_T0_E_clISt17integral_constantIbLb0EES1C_IbLb1EEEEDaS18_S19_EUlS18_E_NS1_11comp_targetILNS1_3genE3ELNS1_11target_archE908ELNS1_3gpuE7ELNS1_3repE0EEENS1_30default_config_static_selectorELNS0_4arch9wavefront6targetE0EEEvT1_.kd
    .uniform_work_group_size: 1
    .uses_dynamic_stack: false
    .vgpr_count:     0
    .vgpr_spill_count: 0
    .wavefront_size: 32
    .workgroup_processor_mode: 1
  - .args:
      - .offset:         0
        .size:           144
        .value_kind:     by_value
    .group_segment_fixed_size: 0
    .kernarg_segment_align: 8
    .kernarg_segment_size: 144
    .language:       OpenCL C
    .language_version:
      - 2
      - 0
    .max_flat_workgroup_size: 256
    .name:           _ZN7rocprim17ROCPRIM_400000_NS6detail17trampoline_kernelINS0_14default_configENS1_25partition_config_selectorILNS1_17partition_subalgoE9EtjbEEZZNS1_14partition_implILS5_9ELb0ES3_jN6thrust23THRUST_200600_302600_NS6detail15normal_iteratorINS9_10device_ptrItEEEENSB_INSC_IjEEEEPNS0_10empty_typeENS0_5tupleIJNS9_16discard_iteratorINS9_11use_defaultEEESH_EEENSJ_IJSM_SI_EEENS0_18inequality_wrapperINS9_8equal_toItEEEEPmJSH_EEE10hipError_tPvRmT3_T4_T5_T6_T7_T9_mT8_P12ihipStream_tbDpT10_ENKUlT_T0_E_clISt17integral_constantIbLb0EES1C_IbLb1EEEEDaS18_S19_EUlS18_E_NS1_11comp_targetILNS1_3genE2ELNS1_11target_archE906ELNS1_3gpuE6ELNS1_3repE0EEENS1_30default_config_static_selectorELNS0_4arch9wavefront6targetE0EEEvT1_
    .private_segment_fixed_size: 0
    .sgpr_count:     0
    .sgpr_spill_count: 0
    .symbol:         _ZN7rocprim17ROCPRIM_400000_NS6detail17trampoline_kernelINS0_14default_configENS1_25partition_config_selectorILNS1_17partition_subalgoE9EtjbEEZZNS1_14partition_implILS5_9ELb0ES3_jN6thrust23THRUST_200600_302600_NS6detail15normal_iteratorINS9_10device_ptrItEEEENSB_INSC_IjEEEEPNS0_10empty_typeENS0_5tupleIJNS9_16discard_iteratorINS9_11use_defaultEEESH_EEENSJ_IJSM_SI_EEENS0_18inequality_wrapperINS9_8equal_toItEEEEPmJSH_EEE10hipError_tPvRmT3_T4_T5_T6_T7_T9_mT8_P12ihipStream_tbDpT10_ENKUlT_T0_E_clISt17integral_constantIbLb0EES1C_IbLb1EEEEDaS18_S19_EUlS18_E_NS1_11comp_targetILNS1_3genE2ELNS1_11target_archE906ELNS1_3gpuE6ELNS1_3repE0EEENS1_30default_config_static_selectorELNS0_4arch9wavefront6targetE0EEEvT1_.kd
    .uniform_work_group_size: 1
    .uses_dynamic_stack: false
    .vgpr_count:     0
    .vgpr_spill_count: 0
    .wavefront_size: 32
    .workgroup_processor_mode: 1
  - .args:
      - .offset:         0
        .size:           144
        .value_kind:     by_value
    .group_segment_fixed_size: 0
    .kernarg_segment_align: 8
    .kernarg_segment_size: 144
    .language:       OpenCL C
    .language_version:
      - 2
      - 0
    .max_flat_workgroup_size: 512
    .name:           _ZN7rocprim17ROCPRIM_400000_NS6detail17trampoline_kernelINS0_14default_configENS1_25partition_config_selectorILNS1_17partition_subalgoE9EtjbEEZZNS1_14partition_implILS5_9ELb0ES3_jN6thrust23THRUST_200600_302600_NS6detail15normal_iteratorINS9_10device_ptrItEEEENSB_INSC_IjEEEEPNS0_10empty_typeENS0_5tupleIJNS9_16discard_iteratorINS9_11use_defaultEEESH_EEENSJ_IJSM_SI_EEENS0_18inequality_wrapperINS9_8equal_toItEEEEPmJSH_EEE10hipError_tPvRmT3_T4_T5_T6_T7_T9_mT8_P12ihipStream_tbDpT10_ENKUlT_T0_E_clISt17integral_constantIbLb0EES1C_IbLb1EEEEDaS18_S19_EUlS18_E_NS1_11comp_targetILNS1_3genE10ELNS1_11target_archE1200ELNS1_3gpuE4ELNS1_3repE0EEENS1_30default_config_static_selectorELNS0_4arch9wavefront6targetE0EEEvT1_
    .private_segment_fixed_size: 0
    .sgpr_count:     0
    .sgpr_spill_count: 0
    .symbol:         _ZN7rocprim17ROCPRIM_400000_NS6detail17trampoline_kernelINS0_14default_configENS1_25partition_config_selectorILNS1_17partition_subalgoE9EtjbEEZZNS1_14partition_implILS5_9ELb0ES3_jN6thrust23THRUST_200600_302600_NS6detail15normal_iteratorINS9_10device_ptrItEEEENSB_INSC_IjEEEEPNS0_10empty_typeENS0_5tupleIJNS9_16discard_iteratorINS9_11use_defaultEEESH_EEENSJ_IJSM_SI_EEENS0_18inequality_wrapperINS9_8equal_toItEEEEPmJSH_EEE10hipError_tPvRmT3_T4_T5_T6_T7_T9_mT8_P12ihipStream_tbDpT10_ENKUlT_T0_E_clISt17integral_constantIbLb0EES1C_IbLb1EEEEDaS18_S19_EUlS18_E_NS1_11comp_targetILNS1_3genE10ELNS1_11target_archE1200ELNS1_3gpuE4ELNS1_3repE0EEENS1_30default_config_static_selectorELNS0_4arch9wavefront6targetE0EEEvT1_.kd
    .uniform_work_group_size: 1
    .uses_dynamic_stack: false
    .vgpr_count:     0
    .vgpr_spill_count: 0
    .wavefront_size: 32
    .workgroup_processor_mode: 1
  - .args:
      - .offset:         0
        .size:           144
        .value_kind:     by_value
    .group_segment_fixed_size: 5640
    .kernarg_segment_align: 8
    .kernarg_segment_size: 144
    .language:       OpenCL C
    .language_version:
      - 2
      - 0
    .max_flat_workgroup_size: 128
    .name:           _ZN7rocprim17ROCPRIM_400000_NS6detail17trampoline_kernelINS0_14default_configENS1_25partition_config_selectorILNS1_17partition_subalgoE9EtjbEEZZNS1_14partition_implILS5_9ELb0ES3_jN6thrust23THRUST_200600_302600_NS6detail15normal_iteratorINS9_10device_ptrItEEEENSB_INSC_IjEEEEPNS0_10empty_typeENS0_5tupleIJNS9_16discard_iteratorINS9_11use_defaultEEESH_EEENSJ_IJSM_SI_EEENS0_18inequality_wrapperINS9_8equal_toItEEEEPmJSH_EEE10hipError_tPvRmT3_T4_T5_T6_T7_T9_mT8_P12ihipStream_tbDpT10_ENKUlT_T0_E_clISt17integral_constantIbLb0EES1C_IbLb1EEEEDaS18_S19_EUlS18_E_NS1_11comp_targetILNS1_3genE9ELNS1_11target_archE1100ELNS1_3gpuE3ELNS1_3repE0EEENS1_30default_config_static_selectorELNS0_4arch9wavefront6targetE0EEEvT1_
    .private_segment_fixed_size: 0
    .sgpr_count:     26
    .sgpr_spill_count: 0
    .symbol:         _ZN7rocprim17ROCPRIM_400000_NS6detail17trampoline_kernelINS0_14default_configENS1_25partition_config_selectorILNS1_17partition_subalgoE9EtjbEEZZNS1_14partition_implILS5_9ELb0ES3_jN6thrust23THRUST_200600_302600_NS6detail15normal_iteratorINS9_10device_ptrItEEEENSB_INSC_IjEEEEPNS0_10empty_typeENS0_5tupleIJNS9_16discard_iteratorINS9_11use_defaultEEESH_EEENSJ_IJSM_SI_EEENS0_18inequality_wrapperINS9_8equal_toItEEEEPmJSH_EEE10hipError_tPvRmT3_T4_T5_T6_T7_T9_mT8_P12ihipStream_tbDpT10_ENKUlT_T0_E_clISt17integral_constantIbLb0EES1C_IbLb1EEEEDaS18_S19_EUlS18_E_NS1_11comp_targetILNS1_3genE9ELNS1_11target_archE1100ELNS1_3gpuE3ELNS1_3repE0EEENS1_30default_config_static_selectorELNS0_4arch9wavefront6targetE0EEEvT1_.kd
    .uniform_work_group_size: 1
    .uses_dynamic_stack: false
    .vgpr_count:     63
    .vgpr_spill_count: 0
    .wavefront_size: 32
    .workgroup_processor_mode: 1
  - .args:
      - .offset:         0
        .size:           144
        .value_kind:     by_value
    .group_segment_fixed_size: 0
    .kernarg_segment_align: 8
    .kernarg_segment_size: 144
    .language:       OpenCL C
    .language_version:
      - 2
      - 0
    .max_flat_workgroup_size: 512
    .name:           _ZN7rocprim17ROCPRIM_400000_NS6detail17trampoline_kernelINS0_14default_configENS1_25partition_config_selectorILNS1_17partition_subalgoE9EtjbEEZZNS1_14partition_implILS5_9ELb0ES3_jN6thrust23THRUST_200600_302600_NS6detail15normal_iteratorINS9_10device_ptrItEEEENSB_INSC_IjEEEEPNS0_10empty_typeENS0_5tupleIJNS9_16discard_iteratorINS9_11use_defaultEEESH_EEENSJ_IJSM_SI_EEENS0_18inequality_wrapperINS9_8equal_toItEEEEPmJSH_EEE10hipError_tPvRmT3_T4_T5_T6_T7_T9_mT8_P12ihipStream_tbDpT10_ENKUlT_T0_E_clISt17integral_constantIbLb0EES1C_IbLb1EEEEDaS18_S19_EUlS18_E_NS1_11comp_targetILNS1_3genE8ELNS1_11target_archE1030ELNS1_3gpuE2ELNS1_3repE0EEENS1_30default_config_static_selectorELNS0_4arch9wavefront6targetE0EEEvT1_
    .private_segment_fixed_size: 0
    .sgpr_count:     0
    .sgpr_spill_count: 0
    .symbol:         _ZN7rocprim17ROCPRIM_400000_NS6detail17trampoline_kernelINS0_14default_configENS1_25partition_config_selectorILNS1_17partition_subalgoE9EtjbEEZZNS1_14partition_implILS5_9ELb0ES3_jN6thrust23THRUST_200600_302600_NS6detail15normal_iteratorINS9_10device_ptrItEEEENSB_INSC_IjEEEEPNS0_10empty_typeENS0_5tupleIJNS9_16discard_iteratorINS9_11use_defaultEEESH_EEENSJ_IJSM_SI_EEENS0_18inequality_wrapperINS9_8equal_toItEEEEPmJSH_EEE10hipError_tPvRmT3_T4_T5_T6_T7_T9_mT8_P12ihipStream_tbDpT10_ENKUlT_T0_E_clISt17integral_constantIbLb0EES1C_IbLb1EEEEDaS18_S19_EUlS18_E_NS1_11comp_targetILNS1_3genE8ELNS1_11target_archE1030ELNS1_3gpuE2ELNS1_3repE0EEENS1_30default_config_static_selectorELNS0_4arch9wavefront6targetE0EEEvT1_.kd
    .uniform_work_group_size: 1
    .uses_dynamic_stack: false
    .vgpr_count:     0
    .vgpr_spill_count: 0
    .wavefront_size: 32
    .workgroup_processor_mode: 1
  - .args:
      - .offset:         0
        .size:           120
        .value_kind:     by_value
    .group_segment_fixed_size: 0
    .kernarg_segment_align: 8
    .kernarg_segment_size: 120
    .language:       OpenCL C
    .language_version:
      - 2
      - 0
    .max_flat_workgroup_size: 256
    .name:           _ZN7rocprim17ROCPRIM_400000_NS6detail17trampoline_kernelINS0_14default_configENS1_25partition_config_selectorILNS1_17partition_subalgoE9EtjbEEZZNS1_14partition_implILS5_9ELb0ES3_jN6thrust23THRUST_200600_302600_NS6detail15normal_iteratorINS9_10device_ptrItEEEENSB_INSC_IjEEEEPNS0_10empty_typeENS0_5tupleIJSE_SH_EEENSJ_IJNS9_16discard_iteratorINS9_11use_defaultEEESI_EEENS0_18inequality_wrapperINS9_8equal_toItEEEEPmJSH_EEE10hipError_tPvRmT3_T4_T5_T6_T7_T9_mT8_P12ihipStream_tbDpT10_ENKUlT_T0_E_clISt17integral_constantIbLb0EES1D_EEDaS18_S19_EUlS18_E_NS1_11comp_targetILNS1_3genE0ELNS1_11target_archE4294967295ELNS1_3gpuE0ELNS1_3repE0EEENS1_30default_config_static_selectorELNS0_4arch9wavefront6targetE0EEEvT1_
    .private_segment_fixed_size: 0
    .sgpr_count:     0
    .sgpr_spill_count: 0
    .symbol:         _ZN7rocprim17ROCPRIM_400000_NS6detail17trampoline_kernelINS0_14default_configENS1_25partition_config_selectorILNS1_17partition_subalgoE9EtjbEEZZNS1_14partition_implILS5_9ELb0ES3_jN6thrust23THRUST_200600_302600_NS6detail15normal_iteratorINS9_10device_ptrItEEEENSB_INSC_IjEEEEPNS0_10empty_typeENS0_5tupleIJSE_SH_EEENSJ_IJNS9_16discard_iteratorINS9_11use_defaultEEESI_EEENS0_18inequality_wrapperINS9_8equal_toItEEEEPmJSH_EEE10hipError_tPvRmT3_T4_T5_T6_T7_T9_mT8_P12ihipStream_tbDpT10_ENKUlT_T0_E_clISt17integral_constantIbLb0EES1D_EEDaS18_S19_EUlS18_E_NS1_11comp_targetILNS1_3genE0ELNS1_11target_archE4294967295ELNS1_3gpuE0ELNS1_3repE0EEENS1_30default_config_static_selectorELNS0_4arch9wavefront6targetE0EEEvT1_.kd
    .uniform_work_group_size: 1
    .uses_dynamic_stack: false
    .vgpr_count:     0
    .vgpr_spill_count: 0
    .wavefront_size: 32
    .workgroup_processor_mode: 1
  - .args:
      - .offset:         0
        .size:           120
        .value_kind:     by_value
    .group_segment_fixed_size: 0
    .kernarg_segment_align: 8
    .kernarg_segment_size: 120
    .language:       OpenCL C
    .language_version:
      - 2
      - 0
    .max_flat_workgroup_size: 512
    .name:           _ZN7rocprim17ROCPRIM_400000_NS6detail17trampoline_kernelINS0_14default_configENS1_25partition_config_selectorILNS1_17partition_subalgoE9EtjbEEZZNS1_14partition_implILS5_9ELb0ES3_jN6thrust23THRUST_200600_302600_NS6detail15normal_iteratorINS9_10device_ptrItEEEENSB_INSC_IjEEEEPNS0_10empty_typeENS0_5tupleIJSE_SH_EEENSJ_IJNS9_16discard_iteratorINS9_11use_defaultEEESI_EEENS0_18inequality_wrapperINS9_8equal_toItEEEEPmJSH_EEE10hipError_tPvRmT3_T4_T5_T6_T7_T9_mT8_P12ihipStream_tbDpT10_ENKUlT_T0_E_clISt17integral_constantIbLb0EES1D_EEDaS18_S19_EUlS18_E_NS1_11comp_targetILNS1_3genE5ELNS1_11target_archE942ELNS1_3gpuE9ELNS1_3repE0EEENS1_30default_config_static_selectorELNS0_4arch9wavefront6targetE0EEEvT1_
    .private_segment_fixed_size: 0
    .sgpr_count:     0
    .sgpr_spill_count: 0
    .symbol:         _ZN7rocprim17ROCPRIM_400000_NS6detail17trampoline_kernelINS0_14default_configENS1_25partition_config_selectorILNS1_17partition_subalgoE9EtjbEEZZNS1_14partition_implILS5_9ELb0ES3_jN6thrust23THRUST_200600_302600_NS6detail15normal_iteratorINS9_10device_ptrItEEEENSB_INSC_IjEEEEPNS0_10empty_typeENS0_5tupleIJSE_SH_EEENSJ_IJNS9_16discard_iteratorINS9_11use_defaultEEESI_EEENS0_18inequality_wrapperINS9_8equal_toItEEEEPmJSH_EEE10hipError_tPvRmT3_T4_T5_T6_T7_T9_mT8_P12ihipStream_tbDpT10_ENKUlT_T0_E_clISt17integral_constantIbLb0EES1D_EEDaS18_S19_EUlS18_E_NS1_11comp_targetILNS1_3genE5ELNS1_11target_archE942ELNS1_3gpuE9ELNS1_3repE0EEENS1_30default_config_static_selectorELNS0_4arch9wavefront6targetE0EEEvT1_.kd
    .uniform_work_group_size: 1
    .uses_dynamic_stack: false
    .vgpr_count:     0
    .vgpr_spill_count: 0
    .wavefront_size: 32
    .workgroup_processor_mode: 1
  - .args:
      - .offset:         0
        .size:           120
        .value_kind:     by_value
    .group_segment_fixed_size: 0
    .kernarg_segment_align: 8
    .kernarg_segment_size: 120
    .language:       OpenCL C
    .language_version:
      - 2
      - 0
    .max_flat_workgroup_size: 192
    .name:           _ZN7rocprim17ROCPRIM_400000_NS6detail17trampoline_kernelINS0_14default_configENS1_25partition_config_selectorILNS1_17partition_subalgoE9EtjbEEZZNS1_14partition_implILS5_9ELb0ES3_jN6thrust23THRUST_200600_302600_NS6detail15normal_iteratorINS9_10device_ptrItEEEENSB_INSC_IjEEEEPNS0_10empty_typeENS0_5tupleIJSE_SH_EEENSJ_IJNS9_16discard_iteratorINS9_11use_defaultEEESI_EEENS0_18inequality_wrapperINS9_8equal_toItEEEEPmJSH_EEE10hipError_tPvRmT3_T4_T5_T6_T7_T9_mT8_P12ihipStream_tbDpT10_ENKUlT_T0_E_clISt17integral_constantIbLb0EES1D_EEDaS18_S19_EUlS18_E_NS1_11comp_targetILNS1_3genE4ELNS1_11target_archE910ELNS1_3gpuE8ELNS1_3repE0EEENS1_30default_config_static_selectorELNS0_4arch9wavefront6targetE0EEEvT1_
    .private_segment_fixed_size: 0
    .sgpr_count:     0
    .sgpr_spill_count: 0
    .symbol:         _ZN7rocprim17ROCPRIM_400000_NS6detail17trampoline_kernelINS0_14default_configENS1_25partition_config_selectorILNS1_17partition_subalgoE9EtjbEEZZNS1_14partition_implILS5_9ELb0ES3_jN6thrust23THRUST_200600_302600_NS6detail15normal_iteratorINS9_10device_ptrItEEEENSB_INSC_IjEEEEPNS0_10empty_typeENS0_5tupleIJSE_SH_EEENSJ_IJNS9_16discard_iteratorINS9_11use_defaultEEESI_EEENS0_18inequality_wrapperINS9_8equal_toItEEEEPmJSH_EEE10hipError_tPvRmT3_T4_T5_T6_T7_T9_mT8_P12ihipStream_tbDpT10_ENKUlT_T0_E_clISt17integral_constantIbLb0EES1D_EEDaS18_S19_EUlS18_E_NS1_11comp_targetILNS1_3genE4ELNS1_11target_archE910ELNS1_3gpuE8ELNS1_3repE0EEENS1_30default_config_static_selectorELNS0_4arch9wavefront6targetE0EEEvT1_.kd
    .uniform_work_group_size: 1
    .uses_dynamic_stack: false
    .vgpr_count:     0
    .vgpr_spill_count: 0
    .wavefront_size: 32
    .workgroup_processor_mode: 1
  - .args:
      - .offset:         0
        .size:           120
        .value_kind:     by_value
    .group_segment_fixed_size: 0
    .kernarg_segment_align: 8
    .kernarg_segment_size: 120
    .language:       OpenCL C
    .language_version:
      - 2
      - 0
    .max_flat_workgroup_size: 256
    .name:           _ZN7rocprim17ROCPRIM_400000_NS6detail17trampoline_kernelINS0_14default_configENS1_25partition_config_selectorILNS1_17partition_subalgoE9EtjbEEZZNS1_14partition_implILS5_9ELb0ES3_jN6thrust23THRUST_200600_302600_NS6detail15normal_iteratorINS9_10device_ptrItEEEENSB_INSC_IjEEEEPNS0_10empty_typeENS0_5tupleIJSE_SH_EEENSJ_IJNS9_16discard_iteratorINS9_11use_defaultEEESI_EEENS0_18inequality_wrapperINS9_8equal_toItEEEEPmJSH_EEE10hipError_tPvRmT3_T4_T5_T6_T7_T9_mT8_P12ihipStream_tbDpT10_ENKUlT_T0_E_clISt17integral_constantIbLb0EES1D_EEDaS18_S19_EUlS18_E_NS1_11comp_targetILNS1_3genE3ELNS1_11target_archE908ELNS1_3gpuE7ELNS1_3repE0EEENS1_30default_config_static_selectorELNS0_4arch9wavefront6targetE0EEEvT1_
    .private_segment_fixed_size: 0
    .sgpr_count:     0
    .sgpr_spill_count: 0
    .symbol:         _ZN7rocprim17ROCPRIM_400000_NS6detail17trampoline_kernelINS0_14default_configENS1_25partition_config_selectorILNS1_17partition_subalgoE9EtjbEEZZNS1_14partition_implILS5_9ELb0ES3_jN6thrust23THRUST_200600_302600_NS6detail15normal_iteratorINS9_10device_ptrItEEEENSB_INSC_IjEEEEPNS0_10empty_typeENS0_5tupleIJSE_SH_EEENSJ_IJNS9_16discard_iteratorINS9_11use_defaultEEESI_EEENS0_18inequality_wrapperINS9_8equal_toItEEEEPmJSH_EEE10hipError_tPvRmT3_T4_T5_T6_T7_T9_mT8_P12ihipStream_tbDpT10_ENKUlT_T0_E_clISt17integral_constantIbLb0EES1D_EEDaS18_S19_EUlS18_E_NS1_11comp_targetILNS1_3genE3ELNS1_11target_archE908ELNS1_3gpuE7ELNS1_3repE0EEENS1_30default_config_static_selectorELNS0_4arch9wavefront6targetE0EEEvT1_.kd
    .uniform_work_group_size: 1
    .uses_dynamic_stack: false
    .vgpr_count:     0
    .vgpr_spill_count: 0
    .wavefront_size: 32
    .workgroup_processor_mode: 1
  - .args:
      - .offset:         0
        .size:           120
        .value_kind:     by_value
    .group_segment_fixed_size: 0
    .kernarg_segment_align: 8
    .kernarg_segment_size: 120
    .language:       OpenCL C
    .language_version:
      - 2
      - 0
    .max_flat_workgroup_size: 256
    .name:           _ZN7rocprim17ROCPRIM_400000_NS6detail17trampoline_kernelINS0_14default_configENS1_25partition_config_selectorILNS1_17partition_subalgoE9EtjbEEZZNS1_14partition_implILS5_9ELb0ES3_jN6thrust23THRUST_200600_302600_NS6detail15normal_iteratorINS9_10device_ptrItEEEENSB_INSC_IjEEEEPNS0_10empty_typeENS0_5tupleIJSE_SH_EEENSJ_IJNS9_16discard_iteratorINS9_11use_defaultEEESI_EEENS0_18inequality_wrapperINS9_8equal_toItEEEEPmJSH_EEE10hipError_tPvRmT3_T4_T5_T6_T7_T9_mT8_P12ihipStream_tbDpT10_ENKUlT_T0_E_clISt17integral_constantIbLb0EES1D_EEDaS18_S19_EUlS18_E_NS1_11comp_targetILNS1_3genE2ELNS1_11target_archE906ELNS1_3gpuE6ELNS1_3repE0EEENS1_30default_config_static_selectorELNS0_4arch9wavefront6targetE0EEEvT1_
    .private_segment_fixed_size: 0
    .sgpr_count:     0
    .sgpr_spill_count: 0
    .symbol:         _ZN7rocprim17ROCPRIM_400000_NS6detail17trampoline_kernelINS0_14default_configENS1_25partition_config_selectorILNS1_17partition_subalgoE9EtjbEEZZNS1_14partition_implILS5_9ELb0ES3_jN6thrust23THRUST_200600_302600_NS6detail15normal_iteratorINS9_10device_ptrItEEEENSB_INSC_IjEEEEPNS0_10empty_typeENS0_5tupleIJSE_SH_EEENSJ_IJNS9_16discard_iteratorINS9_11use_defaultEEESI_EEENS0_18inequality_wrapperINS9_8equal_toItEEEEPmJSH_EEE10hipError_tPvRmT3_T4_T5_T6_T7_T9_mT8_P12ihipStream_tbDpT10_ENKUlT_T0_E_clISt17integral_constantIbLb0EES1D_EEDaS18_S19_EUlS18_E_NS1_11comp_targetILNS1_3genE2ELNS1_11target_archE906ELNS1_3gpuE6ELNS1_3repE0EEENS1_30default_config_static_selectorELNS0_4arch9wavefront6targetE0EEEvT1_.kd
    .uniform_work_group_size: 1
    .uses_dynamic_stack: false
    .vgpr_count:     0
    .vgpr_spill_count: 0
    .wavefront_size: 32
    .workgroup_processor_mode: 1
  - .args:
      - .offset:         0
        .size:           120
        .value_kind:     by_value
    .group_segment_fixed_size: 0
    .kernarg_segment_align: 8
    .kernarg_segment_size: 120
    .language:       OpenCL C
    .language_version:
      - 2
      - 0
    .max_flat_workgroup_size: 512
    .name:           _ZN7rocprim17ROCPRIM_400000_NS6detail17trampoline_kernelINS0_14default_configENS1_25partition_config_selectorILNS1_17partition_subalgoE9EtjbEEZZNS1_14partition_implILS5_9ELb0ES3_jN6thrust23THRUST_200600_302600_NS6detail15normal_iteratorINS9_10device_ptrItEEEENSB_INSC_IjEEEEPNS0_10empty_typeENS0_5tupleIJSE_SH_EEENSJ_IJNS9_16discard_iteratorINS9_11use_defaultEEESI_EEENS0_18inequality_wrapperINS9_8equal_toItEEEEPmJSH_EEE10hipError_tPvRmT3_T4_T5_T6_T7_T9_mT8_P12ihipStream_tbDpT10_ENKUlT_T0_E_clISt17integral_constantIbLb0EES1D_EEDaS18_S19_EUlS18_E_NS1_11comp_targetILNS1_3genE10ELNS1_11target_archE1200ELNS1_3gpuE4ELNS1_3repE0EEENS1_30default_config_static_selectorELNS0_4arch9wavefront6targetE0EEEvT1_
    .private_segment_fixed_size: 0
    .sgpr_count:     0
    .sgpr_spill_count: 0
    .symbol:         _ZN7rocprim17ROCPRIM_400000_NS6detail17trampoline_kernelINS0_14default_configENS1_25partition_config_selectorILNS1_17partition_subalgoE9EtjbEEZZNS1_14partition_implILS5_9ELb0ES3_jN6thrust23THRUST_200600_302600_NS6detail15normal_iteratorINS9_10device_ptrItEEEENSB_INSC_IjEEEEPNS0_10empty_typeENS0_5tupleIJSE_SH_EEENSJ_IJNS9_16discard_iteratorINS9_11use_defaultEEESI_EEENS0_18inequality_wrapperINS9_8equal_toItEEEEPmJSH_EEE10hipError_tPvRmT3_T4_T5_T6_T7_T9_mT8_P12ihipStream_tbDpT10_ENKUlT_T0_E_clISt17integral_constantIbLb0EES1D_EEDaS18_S19_EUlS18_E_NS1_11comp_targetILNS1_3genE10ELNS1_11target_archE1200ELNS1_3gpuE4ELNS1_3repE0EEENS1_30default_config_static_selectorELNS0_4arch9wavefront6targetE0EEEvT1_.kd
    .uniform_work_group_size: 1
    .uses_dynamic_stack: false
    .vgpr_count:     0
    .vgpr_spill_count: 0
    .wavefront_size: 32
    .workgroup_processor_mode: 1
  - .args:
      - .offset:         0
        .size:           120
        .value_kind:     by_value
    .group_segment_fixed_size: 5640
    .kernarg_segment_align: 8
    .kernarg_segment_size: 120
    .language:       OpenCL C
    .language_version:
      - 2
      - 0
    .max_flat_workgroup_size: 128
    .name:           _ZN7rocprim17ROCPRIM_400000_NS6detail17trampoline_kernelINS0_14default_configENS1_25partition_config_selectorILNS1_17partition_subalgoE9EtjbEEZZNS1_14partition_implILS5_9ELb0ES3_jN6thrust23THRUST_200600_302600_NS6detail15normal_iteratorINS9_10device_ptrItEEEENSB_INSC_IjEEEEPNS0_10empty_typeENS0_5tupleIJSE_SH_EEENSJ_IJNS9_16discard_iteratorINS9_11use_defaultEEESI_EEENS0_18inequality_wrapperINS9_8equal_toItEEEEPmJSH_EEE10hipError_tPvRmT3_T4_T5_T6_T7_T9_mT8_P12ihipStream_tbDpT10_ENKUlT_T0_E_clISt17integral_constantIbLb0EES1D_EEDaS18_S19_EUlS18_E_NS1_11comp_targetILNS1_3genE9ELNS1_11target_archE1100ELNS1_3gpuE3ELNS1_3repE0EEENS1_30default_config_static_selectorELNS0_4arch9wavefront6targetE0EEEvT1_
    .private_segment_fixed_size: 0
    .sgpr_count:     26
    .sgpr_spill_count: 0
    .symbol:         _ZN7rocprim17ROCPRIM_400000_NS6detail17trampoline_kernelINS0_14default_configENS1_25partition_config_selectorILNS1_17partition_subalgoE9EtjbEEZZNS1_14partition_implILS5_9ELb0ES3_jN6thrust23THRUST_200600_302600_NS6detail15normal_iteratorINS9_10device_ptrItEEEENSB_INSC_IjEEEEPNS0_10empty_typeENS0_5tupleIJSE_SH_EEENSJ_IJNS9_16discard_iteratorINS9_11use_defaultEEESI_EEENS0_18inequality_wrapperINS9_8equal_toItEEEEPmJSH_EEE10hipError_tPvRmT3_T4_T5_T6_T7_T9_mT8_P12ihipStream_tbDpT10_ENKUlT_T0_E_clISt17integral_constantIbLb0EES1D_EEDaS18_S19_EUlS18_E_NS1_11comp_targetILNS1_3genE9ELNS1_11target_archE1100ELNS1_3gpuE3ELNS1_3repE0EEENS1_30default_config_static_selectorELNS0_4arch9wavefront6targetE0EEEvT1_.kd
    .uniform_work_group_size: 1
    .uses_dynamic_stack: false
    .vgpr_count:     84
    .vgpr_spill_count: 0
    .wavefront_size: 32
    .workgroup_processor_mode: 1
  - .args:
      - .offset:         0
        .size:           120
        .value_kind:     by_value
    .group_segment_fixed_size: 0
    .kernarg_segment_align: 8
    .kernarg_segment_size: 120
    .language:       OpenCL C
    .language_version:
      - 2
      - 0
    .max_flat_workgroup_size: 512
    .name:           _ZN7rocprim17ROCPRIM_400000_NS6detail17trampoline_kernelINS0_14default_configENS1_25partition_config_selectorILNS1_17partition_subalgoE9EtjbEEZZNS1_14partition_implILS5_9ELb0ES3_jN6thrust23THRUST_200600_302600_NS6detail15normal_iteratorINS9_10device_ptrItEEEENSB_INSC_IjEEEEPNS0_10empty_typeENS0_5tupleIJSE_SH_EEENSJ_IJNS9_16discard_iteratorINS9_11use_defaultEEESI_EEENS0_18inequality_wrapperINS9_8equal_toItEEEEPmJSH_EEE10hipError_tPvRmT3_T4_T5_T6_T7_T9_mT8_P12ihipStream_tbDpT10_ENKUlT_T0_E_clISt17integral_constantIbLb0EES1D_EEDaS18_S19_EUlS18_E_NS1_11comp_targetILNS1_3genE8ELNS1_11target_archE1030ELNS1_3gpuE2ELNS1_3repE0EEENS1_30default_config_static_selectorELNS0_4arch9wavefront6targetE0EEEvT1_
    .private_segment_fixed_size: 0
    .sgpr_count:     0
    .sgpr_spill_count: 0
    .symbol:         _ZN7rocprim17ROCPRIM_400000_NS6detail17trampoline_kernelINS0_14default_configENS1_25partition_config_selectorILNS1_17partition_subalgoE9EtjbEEZZNS1_14partition_implILS5_9ELb0ES3_jN6thrust23THRUST_200600_302600_NS6detail15normal_iteratorINS9_10device_ptrItEEEENSB_INSC_IjEEEEPNS0_10empty_typeENS0_5tupleIJSE_SH_EEENSJ_IJNS9_16discard_iteratorINS9_11use_defaultEEESI_EEENS0_18inequality_wrapperINS9_8equal_toItEEEEPmJSH_EEE10hipError_tPvRmT3_T4_T5_T6_T7_T9_mT8_P12ihipStream_tbDpT10_ENKUlT_T0_E_clISt17integral_constantIbLb0EES1D_EEDaS18_S19_EUlS18_E_NS1_11comp_targetILNS1_3genE8ELNS1_11target_archE1030ELNS1_3gpuE2ELNS1_3repE0EEENS1_30default_config_static_selectorELNS0_4arch9wavefront6targetE0EEEvT1_.kd
    .uniform_work_group_size: 1
    .uses_dynamic_stack: false
    .vgpr_count:     0
    .vgpr_spill_count: 0
    .wavefront_size: 32
    .workgroup_processor_mode: 1
  - .args:
      - .offset:         0
        .size:           136
        .value_kind:     by_value
    .group_segment_fixed_size: 0
    .kernarg_segment_align: 8
    .kernarg_segment_size: 136
    .language:       OpenCL C
    .language_version:
      - 2
      - 0
    .max_flat_workgroup_size: 256
    .name:           _ZN7rocprim17ROCPRIM_400000_NS6detail17trampoline_kernelINS0_14default_configENS1_25partition_config_selectorILNS1_17partition_subalgoE9EtjbEEZZNS1_14partition_implILS5_9ELb0ES3_jN6thrust23THRUST_200600_302600_NS6detail15normal_iteratorINS9_10device_ptrItEEEENSB_INSC_IjEEEEPNS0_10empty_typeENS0_5tupleIJSE_SH_EEENSJ_IJNS9_16discard_iteratorINS9_11use_defaultEEESI_EEENS0_18inequality_wrapperINS9_8equal_toItEEEEPmJSH_EEE10hipError_tPvRmT3_T4_T5_T6_T7_T9_mT8_P12ihipStream_tbDpT10_ENKUlT_T0_E_clISt17integral_constantIbLb1EES1D_EEDaS18_S19_EUlS18_E_NS1_11comp_targetILNS1_3genE0ELNS1_11target_archE4294967295ELNS1_3gpuE0ELNS1_3repE0EEENS1_30default_config_static_selectorELNS0_4arch9wavefront6targetE0EEEvT1_
    .private_segment_fixed_size: 0
    .sgpr_count:     0
    .sgpr_spill_count: 0
    .symbol:         _ZN7rocprim17ROCPRIM_400000_NS6detail17trampoline_kernelINS0_14default_configENS1_25partition_config_selectorILNS1_17partition_subalgoE9EtjbEEZZNS1_14partition_implILS5_9ELb0ES3_jN6thrust23THRUST_200600_302600_NS6detail15normal_iteratorINS9_10device_ptrItEEEENSB_INSC_IjEEEEPNS0_10empty_typeENS0_5tupleIJSE_SH_EEENSJ_IJNS9_16discard_iteratorINS9_11use_defaultEEESI_EEENS0_18inequality_wrapperINS9_8equal_toItEEEEPmJSH_EEE10hipError_tPvRmT3_T4_T5_T6_T7_T9_mT8_P12ihipStream_tbDpT10_ENKUlT_T0_E_clISt17integral_constantIbLb1EES1D_EEDaS18_S19_EUlS18_E_NS1_11comp_targetILNS1_3genE0ELNS1_11target_archE4294967295ELNS1_3gpuE0ELNS1_3repE0EEENS1_30default_config_static_selectorELNS0_4arch9wavefront6targetE0EEEvT1_.kd
    .uniform_work_group_size: 1
    .uses_dynamic_stack: false
    .vgpr_count:     0
    .vgpr_spill_count: 0
    .wavefront_size: 32
    .workgroup_processor_mode: 1
  - .args:
      - .offset:         0
        .size:           136
        .value_kind:     by_value
    .group_segment_fixed_size: 0
    .kernarg_segment_align: 8
    .kernarg_segment_size: 136
    .language:       OpenCL C
    .language_version:
      - 2
      - 0
    .max_flat_workgroup_size: 512
    .name:           _ZN7rocprim17ROCPRIM_400000_NS6detail17trampoline_kernelINS0_14default_configENS1_25partition_config_selectorILNS1_17partition_subalgoE9EtjbEEZZNS1_14partition_implILS5_9ELb0ES3_jN6thrust23THRUST_200600_302600_NS6detail15normal_iteratorINS9_10device_ptrItEEEENSB_INSC_IjEEEEPNS0_10empty_typeENS0_5tupleIJSE_SH_EEENSJ_IJNS9_16discard_iteratorINS9_11use_defaultEEESI_EEENS0_18inequality_wrapperINS9_8equal_toItEEEEPmJSH_EEE10hipError_tPvRmT3_T4_T5_T6_T7_T9_mT8_P12ihipStream_tbDpT10_ENKUlT_T0_E_clISt17integral_constantIbLb1EES1D_EEDaS18_S19_EUlS18_E_NS1_11comp_targetILNS1_3genE5ELNS1_11target_archE942ELNS1_3gpuE9ELNS1_3repE0EEENS1_30default_config_static_selectorELNS0_4arch9wavefront6targetE0EEEvT1_
    .private_segment_fixed_size: 0
    .sgpr_count:     0
    .sgpr_spill_count: 0
    .symbol:         _ZN7rocprim17ROCPRIM_400000_NS6detail17trampoline_kernelINS0_14default_configENS1_25partition_config_selectorILNS1_17partition_subalgoE9EtjbEEZZNS1_14partition_implILS5_9ELb0ES3_jN6thrust23THRUST_200600_302600_NS6detail15normal_iteratorINS9_10device_ptrItEEEENSB_INSC_IjEEEEPNS0_10empty_typeENS0_5tupleIJSE_SH_EEENSJ_IJNS9_16discard_iteratorINS9_11use_defaultEEESI_EEENS0_18inequality_wrapperINS9_8equal_toItEEEEPmJSH_EEE10hipError_tPvRmT3_T4_T5_T6_T7_T9_mT8_P12ihipStream_tbDpT10_ENKUlT_T0_E_clISt17integral_constantIbLb1EES1D_EEDaS18_S19_EUlS18_E_NS1_11comp_targetILNS1_3genE5ELNS1_11target_archE942ELNS1_3gpuE9ELNS1_3repE0EEENS1_30default_config_static_selectorELNS0_4arch9wavefront6targetE0EEEvT1_.kd
    .uniform_work_group_size: 1
    .uses_dynamic_stack: false
    .vgpr_count:     0
    .vgpr_spill_count: 0
    .wavefront_size: 32
    .workgroup_processor_mode: 1
  - .args:
      - .offset:         0
        .size:           136
        .value_kind:     by_value
    .group_segment_fixed_size: 0
    .kernarg_segment_align: 8
    .kernarg_segment_size: 136
    .language:       OpenCL C
    .language_version:
      - 2
      - 0
    .max_flat_workgroup_size: 192
    .name:           _ZN7rocprim17ROCPRIM_400000_NS6detail17trampoline_kernelINS0_14default_configENS1_25partition_config_selectorILNS1_17partition_subalgoE9EtjbEEZZNS1_14partition_implILS5_9ELb0ES3_jN6thrust23THRUST_200600_302600_NS6detail15normal_iteratorINS9_10device_ptrItEEEENSB_INSC_IjEEEEPNS0_10empty_typeENS0_5tupleIJSE_SH_EEENSJ_IJNS9_16discard_iteratorINS9_11use_defaultEEESI_EEENS0_18inequality_wrapperINS9_8equal_toItEEEEPmJSH_EEE10hipError_tPvRmT3_T4_T5_T6_T7_T9_mT8_P12ihipStream_tbDpT10_ENKUlT_T0_E_clISt17integral_constantIbLb1EES1D_EEDaS18_S19_EUlS18_E_NS1_11comp_targetILNS1_3genE4ELNS1_11target_archE910ELNS1_3gpuE8ELNS1_3repE0EEENS1_30default_config_static_selectorELNS0_4arch9wavefront6targetE0EEEvT1_
    .private_segment_fixed_size: 0
    .sgpr_count:     0
    .sgpr_spill_count: 0
    .symbol:         _ZN7rocprim17ROCPRIM_400000_NS6detail17trampoline_kernelINS0_14default_configENS1_25partition_config_selectorILNS1_17partition_subalgoE9EtjbEEZZNS1_14partition_implILS5_9ELb0ES3_jN6thrust23THRUST_200600_302600_NS6detail15normal_iteratorINS9_10device_ptrItEEEENSB_INSC_IjEEEEPNS0_10empty_typeENS0_5tupleIJSE_SH_EEENSJ_IJNS9_16discard_iteratorINS9_11use_defaultEEESI_EEENS0_18inequality_wrapperINS9_8equal_toItEEEEPmJSH_EEE10hipError_tPvRmT3_T4_T5_T6_T7_T9_mT8_P12ihipStream_tbDpT10_ENKUlT_T0_E_clISt17integral_constantIbLb1EES1D_EEDaS18_S19_EUlS18_E_NS1_11comp_targetILNS1_3genE4ELNS1_11target_archE910ELNS1_3gpuE8ELNS1_3repE0EEENS1_30default_config_static_selectorELNS0_4arch9wavefront6targetE0EEEvT1_.kd
    .uniform_work_group_size: 1
    .uses_dynamic_stack: false
    .vgpr_count:     0
    .vgpr_spill_count: 0
    .wavefront_size: 32
    .workgroup_processor_mode: 1
  - .args:
      - .offset:         0
        .size:           136
        .value_kind:     by_value
    .group_segment_fixed_size: 0
    .kernarg_segment_align: 8
    .kernarg_segment_size: 136
    .language:       OpenCL C
    .language_version:
      - 2
      - 0
    .max_flat_workgroup_size: 256
    .name:           _ZN7rocprim17ROCPRIM_400000_NS6detail17trampoline_kernelINS0_14default_configENS1_25partition_config_selectorILNS1_17partition_subalgoE9EtjbEEZZNS1_14partition_implILS5_9ELb0ES3_jN6thrust23THRUST_200600_302600_NS6detail15normal_iteratorINS9_10device_ptrItEEEENSB_INSC_IjEEEEPNS0_10empty_typeENS0_5tupleIJSE_SH_EEENSJ_IJNS9_16discard_iteratorINS9_11use_defaultEEESI_EEENS0_18inequality_wrapperINS9_8equal_toItEEEEPmJSH_EEE10hipError_tPvRmT3_T4_T5_T6_T7_T9_mT8_P12ihipStream_tbDpT10_ENKUlT_T0_E_clISt17integral_constantIbLb1EES1D_EEDaS18_S19_EUlS18_E_NS1_11comp_targetILNS1_3genE3ELNS1_11target_archE908ELNS1_3gpuE7ELNS1_3repE0EEENS1_30default_config_static_selectorELNS0_4arch9wavefront6targetE0EEEvT1_
    .private_segment_fixed_size: 0
    .sgpr_count:     0
    .sgpr_spill_count: 0
    .symbol:         _ZN7rocprim17ROCPRIM_400000_NS6detail17trampoline_kernelINS0_14default_configENS1_25partition_config_selectorILNS1_17partition_subalgoE9EtjbEEZZNS1_14partition_implILS5_9ELb0ES3_jN6thrust23THRUST_200600_302600_NS6detail15normal_iteratorINS9_10device_ptrItEEEENSB_INSC_IjEEEEPNS0_10empty_typeENS0_5tupleIJSE_SH_EEENSJ_IJNS9_16discard_iteratorINS9_11use_defaultEEESI_EEENS0_18inequality_wrapperINS9_8equal_toItEEEEPmJSH_EEE10hipError_tPvRmT3_T4_T5_T6_T7_T9_mT8_P12ihipStream_tbDpT10_ENKUlT_T0_E_clISt17integral_constantIbLb1EES1D_EEDaS18_S19_EUlS18_E_NS1_11comp_targetILNS1_3genE3ELNS1_11target_archE908ELNS1_3gpuE7ELNS1_3repE0EEENS1_30default_config_static_selectorELNS0_4arch9wavefront6targetE0EEEvT1_.kd
    .uniform_work_group_size: 1
    .uses_dynamic_stack: false
    .vgpr_count:     0
    .vgpr_spill_count: 0
    .wavefront_size: 32
    .workgroup_processor_mode: 1
  - .args:
      - .offset:         0
        .size:           136
        .value_kind:     by_value
    .group_segment_fixed_size: 0
    .kernarg_segment_align: 8
    .kernarg_segment_size: 136
    .language:       OpenCL C
    .language_version:
      - 2
      - 0
    .max_flat_workgroup_size: 256
    .name:           _ZN7rocprim17ROCPRIM_400000_NS6detail17trampoline_kernelINS0_14default_configENS1_25partition_config_selectorILNS1_17partition_subalgoE9EtjbEEZZNS1_14partition_implILS5_9ELb0ES3_jN6thrust23THRUST_200600_302600_NS6detail15normal_iteratorINS9_10device_ptrItEEEENSB_INSC_IjEEEEPNS0_10empty_typeENS0_5tupleIJSE_SH_EEENSJ_IJNS9_16discard_iteratorINS9_11use_defaultEEESI_EEENS0_18inequality_wrapperINS9_8equal_toItEEEEPmJSH_EEE10hipError_tPvRmT3_T4_T5_T6_T7_T9_mT8_P12ihipStream_tbDpT10_ENKUlT_T0_E_clISt17integral_constantIbLb1EES1D_EEDaS18_S19_EUlS18_E_NS1_11comp_targetILNS1_3genE2ELNS1_11target_archE906ELNS1_3gpuE6ELNS1_3repE0EEENS1_30default_config_static_selectorELNS0_4arch9wavefront6targetE0EEEvT1_
    .private_segment_fixed_size: 0
    .sgpr_count:     0
    .sgpr_spill_count: 0
    .symbol:         _ZN7rocprim17ROCPRIM_400000_NS6detail17trampoline_kernelINS0_14default_configENS1_25partition_config_selectorILNS1_17partition_subalgoE9EtjbEEZZNS1_14partition_implILS5_9ELb0ES3_jN6thrust23THRUST_200600_302600_NS6detail15normal_iteratorINS9_10device_ptrItEEEENSB_INSC_IjEEEEPNS0_10empty_typeENS0_5tupleIJSE_SH_EEENSJ_IJNS9_16discard_iteratorINS9_11use_defaultEEESI_EEENS0_18inequality_wrapperINS9_8equal_toItEEEEPmJSH_EEE10hipError_tPvRmT3_T4_T5_T6_T7_T9_mT8_P12ihipStream_tbDpT10_ENKUlT_T0_E_clISt17integral_constantIbLb1EES1D_EEDaS18_S19_EUlS18_E_NS1_11comp_targetILNS1_3genE2ELNS1_11target_archE906ELNS1_3gpuE6ELNS1_3repE0EEENS1_30default_config_static_selectorELNS0_4arch9wavefront6targetE0EEEvT1_.kd
    .uniform_work_group_size: 1
    .uses_dynamic_stack: false
    .vgpr_count:     0
    .vgpr_spill_count: 0
    .wavefront_size: 32
    .workgroup_processor_mode: 1
  - .args:
      - .offset:         0
        .size:           136
        .value_kind:     by_value
    .group_segment_fixed_size: 0
    .kernarg_segment_align: 8
    .kernarg_segment_size: 136
    .language:       OpenCL C
    .language_version:
      - 2
      - 0
    .max_flat_workgroup_size: 512
    .name:           _ZN7rocprim17ROCPRIM_400000_NS6detail17trampoline_kernelINS0_14default_configENS1_25partition_config_selectorILNS1_17partition_subalgoE9EtjbEEZZNS1_14partition_implILS5_9ELb0ES3_jN6thrust23THRUST_200600_302600_NS6detail15normal_iteratorINS9_10device_ptrItEEEENSB_INSC_IjEEEEPNS0_10empty_typeENS0_5tupleIJSE_SH_EEENSJ_IJNS9_16discard_iteratorINS9_11use_defaultEEESI_EEENS0_18inequality_wrapperINS9_8equal_toItEEEEPmJSH_EEE10hipError_tPvRmT3_T4_T5_T6_T7_T9_mT8_P12ihipStream_tbDpT10_ENKUlT_T0_E_clISt17integral_constantIbLb1EES1D_EEDaS18_S19_EUlS18_E_NS1_11comp_targetILNS1_3genE10ELNS1_11target_archE1200ELNS1_3gpuE4ELNS1_3repE0EEENS1_30default_config_static_selectorELNS0_4arch9wavefront6targetE0EEEvT1_
    .private_segment_fixed_size: 0
    .sgpr_count:     0
    .sgpr_spill_count: 0
    .symbol:         _ZN7rocprim17ROCPRIM_400000_NS6detail17trampoline_kernelINS0_14default_configENS1_25partition_config_selectorILNS1_17partition_subalgoE9EtjbEEZZNS1_14partition_implILS5_9ELb0ES3_jN6thrust23THRUST_200600_302600_NS6detail15normal_iteratorINS9_10device_ptrItEEEENSB_INSC_IjEEEEPNS0_10empty_typeENS0_5tupleIJSE_SH_EEENSJ_IJNS9_16discard_iteratorINS9_11use_defaultEEESI_EEENS0_18inequality_wrapperINS9_8equal_toItEEEEPmJSH_EEE10hipError_tPvRmT3_T4_T5_T6_T7_T9_mT8_P12ihipStream_tbDpT10_ENKUlT_T0_E_clISt17integral_constantIbLb1EES1D_EEDaS18_S19_EUlS18_E_NS1_11comp_targetILNS1_3genE10ELNS1_11target_archE1200ELNS1_3gpuE4ELNS1_3repE0EEENS1_30default_config_static_selectorELNS0_4arch9wavefront6targetE0EEEvT1_.kd
    .uniform_work_group_size: 1
    .uses_dynamic_stack: false
    .vgpr_count:     0
    .vgpr_spill_count: 0
    .wavefront_size: 32
    .workgroup_processor_mode: 1
  - .args:
      - .offset:         0
        .size:           136
        .value_kind:     by_value
    .group_segment_fixed_size: 5640
    .kernarg_segment_align: 8
    .kernarg_segment_size: 136
    .language:       OpenCL C
    .language_version:
      - 2
      - 0
    .max_flat_workgroup_size: 128
    .name:           _ZN7rocprim17ROCPRIM_400000_NS6detail17trampoline_kernelINS0_14default_configENS1_25partition_config_selectorILNS1_17partition_subalgoE9EtjbEEZZNS1_14partition_implILS5_9ELb0ES3_jN6thrust23THRUST_200600_302600_NS6detail15normal_iteratorINS9_10device_ptrItEEEENSB_INSC_IjEEEEPNS0_10empty_typeENS0_5tupleIJSE_SH_EEENSJ_IJNS9_16discard_iteratorINS9_11use_defaultEEESI_EEENS0_18inequality_wrapperINS9_8equal_toItEEEEPmJSH_EEE10hipError_tPvRmT3_T4_T5_T6_T7_T9_mT8_P12ihipStream_tbDpT10_ENKUlT_T0_E_clISt17integral_constantIbLb1EES1D_EEDaS18_S19_EUlS18_E_NS1_11comp_targetILNS1_3genE9ELNS1_11target_archE1100ELNS1_3gpuE3ELNS1_3repE0EEENS1_30default_config_static_selectorELNS0_4arch9wavefront6targetE0EEEvT1_
    .private_segment_fixed_size: 0
    .sgpr_count:     28
    .sgpr_spill_count: 0
    .symbol:         _ZN7rocprim17ROCPRIM_400000_NS6detail17trampoline_kernelINS0_14default_configENS1_25partition_config_selectorILNS1_17partition_subalgoE9EtjbEEZZNS1_14partition_implILS5_9ELb0ES3_jN6thrust23THRUST_200600_302600_NS6detail15normal_iteratorINS9_10device_ptrItEEEENSB_INSC_IjEEEEPNS0_10empty_typeENS0_5tupleIJSE_SH_EEENSJ_IJNS9_16discard_iteratorINS9_11use_defaultEEESI_EEENS0_18inequality_wrapperINS9_8equal_toItEEEEPmJSH_EEE10hipError_tPvRmT3_T4_T5_T6_T7_T9_mT8_P12ihipStream_tbDpT10_ENKUlT_T0_E_clISt17integral_constantIbLb1EES1D_EEDaS18_S19_EUlS18_E_NS1_11comp_targetILNS1_3genE9ELNS1_11target_archE1100ELNS1_3gpuE3ELNS1_3repE0EEENS1_30default_config_static_selectorELNS0_4arch9wavefront6targetE0EEEvT1_.kd
    .uniform_work_group_size: 1
    .uses_dynamic_stack: false
    .vgpr_count:     86
    .vgpr_spill_count: 0
    .wavefront_size: 32
    .workgroup_processor_mode: 1
  - .args:
      - .offset:         0
        .size:           136
        .value_kind:     by_value
    .group_segment_fixed_size: 0
    .kernarg_segment_align: 8
    .kernarg_segment_size: 136
    .language:       OpenCL C
    .language_version:
      - 2
      - 0
    .max_flat_workgroup_size: 512
    .name:           _ZN7rocprim17ROCPRIM_400000_NS6detail17trampoline_kernelINS0_14default_configENS1_25partition_config_selectorILNS1_17partition_subalgoE9EtjbEEZZNS1_14partition_implILS5_9ELb0ES3_jN6thrust23THRUST_200600_302600_NS6detail15normal_iteratorINS9_10device_ptrItEEEENSB_INSC_IjEEEEPNS0_10empty_typeENS0_5tupleIJSE_SH_EEENSJ_IJNS9_16discard_iteratorINS9_11use_defaultEEESI_EEENS0_18inequality_wrapperINS9_8equal_toItEEEEPmJSH_EEE10hipError_tPvRmT3_T4_T5_T6_T7_T9_mT8_P12ihipStream_tbDpT10_ENKUlT_T0_E_clISt17integral_constantIbLb1EES1D_EEDaS18_S19_EUlS18_E_NS1_11comp_targetILNS1_3genE8ELNS1_11target_archE1030ELNS1_3gpuE2ELNS1_3repE0EEENS1_30default_config_static_selectorELNS0_4arch9wavefront6targetE0EEEvT1_
    .private_segment_fixed_size: 0
    .sgpr_count:     0
    .sgpr_spill_count: 0
    .symbol:         _ZN7rocprim17ROCPRIM_400000_NS6detail17trampoline_kernelINS0_14default_configENS1_25partition_config_selectorILNS1_17partition_subalgoE9EtjbEEZZNS1_14partition_implILS5_9ELb0ES3_jN6thrust23THRUST_200600_302600_NS6detail15normal_iteratorINS9_10device_ptrItEEEENSB_INSC_IjEEEEPNS0_10empty_typeENS0_5tupleIJSE_SH_EEENSJ_IJNS9_16discard_iteratorINS9_11use_defaultEEESI_EEENS0_18inequality_wrapperINS9_8equal_toItEEEEPmJSH_EEE10hipError_tPvRmT3_T4_T5_T6_T7_T9_mT8_P12ihipStream_tbDpT10_ENKUlT_T0_E_clISt17integral_constantIbLb1EES1D_EEDaS18_S19_EUlS18_E_NS1_11comp_targetILNS1_3genE8ELNS1_11target_archE1030ELNS1_3gpuE2ELNS1_3repE0EEENS1_30default_config_static_selectorELNS0_4arch9wavefront6targetE0EEEvT1_.kd
    .uniform_work_group_size: 1
    .uses_dynamic_stack: false
    .vgpr_count:     0
    .vgpr_spill_count: 0
    .wavefront_size: 32
    .workgroup_processor_mode: 1
  - .args:
      - .offset:         0
        .size:           120
        .value_kind:     by_value
    .group_segment_fixed_size: 0
    .kernarg_segment_align: 8
    .kernarg_segment_size: 120
    .language:       OpenCL C
    .language_version:
      - 2
      - 0
    .max_flat_workgroup_size: 256
    .name:           _ZN7rocprim17ROCPRIM_400000_NS6detail17trampoline_kernelINS0_14default_configENS1_25partition_config_selectorILNS1_17partition_subalgoE9EtjbEEZZNS1_14partition_implILS5_9ELb0ES3_jN6thrust23THRUST_200600_302600_NS6detail15normal_iteratorINS9_10device_ptrItEEEENSB_INSC_IjEEEEPNS0_10empty_typeENS0_5tupleIJSE_SH_EEENSJ_IJNS9_16discard_iteratorINS9_11use_defaultEEESI_EEENS0_18inequality_wrapperINS9_8equal_toItEEEEPmJSH_EEE10hipError_tPvRmT3_T4_T5_T6_T7_T9_mT8_P12ihipStream_tbDpT10_ENKUlT_T0_E_clISt17integral_constantIbLb1EES1C_IbLb0EEEEDaS18_S19_EUlS18_E_NS1_11comp_targetILNS1_3genE0ELNS1_11target_archE4294967295ELNS1_3gpuE0ELNS1_3repE0EEENS1_30default_config_static_selectorELNS0_4arch9wavefront6targetE0EEEvT1_
    .private_segment_fixed_size: 0
    .sgpr_count:     0
    .sgpr_spill_count: 0
    .symbol:         _ZN7rocprim17ROCPRIM_400000_NS6detail17trampoline_kernelINS0_14default_configENS1_25partition_config_selectorILNS1_17partition_subalgoE9EtjbEEZZNS1_14partition_implILS5_9ELb0ES3_jN6thrust23THRUST_200600_302600_NS6detail15normal_iteratorINS9_10device_ptrItEEEENSB_INSC_IjEEEEPNS0_10empty_typeENS0_5tupleIJSE_SH_EEENSJ_IJNS9_16discard_iteratorINS9_11use_defaultEEESI_EEENS0_18inequality_wrapperINS9_8equal_toItEEEEPmJSH_EEE10hipError_tPvRmT3_T4_T5_T6_T7_T9_mT8_P12ihipStream_tbDpT10_ENKUlT_T0_E_clISt17integral_constantIbLb1EES1C_IbLb0EEEEDaS18_S19_EUlS18_E_NS1_11comp_targetILNS1_3genE0ELNS1_11target_archE4294967295ELNS1_3gpuE0ELNS1_3repE0EEENS1_30default_config_static_selectorELNS0_4arch9wavefront6targetE0EEEvT1_.kd
    .uniform_work_group_size: 1
    .uses_dynamic_stack: false
    .vgpr_count:     0
    .vgpr_spill_count: 0
    .wavefront_size: 32
    .workgroup_processor_mode: 1
  - .args:
      - .offset:         0
        .size:           120
        .value_kind:     by_value
    .group_segment_fixed_size: 0
    .kernarg_segment_align: 8
    .kernarg_segment_size: 120
    .language:       OpenCL C
    .language_version:
      - 2
      - 0
    .max_flat_workgroup_size: 512
    .name:           _ZN7rocprim17ROCPRIM_400000_NS6detail17trampoline_kernelINS0_14default_configENS1_25partition_config_selectorILNS1_17partition_subalgoE9EtjbEEZZNS1_14partition_implILS5_9ELb0ES3_jN6thrust23THRUST_200600_302600_NS6detail15normal_iteratorINS9_10device_ptrItEEEENSB_INSC_IjEEEEPNS0_10empty_typeENS0_5tupleIJSE_SH_EEENSJ_IJNS9_16discard_iteratorINS9_11use_defaultEEESI_EEENS0_18inequality_wrapperINS9_8equal_toItEEEEPmJSH_EEE10hipError_tPvRmT3_T4_T5_T6_T7_T9_mT8_P12ihipStream_tbDpT10_ENKUlT_T0_E_clISt17integral_constantIbLb1EES1C_IbLb0EEEEDaS18_S19_EUlS18_E_NS1_11comp_targetILNS1_3genE5ELNS1_11target_archE942ELNS1_3gpuE9ELNS1_3repE0EEENS1_30default_config_static_selectorELNS0_4arch9wavefront6targetE0EEEvT1_
    .private_segment_fixed_size: 0
    .sgpr_count:     0
    .sgpr_spill_count: 0
    .symbol:         _ZN7rocprim17ROCPRIM_400000_NS6detail17trampoline_kernelINS0_14default_configENS1_25partition_config_selectorILNS1_17partition_subalgoE9EtjbEEZZNS1_14partition_implILS5_9ELb0ES3_jN6thrust23THRUST_200600_302600_NS6detail15normal_iteratorINS9_10device_ptrItEEEENSB_INSC_IjEEEEPNS0_10empty_typeENS0_5tupleIJSE_SH_EEENSJ_IJNS9_16discard_iteratorINS9_11use_defaultEEESI_EEENS0_18inequality_wrapperINS9_8equal_toItEEEEPmJSH_EEE10hipError_tPvRmT3_T4_T5_T6_T7_T9_mT8_P12ihipStream_tbDpT10_ENKUlT_T0_E_clISt17integral_constantIbLb1EES1C_IbLb0EEEEDaS18_S19_EUlS18_E_NS1_11comp_targetILNS1_3genE5ELNS1_11target_archE942ELNS1_3gpuE9ELNS1_3repE0EEENS1_30default_config_static_selectorELNS0_4arch9wavefront6targetE0EEEvT1_.kd
    .uniform_work_group_size: 1
    .uses_dynamic_stack: false
    .vgpr_count:     0
    .vgpr_spill_count: 0
    .wavefront_size: 32
    .workgroup_processor_mode: 1
  - .args:
      - .offset:         0
        .size:           120
        .value_kind:     by_value
    .group_segment_fixed_size: 0
    .kernarg_segment_align: 8
    .kernarg_segment_size: 120
    .language:       OpenCL C
    .language_version:
      - 2
      - 0
    .max_flat_workgroup_size: 192
    .name:           _ZN7rocprim17ROCPRIM_400000_NS6detail17trampoline_kernelINS0_14default_configENS1_25partition_config_selectorILNS1_17partition_subalgoE9EtjbEEZZNS1_14partition_implILS5_9ELb0ES3_jN6thrust23THRUST_200600_302600_NS6detail15normal_iteratorINS9_10device_ptrItEEEENSB_INSC_IjEEEEPNS0_10empty_typeENS0_5tupleIJSE_SH_EEENSJ_IJNS9_16discard_iteratorINS9_11use_defaultEEESI_EEENS0_18inequality_wrapperINS9_8equal_toItEEEEPmJSH_EEE10hipError_tPvRmT3_T4_T5_T6_T7_T9_mT8_P12ihipStream_tbDpT10_ENKUlT_T0_E_clISt17integral_constantIbLb1EES1C_IbLb0EEEEDaS18_S19_EUlS18_E_NS1_11comp_targetILNS1_3genE4ELNS1_11target_archE910ELNS1_3gpuE8ELNS1_3repE0EEENS1_30default_config_static_selectorELNS0_4arch9wavefront6targetE0EEEvT1_
    .private_segment_fixed_size: 0
    .sgpr_count:     0
    .sgpr_spill_count: 0
    .symbol:         _ZN7rocprim17ROCPRIM_400000_NS6detail17trampoline_kernelINS0_14default_configENS1_25partition_config_selectorILNS1_17partition_subalgoE9EtjbEEZZNS1_14partition_implILS5_9ELb0ES3_jN6thrust23THRUST_200600_302600_NS6detail15normal_iteratorINS9_10device_ptrItEEEENSB_INSC_IjEEEEPNS0_10empty_typeENS0_5tupleIJSE_SH_EEENSJ_IJNS9_16discard_iteratorINS9_11use_defaultEEESI_EEENS0_18inequality_wrapperINS9_8equal_toItEEEEPmJSH_EEE10hipError_tPvRmT3_T4_T5_T6_T7_T9_mT8_P12ihipStream_tbDpT10_ENKUlT_T0_E_clISt17integral_constantIbLb1EES1C_IbLb0EEEEDaS18_S19_EUlS18_E_NS1_11comp_targetILNS1_3genE4ELNS1_11target_archE910ELNS1_3gpuE8ELNS1_3repE0EEENS1_30default_config_static_selectorELNS0_4arch9wavefront6targetE0EEEvT1_.kd
    .uniform_work_group_size: 1
    .uses_dynamic_stack: false
    .vgpr_count:     0
    .vgpr_spill_count: 0
    .wavefront_size: 32
    .workgroup_processor_mode: 1
  - .args:
      - .offset:         0
        .size:           120
        .value_kind:     by_value
    .group_segment_fixed_size: 0
    .kernarg_segment_align: 8
    .kernarg_segment_size: 120
    .language:       OpenCL C
    .language_version:
      - 2
      - 0
    .max_flat_workgroup_size: 256
    .name:           _ZN7rocprim17ROCPRIM_400000_NS6detail17trampoline_kernelINS0_14default_configENS1_25partition_config_selectorILNS1_17partition_subalgoE9EtjbEEZZNS1_14partition_implILS5_9ELb0ES3_jN6thrust23THRUST_200600_302600_NS6detail15normal_iteratorINS9_10device_ptrItEEEENSB_INSC_IjEEEEPNS0_10empty_typeENS0_5tupleIJSE_SH_EEENSJ_IJNS9_16discard_iteratorINS9_11use_defaultEEESI_EEENS0_18inequality_wrapperINS9_8equal_toItEEEEPmJSH_EEE10hipError_tPvRmT3_T4_T5_T6_T7_T9_mT8_P12ihipStream_tbDpT10_ENKUlT_T0_E_clISt17integral_constantIbLb1EES1C_IbLb0EEEEDaS18_S19_EUlS18_E_NS1_11comp_targetILNS1_3genE3ELNS1_11target_archE908ELNS1_3gpuE7ELNS1_3repE0EEENS1_30default_config_static_selectorELNS0_4arch9wavefront6targetE0EEEvT1_
    .private_segment_fixed_size: 0
    .sgpr_count:     0
    .sgpr_spill_count: 0
    .symbol:         _ZN7rocprim17ROCPRIM_400000_NS6detail17trampoline_kernelINS0_14default_configENS1_25partition_config_selectorILNS1_17partition_subalgoE9EtjbEEZZNS1_14partition_implILS5_9ELb0ES3_jN6thrust23THRUST_200600_302600_NS6detail15normal_iteratorINS9_10device_ptrItEEEENSB_INSC_IjEEEEPNS0_10empty_typeENS0_5tupleIJSE_SH_EEENSJ_IJNS9_16discard_iteratorINS9_11use_defaultEEESI_EEENS0_18inequality_wrapperINS9_8equal_toItEEEEPmJSH_EEE10hipError_tPvRmT3_T4_T5_T6_T7_T9_mT8_P12ihipStream_tbDpT10_ENKUlT_T0_E_clISt17integral_constantIbLb1EES1C_IbLb0EEEEDaS18_S19_EUlS18_E_NS1_11comp_targetILNS1_3genE3ELNS1_11target_archE908ELNS1_3gpuE7ELNS1_3repE0EEENS1_30default_config_static_selectorELNS0_4arch9wavefront6targetE0EEEvT1_.kd
    .uniform_work_group_size: 1
    .uses_dynamic_stack: false
    .vgpr_count:     0
    .vgpr_spill_count: 0
    .wavefront_size: 32
    .workgroup_processor_mode: 1
  - .args:
      - .offset:         0
        .size:           120
        .value_kind:     by_value
    .group_segment_fixed_size: 0
    .kernarg_segment_align: 8
    .kernarg_segment_size: 120
    .language:       OpenCL C
    .language_version:
      - 2
      - 0
    .max_flat_workgroup_size: 256
    .name:           _ZN7rocprim17ROCPRIM_400000_NS6detail17trampoline_kernelINS0_14default_configENS1_25partition_config_selectorILNS1_17partition_subalgoE9EtjbEEZZNS1_14partition_implILS5_9ELb0ES3_jN6thrust23THRUST_200600_302600_NS6detail15normal_iteratorINS9_10device_ptrItEEEENSB_INSC_IjEEEEPNS0_10empty_typeENS0_5tupleIJSE_SH_EEENSJ_IJNS9_16discard_iteratorINS9_11use_defaultEEESI_EEENS0_18inequality_wrapperINS9_8equal_toItEEEEPmJSH_EEE10hipError_tPvRmT3_T4_T5_T6_T7_T9_mT8_P12ihipStream_tbDpT10_ENKUlT_T0_E_clISt17integral_constantIbLb1EES1C_IbLb0EEEEDaS18_S19_EUlS18_E_NS1_11comp_targetILNS1_3genE2ELNS1_11target_archE906ELNS1_3gpuE6ELNS1_3repE0EEENS1_30default_config_static_selectorELNS0_4arch9wavefront6targetE0EEEvT1_
    .private_segment_fixed_size: 0
    .sgpr_count:     0
    .sgpr_spill_count: 0
    .symbol:         _ZN7rocprim17ROCPRIM_400000_NS6detail17trampoline_kernelINS0_14default_configENS1_25partition_config_selectorILNS1_17partition_subalgoE9EtjbEEZZNS1_14partition_implILS5_9ELb0ES3_jN6thrust23THRUST_200600_302600_NS6detail15normal_iteratorINS9_10device_ptrItEEEENSB_INSC_IjEEEEPNS0_10empty_typeENS0_5tupleIJSE_SH_EEENSJ_IJNS9_16discard_iteratorINS9_11use_defaultEEESI_EEENS0_18inequality_wrapperINS9_8equal_toItEEEEPmJSH_EEE10hipError_tPvRmT3_T4_T5_T6_T7_T9_mT8_P12ihipStream_tbDpT10_ENKUlT_T0_E_clISt17integral_constantIbLb1EES1C_IbLb0EEEEDaS18_S19_EUlS18_E_NS1_11comp_targetILNS1_3genE2ELNS1_11target_archE906ELNS1_3gpuE6ELNS1_3repE0EEENS1_30default_config_static_selectorELNS0_4arch9wavefront6targetE0EEEvT1_.kd
    .uniform_work_group_size: 1
    .uses_dynamic_stack: false
    .vgpr_count:     0
    .vgpr_spill_count: 0
    .wavefront_size: 32
    .workgroup_processor_mode: 1
  - .args:
      - .offset:         0
        .size:           120
        .value_kind:     by_value
    .group_segment_fixed_size: 0
    .kernarg_segment_align: 8
    .kernarg_segment_size: 120
    .language:       OpenCL C
    .language_version:
      - 2
      - 0
    .max_flat_workgroup_size: 512
    .name:           _ZN7rocprim17ROCPRIM_400000_NS6detail17trampoline_kernelINS0_14default_configENS1_25partition_config_selectorILNS1_17partition_subalgoE9EtjbEEZZNS1_14partition_implILS5_9ELb0ES3_jN6thrust23THRUST_200600_302600_NS6detail15normal_iteratorINS9_10device_ptrItEEEENSB_INSC_IjEEEEPNS0_10empty_typeENS0_5tupleIJSE_SH_EEENSJ_IJNS9_16discard_iteratorINS9_11use_defaultEEESI_EEENS0_18inequality_wrapperINS9_8equal_toItEEEEPmJSH_EEE10hipError_tPvRmT3_T4_T5_T6_T7_T9_mT8_P12ihipStream_tbDpT10_ENKUlT_T0_E_clISt17integral_constantIbLb1EES1C_IbLb0EEEEDaS18_S19_EUlS18_E_NS1_11comp_targetILNS1_3genE10ELNS1_11target_archE1200ELNS1_3gpuE4ELNS1_3repE0EEENS1_30default_config_static_selectorELNS0_4arch9wavefront6targetE0EEEvT1_
    .private_segment_fixed_size: 0
    .sgpr_count:     0
    .sgpr_spill_count: 0
    .symbol:         _ZN7rocprim17ROCPRIM_400000_NS6detail17trampoline_kernelINS0_14default_configENS1_25partition_config_selectorILNS1_17partition_subalgoE9EtjbEEZZNS1_14partition_implILS5_9ELb0ES3_jN6thrust23THRUST_200600_302600_NS6detail15normal_iteratorINS9_10device_ptrItEEEENSB_INSC_IjEEEEPNS0_10empty_typeENS0_5tupleIJSE_SH_EEENSJ_IJNS9_16discard_iteratorINS9_11use_defaultEEESI_EEENS0_18inequality_wrapperINS9_8equal_toItEEEEPmJSH_EEE10hipError_tPvRmT3_T4_T5_T6_T7_T9_mT8_P12ihipStream_tbDpT10_ENKUlT_T0_E_clISt17integral_constantIbLb1EES1C_IbLb0EEEEDaS18_S19_EUlS18_E_NS1_11comp_targetILNS1_3genE10ELNS1_11target_archE1200ELNS1_3gpuE4ELNS1_3repE0EEENS1_30default_config_static_selectorELNS0_4arch9wavefront6targetE0EEEvT1_.kd
    .uniform_work_group_size: 1
    .uses_dynamic_stack: false
    .vgpr_count:     0
    .vgpr_spill_count: 0
    .wavefront_size: 32
    .workgroup_processor_mode: 1
  - .args:
      - .offset:         0
        .size:           120
        .value_kind:     by_value
    .group_segment_fixed_size: 5640
    .kernarg_segment_align: 8
    .kernarg_segment_size: 120
    .language:       OpenCL C
    .language_version:
      - 2
      - 0
    .max_flat_workgroup_size: 128
    .name:           _ZN7rocprim17ROCPRIM_400000_NS6detail17trampoline_kernelINS0_14default_configENS1_25partition_config_selectorILNS1_17partition_subalgoE9EtjbEEZZNS1_14partition_implILS5_9ELb0ES3_jN6thrust23THRUST_200600_302600_NS6detail15normal_iteratorINS9_10device_ptrItEEEENSB_INSC_IjEEEEPNS0_10empty_typeENS0_5tupleIJSE_SH_EEENSJ_IJNS9_16discard_iteratorINS9_11use_defaultEEESI_EEENS0_18inequality_wrapperINS9_8equal_toItEEEEPmJSH_EEE10hipError_tPvRmT3_T4_T5_T6_T7_T9_mT8_P12ihipStream_tbDpT10_ENKUlT_T0_E_clISt17integral_constantIbLb1EES1C_IbLb0EEEEDaS18_S19_EUlS18_E_NS1_11comp_targetILNS1_3genE9ELNS1_11target_archE1100ELNS1_3gpuE3ELNS1_3repE0EEENS1_30default_config_static_selectorELNS0_4arch9wavefront6targetE0EEEvT1_
    .private_segment_fixed_size: 0
    .sgpr_count:     26
    .sgpr_spill_count: 0
    .symbol:         _ZN7rocprim17ROCPRIM_400000_NS6detail17trampoline_kernelINS0_14default_configENS1_25partition_config_selectorILNS1_17partition_subalgoE9EtjbEEZZNS1_14partition_implILS5_9ELb0ES3_jN6thrust23THRUST_200600_302600_NS6detail15normal_iteratorINS9_10device_ptrItEEEENSB_INSC_IjEEEEPNS0_10empty_typeENS0_5tupleIJSE_SH_EEENSJ_IJNS9_16discard_iteratorINS9_11use_defaultEEESI_EEENS0_18inequality_wrapperINS9_8equal_toItEEEEPmJSH_EEE10hipError_tPvRmT3_T4_T5_T6_T7_T9_mT8_P12ihipStream_tbDpT10_ENKUlT_T0_E_clISt17integral_constantIbLb1EES1C_IbLb0EEEEDaS18_S19_EUlS18_E_NS1_11comp_targetILNS1_3genE9ELNS1_11target_archE1100ELNS1_3gpuE3ELNS1_3repE0EEENS1_30default_config_static_selectorELNS0_4arch9wavefront6targetE0EEEvT1_.kd
    .uniform_work_group_size: 1
    .uses_dynamic_stack: false
    .vgpr_count:     84
    .vgpr_spill_count: 0
    .wavefront_size: 32
    .workgroup_processor_mode: 1
  - .args:
      - .offset:         0
        .size:           120
        .value_kind:     by_value
    .group_segment_fixed_size: 0
    .kernarg_segment_align: 8
    .kernarg_segment_size: 120
    .language:       OpenCL C
    .language_version:
      - 2
      - 0
    .max_flat_workgroup_size: 512
    .name:           _ZN7rocprim17ROCPRIM_400000_NS6detail17trampoline_kernelINS0_14default_configENS1_25partition_config_selectorILNS1_17partition_subalgoE9EtjbEEZZNS1_14partition_implILS5_9ELb0ES3_jN6thrust23THRUST_200600_302600_NS6detail15normal_iteratorINS9_10device_ptrItEEEENSB_INSC_IjEEEEPNS0_10empty_typeENS0_5tupleIJSE_SH_EEENSJ_IJNS9_16discard_iteratorINS9_11use_defaultEEESI_EEENS0_18inequality_wrapperINS9_8equal_toItEEEEPmJSH_EEE10hipError_tPvRmT3_T4_T5_T6_T7_T9_mT8_P12ihipStream_tbDpT10_ENKUlT_T0_E_clISt17integral_constantIbLb1EES1C_IbLb0EEEEDaS18_S19_EUlS18_E_NS1_11comp_targetILNS1_3genE8ELNS1_11target_archE1030ELNS1_3gpuE2ELNS1_3repE0EEENS1_30default_config_static_selectorELNS0_4arch9wavefront6targetE0EEEvT1_
    .private_segment_fixed_size: 0
    .sgpr_count:     0
    .sgpr_spill_count: 0
    .symbol:         _ZN7rocprim17ROCPRIM_400000_NS6detail17trampoline_kernelINS0_14default_configENS1_25partition_config_selectorILNS1_17partition_subalgoE9EtjbEEZZNS1_14partition_implILS5_9ELb0ES3_jN6thrust23THRUST_200600_302600_NS6detail15normal_iteratorINS9_10device_ptrItEEEENSB_INSC_IjEEEEPNS0_10empty_typeENS0_5tupleIJSE_SH_EEENSJ_IJNS9_16discard_iteratorINS9_11use_defaultEEESI_EEENS0_18inequality_wrapperINS9_8equal_toItEEEEPmJSH_EEE10hipError_tPvRmT3_T4_T5_T6_T7_T9_mT8_P12ihipStream_tbDpT10_ENKUlT_T0_E_clISt17integral_constantIbLb1EES1C_IbLb0EEEEDaS18_S19_EUlS18_E_NS1_11comp_targetILNS1_3genE8ELNS1_11target_archE1030ELNS1_3gpuE2ELNS1_3repE0EEENS1_30default_config_static_selectorELNS0_4arch9wavefront6targetE0EEEvT1_.kd
    .uniform_work_group_size: 1
    .uses_dynamic_stack: false
    .vgpr_count:     0
    .vgpr_spill_count: 0
    .wavefront_size: 32
    .workgroup_processor_mode: 1
  - .args:
      - .offset:         0
        .size:           136
        .value_kind:     by_value
    .group_segment_fixed_size: 0
    .kernarg_segment_align: 8
    .kernarg_segment_size: 136
    .language:       OpenCL C
    .language_version:
      - 2
      - 0
    .max_flat_workgroup_size: 256
    .name:           _ZN7rocprim17ROCPRIM_400000_NS6detail17trampoline_kernelINS0_14default_configENS1_25partition_config_selectorILNS1_17partition_subalgoE9EtjbEEZZNS1_14partition_implILS5_9ELb0ES3_jN6thrust23THRUST_200600_302600_NS6detail15normal_iteratorINS9_10device_ptrItEEEENSB_INSC_IjEEEEPNS0_10empty_typeENS0_5tupleIJSE_SH_EEENSJ_IJNS9_16discard_iteratorINS9_11use_defaultEEESI_EEENS0_18inequality_wrapperINS9_8equal_toItEEEEPmJSH_EEE10hipError_tPvRmT3_T4_T5_T6_T7_T9_mT8_P12ihipStream_tbDpT10_ENKUlT_T0_E_clISt17integral_constantIbLb0EES1C_IbLb1EEEEDaS18_S19_EUlS18_E_NS1_11comp_targetILNS1_3genE0ELNS1_11target_archE4294967295ELNS1_3gpuE0ELNS1_3repE0EEENS1_30default_config_static_selectorELNS0_4arch9wavefront6targetE0EEEvT1_
    .private_segment_fixed_size: 0
    .sgpr_count:     0
    .sgpr_spill_count: 0
    .symbol:         _ZN7rocprim17ROCPRIM_400000_NS6detail17trampoline_kernelINS0_14default_configENS1_25partition_config_selectorILNS1_17partition_subalgoE9EtjbEEZZNS1_14partition_implILS5_9ELb0ES3_jN6thrust23THRUST_200600_302600_NS6detail15normal_iteratorINS9_10device_ptrItEEEENSB_INSC_IjEEEEPNS0_10empty_typeENS0_5tupleIJSE_SH_EEENSJ_IJNS9_16discard_iteratorINS9_11use_defaultEEESI_EEENS0_18inequality_wrapperINS9_8equal_toItEEEEPmJSH_EEE10hipError_tPvRmT3_T4_T5_T6_T7_T9_mT8_P12ihipStream_tbDpT10_ENKUlT_T0_E_clISt17integral_constantIbLb0EES1C_IbLb1EEEEDaS18_S19_EUlS18_E_NS1_11comp_targetILNS1_3genE0ELNS1_11target_archE4294967295ELNS1_3gpuE0ELNS1_3repE0EEENS1_30default_config_static_selectorELNS0_4arch9wavefront6targetE0EEEvT1_.kd
    .uniform_work_group_size: 1
    .uses_dynamic_stack: false
    .vgpr_count:     0
    .vgpr_spill_count: 0
    .wavefront_size: 32
    .workgroup_processor_mode: 1
  - .args:
      - .offset:         0
        .size:           136
        .value_kind:     by_value
    .group_segment_fixed_size: 0
    .kernarg_segment_align: 8
    .kernarg_segment_size: 136
    .language:       OpenCL C
    .language_version:
      - 2
      - 0
    .max_flat_workgroup_size: 512
    .name:           _ZN7rocprim17ROCPRIM_400000_NS6detail17trampoline_kernelINS0_14default_configENS1_25partition_config_selectorILNS1_17partition_subalgoE9EtjbEEZZNS1_14partition_implILS5_9ELb0ES3_jN6thrust23THRUST_200600_302600_NS6detail15normal_iteratorINS9_10device_ptrItEEEENSB_INSC_IjEEEEPNS0_10empty_typeENS0_5tupleIJSE_SH_EEENSJ_IJNS9_16discard_iteratorINS9_11use_defaultEEESI_EEENS0_18inequality_wrapperINS9_8equal_toItEEEEPmJSH_EEE10hipError_tPvRmT3_T4_T5_T6_T7_T9_mT8_P12ihipStream_tbDpT10_ENKUlT_T0_E_clISt17integral_constantIbLb0EES1C_IbLb1EEEEDaS18_S19_EUlS18_E_NS1_11comp_targetILNS1_3genE5ELNS1_11target_archE942ELNS1_3gpuE9ELNS1_3repE0EEENS1_30default_config_static_selectorELNS0_4arch9wavefront6targetE0EEEvT1_
    .private_segment_fixed_size: 0
    .sgpr_count:     0
    .sgpr_spill_count: 0
    .symbol:         _ZN7rocprim17ROCPRIM_400000_NS6detail17trampoline_kernelINS0_14default_configENS1_25partition_config_selectorILNS1_17partition_subalgoE9EtjbEEZZNS1_14partition_implILS5_9ELb0ES3_jN6thrust23THRUST_200600_302600_NS6detail15normal_iteratorINS9_10device_ptrItEEEENSB_INSC_IjEEEEPNS0_10empty_typeENS0_5tupleIJSE_SH_EEENSJ_IJNS9_16discard_iteratorINS9_11use_defaultEEESI_EEENS0_18inequality_wrapperINS9_8equal_toItEEEEPmJSH_EEE10hipError_tPvRmT3_T4_T5_T6_T7_T9_mT8_P12ihipStream_tbDpT10_ENKUlT_T0_E_clISt17integral_constantIbLb0EES1C_IbLb1EEEEDaS18_S19_EUlS18_E_NS1_11comp_targetILNS1_3genE5ELNS1_11target_archE942ELNS1_3gpuE9ELNS1_3repE0EEENS1_30default_config_static_selectorELNS0_4arch9wavefront6targetE0EEEvT1_.kd
    .uniform_work_group_size: 1
    .uses_dynamic_stack: false
    .vgpr_count:     0
    .vgpr_spill_count: 0
    .wavefront_size: 32
    .workgroup_processor_mode: 1
  - .args:
      - .offset:         0
        .size:           136
        .value_kind:     by_value
    .group_segment_fixed_size: 0
    .kernarg_segment_align: 8
    .kernarg_segment_size: 136
    .language:       OpenCL C
    .language_version:
      - 2
      - 0
    .max_flat_workgroup_size: 192
    .name:           _ZN7rocprim17ROCPRIM_400000_NS6detail17trampoline_kernelINS0_14default_configENS1_25partition_config_selectorILNS1_17partition_subalgoE9EtjbEEZZNS1_14partition_implILS5_9ELb0ES3_jN6thrust23THRUST_200600_302600_NS6detail15normal_iteratorINS9_10device_ptrItEEEENSB_INSC_IjEEEEPNS0_10empty_typeENS0_5tupleIJSE_SH_EEENSJ_IJNS9_16discard_iteratorINS9_11use_defaultEEESI_EEENS0_18inequality_wrapperINS9_8equal_toItEEEEPmJSH_EEE10hipError_tPvRmT3_T4_T5_T6_T7_T9_mT8_P12ihipStream_tbDpT10_ENKUlT_T0_E_clISt17integral_constantIbLb0EES1C_IbLb1EEEEDaS18_S19_EUlS18_E_NS1_11comp_targetILNS1_3genE4ELNS1_11target_archE910ELNS1_3gpuE8ELNS1_3repE0EEENS1_30default_config_static_selectorELNS0_4arch9wavefront6targetE0EEEvT1_
    .private_segment_fixed_size: 0
    .sgpr_count:     0
    .sgpr_spill_count: 0
    .symbol:         _ZN7rocprim17ROCPRIM_400000_NS6detail17trampoline_kernelINS0_14default_configENS1_25partition_config_selectorILNS1_17partition_subalgoE9EtjbEEZZNS1_14partition_implILS5_9ELb0ES3_jN6thrust23THRUST_200600_302600_NS6detail15normal_iteratorINS9_10device_ptrItEEEENSB_INSC_IjEEEEPNS0_10empty_typeENS0_5tupleIJSE_SH_EEENSJ_IJNS9_16discard_iteratorINS9_11use_defaultEEESI_EEENS0_18inequality_wrapperINS9_8equal_toItEEEEPmJSH_EEE10hipError_tPvRmT3_T4_T5_T6_T7_T9_mT8_P12ihipStream_tbDpT10_ENKUlT_T0_E_clISt17integral_constantIbLb0EES1C_IbLb1EEEEDaS18_S19_EUlS18_E_NS1_11comp_targetILNS1_3genE4ELNS1_11target_archE910ELNS1_3gpuE8ELNS1_3repE0EEENS1_30default_config_static_selectorELNS0_4arch9wavefront6targetE0EEEvT1_.kd
    .uniform_work_group_size: 1
    .uses_dynamic_stack: false
    .vgpr_count:     0
    .vgpr_spill_count: 0
    .wavefront_size: 32
    .workgroup_processor_mode: 1
  - .args:
      - .offset:         0
        .size:           136
        .value_kind:     by_value
    .group_segment_fixed_size: 0
    .kernarg_segment_align: 8
    .kernarg_segment_size: 136
    .language:       OpenCL C
    .language_version:
      - 2
      - 0
    .max_flat_workgroup_size: 256
    .name:           _ZN7rocprim17ROCPRIM_400000_NS6detail17trampoline_kernelINS0_14default_configENS1_25partition_config_selectorILNS1_17partition_subalgoE9EtjbEEZZNS1_14partition_implILS5_9ELb0ES3_jN6thrust23THRUST_200600_302600_NS6detail15normal_iteratorINS9_10device_ptrItEEEENSB_INSC_IjEEEEPNS0_10empty_typeENS0_5tupleIJSE_SH_EEENSJ_IJNS9_16discard_iteratorINS9_11use_defaultEEESI_EEENS0_18inequality_wrapperINS9_8equal_toItEEEEPmJSH_EEE10hipError_tPvRmT3_T4_T5_T6_T7_T9_mT8_P12ihipStream_tbDpT10_ENKUlT_T0_E_clISt17integral_constantIbLb0EES1C_IbLb1EEEEDaS18_S19_EUlS18_E_NS1_11comp_targetILNS1_3genE3ELNS1_11target_archE908ELNS1_3gpuE7ELNS1_3repE0EEENS1_30default_config_static_selectorELNS0_4arch9wavefront6targetE0EEEvT1_
    .private_segment_fixed_size: 0
    .sgpr_count:     0
    .sgpr_spill_count: 0
    .symbol:         _ZN7rocprim17ROCPRIM_400000_NS6detail17trampoline_kernelINS0_14default_configENS1_25partition_config_selectorILNS1_17partition_subalgoE9EtjbEEZZNS1_14partition_implILS5_9ELb0ES3_jN6thrust23THRUST_200600_302600_NS6detail15normal_iteratorINS9_10device_ptrItEEEENSB_INSC_IjEEEEPNS0_10empty_typeENS0_5tupleIJSE_SH_EEENSJ_IJNS9_16discard_iteratorINS9_11use_defaultEEESI_EEENS0_18inequality_wrapperINS9_8equal_toItEEEEPmJSH_EEE10hipError_tPvRmT3_T4_T5_T6_T7_T9_mT8_P12ihipStream_tbDpT10_ENKUlT_T0_E_clISt17integral_constantIbLb0EES1C_IbLb1EEEEDaS18_S19_EUlS18_E_NS1_11comp_targetILNS1_3genE3ELNS1_11target_archE908ELNS1_3gpuE7ELNS1_3repE0EEENS1_30default_config_static_selectorELNS0_4arch9wavefront6targetE0EEEvT1_.kd
    .uniform_work_group_size: 1
    .uses_dynamic_stack: false
    .vgpr_count:     0
    .vgpr_spill_count: 0
    .wavefront_size: 32
    .workgroup_processor_mode: 1
  - .args:
      - .offset:         0
        .size:           136
        .value_kind:     by_value
    .group_segment_fixed_size: 0
    .kernarg_segment_align: 8
    .kernarg_segment_size: 136
    .language:       OpenCL C
    .language_version:
      - 2
      - 0
    .max_flat_workgroup_size: 256
    .name:           _ZN7rocprim17ROCPRIM_400000_NS6detail17trampoline_kernelINS0_14default_configENS1_25partition_config_selectorILNS1_17partition_subalgoE9EtjbEEZZNS1_14partition_implILS5_9ELb0ES3_jN6thrust23THRUST_200600_302600_NS6detail15normal_iteratorINS9_10device_ptrItEEEENSB_INSC_IjEEEEPNS0_10empty_typeENS0_5tupleIJSE_SH_EEENSJ_IJNS9_16discard_iteratorINS9_11use_defaultEEESI_EEENS0_18inequality_wrapperINS9_8equal_toItEEEEPmJSH_EEE10hipError_tPvRmT3_T4_T5_T6_T7_T9_mT8_P12ihipStream_tbDpT10_ENKUlT_T0_E_clISt17integral_constantIbLb0EES1C_IbLb1EEEEDaS18_S19_EUlS18_E_NS1_11comp_targetILNS1_3genE2ELNS1_11target_archE906ELNS1_3gpuE6ELNS1_3repE0EEENS1_30default_config_static_selectorELNS0_4arch9wavefront6targetE0EEEvT1_
    .private_segment_fixed_size: 0
    .sgpr_count:     0
    .sgpr_spill_count: 0
    .symbol:         _ZN7rocprim17ROCPRIM_400000_NS6detail17trampoline_kernelINS0_14default_configENS1_25partition_config_selectorILNS1_17partition_subalgoE9EtjbEEZZNS1_14partition_implILS5_9ELb0ES3_jN6thrust23THRUST_200600_302600_NS6detail15normal_iteratorINS9_10device_ptrItEEEENSB_INSC_IjEEEEPNS0_10empty_typeENS0_5tupleIJSE_SH_EEENSJ_IJNS9_16discard_iteratorINS9_11use_defaultEEESI_EEENS0_18inequality_wrapperINS9_8equal_toItEEEEPmJSH_EEE10hipError_tPvRmT3_T4_T5_T6_T7_T9_mT8_P12ihipStream_tbDpT10_ENKUlT_T0_E_clISt17integral_constantIbLb0EES1C_IbLb1EEEEDaS18_S19_EUlS18_E_NS1_11comp_targetILNS1_3genE2ELNS1_11target_archE906ELNS1_3gpuE6ELNS1_3repE0EEENS1_30default_config_static_selectorELNS0_4arch9wavefront6targetE0EEEvT1_.kd
    .uniform_work_group_size: 1
    .uses_dynamic_stack: false
    .vgpr_count:     0
    .vgpr_spill_count: 0
    .wavefront_size: 32
    .workgroup_processor_mode: 1
  - .args:
      - .offset:         0
        .size:           136
        .value_kind:     by_value
    .group_segment_fixed_size: 0
    .kernarg_segment_align: 8
    .kernarg_segment_size: 136
    .language:       OpenCL C
    .language_version:
      - 2
      - 0
    .max_flat_workgroup_size: 512
    .name:           _ZN7rocprim17ROCPRIM_400000_NS6detail17trampoline_kernelINS0_14default_configENS1_25partition_config_selectorILNS1_17partition_subalgoE9EtjbEEZZNS1_14partition_implILS5_9ELb0ES3_jN6thrust23THRUST_200600_302600_NS6detail15normal_iteratorINS9_10device_ptrItEEEENSB_INSC_IjEEEEPNS0_10empty_typeENS0_5tupleIJSE_SH_EEENSJ_IJNS9_16discard_iteratorINS9_11use_defaultEEESI_EEENS0_18inequality_wrapperINS9_8equal_toItEEEEPmJSH_EEE10hipError_tPvRmT3_T4_T5_T6_T7_T9_mT8_P12ihipStream_tbDpT10_ENKUlT_T0_E_clISt17integral_constantIbLb0EES1C_IbLb1EEEEDaS18_S19_EUlS18_E_NS1_11comp_targetILNS1_3genE10ELNS1_11target_archE1200ELNS1_3gpuE4ELNS1_3repE0EEENS1_30default_config_static_selectorELNS0_4arch9wavefront6targetE0EEEvT1_
    .private_segment_fixed_size: 0
    .sgpr_count:     0
    .sgpr_spill_count: 0
    .symbol:         _ZN7rocprim17ROCPRIM_400000_NS6detail17trampoline_kernelINS0_14default_configENS1_25partition_config_selectorILNS1_17partition_subalgoE9EtjbEEZZNS1_14partition_implILS5_9ELb0ES3_jN6thrust23THRUST_200600_302600_NS6detail15normal_iteratorINS9_10device_ptrItEEEENSB_INSC_IjEEEEPNS0_10empty_typeENS0_5tupleIJSE_SH_EEENSJ_IJNS9_16discard_iteratorINS9_11use_defaultEEESI_EEENS0_18inequality_wrapperINS9_8equal_toItEEEEPmJSH_EEE10hipError_tPvRmT3_T4_T5_T6_T7_T9_mT8_P12ihipStream_tbDpT10_ENKUlT_T0_E_clISt17integral_constantIbLb0EES1C_IbLb1EEEEDaS18_S19_EUlS18_E_NS1_11comp_targetILNS1_3genE10ELNS1_11target_archE1200ELNS1_3gpuE4ELNS1_3repE0EEENS1_30default_config_static_selectorELNS0_4arch9wavefront6targetE0EEEvT1_.kd
    .uniform_work_group_size: 1
    .uses_dynamic_stack: false
    .vgpr_count:     0
    .vgpr_spill_count: 0
    .wavefront_size: 32
    .workgroup_processor_mode: 1
  - .args:
      - .offset:         0
        .size:           136
        .value_kind:     by_value
    .group_segment_fixed_size: 5640
    .kernarg_segment_align: 8
    .kernarg_segment_size: 136
    .language:       OpenCL C
    .language_version:
      - 2
      - 0
    .max_flat_workgroup_size: 128
    .name:           _ZN7rocprim17ROCPRIM_400000_NS6detail17trampoline_kernelINS0_14default_configENS1_25partition_config_selectorILNS1_17partition_subalgoE9EtjbEEZZNS1_14partition_implILS5_9ELb0ES3_jN6thrust23THRUST_200600_302600_NS6detail15normal_iteratorINS9_10device_ptrItEEEENSB_INSC_IjEEEEPNS0_10empty_typeENS0_5tupleIJSE_SH_EEENSJ_IJNS9_16discard_iteratorINS9_11use_defaultEEESI_EEENS0_18inequality_wrapperINS9_8equal_toItEEEEPmJSH_EEE10hipError_tPvRmT3_T4_T5_T6_T7_T9_mT8_P12ihipStream_tbDpT10_ENKUlT_T0_E_clISt17integral_constantIbLb0EES1C_IbLb1EEEEDaS18_S19_EUlS18_E_NS1_11comp_targetILNS1_3genE9ELNS1_11target_archE1100ELNS1_3gpuE3ELNS1_3repE0EEENS1_30default_config_static_selectorELNS0_4arch9wavefront6targetE0EEEvT1_
    .private_segment_fixed_size: 0
    .sgpr_count:     28
    .sgpr_spill_count: 0
    .symbol:         _ZN7rocprim17ROCPRIM_400000_NS6detail17trampoline_kernelINS0_14default_configENS1_25partition_config_selectorILNS1_17partition_subalgoE9EtjbEEZZNS1_14partition_implILS5_9ELb0ES3_jN6thrust23THRUST_200600_302600_NS6detail15normal_iteratorINS9_10device_ptrItEEEENSB_INSC_IjEEEEPNS0_10empty_typeENS0_5tupleIJSE_SH_EEENSJ_IJNS9_16discard_iteratorINS9_11use_defaultEEESI_EEENS0_18inequality_wrapperINS9_8equal_toItEEEEPmJSH_EEE10hipError_tPvRmT3_T4_T5_T6_T7_T9_mT8_P12ihipStream_tbDpT10_ENKUlT_T0_E_clISt17integral_constantIbLb0EES1C_IbLb1EEEEDaS18_S19_EUlS18_E_NS1_11comp_targetILNS1_3genE9ELNS1_11target_archE1100ELNS1_3gpuE3ELNS1_3repE0EEENS1_30default_config_static_selectorELNS0_4arch9wavefront6targetE0EEEvT1_.kd
    .uniform_work_group_size: 1
    .uses_dynamic_stack: false
    .vgpr_count:     86
    .vgpr_spill_count: 0
    .wavefront_size: 32
    .workgroup_processor_mode: 1
  - .args:
      - .offset:         0
        .size:           136
        .value_kind:     by_value
    .group_segment_fixed_size: 0
    .kernarg_segment_align: 8
    .kernarg_segment_size: 136
    .language:       OpenCL C
    .language_version:
      - 2
      - 0
    .max_flat_workgroup_size: 512
    .name:           _ZN7rocprim17ROCPRIM_400000_NS6detail17trampoline_kernelINS0_14default_configENS1_25partition_config_selectorILNS1_17partition_subalgoE9EtjbEEZZNS1_14partition_implILS5_9ELb0ES3_jN6thrust23THRUST_200600_302600_NS6detail15normal_iteratorINS9_10device_ptrItEEEENSB_INSC_IjEEEEPNS0_10empty_typeENS0_5tupleIJSE_SH_EEENSJ_IJNS9_16discard_iteratorINS9_11use_defaultEEESI_EEENS0_18inequality_wrapperINS9_8equal_toItEEEEPmJSH_EEE10hipError_tPvRmT3_T4_T5_T6_T7_T9_mT8_P12ihipStream_tbDpT10_ENKUlT_T0_E_clISt17integral_constantIbLb0EES1C_IbLb1EEEEDaS18_S19_EUlS18_E_NS1_11comp_targetILNS1_3genE8ELNS1_11target_archE1030ELNS1_3gpuE2ELNS1_3repE0EEENS1_30default_config_static_selectorELNS0_4arch9wavefront6targetE0EEEvT1_
    .private_segment_fixed_size: 0
    .sgpr_count:     0
    .sgpr_spill_count: 0
    .symbol:         _ZN7rocprim17ROCPRIM_400000_NS6detail17trampoline_kernelINS0_14default_configENS1_25partition_config_selectorILNS1_17partition_subalgoE9EtjbEEZZNS1_14partition_implILS5_9ELb0ES3_jN6thrust23THRUST_200600_302600_NS6detail15normal_iteratorINS9_10device_ptrItEEEENSB_INSC_IjEEEEPNS0_10empty_typeENS0_5tupleIJSE_SH_EEENSJ_IJNS9_16discard_iteratorINS9_11use_defaultEEESI_EEENS0_18inequality_wrapperINS9_8equal_toItEEEEPmJSH_EEE10hipError_tPvRmT3_T4_T5_T6_T7_T9_mT8_P12ihipStream_tbDpT10_ENKUlT_T0_E_clISt17integral_constantIbLb0EES1C_IbLb1EEEEDaS18_S19_EUlS18_E_NS1_11comp_targetILNS1_3genE8ELNS1_11target_archE1030ELNS1_3gpuE2ELNS1_3repE0EEENS1_30default_config_static_selectorELNS0_4arch9wavefront6targetE0EEEvT1_.kd
    .uniform_work_group_size: 1
    .uses_dynamic_stack: false
    .vgpr_count:     0
    .vgpr_spill_count: 0
    .wavefront_size: 32
    .workgroup_processor_mode: 1
  - .args:
      - .offset:         0
        .size:           120
        .value_kind:     by_value
    .group_segment_fixed_size: 0
    .kernarg_segment_align: 8
    .kernarg_segment_size: 120
    .language:       OpenCL C
    .language_version:
      - 2
      - 0
    .max_flat_workgroup_size: 256
    .name:           _ZN7rocprim17ROCPRIM_400000_NS6detail17trampoline_kernelINS0_14default_configENS1_25partition_config_selectorILNS1_17partition_subalgoE9EtjbEEZZNS1_14partition_implILS5_9ELb0ES3_jN6thrust23THRUST_200600_302600_NS6detail15normal_iteratorINS9_10device_ptrItEEEENSB_INSC_IjEEEEPNS0_10empty_typeENS0_5tupleIJNS9_16discard_iteratorINS9_11use_defaultEEESH_EEENSJ_IJSG_SI_EEENS0_18inequality_wrapperINS9_8equal_toItEEEEPmJSH_EEE10hipError_tPvRmT3_T4_T5_T6_T7_T9_mT8_P12ihipStream_tbDpT10_ENKUlT_T0_E_clISt17integral_constantIbLb0EES1D_EEDaS18_S19_EUlS18_E_NS1_11comp_targetILNS1_3genE0ELNS1_11target_archE4294967295ELNS1_3gpuE0ELNS1_3repE0EEENS1_30default_config_static_selectorELNS0_4arch9wavefront6targetE0EEEvT1_
    .private_segment_fixed_size: 0
    .sgpr_count:     0
    .sgpr_spill_count: 0
    .symbol:         _ZN7rocprim17ROCPRIM_400000_NS6detail17trampoline_kernelINS0_14default_configENS1_25partition_config_selectorILNS1_17partition_subalgoE9EtjbEEZZNS1_14partition_implILS5_9ELb0ES3_jN6thrust23THRUST_200600_302600_NS6detail15normal_iteratorINS9_10device_ptrItEEEENSB_INSC_IjEEEEPNS0_10empty_typeENS0_5tupleIJNS9_16discard_iteratorINS9_11use_defaultEEESH_EEENSJ_IJSG_SI_EEENS0_18inequality_wrapperINS9_8equal_toItEEEEPmJSH_EEE10hipError_tPvRmT3_T4_T5_T6_T7_T9_mT8_P12ihipStream_tbDpT10_ENKUlT_T0_E_clISt17integral_constantIbLb0EES1D_EEDaS18_S19_EUlS18_E_NS1_11comp_targetILNS1_3genE0ELNS1_11target_archE4294967295ELNS1_3gpuE0ELNS1_3repE0EEENS1_30default_config_static_selectorELNS0_4arch9wavefront6targetE0EEEvT1_.kd
    .uniform_work_group_size: 1
    .uses_dynamic_stack: false
    .vgpr_count:     0
    .vgpr_spill_count: 0
    .wavefront_size: 32
    .workgroup_processor_mode: 1
  - .args:
      - .offset:         0
        .size:           120
        .value_kind:     by_value
    .group_segment_fixed_size: 0
    .kernarg_segment_align: 8
    .kernarg_segment_size: 120
    .language:       OpenCL C
    .language_version:
      - 2
      - 0
    .max_flat_workgroup_size: 512
    .name:           _ZN7rocprim17ROCPRIM_400000_NS6detail17trampoline_kernelINS0_14default_configENS1_25partition_config_selectorILNS1_17partition_subalgoE9EtjbEEZZNS1_14partition_implILS5_9ELb0ES3_jN6thrust23THRUST_200600_302600_NS6detail15normal_iteratorINS9_10device_ptrItEEEENSB_INSC_IjEEEEPNS0_10empty_typeENS0_5tupleIJNS9_16discard_iteratorINS9_11use_defaultEEESH_EEENSJ_IJSG_SI_EEENS0_18inequality_wrapperINS9_8equal_toItEEEEPmJSH_EEE10hipError_tPvRmT3_T4_T5_T6_T7_T9_mT8_P12ihipStream_tbDpT10_ENKUlT_T0_E_clISt17integral_constantIbLb0EES1D_EEDaS18_S19_EUlS18_E_NS1_11comp_targetILNS1_3genE5ELNS1_11target_archE942ELNS1_3gpuE9ELNS1_3repE0EEENS1_30default_config_static_selectorELNS0_4arch9wavefront6targetE0EEEvT1_
    .private_segment_fixed_size: 0
    .sgpr_count:     0
    .sgpr_spill_count: 0
    .symbol:         _ZN7rocprim17ROCPRIM_400000_NS6detail17trampoline_kernelINS0_14default_configENS1_25partition_config_selectorILNS1_17partition_subalgoE9EtjbEEZZNS1_14partition_implILS5_9ELb0ES3_jN6thrust23THRUST_200600_302600_NS6detail15normal_iteratorINS9_10device_ptrItEEEENSB_INSC_IjEEEEPNS0_10empty_typeENS0_5tupleIJNS9_16discard_iteratorINS9_11use_defaultEEESH_EEENSJ_IJSG_SI_EEENS0_18inequality_wrapperINS9_8equal_toItEEEEPmJSH_EEE10hipError_tPvRmT3_T4_T5_T6_T7_T9_mT8_P12ihipStream_tbDpT10_ENKUlT_T0_E_clISt17integral_constantIbLb0EES1D_EEDaS18_S19_EUlS18_E_NS1_11comp_targetILNS1_3genE5ELNS1_11target_archE942ELNS1_3gpuE9ELNS1_3repE0EEENS1_30default_config_static_selectorELNS0_4arch9wavefront6targetE0EEEvT1_.kd
    .uniform_work_group_size: 1
    .uses_dynamic_stack: false
    .vgpr_count:     0
    .vgpr_spill_count: 0
    .wavefront_size: 32
    .workgroup_processor_mode: 1
  - .args:
      - .offset:         0
        .size:           120
        .value_kind:     by_value
    .group_segment_fixed_size: 0
    .kernarg_segment_align: 8
    .kernarg_segment_size: 120
    .language:       OpenCL C
    .language_version:
      - 2
      - 0
    .max_flat_workgroup_size: 192
    .name:           _ZN7rocprim17ROCPRIM_400000_NS6detail17trampoline_kernelINS0_14default_configENS1_25partition_config_selectorILNS1_17partition_subalgoE9EtjbEEZZNS1_14partition_implILS5_9ELb0ES3_jN6thrust23THRUST_200600_302600_NS6detail15normal_iteratorINS9_10device_ptrItEEEENSB_INSC_IjEEEEPNS0_10empty_typeENS0_5tupleIJNS9_16discard_iteratorINS9_11use_defaultEEESH_EEENSJ_IJSG_SI_EEENS0_18inequality_wrapperINS9_8equal_toItEEEEPmJSH_EEE10hipError_tPvRmT3_T4_T5_T6_T7_T9_mT8_P12ihipStream_tbDpT10_ENKUlT_T0_E_clISt17integral_constantIbLb0EES1D_EEDaS18_S19_EUlS18_E_NS1_11comp_targetILNS1_3genE4ELNS1_11target_archE910ELNS1_3gpuE8ELNS1_3repE0EEENS1_30default_config_static_selectorELNS0_4arch9wavefront6targetE0EEEvT1_
    .private_segment_fixed_size: 0
    .sgpr_count:     0
    .sgpr_spill_count: 0
    .symbol:         _ZN7rocprim17ROCPRIM_400000_NS6detail17trampoline_kernelINS0_14default_configENS1_25partition_config_selectorILNS1_17partition_subalgoE9EtjbEEZZNS1_14partition_implILS5_9ELb0ES3_jN6thrust23THRUST_200600_302600_NS6detail15normal_iteratorINS9_10device_ptrItEEEENSB_INSC_IjEEEEPNS0_10empty_typeENS0_5tupleIJNS9_16discard_iteratorINS9_11use_defaultEEESH_EEENSJ_IJSG_SI_EEENS0_18inequality_wrapperINS9_8equal_toItEEEEPmJSH_EEE10hipError_tPvRmT3_T4_T5_T6_T7_T9_mT8_P12ihipStream_tbDpT10_ENKUlT_T0_E_clISt17integral_constantIbLb0EES1D_EEDaS18_S19_EUlS18_E_NS1_11comp_targetILNS1_3genE4ELNS1_11target_archE910ELNS1_3gpuE8ELNS1_3repE0EEENS1_30default_config_static_selectorELNS0_4arch9wavefront6targetE0EEEvT1_.kd
    .uniform_work_group_size: 1
    .uses_dynamic_stack: false
    .vgpr_count:     0
    .vgpr_spill_count: 0
    .wavefront_size: 32
    .workgroup_processor_mode: 1
  - .args:
      - .offset:         0
        .size:           120
        .value_kind:     by_value
    .group_segment_fixed_size: 0
    .kernarg_segment_align: 8
    .kernarg_segment_size: 120
    .language:       OpenCL C
    .language_version:
      - 2
      - 0
    .max_flat_workgroup_size: 256
    .name:           _ZN7rocprim17ROCPRIM_400000_NS6detail17trampoline_kernelINS0_14default_configENS1_25partition_config_selectorILNS1_17partition_subalgoE9EtjbEEZZNS1_14partition_implILS5_9ELb0ES3_jN6thrust23THRUST_200600_302600_NS6detail15normal_iteratorINS9_10device_ptrItEEEENSB_INSC_IjEEEEPNS0_10empty_typeENS0_5tupleIJNS9_16discard_iteratorINS9_11use_defaultEEESH_EEENSJ_IJSG_SI_EEENS0_18inequality_wrapperINS9_8equal_toItEEEEPmJSH_EEE10hipError_tPvRmT3_T4_T5_T6_T7_T9_mT8_P12ihipStream_tbDpT10_ENKUlT_T0_E_clISt17integral_constantIbLb0EES1D_EEDaS18_S19_EUlS18_E_NS1_11comp_targetILNS1_3genE3ELNS1_11target_archE908ELNS1_3gpuE7ELNS1_3repE0EEENS1_30default_config_static_selectorELNS0_4arch9wavefront6targetE0EEEvT1_
    .private_segment_fixed_size: 0
    .sgpr_count:     0
    .sgpr_spill_count: 0
    .symbol:         _ZN7rocprim17ROCPRIM_400000_NS6detail17trampoline_kernelINS0_14default_configENS1_25partition_config_selectorILNS1_17partition_subalgoE9EtjbEEZZNS1_14partition_implILS5_9ELb0ES3_jN6thrust23THRUST_200600_302600_NS6detail15normal_iteratorINS9_10device_ptrItEEEENSB_INSC_IjEEEEPNS0_10empty_typeENS0_5tupleIJNS9_16discard_iteratorINS9_11use_defaultEEESH_EEENSJ_IJSG_SI_EEENS0_18inequality_wrapperINS9_8equal_toItEEEEPmJSH_EEE10hipError_tPvRmT3_T4_T5_T6_T7_T9_mT8_P12ihipStream_tbDpT10_ENKUlT_T0_E_clISt17integral_constantIbLb0EES1D_EEDaS18_S19_EUlS18_E_NS1_11comp_targetILNS1_3genE3ELNS1_11target_archE908ELNS1_3gpuE7ELNS1_3repE0EEENS1_30default_config_static_selectorELNS0_4arch9wavefront6targetE0EEEvT1_.kd
    .uniform_work_group_size: 1
    .uses_dynamic_stack: false
    .vgpr_count:     0
    .vgpr_spill_count: 0
    .wavefront_size: 32
    .workgroup_processor_mode: 1
  - .args:
      - .offset:         0
        .size:           120
        .value_kind:     by_value
    .group_segment_fixed_size: 0
    .kernarg_segment_align: 8
    .kernarg_segment_size: 120
    .language:       OpenCL C
    .language_version:
      - 2
      - 0
    .max_flat_workgroup_size: 256
    .name:           _ZN7rocprim17ROCPRIM_400000_NS6detail17trampoline_kernelINS0_14default_configENS1_25partition_config_selectorILNS1_17partition_subalgoE9EtjbEEZZNS1_14partition_implILS5_9ELb0ES3_jN6thrust23THRUST_200600_302600_NS6detail15normal_iteratorINS9_10device_ptrItEEEENSB_INSC_IjEEEEPNS0_10empty_typeENS0_5tupleIJNS9_16discard_iteratorINS9_11use_defaultEEESH_EEENSJ_IJSG_SI_EEENS0_18inequality_wrapperINS9_8equal_toItEEEEPmJSH_EEE10hipError_tPvRmT3_T4_T5_T6_T7_T9_mT8_P12ihipStream_tbDpT10_ENKUlT_T0_E_clISt17integral_constantIbLb0EES1D_EEDaS18_S19_EUlS18_E_NS1_11comp_targetILNS1_3genE2ELNS1_11target_archE906ELNS1_3gpuE6ELNS1_3repE0EEENS1_30default_config_static_selectorELNS0_4arch9wavefront6targetE0EEEvT1_
    .private_segment_fixed_size: 0
    .sgpr_count:     0
    .sgpr_spill_count: 0
    .symbol:         _ZN7rocprim17ROCPRIM_400000_NS6detail17trampoline_kernelINS0_14default_configENS1_25partition_config_selectorILNS1_17partition_subalgoE9EtjbEEZZNS1_14partition_implILS5_9ELb0ES3_jN6thrust23THRUST_200600_302600_NS6detail15normal_iteratorINS9_10device_ptrItEEEENSB_INSC_IjEEEEPNS0_10empty_typeENS0_5tupleIJNS9_16discard_iteratorINS9_11use_defaultEEESH_EEENSJ_IJSG_SI_EEENS0_18inequality_wrapperINS9_8equal_toItEEEEPmJSH_EEE10hipError_tPvRmT3_T4_T5_T6_T7_T9_mT8_P12ihipStream_tbDpT10_ENKUlT_T0_E_clISt17integral_constantIbLb0EES1D_EEDaS18_S19_EUlS18_E_NS1_11comp_targetILNS1_3genE2ELNS1_11target_archE906ELNS1_3gpuE6ELNS1_3repE0EEENS1_30default_config_static_selectorELNS0_4arch9wavefront6targetE0EEEvT1_.kd
    .uniform_work_group_size: 1
    .uses_dynamic_stack: false
    .vgpr_count:     0
    .vgpr_spill_count: 0
    .wavefront_size: 32
    .workgroup_processor_mode: 1
  - .args:
      - .offset:         0
        .size:           120
        .value_kind:     by_value
    .group_segment_fixed_size: 0
    .kernarg_segment_align: 8
    .kernarg_segment_size: 120
    .language:       OpenCL C
    .language_version:
      - 2
      - 0
    .max_flat_workgroup_size: 512
    .name:           _ZN7rocprim17ROCPRIM_400000_NS6detail17trampoline_kernelINS0_14default_configENS1_25partition_config_selectorILNS1_17partition_subalgoE9EtjbEEZZNS1_14partition_implILS5_9ELb0ES3_jN6thrust23THRUST_200600_302600_NS6detail15normal_iteratorINS9_10device_ptrItEEEENSB_INSC_IjEEEEPNS0_10empty_typeENS0_5tupleIJNS9_16discard_iteratorINS9_11use_defaultEEESH_EEENSJ_IJSG_SI_EEENS0_18inequality_wrapperINS9_8equal_toItEEEEPmJSH_EEE10hipError_tPvRmT3_T4_T5_T6_T7_T9_mT8_P12ihipStream_tbDpT10_ENKUlT_T0_E_clISt17integral_constantIbLb0EES1D_EEDaS18_S19_EUlS18_E_NS1_11comp_targetILNS1_3genE10ELNS1_11target_archE1200ELNS1_3gpuE4ELNS1_3repE0EEENS1_30default_config_static_selectorELNS0_4arch9wavefront6targetE0EEEvT1_
    .private_segment_fixed_size: 0
    .sgpr_count:     0
    .sgpr_spill_count: 0
    .symbol:         _ZN7rocprim17ROCPRIM_400000_NS6detail17trampoline_kernelINS0_14default_configENS1_25partition_config_selectorILNS1_17partition_subalgoE9EtjbEEZZNS1_14partition_implILS5_9ELb0ES3_jN6thrust23THRUST_200600_302600_NS6detail15normal_iteratorINS9_10device_ptrItEEEENSB_INSC_IjEEEEPNS0_10empty_typeENS0_5tupleIJNS9_16discard_iteratorINS9_11use_defaultEEESH_EEENSJ_IJSG_SI_EEENS0_18inequality_wrapperINS9_8equal_toItEEEEPmJSH_EEE10hipError_tPvRmT3_T4_T5_T6_T7_T9_mT8_P12ihipStream_tbDpT10_ENKUlT_T0_E_clISt17integral_constantIbLb0EES1D_EEDaS18_S19_EUlS18_E_NS1_11comp_targetILNS1_3genE10ELNS1_11target_archE1200ELNS1_3gpuE4ELNS1_3repE0EEENS1_30default_config_static_selectorELNS0_4arch9wavefront6targetE0EEEvT1_.kd
    .uniform_work_group_size: 1
    .uses_dynamic_stack: false
    .vgpr_count:     0
    .vgpr_spill_count: 0
    .wavefront_size: 32
    .workgroup_processor_mode: 1
  - .args:
      - .offset:         0
        .size:           120
        .value_kind:     by_value
    .group_segment_fixed_size: 5640
    .kernarg_segment_align: 8
    .kernarg_segment_size: 120
    .language:       OpenCL C
    .language_version:
      - 2
      - 0
    .max_flat_workgroup_size: 128
    .name:           _ZN7rocprim17ROCPRIM_400000_NS6detail17trampoline_kernelINS0_14default_configENS1_25partition_config_selectorILNS1_17partition_subalgoE9EtjbEEZZNS1_14partition_implILS5_9ELb0ES3_jN6thrust23THRUST_200600_302600_NS6detail15normal_iteratorINS9_10device_ptrItEEEENSB_INSC_IjEEEEPNS0_10empty_typeENS0_5tupleIJNS9_16discard_iteratorINS9_11use_defaultEEESH_EEENSJ_IJSG_SI_EEENS0_18inequality_wrapperINS9_8equal_toItEEEEPmJSH_EEE10hipError_tPvRmT3_T4_T5_T6_T7_T9_mT8_P12ihipStream_tbDpT10_ENKUlT_T0_E_clISt17integral_constantIbLb0EES1D_EEDaS18_S19_EUlS18_E_NS1_11comp_targetILNS1_3genE9ELNS1_11target_archE1100ELNS1_3gpuE3ELNS1_3repE0EEENS1_30default_config_static_selectorELNS0_4arch9wavefront6targetE0EEEvT1_
    .private_segment_fixed_size: 0
    .sgpr_count:     26
    .sgpr_spill_count: 0
    .symbol:         _ZN7rocprim17ROCPRIM_400000_NS6detail17trampoline_kernelINS0_14default_configENS1_25partition_config_selectorILNS1_17partition_subalgoE9EtjbEEZZNS1_14partition_implILS5_9ELb0ES3_jN6thrust23THRUST_200600_302600_NS6detail15normal_iteratorINS9_10device_ptrItEEEENSB_INSC_IjEEEEPNS0_10empty_typeENS0_5tupleIJNS9_16discard_iteratorINS9_11use_defaultEEESH_EEENSJ_IJSG_SI_EEENS0_18inequality_wrapperINS9_8equal_toItEEEEPmJSH_EEE10hipError_tPvRmT3_T4_T5_T6_T7_T9_mT8_P12ihipStream_tbDpT10_ENKUlT_T0_E_clISt17integral_constantIbLb0EES1D_EEDaS18_S19_EUlS18_E_NS1_11comp_targetILNS1_3genE9ELNS1_11target_archE1100ELNS1_3gpuE3ELNS1_3repE0EEENS1_30default_config_static_selectorELNS0_4arch9wavefront6targetE0EEEvT1_.kd
    .uniform_work_group_size: 1
    .uses_dynamic_stack: false
    .vgpr_count:     61
    .vgpr_spill_count: 0
    .wavefront_size: 32
    .workgroup_processor_mode: 1
  - .args:
      - .offset:         0
        .size:           120
        .value_kind:     by_value
    .group_segment_fixed_size: 0
    .kernarg_segment_align: 8
    .kernarg_segment_size: 120
    .language:       OpenCL C
    .language_version:
      - 2
      - 0
    .max_flat_workgroup_size: 512
    .name:           _ZN7rocprim17ROCPRIM_400000_NS6detail17trampoline_kernelINS0_14default_configENS1_25partition_config_selectorILNS1_17partition_subalgoE9EtjbEEZZNS1_14partition_implILS5_9ELb0ES3_jN6thrust23THRUST_200600_302600_NS6detail15normal_iteratorINS9_10device_ptrItEEEENSB_INSC_IjEEEEPNS0_10empty_typeENS0_5tupleIJNS9_16discard_iteratorINS9_11use_defaultEEESH_EEENSJ_IJSG_SI_EEENS0_18inequality_wrapperINS9_8equal_toItEEEEPmJSH_EEE10hipError_tPvRmT3_T4_T5_T6_T7_T9_mT8_P12ihipStream_tbDpT10_ENKUlT_T0_E_clISt17integral_constantIbLb0EES1D_EEDaS18_S19_EUlS18_E_NS1_11comp_targetILNS1_3genE8ELNS1_11target_archE1030ELNS1_3gpuE2ELNS1_3repE0EEENS1_30default_config_static_selectorELNS0_4arch9wavefront6targetE0EEEvT1_
    .private_segment_fixed_size: 0
    .sgpr_count:     0
    .sgpr_spill_count: 0
    .symbol:         _ZN7rocprim17ROCPRIM_400000_NS6detail17trampoline_kernelINS0_14default_configENS1_25partition_config_selectorILNS1_17partition_subalgoE9EtjbEEZZNS1_14partition_implILS5_9ELb0ES3_jN6thrust23THRUST_200600_302600_NS6detail15normal_iteratorINS9_10device_ptrItEEEENSB_INSC_IjEEEEPNS0_10empty_typeENS0_5tupleIJNS9_16discard_iteratorINS9_11use_defaultEEESH_EEENSJ_IJSG_SI_EEENS0_18inequality_wrapperINS9_8equal_toItEEEEPmJSH_EEE10hipError_tPvRmT3_T4_T5_T6_T7_T9_mT8_P12ihipStream_tbDpT10_ENKUlT_T0_E_clISt17integral_constantIbLb0EES1D_EEDaS18_S19_EUlS18_E_NS1_11comp_targetILNS1_3genE8ELNS1_11target_archE1030ELNS1_3gpuE2ELNS1_3repE0EEENS1_30default_config_static_selectorELNS0_4arch9wavefront6targetE0EEEvT1_.kd
    .uniform_work_group_size: 1
    .uses_dynamic_stack: false
    .vgpr_count:     0
    .vgpr_spill_count: 0
    .wavefront_size: 32
    .workgroup_processor_mode: 1
  - .args:
      - .offset:         0
        .size:           136
        .value_kind:     by_value
    .group_segment_fixed_size: 0
    .kernarg_segment_align: 8
    .kernarg_segment_size: 136
    .language:       OpenCL C
    .language_version:
      - 2
      - 0
    .max_flat_workgroup_size: 256
    .name:           _ZN7rocprim17ROCPRIM_400000_NS6detail17trampoline_kernelINS0_14default_configENS1_25partition_config_selectorILNS1_17partition_subalgoE9EtjbEEZZNS1_14partition_implILS5_9ELb0ES3_jN6thrust23THRUST_200600_302600_NS6detail15normal_iteratorINS9_10device_ptrItEEEENSB_INSC_IjEEEEPNS0_10empty_typeENS0_5tupleIJNS9_16discard_iteratorINS9_11use_defaultEEESH_EEENSJ_IJSG_SI_EEENS0_18inequality_wrapperINS9_8equal_toItEEEEPmJSH_EEE10hipError_tPvRmT3_T4_T5_T6_T7_T9_mT8_P12ihipStream_tbDpT10_ENKUlT_T0_E_clISt17integral_constantIbLb1EES1D_EEDaS18_S19_EUlS18_E_NS1_11comp_targetILNS1_3genE0ELNS1_11target_archE4294967295ELNS1_3gpuE0ELNS1_3repE0EEENS1_30default_config_static_selectorELNS0_4arch9wavefront6targetE0EEEvT1_
    .private_segment_fixed_size: 0
    .sgpr_count:     0
    .sgpr_spill_count: 0
    .symbol:         _ZN7rocprim17ROCPRIM_400000_NS6detail17trampoline_kernelINS0_14default_configENS1_25partition_config_selectorILNS1_17partition_subalgoE9EtjbEEZZNS1_14partition_implILS5_9ELb0ES3_jN6thrust23THRUST_200600_302600_NS6detail15normal_iteratorINS9_10device_ptrItEEEENSB_INSC_IjEEEEPNS0_10empty_typeENS0_5tupleIJNS9_16discard_iteratorINS9_11use_defaultEEESH_EEENSJ_IJSG_SI_EEENS0_18inequality_wrapperINS9_8equal_toItEEEEPmJSH_EEE10hipError_tPvRmT3_T4_T5_T6_T7_T9_mT8_P12ihipStream_tbDpT10_ENKUlT_T0_E_clISt17integral_constantIbLb1EES1D_EEDaS18_S19_EUlS18_E_NS1_11comp_targetILNS1_3genE0ELNS1_11target_archE4294967295ELNS1_3gpuE0ELNS1_3repE0EEENS1_30default_config_static_selectorELNS0_4arch9wavefront6targetE0EEEvT1_.kd
    .uniform_work_group_size: 1
    .uses_dynamic_stack: false
    .vgpr_count:     0
    .vgpr_spill_count: 0
    .wavefront_size: 32
    .workgroup_processor_mode: 1
  - .args:
      - .offset:         0
        .size:           136
        .value_kind:     by_value
    .group_segment_fixed_size: 0
    .kernarg_segment_align: 8
    .kernarg_segment_size: 136
    .language:       OpenCL C
    .language_version:
      - 2
      - 0
    .max_flat_workgroup_size: 512
    .name:           _ZN7rocprim17ROCPRIM_400000_NS6detail17trampoline_kernelINS0_14default_configENS1_25partition_config_selectorILNS1_17partition_subalgoE9EtjbEEZZNS1_14partition_implILS5_9ELb0ES3_jN6thrust23THRUST_200600_302600_NS6detail15normal_iteratorINS9_10device_ptrItEEEENSB_INSC_IjEEEEPNS0_10empty_typeENS0_5tupleIJNS9_16discard_iteratorINS9_11use_defaultEEESH_EEENSJ_IJSG_SI_EEENS0_18inequality_wrapperINS9_8equal_toItEEEEPmJSH_EEE10hipError_tPvRmT3_T4_T5_T6_T7_T9_mT8_P12ihipStream_tbDpT10_ENKUlT_T0_E_clISt17integral_constantIbLb1EES1D_EEDaS18_S19_EUlS18_E_NS1_11comp_targetILNS1_3genE5ELNS1_11target_archE942ELNS1_3gpuE9ELNS1_3repE0EEENS1_30default_config_static_selectorELNS0_4arch9wavefront6targetE0EEEvT1_
    .private_segment_fixed_size: 0
    .sgpr_count:     0
    .sgpr_spill_count: 0
    .symbol:         _ZN7rocprim17ROCPRIM_400000_NS6detail17trampoline_kernelINS0_14default_configENS1_25partition_config_selectorILNS1_17partition_subalgoE9EtjbEEZZNS1_14partition_implILS5_9ELb0ES3_jN6thrust23THRUST_200600_302600_NS6detail15normal_iteratorINS9_10device_ptrItEEEENSB_INSC_IjEEEEPNS0_10empty_typeENS0_5tupleIJNS9_16discard_iteratorINS9_11use_defaultEEESH_EEENSJ_IJSG_SI_EEENS0_18inequality_wrapperINS9_8equal_toItEEEEPmJSH_EEE10hipError_tPvRmT3_T4_T5_T6_T7_T9_mT8_P12ihipStream_tbDpT10_ENKUlT_T0_E_clISt17integral_constantIbLb1EES1D_EEDaS18_S19_EUlS18_E_NS1_11comp_targetILNS1_3genE5ELNS1_11target_archE942ELNS1_3gpuE9ELNS1_3repE0EEENS1_30default_config_static_selectorELNS0_4arch9wavefront6targetE0EEEvT1_.kd
    .uniform_work_group_size: 1
    .uses_dynamic_stack: false
    .vgpr_count:     0
    .vgpr_spill_count: 0
    .wavefront_size: 32
    .workgroup_processor_mode: 1
  - .args:
      - .offset:         0
        .size:           136
        .value_kind:     by_value
    .group_segment_fixed_size: 0
    .kernarg_segment_align: 8
    .kernarg_segment_size: 136
    .language:       OpenCL C
    .language_version:
      - 2
      - 0
    .max_flat_workgroup_size: 192
    .name:           _ZN7rocprim17ROCPRIM_400000_NS6detail17trampoline_kernelINS0_14default_configENS1_25partition_config_selectorILNS1_17partition_subalgoE9EtjbEEZZNS1_14partition_implILS5_9ELb0ES3_jN6thrust23THRUST_200600_302600_NS6detail15normal_iteratorINS9_10device_ptrItEEEENSB_INSC_IjEEEEPNS0_10empty_typeENS0_5tupleIJNS9_16discard_iteratorINS9_11use_defaultEEESH_EEENSJ_IJSG_SI_EEENS0_18inequality_wrapperINS9_8equal_toItEEEEPmJSH_EEE10hipError_tPvRmT3_T4_T5_T6_T7_T9_mT8_P12ihipStream_tbDpT10_ENKUlT_T0_E_clISt17integral_constantIbLb1EES1D_EEDaS18_S19_EUlS18_E_NS1_11comp_targetILNS1_3genE4ELNS1_11target_archE910ELNS1_3gpuE8ELNS1_3repE0EEENS1_30default_config_static_selectorELNS0_4arch9wavefront6targetE0EEEvT1_
    .private_segment_fixed_size: 0
    .sgpr_count:     0
    .sgpr_spill_count: 0
    .symbol:         _ZN7rocprim17ROCPRIM_400000_NS6detail17trampoline_kernelINS0_14default_configENS1_25partition_config_selectorILNS1_17partition_subalgoE9EtjbEEZZNS1_14partition_implILS5_9ELb0ES3_jN6thrust23THRUST_200600_302600_NS6detail15normal_iteratorINS9_10device_ptrItEEEENSB_INSC_IjEEEEPNS0_10empty_typeENS0_5tupleIJNS9_16discard_iteratorINS9_11use_defaultEEESH_EEENSJ_IJSG_SI_EEENS0_18inequality_wrapperINS9_8equal_toItEEEEPmJSH_EEE10hipError_tPvRmT3_T4_T5_T6_T7_T9_mT8_P12ihipStream_tbDpT10_ENKUlT_T0_E_clISt17integral_constantIbLb1EES1D_EEDaS18_S19_EUlS18_E_NS1_11comp_targetILNS1_3genE4ELNS1_11target_archE910ELNS1_3gpuE8ELNS1_3repE0EEENS1_30default_config_static_selectorELNS0_4arch9wavefront6targetE0EEEvT1_.kd
    .uniform_work_group_size: 1
    .uses_dynamic_stack: false
    .vgpr_count:     0
    .vgpr_spill_count: 0
    .wavefront_size: 32
    .workgroup_processor_mode: 1
  - .args:
      - .offset:         0
        .size:           136
        .value_kind:     by_value
    .group_segment_fixed_size: 0
    .kernarg_segment_align: 8
    .kernarg_segment_size: 136
    .language:       OpenCL C
    .language_version:
      - 2
      - 0
    .max_flat_workgroup_size: 256
    .name:           _ZN7rocprim17ROCPRIM_400000_NS6detail17trampoline_kernelINS0_14default_configENS1_25partition_config_selectorILNS1_17partition_subalgoE9EtjbEEZZNS1_14partition_implILS5_9ELb0ES3_jN6thrust23THRUST_200600_302600_NS6detail15normal_iteratorINS9_10device_ptrItEEEENSB_INSC_IjEEEEPNS0_10empty_typeENS0_5tupleIJNS9_16discard_iteratorINS9_11use_defaultEEESH_EEENSJ_IJSG_SI_EEENS0_18inequality_wrapperINS9_8equal_toItEEEEPmJSH_EEE10hipError_tPvRmT3_T4_T5_T6_T7_T9_mT8_P12ihipStream_tbDpT10_ENKUlT_T0_E_clISt17integral_constantIbLb1EES1D_EEDaS18_S19_EUlS18_E_NS1_11comp_targetILNS1_3genE3ELNS1_11target_archE908ELNS1_3gpuE7ELNS1_3repE0EEENS1_30default_config_static_selectorELNS0_4arch9wavefront6targetE0EEEvT1_
    .private_segment_fixed_size: 0
    .sgpr_count:     0
    .sgpr_spill_count: 0
    .symbol:         _ZN7rocprim17ROCPRIM_400000_NS6detail17trampoline_kernelINS0_14default_configENS1_25partition_config_selectorILNS1_17partition_subalgoE9EtjbEEZZNS1_14partition_implILS5_9ELb0ES3_jN6thrust23THRUST_200600_302600_NS6detail15normal_iteratorINS9_10device_ptrItEEEENSB_INSC_IjEEEEPNS0_10empty_typeENS0_5tupleIJNS9_16discard_iteratorINS9_11use_defaultEEESH_EEENSJ_IJSG_SI_EEENS0_18inequality_wrapperINS9_8equal_toItEEEEPmJSH_EEE10hipError_tPvRmT3_T4_T5_T6_T7_T9_mT8_P12ihipStream_tbDpT10_ENKUlT_T0_E_clISt17integral_constantIbLb1EES1D_EEDaS18_S19_EUlS18_E_NS1_11comp_targetILNS1_3genE3ELNS1_11target_archE908ELNS1_3gpuE7ELNS1_3repE0EEENS1_30default_config_static_selectorELNS0_4arch9wavefront6targetE0EEEvT1_.kd
    .uniform_work_group_size: 1
    .uses_dynamic_stack: false
    .vgpr_count:     0
    .vgpr_spill_count: 0
    .wavefront_size: 32
    .workgroup_processor_mode: 1
  - .args:
      - .offset:         0
        .size:           136
        .value_kind:     by_value
    .group_segment_fixed_size: 0
    .kernarg_segment_align: 8
    .kernarg_segment_size: 136
    .language:       OpenCL C
    .language_version:
      - 2
      - 0
    .max_flat_workgroup_size: 256
    .name:           _ZN7rocprim17ROCPRIM_400000_NS6detail17trampoline_kernelINS0_14default_configENS1_25partition_config_selectorILNS1_17partition_subalgoE9EtjbEEZZNS1_14partition_implILS5_9ELb0ES3_jN6thrust23THRUST_200600_302600_NS6detail15normal_iteratorINS9_10device_ptrItEEEENSB_INSC_IjEEEEPNS0_10empty_typeENS0_5tupleIJNS9_16discard_iteratorINS9_11use_defaultEEESH_EEENSJ_IJSG_SI_EEENS0_18inequality_wrapperINS9_8equal_toItEEEEPmJSH_EEE10hipError_tPvRmT3_T4_T5_T6_T7_T9_mT8_P12ihipStream_tbDpT10_ENKUlT_T0_E_clISt17integral_constantIbLb1EES1D_EEDaS18_S19_EUlS18_E_NS1_11comp_targetILNS1_3genE2ELNS1_11target_archE906ELNS1_3gpuE6ELNS1_3repE0EEENS1_30default_config_static_selectorELNS0_4arch9wavefront6targetE0EEEvT1_
    .private_segment_fixed_size: 0
    .sgpr_count:     0
    .sgpr_spill_count: 0
    .symbol:         _ZN7rocprim17ROCPRIM_400000_NS6detail17trampoline_kernelINS0_14default_configENS1_25partition_config_selectorILNS1_17partition_subalgoE9EtjbEEZZNS1_14partition_implILS5_9ELb0ES3_jN6thrust23THRUST_200600_302600_NS6detail15normal_iteratorINS9_10device_ptrItEEEENSB_INSC_IjEEEEPNS0_10empty_typeENS0_5tupleIJNS9_16discard_iteratorINS9_11use_defaultEEESH_EEENSJ_IJSG_SI_EEENS0_18inequality_wrapperINS9_8equal_toItEEEEPmJSH_EEE10hipError_tPvRmT3_T4_T5_T6_T7_T9_mT8_P12ihipStream_tbDpT10_ENKUlT_T0_E_clISt17integral_constantIbLb1EES1D_EEDaS18_S19_EUlS18_E_NS1_11comp_targetILNS1_3genE2ELNS1_11target_archE906ELNS1_3gpuE6ELNS1_3repE0EEENS1_30default_config_static_selectorELNS0_4arch9wavefront6targetE0EEEvT1_.kd
    .uniform_work_group_size: 1
    .uses_dynamic_stack: false
    .vgpr_count:     0
    .vgpr_spill_count: 0
    .wavefront_size: 32
    .workgroup_processor_mode: 1
  - .args:
      - .offset:         0
        .size:           136
        .value_kind:     by_value
    .group_segment_fixed_size: 0
    .kernarg_segment_align: 8
    .kernarg_segment_size: 136
    .language:       OpenCL C
    .language_version:
      - 2
      - 0
    .max_flat_workgroup_size: 512
    .name:           _ZN7rocprim17ROCPRIM_400000_NS6detail17trampoline_kernelINS0_14default_configENS1_25partition_config_selectorILNS1_17partition_subalgoE9EtjbEEZZNS1_14partition_implILS5_9ELb0ES3_jN6thrust23THRUST_200600_302600_NS6detail15normal_iteratorINS9_10device_ptrItEEEENSB_INSC_IjEEEEPNS0_10empty_typeENS0_5tupleIJNS9_16discard_iteratorINS9_11use_defaultEEESH_EEENSJ_IJSG_SI_EEENS0_18inequality_wrapperINS9_8equal_toItEEEEPmJSH_EEE10hipError_tPvRmT3_T4_T5_T6_T7_T9_mT8_P12ihipStream_tbDpT10_ENKUlT_T0_E_clISt17integral_constantIbLb1EES1D_EEDaS18_S19_EUlS18_E_NS1_11comp_targetILNS1_3genE10ELNS1_11target_archE1200ELNS1_3gpuE4ELNS1_3repE0EEENS1_30default_config_static_selectorELNS0_4arch9wavefront6targetE0EEEvT1_
    .private_segment_fixed_size: 0
    .sgpr_count:     0
    .sgpr_spill_count: 0
    .symbol:         _ZN7rocprim17ROCPRIM_400000_NS6detail17trampoline_kernelINS0_14default_configENS1_25partition_config_selectorILNS1_17partition_subalgoE9EtjbEEZZNS1_14partition_implILS5_9ELb0ES3_jN6thrust23THRUST_200600_302600_NS6detail15normal_iteratorINS9_10device_ptrItEEEENSB_INSC_IjEEEEPNS0_10empty_typeENS0_5tupleIJNS9_16discard_iteratorINS9_11use_defaultEEESH_EEENSJ_IJSG_SI_EEENS0_18inequality_wrapperINS9_8equal_toItEEEEPmJSH_EEE10hipError_tPvRmT3_T4_T5_T6_T7_T9_mT8_P12ihipStream_tbDpT10_ENKUlT_T0_E_clISt17integral_constantIbLb1EES1D_EEDaS18_S19_EUlS18_E_NS1_11comp_targetILNS1_3genE10ELNS1_11target_archE1200ELNS1_3gpuE4ELNS1_3repE0EEENS1_30default_config_static_selectorELNS0_4arch9wavefront6targetE0EEEvT1_.kd
    .uniform_work_group_size: 1
    .uses_dynamic_stack: false
    .vgpr_count:     0
    .vgpr_spill_count: 0
    .wavefront_size: 32
    .workgroup_processor_mode: 1
  - .args:
      - .offset:         0
        .size:           136
        .value_kind:     by_value
    .group_segment_fixed_size: 5640
    .kernarg_segment_align: 8
    .kernarg_segment_size: 136
    .language:       OpenCL C
    .language_version:
      - 2
      - 0
    .max_flat_workgroup_size: 128
    .name:           _ZN7rocprim17ROCPRIM_400000_NS6detail17trampoline_kernelINS0_14default_configENS1_25partition_config_selectorILNS1_17partition_subalgoE9EtjbEEZZNS1_14partition_implILS5_9ELb0ES3_jN6thrust23THRUST_200600_302600_NS6detail15normal_iteratorINS9_10device_ptrItEEEENSB_INSC_IjEEEEPNS0_10empty_typeENS0_5tupleIJNS9_16discard_iteratorINS9_11use_defaultEEESH_EEENSJ_IJSG_SI_EEENS0_18inequality_wrapperINS9_8equal_toItEEEEPmJSH_EEE10hipError_tPvRmT3_T4_T5_T6_T7_T9_mT8_P12ihipStream_tbDpT10_ENKUlT_T0_E_clISt17integral_constantIbLb1EES1D_EEDaS18_S19_EUlS18_E_NS1_11comp_targetILNS1_3genE9ELNS1_11target_archE1100ELNS1_3gpuE3ELNS1_3repE0EEENS1_30default_config_static_selectorELNS0_4arch9wavefront6targetE0EEEvT1_
    .private_segment_fixed_size: 0
    .sgpr_count:     28
    .sgpr_spill_count: 0
    .symbol:         _ZN7rocprim17ROCPRIM_400000_NS6detail17trampoline_kernelINS0_14default_configENS1_25partition_config_selectorILNS1_17partition_subalgoE9EtjbEEZZNS1_14partition_implILS5_9ELb0ES3_jN6thrust23THRUST_200600_302600_NS6detail15normal_iteratorINS9_10device_ptrItEEEENSB_INSC_IjEEEEPNS0_10empty_typeENS0_5tupleIJNS9_16discard_iteratorINS9_11use_defaultEEESH_EEENSJ_IJSG_SI_EEENS0_18inequality_wrapperINS9_8equal_toItEEEEPmJSH_EEE10hipError_tPvRmT3_T4_T5_T6_T7_T9_mT8_P12ihipStream_tbDpT10_ENKUlT_T0_E_clISt17integral_constantIbLb1EES1D_EEDaS18_S19_EUlS18_E_NS1_11comp_targetILNS1_3genE9ELNS1_11target_archE1100ELNS1_3gpuE3ELNS1_3repE0EEENS1_30default_config_static_selectorELNS0_4arch9wavefront6targetE0EEEvT1_.kd
    .uniform_work_group_size: 1
    .uses_dynamic_stack: false
    .vgpr_count:     63
    .vgpr_spill_count: 0
    .wavefront_size: 32
    .workgroup_processor_mode: 1
  - .args:
      - .offset:         0
        .size:           136
        .value_kind:     by_value
    .group_segment_fixed_size: 0
    .kernarg_segment_align: 8
    .kernarg_segment_size: 136
    .language:       OpenCL C
    .language_version:
      - 2
      - 0
    .max_flat_workgroup_size: 512
    .name:           _ZN7rocprim17ROCPRIM_400000_NS6detail17trampoline_kernelINS0_14default_configENS1_25partition_config_selectorILNS1_17partition_subalgoE9EtjbEEZZNS1_14partition_implILS5_9ELb0ES3_jN6thrust23THRUST_200600_302600_NS6detail15normal_iteratorINS9_10device_ptrItEEEENSB_INSC_IjEEEEPNS0_10empty_typeENS0_5tupleIJNS9_16discard_iteratorINS9_11use_defaultEEESH_EEENSJ_IJSG_SI_EEENS0_18inequality_wrapperINS9_8equal_toItEEEEPmJSH_EEE10hipError_tPvRmT3_T4_T5_T6_T7_T9_mT8_P12ihipStream_tbDpT10_ENKUlT_T0_E_clISt17integral_constantIbLb1EES1D_EEDaS18_S19_EUlS18_E_NS1_11comp_targetILNS1_3genE8ELNS1_11target_archE1030ELNS1_3gpuE2ELNS1_3repE0EEENS1_30default_config_static_selectorELNS0_4arch9wavefront6targetE0EEEvT1_
    .private_segment_fixed_size: 0
    .sgpr_count:     0
    .sgpr_spill_count: 0
    .symbol:         _ZN7rocprim17ROCPRIM_400000_NS6detail17trampoline_kernelINS0_14default_configENS1_25partition_config_selectorILNS1_17partition_subalgoE9EtjbEEZZNS1_14partition_implILS5_9ELb0ES3_jN6thrust23THRUST_200600_302600_NS6detail15normal_iteratorINS9_10device_ptrItEEEENSB_INSC_IjEEEEPNS0_10empty_typeENS0_5tupleIJNS9_16discard_iteratorINS9_11use_defaultEEESH_EEENSJ_IJSG_SI_EEENS0_18inequality_wrapperINS9_8equal_toItEEEEPmJSH_EEE10hipError_tPvRmT3_T4_T5_T6_T7_T9_mT8_P12ihipStream_tbDpT10_ENKUlT_T0_E_clISt17integral_constantIbLb1EES1D_EEDaS18_S19_EUlS18_E_NS1_11comp_targetILNS1_3genE8ELNS1_11target_archE1030ELNS1_3gpuE2ELNS1_3repE0EEENS1_30default_config_static_selectorELNS0_4arch9wavefront6targetE0EEEvT1_.kd
    .uniform_work_group_size: 1
    .uses_dynamic_stack: false
    .vgpr_count:     0
    .vgpr_spill_count: 0
    .wavefront_size: 32
    .workgroup_processor_mode: 1
  - .args:
      - .offset:         0
        .size:           120
        .value_kind:     by_value
    .group_segment_fixed_size: 0
    .kernarg_segment_align: 8
    .kernarg_segment_size: 120
    .language:       OpenCL C
    .language_version:
      - 2
      - 0
    .max_flat_workgroup_size: 256
    .name:           _ZN7rocprim17ROCPRIM_400000_NS6detail17trampoline_kernelINS0_14default_configENS1_25partition_config_selectorILNS1_17partition_subalgoE9EtjbEEZZNS1_14partition_implILS5_9ELb0ES3_jN6thrust23THRUST_200600_302600_NS6detail15normal_iteratorINS9_10device_ptrItEEEENSB_INSC_IjEEEEPNS0_10empty_typeENS0_5tupleIJNS9_16discard_iteratorINS9_11use_defaultEEESH_EEENSJ_IJSG_SI_EEENS0_18inequality_wrapperINS9_8equal_toItEEEEPmJSH_EEE10hipError_tPvRmT3_T4_T5_T6_T7_T9_mT8_P12ihipStream_tbDpT10_ENKUlT_T0_E_clISt17integral_constantIbLb1EES1C_IbLb0EEEEDaS18_S19_EUlS18_E_NS1_11comp_targetILNS1_3genE0ELNS1_11target_archE4294967295ELNS1_3gpuE0ELNS1_3repE0EEENS1_30default_config_static_selectorELNS0_4arch9wavefront6targetE0EEEvT1_
    .private_segment_fixed_size: 0
    .sgpr_count:     0
    .sgpr_spill_count: 0
    .symbol:         _ZN7rocprim17ROCPRIM_400000_NS6detail17trampoline_kernelINS0_14default_configENS1_25partition_config_selectorILNS1_17partition_subalgoE9EtjbEEZZNS1_14partition_implILS5_9ELb0ES3_jN6thrust23THRUST_200600_302600_NS6detail15normal_iteratorINS9_10device_ptrItEEEENSB_INSC_IjEEEEPNS0_10empty_typeENS0_5tupleIJNS9_16discard_iteratorINS9_11use_defaultEEESH_EEENSJ_IJSG_SI_EEENS0_18inequality_wrapperINS9_8equal_toItEEEEPmJSH_EEE10hipError_tPvRmT3_T4_T5_T6_T7_T9_mT8_P12ihipStream_tbDpT10_ENKUlT_T0_E_clISt17integral_constantIbLb1EES1C_IbLb0EEEEDaS18_S19_EUlS18_E_NS1_11comp_targetILNS1_3genE0ELNS1_11target_archE4294967295ELNS1_3gpuE0ELNS1_3repE0EEENS1_30default_config_static_selectorELNS0_4arch9wavefront6targetE0EEEvT1_.kd
    .uniform_work_group_size: 1
    .uses_dynamic_stack: false
    .vgpr_count:     0
    .vgpr_spill_count: 0
    .wavefront_size: 32
    .workgroup_processor_mode: 1
  - .args:
      - .offset:         0
        .size:           120
        .value_kind:     by_value
    .group_segment_fixed_size: 0
    .kernarg_segment_align: 8
    .kernarg_segment_size: 120
    .language:       OpenCL C
    .language_version:
      - 2
      - 0
    .max_flat_workgroup_size: 512
    .name:           _ZN7rocprim17ROCPRIM_400000_NS6detail17trampoline_kernelINS0_14default_configENS1_25partition_config_selectorILNS1_17partition_subalgoE9EtjbEEZZNS1_14partition_implILS5_9ELb0ES3_jN6thrust23THRUST_200600_302600_NS6detail15normal_iteratorINS9_10device_ptrItEEEENSB_INSC_IjEEEEPNS0_10empty_typeENS0_5tupleIJNS9_16discard_iteratorINS9_11use_defaultEEESH_EEENSJ_IJSG_SI_EEENS0_18inequality_wrapperINS9_8equal_toItEEEEPmJSH_EEE10hipError_tPvRmT3_T4_T5_T6_T7_T9_mT8_P12ihipStream_tbDpT10_ENKUlT_T0_E_clISt17integral_constantIbLb1EES1C_IbLb0EEEEDaS18_S19_EUlS18_E_NS1_11comp_targetILNS1_3genE5ELNS1_11target_archE942ELNS1_3gpuE9ELNS1_3repE0EEENS1_30default_config_static_selectorELNS0_4arch9wavefront6targetE0EEEvT1_
    .private_segment_fixed_size: 0
    .sgpr_count:     0
    .sgpr_spill_count: 0
    .symbol:         _ZN7rocprim17ROCPRIM_400000_NS6detail17trampoline_kernelINS0_14default_configENS1_25partition_config_selectorILNS1_17partition_subalgoE9EtjbEEZZNS1_14partition_implILS5_9ELb0ES3_jN6thrust23THRUST_200600_302600_NS6detail15normal_iteratorINS9_10device_ptrItEEEENSB_INSC_IjEEEEPNS0_10empty_typeENS0_5tupleIJNS9_16discard_iteratorINS9_11use_defaultEEESH_EEENSJ_IJSG_SI_EEENS0_18inequality_wrapperINS9_8equal_toItEEEEPmJSH_EEE10hipError_tPvRmT3_T4_T5_T6_T7_T9_mT8_P12ihipStream_tbDpT10_ENKUlT_T0_E_clISt17integral_constantIbLb1EES1C_IbLb0EEEEDaS18_S19_EUlS18_E_NS1_11comp_targetILNS1_3genE5ELNS1_11target_archE942ELNS1_3gpuE9ELNS1_3repE0EEENS1_30default_config_static_selectorELNS0_4arch9wavefront6targetE0EEEvT1_.kd
    .uniform_work_group_size: 1
    .uses_dynamic_stack: false
    .vgpr_count:     0
    .vgpr_spill_count: 0
    .wavefront_size: 32
    .workgroup_processor_mode: 1
  - .args:
      - .offset:         0
        .size:           120
        .value_kind:     by_value
    .group_segment_fixed_size: 0
    .kernarg_segment_align: 8
    .kernarg_segment_size: 120
    .language:       OpenCL C
    .language_version:
      - 2
      - 0
    .max_flat_workgroup_size: 192
    .name:           _ZN7rocprim17ROCPRIM_400000_NS6detail17trampoline_kernelINS0_14default_configENS1_25partition_config_selectorILNS1_17partition_subalgoE9EtjbEEZZNS1_14partition_implILS5_9ELb0ES3_jN6thrust23THRUST_200600_302600_NS6detail15normal_iteratorINS9_10device_ptrItEEEENSB_INSC_IjEEEEPNS0_10empty_typeENS0_5tupleIJNS9_16discard_iteratorINS9_11use_defaultEEESH_EEENSJ_IJSG_SI_EEENS0_18inequality_wrapperINS9_8equal_toItEEEEPmJSH_EEE10hipError_tPvRmT3_T4_T5_T6_T7_T9_mT8_P12ihipStream_tbDpT10_ENKUlT_T0_E_clISt17integral_constantIbLb1EES1C_IbLb0EEEEDaS18_S19_EUlS18_E_NS1_11comp_targetILNS1_3genE4ELNS1_11target_archE910ELNS1_3gpuE8ELNS1_3repE0EEENS1_30default_config_static_selectorELNS0_4arch9wavefront6targetE0EEEvT1_
    .private_segment_fixed_size: 0
    .sgpr_count:     0
    .sgpr_spill_count: 0
    .symbol:         _ZN7rocprim17ROCPRIM_400000_NS6detail17trampoline_kernelINS0_14default_configENS1_25partition_config_selectorILNS1_17partition_subalgoE9EtjbEEZZNS1_14partition_implILS5_9ELb0ES3_jN6thrust23THRUST_200600_302600_NS6detail15normal_iteratorINS9_10device_ptrItEEEENSB_INSC_IjEEEEPNS0_10empty_typeENS0_5tupleIJNS9_16discard_iteratorINS9_11use_defaultEEESH_EEENSJ_IJSG_SI_EEENS0_18inequality_wrapperINS9_8equal_toItEEEEPmJSH_EEE10hipError_tPvRmT3_T4_T5_T6_T7_T9_mT8_P12ihipStream_tbDpT10_ENKUlT_T0_E_clISt17integral_constantIbLb1EES1C_IbLb0EEEEDaS18_S19_EUlS18_E_NS1_11comp_targetILNS1_3genE4ELNS1_11target_archE910ELNS1_3gpuE8ELNS1_3repE0EEENS1_30default_config_static_selectorELNS0_4arch9wavefront6targetE0EEEvT1_.kd
    .uniform_work_group_size: 1
    .uses_dynamic_stack: false
    .vgpr_count:     0
    .vgpr_spill_count: 0
    .wavefront_size: 32
    .workgroup_processor_mode: 1
  - .args:
      - .offset:         0
        .size:           120
        .value_kind:     by_value
    .group_segment_fixed_size: 0
    .kernarg_segment_align: 8
    .kernarg_segment_size: 120
    .language:       OpenCL C
    .language_version:
      - 2
      - 0
    .max_flat_workgroup_size: 256
    .name:           _ZN7rocprim17ROCPRIM_400000_NS6detail17trampoline_kernelINS0_14default_configENS1_25partition_config_selectorILNS1_17partition_subalgoE9EtjbEEZZNS1_14partition_implILS5_9ELb0ES3_jN6thrust23THRUST_200600_302600_NS6detail15normal_iteratorINS9_10device_ptrItEEEENSB_INSC_IjEEEEPNS0_10empty_typeENS0_5tupleIJNS9_16discard_iteratorINS9_11use_defaultEEESH_EEENSJ_IJSG_SI_EEENS0_18inequality_wrapperINS9_8equal_toItEEEEPmJSH_EEE10hipError_tPvRmT3_T4_T5_T6_T7_T9_mT8_P12ihipStream_tbDpT10_ENKUlT_T0_E_clISt17integral_constantIbLb1EES1C_IbLb0EEEEDaS18_S19_EUlS18_E_NS1_11comp_targetILNS1_3genE3ELNS1_11target_archE908ELNS1_3gpuE7ELNS1_3repE0EEENS1_30default_config_static_selectorELNS0_4arch9wavefront6targetE0EEEvT1_
    .private_segment_fixed_size: 0
    .sgpr_count:     0
    .sgpr_spill_count: 0
    .symbol:         _ZN7rocprim17ROCPRIM_400000_NS6detail17trampoline_kernelINS0_14default_configENS1_25partition_config_selectorILNS1_17partition_subalgoE9EtjbEEZZNS1_14partition_implILS5_9ELb0ES3_jN6thrust23THRUST_200600_302600_NS6detail15normal_iteratorINS9_10device_ptrItEEEENSB_INSC_IjEEEEPNS0_10empty_typeENS0_5tupleIJNS9_16discard_iteratorINS9_11use_defaultEEESH_EEENSJ_IJSG_SI_EEENS0_18inequality_wrapperINS9_8equal_toItEEEEPmJSH_EEE10hipError_tPvRmT3_T4_T5_T6_T7_T9_mT8_P12ihipStream_tbDpT10_ENKUlT_T0_E_clISt17integral_constantIbLb1EES1C_IbLb0EEEEDaS18_S19_EUlS18_E_NS1_11comp_targetILNS1_3genE3ELNS1_11target_archE908ELNS1_3gpuE7ELNS1_3repE0EEENS1_30default_config_static_selectorELNS0_4arch9wavefront6targetE0EEEvT1_.kd
    .uniform_work_group_size: 1
    .uses_dynamic_stack: false
    .vgpr_count:     0
    .vgpr_spill_count: 0
    .wavefront_size: 32
    .workgroup_processor_mode: 1
  - .args:
      - .offset:         0
        .size:           120
        .value_kind:     by_value
    .group_segment_fixed_size: 0
    .kernarg_segment_align: 8
    .kernarg_segment_size: 120
    .language:       OpenCL C
    .language_version:
      - 2
      - 0
    .max_flat_workgroup_size: 256
    .name:           _ZN7rocprim17ROCPRIM_400000_NS6detail17trampoline_kernelINS0_14default_configENS1_25partition_config_selectorILNS1_17partition_subalgoE9EtjbEEZZNS1_14partition_implILS5_9ELb0ES3_jN6thrust23THRUST_200600_302600_NS6detail15normal_iteratorINS9_10device_ptrItEEEENSB_INSC_IjEEEEPNS0_10empty_typeENS0_5tupleIJNS9_16discard_iteratorINS9_11use_defaultEEESH_EEENSJ_IJSG_SI_EEENS0_18inequality_wrapperINS9_8equal_toItEEEEPmJSH_EEE10hipError_tPvRmT3_T4_T5_T6_T7_T9_mT8_P12ihipStream_tbDpT10_ENKUlT_T0_E_clISt17integral_constantIbLb1EES1C_IbLb0EEEEDaS18_S19_EUlS18_E_NS1_11comp_targetILNS1_3genE2ELNS1_11target_archE906ELNS1_3gpuE6ELNS1_3repE0EEENS1_30default_config_static_selectorELNS0_4arch9wavefront6targetE0EEEvT1_
    .private_segment_fixed_size: 0
    .sgpr_count:     0
    .sgpr_spill_count: 0
    .symbol:         _ZN7rocprim17ROCPRIM_400000_NS6detail17trampoline_kernelINS0_14default_configENS1_25partition_config_selectorILNS1_17partition_subalgoE9EtjbEEZZNS1_14partition_implILS5_9ELb0ES3_jN6thrust23THRUST_200600_302600_NS6detail15normal_iteratorINS9_10device_ptrItEEEENSB_INSC_IjEEEEPNS0_10empty_typeENS0_5tupleIJNS9_16discard_iteratorINS9_11use_defaultEEESH_EEENSJ_IJSG_SI_EEENS0_18inequality_wrapperINS9_8equal_toItEEEEPmJSH_EEE10hipError_tPvRmT3_T4_T5_T6_T7_T9_mT8_P12ihipStream_tbDpT10_ENKUlT_T0_E_clISt17integral_constantIbLb1EES1C_IbLb0EEEEDaS18_S19_EUlS18_E_NS1_11comp_targetILNS1_3genE2ELNS1_11target_archE906ELNS1_3gpuE6ELNS1_3repE0EEENS1_30default_config_static_selectorELNS0_4arch9wavefront6targetE0EEEvT1_.kd
    .uniform_work_group_size: 1
    .uses_dynamic_stack: false
    .vgpr_count:     0
    .vgpr_spill_count: 0
    .wavefront_size: 32
    .workgroup_processor_mode: 1
  - .args:
      - .offset:         0
        .size:           120
        .value_kind:     by_value
    .group_segment_fixed_size: 0
    .kernarg_segment_align: 8
    .kernarg_segment_size: 120
    .language:       OpenCL C
    .language_version:
      - 2
      - 0
    .max_flat_workgroup_size: 512
    .name:           _ZN7rocprim17ROCPRIM_400000_NS6detail17trampoline_kernelINS0_14default_configENS1_25partition_config_selectorILNS1_17partition_subalgoE9EtjbEEZZNS1_14partition_implILS5_9ELb0ES3_jN6thrust23THRUST_200600_302600_NS6detail15normal_iteratorINS9_10device_ptrItEEEENSB_INSC_IjEEEEPNS0_10empty_typeENS0_5tupleIJNS9_16discard_iteratorINS9_11use_defaultEEESH_EEENSJ_IJSG_SI_EEENS0_18inequality_wrapperINS9_8equal_toItEEEEPmJSH_EEE10hipError_tPvRmT3_T4_T5_T6_T7_T9_mT8_P12ihipStream_tbDpT10_ENKUlT_T0_E_clISt17integral_constantIbLb1EES1C_IbLb0EEEEDaS18_S19_EUlS18_E_NS1_11comp_targetILNS1_3genE10ELNS1_11target_archE1200ELNS1_3gpuE4ELNS1_3repE0EEENS1_30default_config_static_selectorELNS0_4arch9wavefront6targetE0EEEvT1_
    .private_segment_fixed_size: 0
    .sgpr_count:     0
    .sgpr_spill_count: 0
    .symbol:         _ZN7rocprim17ROCPRIM_400000_NS6detail17trampoline_kernelINS0_14default_configENS1_25partition_config_selectorILNS1_17partition_subalgoE9EtjbEEZZNS1_14partition_implILS5_9ELb0ES3_jN6thrust23THRUST_200600_302600_NS6detail15normal_iteratorINS9_10device_ptrItEEEENSB_INSC_IjEEEEPNS0_10empty_typeENS0_5tupleIJNS9_16discard_iteratorINS9_11use_defaultEEESH_EEENSJ_IJSG_SI_EEENS0_18inequality_wrapperINS9_8equal_toItEEEEPmJSH_EEE10hipError_tPvRmT3_T4_T5_T6_T7_T9_mT8_P12ihipStream_tbDpT10_ENKUlT_T0_E_clISt17integral_constantIbLb1EES1C_IbLb0EEEEDaS18_S19_EUlS18_E_NS1_11comp_targetILNS1_3genE10ELNS1_11target_archE1200ELNS1_3gpuE4ELNS1_3repE0EEENS1_30default_config_static_selectorELNS0_4arch9wavefront6targetE0EEEvT1_.kd
    .uniform_work_group_size: 1
    .uses_dynamic_stack: false
    .vgpr_count:     0
    .vgpr_spill_count: 0
    .wavefront_size: 32
    .workgroup_processor_mode: 1
  - .args:
      - .offset:         0
        .size:           120
        .value_kind:     by_value
    .group_segment_fixed_size: 5640
    .kernarg_segment_align: 8
    .kernarg_segment_size: 120
    .language:       OpenCL C
    .language_version:
      - 2
      - 0
    .max_flat_workgroup_size: 128
    .name:           _ZN7rocprim17ROCPRIM_400000_NS6detail17trampoline_kernelINS0_14default_configENS1_25partition_config_selectorILNS1_17partition_subalgoE9EtjbEEZZNS1_14partition_implILS5_9ELb0ES3_jN6thrust23THRUST_200600_302600_NS6detail15normal_iteratorINS9_10device_ptrItEEEENSB_INSC_IjEEEEPNS0_10empty_typeENS0_5tupleIJNS9_16discard_iteratorINS9_11use_defaultEEESH_EEENSJ_IJSG_SI_EEENS0_18inequality_wrapperINS9_8equal_toItEEEEPmJSH_EEE10hipError_tPvRmT3_T4_T5_T6_T7_T9_mT8_P12ihipStream_tbDpT10_ENKUlT_T0_E_clISt17integral_constantIbLb1EES1C_IbLb0EEEEDaS18_S19_EUlS18_E_NS1_11comp_targetILNS1_3genE9ELNS1_11target_archE1100ELNS1_3gpuE3ELNS1_3repE0EEENS1_30default_config_static_selectorELNS0_4arch9wavefront6targetE0EEEvT1_
    .private_segment_fixed_size: 0
    .sgpr_count:     26
    .sgpr_spill_count: 0
    .symbol:         _ZN7rocprim17ROCPRIM_400000_NS6detail17trampoline_kernelINS0_14default_configENS1_25partition_config_selectorILNS1_17partition_subalgoE9EtjbEEZZNS1_14partition_implILS5_9ELb0ES3_jN6thrust23THRUST_200600_302600_NS6detail15normal_iteratorINS9_10device_ptrItEEEENSB_INSC_IjEEEEPNS0_10empty_typeENS0_5tupleIJNS9_16discard_iteratorINS9_11use_defaultEEESH_EEENSJ_IJSG_SI_EEENS0_18inequality_wrapperINS9_8equal_toItEEEEPmJSH_EEE10hipError_tPvRmT3_T4_T5_T6_T7_T9_mT8_P12ihipStream_tbDpT10_ENKUlT_T0_E_clISt17integral_constantIbLb1EES1C_IbLb0EEEEDaS18_S19_EUlS18_E_NS1_11comp_targetILNS1_3genE9ELNS1_11target_archE1100ELNS1_3gpuE3ELNS1_3repE0EEENS1_30default_config_static_selectorELNS0_4arch9wavefront6targetE0EEEvT1_.kd
    .uniform_work_group_size: 1
    .uses_dynamic_stack: false
    .vgpr_count:     61
    .vgpr_spill_count: 0
    .wavefront_size: 32
    .workgroup_processor_mode: 1
  - .args:
      - .offset:         0
        .size:           120
        .value_kind:     by_value
    .group_segment_fixed_size: 0
    .kernarg_segment_align: 8
    .kernarg_segment_size: 120
    .language:       OpenCL C
    .language_version:
      - 2
      - 0
    .max_flat_workgroup_size: 512
    .name:           _ZN7rocprim17ROCPRIM_400000_NS6detail17trampoline_kernelINS0_14default_configENS1_25partition_config_selectorILNS1_17partition_subalgoE9EtjbEEZZNS1_14partition_implILS5_9ELb0ES3_jN6thrust23THRUST_200600_302600_NS6detail15normal_iteratorINS9_10device_ptrItEEEENSB_INSC_IjEEEEPNS0_10empty_typeENS0_5tupleIJNS9_16discard_iteratorINS9_11use_defaultEEESH_EEENSJ_IJSG_SI_EEENS0_18inequality_wrapperINS9_8equal_toItEEEEPmJSH_EEE10hipError_tPvRmT3_T4_T5_T6_T7_T9_mT8_P12ihipStream_tbDpT10_ENKUlT_T0_E_clISt17integral_constantIbLb1EES1C_IbLb0EEEEDaS18_S19_EUlS18_E_NS1_11comp_targetILNS1_3genE8ELNS1_11target_archE1030ELNS1_3gpuE2ELNS1_3repE0EEENS1_30default_config_static_selectorELNS0_4arch9wavefront6targetE0EEEvT1_
    .private_segment_fixed_size: 0
    .sgpr_count:     0
    .sgpr_spill_count: 0
    .symbol:         _ZN7rocprim17ROCPRIM_400000_NS6detail17trampoline_kernelINS0_14default_configENS1_25partition_config_selectorILNS1_17partition_subalgoE9EtjbEEZZNS1_14partition_implILS5_9ELb0ES3_jN6thrust23THRUST_200600_302600_NS6detail15normal_iteratorINS9_10device_ptrItEEEENSB_INSC_IjEEEEPNS0_10empty_typeENS0_5tupleIJNS9_16discard_iteratorINS9_11use_defaultEEESH_EEENSJ_IJSG_SI_EEENS0_18inequality_wrapperINS9_8equal_toItEEEEPmJSH_EEE10hipError_tPvRmT3_T4_T5_T6_T7_T9_mT8_P12ihipStream_tbDpT10_ENKUlT_T0_E_clISt17integral_constantIbLb1EES1C_IbLb0EEEEDaS18_S19_EUlS18_E_NS1_11comp_targetILNS1_3genE8ELNS1_11target_archE1030ELNS1_3gpuE2ELNS1_3repE0EEENS1_30default_config_static_selectorELNS0_4arch9wavefront6targetE0EEEvT1_.kd
    .uniform_work_group_size: 1
    .uses_dynamic_stack: false
    .vgpr_count:     0
    .vgpr_spill_count: 0
    .wavefront_size: 32
    .workgroup_processor_mode: 1
  - .args:
      - .offset:         0
        .size:           136
        .value_kind:     by_value
    .group_segment_fixed_size: 0
    .kernarg_segment_align: 8
    .kernarg_segment_size: 136
    .language:       OpenCL C
    .language_version:
      - 2
      - 0
    .max_flat_workgroup_size: 256
    .name:           _ZN7rocprim17ROCPRIM_400000_NS6detail17trampoline_kernelINS0_14default_configENS1_25partition_config_selectorILNS1_17partition_subalgoE9EtjbEEZZNS1_14partition_implILS5_9ELb0ES3_jN6thrust23THRUST_200600_302600_NS6detail15normal_iteratorINS9_10device_ptrItEEEENSB_INSC_IjEEEEPNS0_10empty_typeENS0_5tupleIJNS9_16discard_iteratorINS9_11use_defaultEEESH_EEENSJ_IJSG_SI_EEENS0_18inequality_wrapperINS9_8equal_toItEEEEPmJSH_EEE10hipError_tPvRmT3_T4_T5_T6_T7_T9_mT8_P12ihipStream_tbDpT10_ENKUlT_T0_E_clISt17integral_constantIbLb0EES1C_IbLb1EEEEDaS18_S19_EUlS18_E_NS1_11comp_targetILNS1_3genE0ELNS1_11target_archE4294967295ELNS1_3gpuE0ELNS1_3repE0EEENS1_30default_config_static_selectorELNS0_4arch9wavefront6targetE0EEEvT1_
    .private_segment_fixed_size: 0
    .sgpr_count:     0
    .sgpr_spill_count: 0
    .symbol:         _ZN7rocprim17ROCPRIM_400000_NS6detail17trampoline_kernelINS0_14default_configENS1_25partition_config_selectorILNS1_17partition_subalgoE9EtjbEEZZNS1_14partition_implILS5_9ELb0ES3_jN6thrust23THRUST_200600_302600_NS6detail15normal_iteratorINS9_10device_ptrItEEEENSB_INSC_IjEEEEPNS0_10empty_typeENS0_5tupleIJNS9_16discard_iteratorINS9_11use_defaultEEESH_EEENSJ_IJSG_SI_EEENS0_18inequality_wrapperINS9_8equal_toItEEEEPmJSH_EEE10hipError_tPvRmT3_T4_T5_T6_T7_T9_mT8_P12ihipStream_tbDpT10_ENKUlT_T0_E_clISt17integral_constantIbLb0EES1C_IbLb1EEEEDaS18_S19_EUlS18_E_NS1_11comp_targetILNS1_3genE0ELNS1_11target_archE4294967295ELNS1_3gpuE0ELNS1_3repE0EEENS1_30default_config_static_selectorELNS0_4arch9wavefront6targetE0EEEvT1_.kd
    .uniform_work_group_size: 1
    .uses_dynamic_stack: false
    .vgpr_count:     0
    .vgpr_spill_count: 0
    .wavefront_size: 32
    .workgroup_processor_mode: 1
  - .args:
      - .offset:         0
        .size:           136
        .value_kind:     by_value
    .group_segment_fixed_size: 0
    .kernarg_segment_align: 8
    .kernarg_segment_size: 136
    .language:       OpenCL C
    .language_version:
      - 2
      - 0
    .max_flat_workgroup_size: 512
    .name:           _ZN7rocprim17ROCPRIM_400000_NS6detail17trampoline_kernelINS0_14default_configENS1_25partition_config_selectorILNS1_17partition_subalgoE9EtjbEEZZNS1_14partition_implILS5_9ELb0ES3_jN6thrust23THRUST_200600_302600_NS6detail15normal_iteratorINS9_10device_ptrItEEEENSB_INSC_IjEEEEPNS0_10empty_typeENS0_5tupleIJNS9_16discard_iteratorINS9_11use_defaultEEESH_EEENSJ_IJSG_SI_EEENS0_18inequality_wrapperINS9_8equal_toItEEEEPmJSH_EEE10hipError_tPvRmT3_T4_T5_T6_T7_T9_mT8_P12ihipStream_tbDpT10_ENKUlT_T0_E_clISt17integral_constantIbLb0EES1C_IbLb1EEEEDaS18_S19_EUlS18_E_NS1_11comp_targetILNS1_3genE5ELNS1_11target_archE942ELNS1_3gpuE9ELNS1_3repE0EEENS1_30default_config_static_selectorELNS0_4arch9wavefront6targetE0EEEvT1_
    .private_segment_fixed_size: 0
    .sgpr_count:     0
    .sgpr_spill_count: 0
    .symbol:         _ZN7rocprim17ROCPRIM_400000_NS6detail17trampoline_kernelINS0_14default_configENS1_25partition_config_selectorILNS1_17partition_subalgoE9EtjbEEZZNS1_14partition_implILS5_9ELb0ES3_jN6thrust23THRUST_200600_302600_NS6detail15normal_iteratorINS9_10device_ptrItEEEENSB_INSC_IjEEEEPNS0_10empty_typeENS0_5tupleIJNS9_16discard_iteratorINS9_11use_defaultEEESH_EEENSJ_IJSG_SI_EEENS0_18inequality_wrapperINS9_8equal_toItEEEEPmJSH_EEE10hipError_tPvRmT3_T4_T5_T6_T7_T9_mT8_P12ihipStream_tbDpT10_ENKUlT_T0_E_clISt17integral_constantIbLb0EES1C_IbLb1EEEEDaS18_S19_EUlS18_E_NS1_11comp_targetILNS1_3genE5ELNS1_11target_archE942ELNS1_3gpuE9ELNS1_3repE0EEENS1_30default_config_static_selectorELNS0_4arch9wavefront6targetE0EEEvT1_.kd
    .uniform_work_group_size: 1
    .uses_dynamic_stack: false
    .vgpr_count:     0
    .vgpr_spill_count: 0
    .wavefront_size: 32
    .workgroup_processor_mode: 1
  - .args:
      - .offset:         0
        .size:           136
        .value_kind:     by_value
    .group_segment_fixed_size: 0
    .kernarg_segment_align: 8
    .kernarg_segment_size: 136
    .language:       OpenCL C
    .language_version:
      - 2
      - 0
    .max_flat_workgroup_size: 192
    .name:           _ZN7rocprim17ROCPRIM_400000_NS6detail17trampoline_kernelINS0_14default_configENS1_25partition_config_selectorILNS1_17partition_subalgoE9EtjbEEZZNS1_14partition_implILS5_9ELb0ES3_jN6thrust23THRUST_200600_302600_NS6detail15normal_iteratorINS9_10device_ptrItEEEENSB_INSC_IjEEEEPNS0_10empty_typeENS0_5tupleIJNS9_16discard_iteratorINS9_11use_defaultEEESH_EEENSJ_IJSG_SI_EEENS0_18inequality_wrapperINS9_8equal_toItEEEEPmJSH_EEE10hipError_tPvRmT3_T4_T5_T6_T7_T9_mT8_P12ihipStream_tbDpT10_ENKUlT_T0_E_clISt17integral_constantIbLb0EES1C_IbLb1EEEEDaS18_S19_EUlS18_E_NS1_11comp_targetILNS1_3genE4ELNS1_11target_archE910ELNS1_3gpuE8ELNS1_3repE0EEENS1_30default_config_static_selectorELNS0_4arch9wavefront6targetE0EEEvT1_
    .private_segment_fixed_size: 0
    .sgpr_count:     0
    .sgpr_spill_count: 0
    .symbol:         _ZN7rocprim17ROCPRIM_400000_NS6detail17trampoline_kernelINS0_14default_configENS1_25partition_config_selectorILNS1_17partition_subalgoE9EtjbEEZZNS1_14partition_implILS5_9ELb0ES3_jN6thrust23THRUST_200600_302600_NS6detail15normal_iteratorINS9_10device_ptrItEEEENSB_INSC_IjEEEEPNS0_10empty_typeENS0_5tupleIJNS9_16discard_iteratorINS9_11use_defaultEEESH_EEENSJ_IJSG_SI_EEENS0_18inequality_wrapperINS9_8equal_toItEEEEPmJSH_EEE10hipError_tPvRmT3_T4_T5_T6_T7_T9_mT8_P12ihipStream_tbDpT10_ENKUlT_T0_E_clISt17integral_constantIbLb0EES1C_IbLb1EEEEDaS18_S19_EUlS18_E_NS1_11comp_targetILNS1_3genE4ELNS1_11target_archE910ELNS1_3gpuE8ELNS1_3repE0EEENS1_30default_config_static_selectorELNS0_4arch9wavefront6targetE0EEEvT1_.kd
    .uniform_work_group_size: 1
    .uses_dynamic_stack: false
    .vgpr_count:     0
    .vgpr_spill_count: 0
    .wavefront_size: 32
    .workgroup_processor_mode: 1
  - .args:
      - .offset:         0
        .size:           136
        .value_kind:     by_value
    .group_segment_fixed_size: 0
    .kernarg_segment_align: 8
    .kernarg_segment_size: 136
    .language:       OpenCL C
    .language_version:
      - 2
      - 0
    .max_flat_workgroup_size: 256
    .name:           _ZN7rocprim17ROCPRIM_400000_NS6detail17trampoline_kernelINS0_14default_configENS1_25partition_config_selectorILNS1_17partition_subalgoE9EtjbEEZZNS1_14partition_implILS5_9ELb0ES3_jN6thrust23THRUST_200600_302600_NS6detail15normal_iteratorINS9_10device_ptrItEEEENSB_INSC_IjEEEEPNS0_10empty_typeENS0_5tupleIJNS9_16discard_iteratorINS9_11use_defaultEEESH_EEENSJ_IJSG_SI_EEENS0_18inequality_wrapperINS9_8equal_toItEEEEPmJSH_EEE10hipError_tPvRmT3_T4_T5_T6_T7_T9_mT8_P12ihipStream_tbDpT10_ENKUlT_T0_E_clISt17integral_constantIbLb0EES1C_IbLb1EEEEDaS18_S19_EUlS18_E_NS1_11comp_targetILNS1_3genE3ELNS1_11target_archE908ELNS1_3gpuE7ELNS1_3repE0EEENS1_30default_config_static_selectorELNS0_4arch9wavefront6targetE0EEEvT1_
    .private_segment_fixed_size: 0
    .sgpr_count:     0
    .sgpr_spill_count: 0
    .symbol:         _ZN7rocprim17ROCPRIM_400000_NS6detail17trampoline_kernelINS0_14default_configENS1_25partition_config_selectorILNS1_17partition_subalgoE9EtjbEEZZNS1_14partition_implILS5_9ELb0ES3_jN6thrust23THRUST_200600_302600_NS6detail15normal_iteratorINS9_10device_ptrItEEEENSB_INSC_IjEEEEPNS0_10empty_typeENS0_5tupleIJNS9_16discard_iteratorINS9_11use_defaultEEESH_EEENSJ_IJSG_SI_EEENS0_18inequality_wrapperINS9_8equal_toItEEEEPmJSH_EEE10hipError_tPvRmT3_T4_T5_T6_T7_T9_mT8_P12ihipStream_tbDpT10_ENKUlT_T0_E_clISt17integral_constantIbLb0EES1C_IbLb1EEEEDaS18_S19_EUlS18_E_NS1_11comp_targetILNS1_3genE3ELNS1_11target_archE908ELNS1_3gpuE7ELNS1_3repE0EEENS1_30default_config_static_selectorELNS0_4arch9wavefront6targetE0EEEvT1_.kd
    .uniform_work_group_size: 1
    .uses_dynamic_stack: false
    .vgpr_count:     0
    .vgpr_spill_count: 0
    .wavefront_size: 32
    .workgroup_processor_mode: 1
  - .args:
      - .offset:         0
        .size:           136
        .value_kind:     by_value
    .group_segment_fixed_size: 0
    .kernarg_segment_align: 8
    .kernarg_segment_size: 136
    .language:       OpenCL C
    .language_version:
      - 2
      - 0
    .max_flat_workgroup_size: 256
    .name:           _ZN7rocprim17ROCPRIM_400000_NS6detail17trampoline_kernelINS0_14default_configENS1_25partition_config_selectorILNS1_17partition_subalgoE9EtjbEEZZNS1_14partition_implILS5_9ELb0ES3_jN6thrust23THRUST_200600_302600_NS6detail15normal_iteratorINS9_10device_ptrItEEEENSB_INSC_IjEEEEPNS0_10empty_typeENS0_5tupleIJNS9_16discard_iteratorINS9_11use_defaultEEESH_EEENSJ_IJSG_SI_EEENS0_18inequality_wrapperINS9_8equal_toItEEEEPmJSH_EEE10hipError_tPvRmT3_T4_T5_T6_T7_T9_mT8_P12ihipStream_tbDpT10_ENKUlT_T0_E_clISt17integral_constantIbLb0EES1C_IbLb1EEEEDaS18_S19_EUlS18_E_NS1_11comp_targetILNS1_3genE2ELNS1_11target_archE906ELNS1_3gpuE6ELNS1_3repE0EEENS1_30default_config_static_selectorELNS0_4arch9wavefront6targetE0EEEvT1_
    .private_segment_fixed_size: 0
    .sgpr_count:     0
    .sgpr_spill_count: 0
    .symbol:         _ZN7rocprim17ROCPRIM_400000_NS6detail17trampoline_kernelINS0_14default_configENS1_25partition_config_selectorILNS1_17partition_subalgoE9EtjbEEZZNS1_14partition_implILS5_9ELb0ES3_jN6thrust23THRUST_200600_302600_NS6detail15normal_iteratorINS9_10device_ptrItEEEENSB_INSC_IjEEEEPNS0_10empty_typeENS0_5tupleIJNS9_16discard_iteratorINS9_11use_defaultEEESH_EEENSJ_IJSG_SI_EEENS0_18inequality_wrapperINS9_8equal_toItEEEEPmJSH_EEE10hipError_tPvRmT3_T4_T5_T6_T7_T9_mT8_P12ihipStream_tbDpT10_ENKUlT_T0_E_clISt17integral_constantIbLb0EES1C_IbLb1EEEEDaS18_S19_EUlS18_E_NS1_11comp_targetILNS1_3genE2ELNS1_11target_archE906ELNS1_3gpuE6ELNS1_3repE0EEENS1_30default_config_static_selectorELNS0_4arch9wavefront6targetE0EEEvT1_.kd
    .uniform_work_group_size: 1
    .uses_dynamic_stack: false
    .vgpr_count:     0
    .vgpr_spill_count: 0
    .wavefront_size: 32
    .workgroup_processor_mode: 1
  - .args:
      - .offset:         0
        .size:           136
        .value_kind:     by_value
    .group_segment_fixed_size: 0
    .kernarg_segment_align: 8
    .kernarg_segment_size: 136
    .language:       OpenCL C
    .language_version:
      - 2
      - 0
    .max_flat_workgroup_size: 512
    .name:           _ZN7rocprim17ROCPRIM_400000_NS6detail17trampoline_kernelINS0_14default_configENS1_25partition_config_selectorILNS1_17partition_subalgoE9EtjbEEZZNS1_14partition_implILS5_9ELb0ES3_jN6thrust23THRUST_200600_302600_NS6detail15normal_iteratorINS9_10device_ptrItEEEENSB_INSC_IjEEEEPNS0_10empty_typeENS0_5tupleIJNS9_16discard_iteratorINS9_11use_defaultEEESH_EEENSJ_IJSG_SI_EEENS0_18inequality_wrapperINS9_8equal_toItEEEEPmJSH_EEE10hipError_tPvRmT3_T4_T5_T6_T7_T9_mT8_P12ihipStream_tbDpT10_ENKUlT_T0_E_clISt17integral_constantIbLb0EES1C_IbLb1EEEEDaS18_S19_EUlS18_E_NS1_11comp_targetILNS1_3genE10ELNS1_11target_archE1200ELNS1_3gpuE4ELNS1_3repE0EEENS1_30default_config_static_selectorELNS0_4arch9wavefront6targetE0EEEvT1_
    .private_segment_fixed_size: 0
    .sgpr_count:     0
    .sgpr_spill_count: 0
    .symbol:         _ZN7rocprim17ROCPRIM_400000_NS6detail17trampoline_kernelINS0_14default_configENS1_25partition_config_selectorILNS1_17partition_subalgoE9EtjbEEZZNS1_14partition_implILS5_9ELb0ES3_jN6thrust23THRUST_200600_302600_NS6detail15normal_iteratorINS9_10device_ptrItEEEENSB_INSC_IjEEEEPNS0_10empty_typeENS0_5tupleIJNS9_16discard_iteratorINS9_11use_defaultEEESH_EEENSJ_IJSG_SI_EEENS0_18inequality_wrapperINS9_8equal_toItEEEEPmJSH_EEE10hipError_tPvRmT3_T4_T5_T6_T7_T9_mT8_P12ihipStream_tbDpT10_ENKUlT_T0_E_clISt17integral_constantIbLb0EES1C_IbLb1EEEEDaS18_S19_EUlS18_E_NS1_11comp_targetILNS1_3genE10ELNS1_11target_archE1200ELNS1_3gpuE4ELNS1_3repE0EEENS1_30default_config_static_selectorELNS0_4arch9wavefront6targetE0EEEvT1_.kd
    .uniform_work_group_size: 1
    .uses_dynamic_stack: false
    .vgpr_count:     0
    .vgpr_spill_count: 0
    .wavefront_size: 32
    .workgroup_processor_mode: 1
  - .args:
      - .offset:         0
        .size:           136
        .value_kind:     by_value
    .group_segment_fixed_size: 5640
    .kernarg_segment_align: 8
    .kernarg_segment_size: 136
    .language:       OpenCL C
    .language_version:
      - 2
      - 0
    .max_flat_workgroup_size: 128
    .name:           _ZN7rocprim17ROCPRIM_400000_NS6detail17trampoline_kernelINS0_14default_configENS1_25partition_config_selectorILNS1_17partition_subalgoE9EtjbEEZZNS1_14partition_implILS5_9ELb0ES3_jN6thrust23THRUST_200600_302600_NS6detail15normal_iteratorINS9_10device_ptrItEEEENSB_INSC_IjEEEEPNS0_10empty_typeENS0_5tupleIJNS9_16discard_iteratorINS9_11use_defaultEEESH_EEENSJ_IJSG_SI_EEENS0_18inequality_wrapperINS9_8equal_toItEEEEPmJSH_EEE10hipError_tPvRmT3_T4_T5_T6_T7_T9_mT8_P12ihipStream_tbDpT10_ENKUlT_T0_E_clISt17integral_constantIbLb0EES1C_IbLb1EEEEDaS18_S19_EUlS18_E_NS1_11comp_targetILNS1_3genE9ELNS1_11target_archE1100ELNS1_3gpuE3ELNS1_3repE0EEENS1_30default_config_static_selectorELNS0_4arch9wavefront6targetE0EEEvT1_
    .private_segment_fixed_size: 0
    .sgpr_count:     28
    .sgpr_spill_count: 0
    .symbol:         _ZN7rocprim17ROCPRIM_400000_NS6detail17trampoline_kernelINS0_14default_configENS1_25partition_config_selectorILNS1_17partition_subalgoE9EtjbEEZZNS1_14partition_implILS5_9ELb0ES3_jN6thrust23THRUST_200600_302600_NS6detail15normal_iteratorINS9_10device_ptrItEEEENSB_INSC_IjEEEEPNS0_10empty_typeENS0_5tupleIJNS9_16discard_iteratorINS9_11use_defaultEEESH_EEENSJ_IJSG_SI_EEENS0_18inequality_wrapperINS9_8equal_toItEEEEPmJSH_EEE10hipError_tPvRmT3_T4_T5_T6_T7_T9_mT8_P12ihipStream_tbDpT10_ENKUlT_T0_E_clISt17integral_constantIbLb0EES1C_IbLb1EEEEDaS18_S19_EUlS18_E_NS1_11comp_targetILNS1_3genE9ELNS1_11target_archE1100ELNS1_3gpuE3ELNS1_3repE0EEENS1_30default_config_static_selectorELNS0_4arch9wavefront6targetE0EEEvT1_.kd
    .uniform_work_group_size: 1
    .uses_dynamic_stack: false
    .vgpr_count:     63
    .vgpr_spill_count: 0
    .wavefront_size: 32
    .workgroup_processor_mode: 1
  - .args:
      - .offset:         0
        .size:           136
        .value_kind:     by_value
    .group_segment_fixed_size: 0
    .kernarg_segment_align: 8
    .kernarg_segment_size: 136
    .language:       OpenCL C
    .language_version:
      - 2
      - 0
    .max_flat_workgroup_size: 512
    .name:           _ZN7rocprim17ROCPRIM_400000_NS6detail17trampoline_kernelINS0_14default_configENS1_25partition_config_selectorILNS1_17partition_subalgoE9EtjbEEZZNS1_14partition_implILS5_9ELb0ES3_jN6thrust23THRUST_200600_302600_NS6detail15normal_iteratorINS9_10device_ptrItEEEENSB_INSC_IjEEEEPNS0_10empty_typeENS0_5tupleIJNS9_16discard_iteratorINS9_11use_defaultEEESH_EEENSJ_IJSG_SI_EEENS0_18inequality_wrapperINS9_8equal_toItEEEEPmJSH_EEE10hipError_tPvRmT3_T4_T5_T6_T7_T9_mT8_P12ihipStream_tbDpT10_ENKUlT_T0_E_clISt17integral_constantIbLb0EES1C_IbLb1EEEEDaS18_S19_EUlS18_E_NS1_11comp_targetILNS1_3genE8ELNS1_11target_archE1030ELNS1_3gpuE2ELNS1_3repE0EEENS1_30default_config_static_selectorELNS0_4arch9wavefront6targetE0EEEvT1_
    .private_segment_fixed_size: 0
    .sgpr_count:     0
    .sgpr_spill_count: 0
    .symbol:         _ZN7rocprim17ROCPRIM_400000_NS6detail17trampoline_kernelINS0_14default_configENS1_25partition_config_selectorILNS1_17partition_subalgoE9EtjbEEZZNS1_14partition_implILS5_9ELb0ES3_jN6thrust23THRUST_200600_302600_NS6detail15normal_iteratorINS9_10device_ptrItEEEENSB_INSC_IjEEEEPNS0_10empty_typeENS0_5tupleIJNS9_16discard_iteratorINS9_11use_defaultEEESH_EEENSJ_IJSG_SI_EEENS0_18inequality_wrapperINS9_8equal_toItEEEEPmJSH_EEE10hipError_tPvRmT3_T4_T5_T6_T7_T9_mT8_P12ihipStream_tbDpT10_ENKUlT_T0_E_clISt17integral_constantIbLb0EES1C_IbLb1EEEEDaS18_S19_EUlS18_E_NS1_11comp_targetILNS1_3genE8ELNS1_11target_archE1030ELNS1_3gpuE2ELNS1_3repE0EEENS1_30default_config_static_selectorELNS0_4arch9wavefront6targetE0EEEvT1_.kd
    .uniform_work_group_size: 1
    .uses_dynamic_stack: false
    .vgpr_count:     0
    .vgpr_spill_count: 0
    .wavefront_size: 32
    .workgroup_processor_mode: 1
  - .args:
      - .offset:         0
        .size:           128
        .value_kind:     by_value
    .group_segment_fixed_size: 0
    .kernarg_segment_align: 8
    .kernarg_segment_size: 128
    .language:       OpenCL C
    .language_version:
      - 2
      - 0
    .max_flat_workgroup_size: 128
    .name:           _ZN7rocprim17ROCPRIM_400000_NS6detail17trampoline_kernelINS0_14default_configENS1_25partition_config_selectorILNS1_17partition_subalgoE9ExjbEEZZNS1_14partition_implILS5_9ELb0ES3_jN6thrust23THRUST_200600_302600_NS6detail15normal_iteratorINS9_10device_ptrIxEEEENSB_INSC_IjEEEEPNS0_10empty_typeENS0_5tupleIJNS9_16discard_iteratorINS9_11use_defaultEEESH_EEENSJ_IJSM_SI_EEENS0_18inequality_wrapperINS9_8equal_toIxEEEEPmJSH_EEE10hipError_tPvRmT3_T4_T5_T6_T7_T9_mT8_P12ihipStream_tbDpT10_ENKUlT_T0_E_clISt17integral_constantIbLb0EES1D_EEDaS18_S19_EUlS18_E_NS1_11comp_targetILNS1_3genE0ELNS1_11target_archE4294967295ELNS1_3gpuE0ELNS1_3repE0EEENS1_30default_config_static_selectorELNS0_4arch9wavefront6targetE0EEEvT1_
    .private_segment_fixed_size: 0
    .sgpr_count:     0
    .sgpr_spill_count: 0
    .symbol:         _ZN7rocprim17ROCPRIM_400000_NS6detail17trampoline_kernelINS0_14default_configENS1_25partition_config_selectorILNS1_17partition_subalgoE9ExjbEEZZNS1_14partition_implILS5_9ELb0ES3_jN6thrust23THRUST_200600_302600_NS6detail15normal_iteratorINS9_10device_ptrIxEEEENSB_INSC_IjEEEEPNS0_10empty_typeENS0_5tupleIJNS9_16discard_iteratorINS9_11use_defaultEEESH_EEENSJ_IJSM_SI_EEENS0_18inequality_wrapperINS9_8equal_toIxEEEEPmJSH_EEE10hipError_tPvRmT3_T4_T5_T6_T7_T9_mT8_P12ihipStream_tbDpT10_ENKUlT_T0_E_clISt17integral_constantIbLb0EES1D_EEDaS18_S19_EUlS18_E_NS1_11comp_targetILNS1_3genE0ELNS1_11target_archE4294967295ELNS1_3gpuE0ELNS1_3repE0EEENS1_30default_config_static_selectorELNS0_4arch9wavefront6targetE0EEEvT1_.kd
    .uniform_work_group_size: 1
    .uses_dynamic_stack: false
    .vgpr_count:     0
    .vgpr_spill_count: 0
    .wavefront_size: 32
    .workgroup_processor_mode: 1
  - .args:
      - .offset:         0
        .size:           128
        .value_kind:     by_value
    .group_segment_fixed_size: 0
    .kernarg_segment_align: 8
    .kernarg_segment_size: 128
    .language:       OpenCL C
    .language_version:
      - 2
      - 0
    .max_flat_workgroup_size: 512
    .name:           _ZN7rocprim17ROCPRIM_400000_NS6detail17trampoline_kernelINS0_14default_configENS1_25partition_config_selectorILNS1_17partition_subalgoE9ExjbEEZZNS1_14partition_implILS5_9ELb0ES3_jN6thrust23THRUST_200600_302600_NS6detail15normal_iteratorINS9_10device_ptrIxEEEENSB_INSC_IjEEEEPNS0_10empty_typeENS0_5tupleIJNS9_16discard_iteratorINS9_11use_defaultEEESH_EEENSJ_IJSM_SI_EEENS0_18inequality_wrapperINS9_8equal_toIxEEEEPmJSH_EEE10hipError_tPvRmT3_T4_T5_T6_T7_T9_mT8_P12ihipStream_tbDpT10_ENKUlT_T0_E_clISt17integral_constantIbLb0EES1D_EEDaS18_S19_EUlS18_E_NS1_11comp_targetILNS1_3genE5ELNS1_11target_archE942ELNS1_3gpuE9ELNS1_3repE0EEENS1_30default_config_static_selectorELNS0_4arch9wavefront6targetE0EEEvT1_
    .private_segment_fixed_size: 0
    .sgpr_count:     0
    .sgpr_spill_count: 0
    .symbol:         _ZN7rocprim17ROCPRIM_400000_NS6detail17trampoline_kernelINS0_14default_configENS1_25partition_config_selectorILNS1_17partition_subalgoE9ExjbEEZZNS1_14partition_implILS5_9ELb0ES3_jN6thrust23THRUST_200600_302600_NS6detail15normal_iteratorINS9_10device_ptrIxEEEENSB_INSC_IjEEEEPNS0_10empty_typeENS0_5tupleIJNS9_16discard_iteratorINS9_11use_defaultEEESH_EEENSJ_IJSM_SI_EEENS0_18inequality_wrapperINS9_8equal_toIxEEEEPmJSH_EEE10hipError_tPvRmT3_T4_T5_T6_T7_T9_mT8_P12ihipStream_tbDpT10_ENKUlT_T0_E_clISt17integral_constantIbLb0EES1D_EEDaS18_S19_EUlS18_E_NS1_11comp_targetILNS1_3genE5ELNS1_11target_archE942ELNS1_3gpuE9ELNS1_3repE0EEENS1_30default_config_static_selectorELNS0_4arch9wavefront6targetE0EEEvT1_.kd
    .uniform_work_group_size: 1
    .uses_dynamic_stack: false
    .vgpr_count:     0
    .vgpr_spill_count: 0
    .wavefront_size: 32
    .workgroup_processor_mode: 1
  - .args:
      - .offset:         0
        .size:           128
        .value_kind:     by_value
    .group_segment_fixed_size: 0
    .kernarg_segment_align: 8
    .kernarg_segment_size: 128
    .language:       OpenCL C
    .language_version:
      - 2
      - 0
    .max_flat_workgroup_size: 192
    .name:           _ZN7rocprim17ROCPRIM_400000_NS6detail17trampoline_kernelINS0_14default_configENS1_25partition_config_selectorILNS1_17partition_subalgoE9ExjbEEZZNS1_14partition_implILS5_9ELb0ES3_jN6thrust23THRUST_200600_302600_NS6detail15normal_iteratorINS9_10device_ptrIxEEEENSB_INSC_IjEEEEPNS0_10empty_typeENS0_5tupleIJNS9_16discard_iteratorINS9_11use_defaultEEESH_EEENSJ_IJSM_SI_EEENS0_18inequality_wrapperINS9_8equal_toIxEEEEPmJSH_EEE10hipError_tPvRmT3_T4_T5_T6_T7_T9_mT8_P12ihipStream_tbDpT10_ENKUlT_T0_E_clISt17integral_constantIbLb0EES1D_EEDaS18_S19_EUlS18_E_NS1_11comp_targetILNS1_3genE4ELNS1_11target_archE910ELNS1_3gpuE8ELNS1_3repE0EEENS1_30default_config_static_selectorELNS0_4arch9wavefront6targetE0EEEvT1_
    .private_segment_fixed_size: 0
    .sgpr_count:     0
    .sgpr_spill_count: 0
    .symbol:         _ZN7rocprim17ROCPRIM_400000_NS6detail17trampoline_kernelINS0_14default_configENS1_25partition_config_selectorILNS1_17partition_subalgoE9ExjbEEZZNS1_14partition_implILS5_9ELb0ES3_jN6thrust23THRUST_200600_302600_NS6detail15normal_iteratorINS9_10device_ptrIxEEEENSB_INSC_IjEEEEPNS0_10empty_typeENS0_5tupleIJNS9_16discard_iteratorINS9_11use_defaultEEESH_EEENSJ_IJSM_SI_EEENS0_18inequality_wrapperINS9_8equal_toIxEEEEPmJSH_EEE10hipError_tPvRmT3_T4_T5_T6_T7_T9_mT8_P12ihipStream_tbDpT10_ENKUlT_T0_E_clISt17integral_constantIbLb0EES1D_EEDaS18_S19_EUlS18_E_NS1_11comp_targetILNS1_3genE4ELNS1_11target_archE910ELNS1_3gpuE8ELNS1_3repE0EEENS1_30default_config_static_selectorELNS0_4arch9wavefront6targetE0EEEvT1_.kd
    .uniform_work_group_size: 1
    .uses_dynamic_stack: false
    .vgpr_count:     0
    .vgpr_spill_count: 0
    .wavefront_size: 32
    .workgroup_processor_mode: 1
  - .args:
      - .offset:         0
        .size:           128
        .value_kind:     by_value
    .group_segment_fixed_size: 0
    .kernarg_segment_align: 8
    .kernarg_segment_size: 128
    .language:       OpenCL C
    .language_version:
      - 2
      - 0
    .max_flat_workgroup_size: 128
    .name:           _ZN7rocprim17ROCPRIM_400000_NS6detail17trampoline_kernelINS0_14default_configENS1_25partition_config_selectorILNS1_17partition_subalgoE9ExjbEEZZNS1_14partition_implILS5_9ELb0ES3_jN6thrust23THRUST_200600_302600_NS6detail15normal_iteratorINS9_10device_ptrIxEEEENSB_INSC_IjEEEEPNS0_10empty_typeENS0_5tupleIJNS9_16discard_iteratorINS9_11use_defaultEEESH_EEENSJ_IJSM_SI_EEENS0_18inequality_wrapperINS9_8equal_toIxEEEEPmJSH_EEE10hipError_tPvRmT3_T4_T5_T6_T7_T9_mT8_P12ihipStream_tbDpT10_ENKUlT_T0_E_clISt17integral_constantIbLb0EES1D_EEDaS18_S19_EUlS18_E_NS1_11comp_targetILNS1_3genE3ELNS1_11target_archE908ELNS1_3gpuE7ELNS1_3repE0EEENS1_30default_config_static_selectorELNS0_4arch9wavefront6targetE0EEEvT1_
    .private_segment_fixed_size: 0
    .sgpr_count:     0
    .sgpr_spill_count: 0
    .symbol:         _ZN7rocprim17ROCPRIM_400000_NS6detail17trampoline_kernelINS0_14default_configENS1_25partition_config_selectorILNS1_17partition_subalgoE9ExjbEEZZNS1_14partition_implILS5_9ELb0ES3_jN6thrust23THRUST_200600_302600_NS6detail15normal_iteratorINS9_10device_ptrIxEEEENSB_INSC_IjEEEEPNS0_10empty_typeENS0_5tupleIJNS9_16discard_iteratorINS9_11use_defaultEEESH_EEENSJ_IJSM_SI_EEENS0_18inequality_wrapperINS9_8equal_toIxEEEEPmJSH_EEE10hipError_tPvRmT3_T4_T5_T6_T7_T9_mT8_P12ihipStream_tbDpT10_ENKUlT_T0_E_clISt17integral_constantIbLb0EES1D_EEDaS18_S19_EUlS18_E_NS1_11comp_targetILNS1_3genE3ELNS1_11target_archE908ELNS1_3gpuE7ELNS1_3repE0EEENS1_30default_config_static_selectorELNS0_4arch9wavefront6targetE0EEEvT1_.kd
    .uniform_work_group_size: 1
    .uses_dynamic_stack: false
    .vgpr_count:     0
    .vgpr_spill_count: 0
    .wavefront_size: 32
    .workgroup_processor_mode: 1
  - .args:
      - .offset:         0
        .size:           128
        .value_kind:     by_value
    .group_segment_fixed_size: 0
    .kernarg_segment_align: 8
    .kernarg_segment_size: 128
    .language:       OpenCL C
    .language_version:
      - 2
      - 0
    .max_flat_workgroup_size: 256
    .name:           _ZN7rocprim17ROCPRIM_400000_NS6detail17trampoline_kernelINS0_14default_configENS1_25partition_config_selectorILNS1_17partition_subalgoE9ExjbEEZZNS1_14partition_implILS5_9ELb0ES3_jN6thrust23THRUST_200600_302600_NS6detail15normal_iteratorINS9_10device_ptrIxEEEENSB_INSC_IjEEEEPNS0_10empty_typeENS0_5tupleIJNS9_16discard_iteratorINS9_11use_defaultEEESH_EEENSJ_IJSM_SI_EEENS0_18inequality_wrapperINS9_8equal_toIxEEEEPmJSH_EEE10hipError_tPvRmT3_T4_T5_T6_T7_T9_mT8_P12ihipStream_tbDpT10_ENKUlT_T0_E_clISt17integral_constantIbLb0EES1D_EEDaS18_S19_EUlS18_E_NS1_11comp_targetILNS1_3genE2ELNS1_11target_archE906ELNS1_3gpuE6ELNS1_3repE0EEENS1_30default_config_static_selectorELNS0_4arch9wavefront6targetE0EEEvT1_
    .private_segment_fixed_size: 0
    .sgpr_count:     0
    .sgpr_spill_count: 0
    .symbol:         _ZN7rocprim17ROCPRIM_400000_NS6detail17trampoline_kernelINS0_14default_configENS1_25partition_config_selectorILNS1_17partition_subalgoE9ExjbEEZZNS1_14partition_implILS5_9ELb0ES3_jN6thrust23THRUST_200600_302600_NS6detail15normal_iteratorINS9_10device_ptrIxEEEENSB_INSC_IjEEEEPNS0_10empty_typeENS0_5tupleIJNS9_16discard_iteratorINS9_11use_defaultEEESH_EEENSJ_IJSM_SI_EEENS0_18inequality_wrapperINS9_8equal_toIxEEEEPmJSH_EEE10hipError_tPvRmT3_T4_T5_T6_T7_T9_mT8_P12ihipStream_tbDpT10_ENKUlT_T0_E_clISt17integral_constantIbLb0EES1D_EEDaS18_S19_EUlS18_E_NS1_11comp_targetILNS1_3genE2ELNS1_11target_archE906ELNS1_3gpuE6ELNS1_3repE0EEENS1_30default_config_static_selectorELNS0_4arch9wavefront6targetE0EEEvT1_.kd
    .uniform_work_group_size: 1
    .uses_dynamic_stack: false
    .vgpr_count:     0
    .vgpr_spill_count: 0
    .wavefront_size: 32
    .workgroup_processor_mode: 1
  - .args:
      - .offset:         0
        .size:           128
        .value_kind:     by_value
    .group_segment_fixed_size: 0
    .kernarg_segment_align: 8
    .kernarg_segment_size: 128
    .language:       OpenCL C
    .language_version:
      - 2
      - 0
    .max_flat_workgroup_size: 384
    .name:           _ZN7rocprim17ROCPRIM_400000_NS6detail17trampoline_kernelINS0_14default_configENS1_25partition_config_selectorILNS1_17partition_subalgoE9ExjbEEZZNS1_14partition_implILS5_9ELb0ES3_jN6thrust23THRUST_200600_302600_NS6detail15normal_iteratorINS9_10device_ptrIxEEEENSB_INSC_IjEEEEPNS0_10empty_typeENS0_5tupleIJNS9_16discard_iteratorINS9_11use_defaultEEESH_EEENSJ_IJSM_SI_EEENS0_18inequality_wrapperINS9_8equal_toIxEEEEPmJSH_EEE10hipError_tPvRmT3_T4_T5_T6_T7_T9_mT8_P12ihipStream_tbDpT10_ENKUlT_T0_E_clISt17integral_constantIbLb0EES1D_EEDaS18_S19_EUlS18_E_NS1_11comp_targetILNS1_3genE10ELNS1_11target_archE1200ELNS1_3gpuE4ELNS1_3repE0EEENS1_30default_config_static_selectorELNS0_4arch9wavefront6targetE0EEEvT1_
    .private_segment_fixed_size: 0
    .sgpr_count:     0
    .sgpr_spill_count: 0
    .symbol:         _ZN7rocprim17ROCPRIM_400000_NS6detail17trampoline_kernelINS0_14default_configENS1_25partition_config_selectorILNS1_17partition_subalgoE9ExjbEEZZNS1_14partition_implILS5_9ELb0ES3_jN6thrust23THRUST_200600_302600_NS6detail15normal_iteratorINS9_10device_ptrIxEEEENSB_INSC_IjEEEEPNS0_10empty_typeENS0_5tupleIJNS9_16discard_iteratorINS9_11use_defaultEEESH_EEENSJ_IJSM_SI_EEENS0_18inequality_wrapperINS9_8equal_toIxEEEEPmJSH_EEE10hipError_tPvRmT3_T4_T5_T6_T7_T9_mT8_P12ihipStream_tbDpT10_ENKUlT_T0_E_clISt17integral_constantIbLb0EES1D_EEDaS18_S19_EUlS18_E_NS1_11comp_targetILNS1_3genE10ELNS1_11target_archE1200ELNS1_3gpuE4ELNS1_3repE0EEENS1_30default_config_static_selectorELNS0_4arch9wavefront6targetE0EEEvT1_.kd
    .uniform_work_group_size: 1
    .uses_dynamic_stack: false
    .vgpr_count:     0
    .vgpr_spill_count: 0
    .wavefront_size: 32
    .workgroup_processor_mode: 1
  - .args:
      - .offset:         0
        .size:           128
        .value_kind:     by_value
    .group_segment_fixed_size: 33800
    .kernarg_segment_align: 8
    .kernarg_segment_size: 128
    .language:       OpenCL C
    .language_version:
      - 2
      - 0
    .max_flat_workgroup_size: 512
    .name:           _ZN7rocprim17ROCPRIM_400000_NS6detail17trampoline_kernelINS0_14default_configENS1_25partition_config_selectorILNS1_17partition_subalgoE9ExjbEEZZNS1_14partition_implILS5_9ELb0ES3_jN6thrust23THRUST_200600_302600_NS6detail15normal_iteratorINS9_10device_ptrIxEEEENSB_INSC_IjEEEEPNS0_10empty_typeENS0_5tupleIJNS9_16discard_iteratorINS9_11use_defaultEEESH_EEENSJ_IJSM_SI_EEENS0_18inequality_wrapperINS9_8equal_toIxEEEEPmJSH_EEE10hipError_tPvRmT3_T4_T5_T6_T7_T9_mT8_P12ihipStream_tbDpT10_ENKUlT_T0_E_clISt17integral_constantIbLb0EES1D_EEDaS18_S19_EUlS18_E_NS1_11comp_targetILNS1_3genE9ELNS1_11target_archE1100ELNS1_3gpuE3ELNS1_3repE0EEENS1_30default_config_static_selectorELNS0_4arch9wavefront6targetE0EEEvT1_
    .private_segment_fixed_size: 0
    .sgpr_count:     26
    .sgpr_spill_count: 0
    .symbol:         _ZN7rocprim17ROCPRIM_400000_NS6detail17trampoline_kernelINS0_14default_configENS1_25partition_config_selectorILNS1_17partition_subalgoE9ExjbEEZZNS1_14partition_implILS5_9ELb0ES3_jN6thrust23THRUST_200600_302600_NS6detail15normal_iteratorINS9_10device_ptrIxEEEENSB_INSC_IjEEEEPNS0_10empty_typeENS0_5tupleIJNS9_16discard_iteratorINS9_11use_defaultEEESH_EEENSJ_IJSM_SI_EEENS0_18inequality_wrapperINS9_8equal_toIxEEEEPmJSH_EEE10hipError_tPvRmT3_T4_T5_T6_T7_T9_mT8_P12ihipStream_tbDpT10_ENKUlT_T0_E_clISt17integral_constantIbLb0EES1D_EEDaS18_S19_EUlS18_E_NS1_11comp_targetILNS1_3genE9ELNS1_11target_archE1100ELNS1_3gpuE3ELNS1_3repE0EEENS1_30default_config_static_selectorELNS0_4arch9wavefront6targetE0EEEvT1_.kd
    .uniform_work_group_size: 1
    .uses_dynamic_stack: false
    .vgpr_count:     59
    .vgpr_spill_count: 0
    .wavefront_size: 32
    .workgroup_processor_mode: 1
  - .args:
      - .offset:         0
        .size:           128
        .value_kind:     by_value
    .group_segment_fixed_size: 0
    .kernarg_segment_align: 8
    .kernarg_segment_size: 128
    .language:       OpenCL C
    .language_version:
      - 2
      - 0
    .max_flat_workgroup_size: 512
    .name:           _ZN7rocprim17ROCPRIM_400000_NS6detail17trampoline_kernelINS0_14default_configENS1_25partition_config_selectorILNS1_17partition_subalgoE9ExjbEEZZNS1_14partition_implILS5_9ELb0ES3_jN6thrust23THRUST_200600_302600_NS6detail15normal_iteratorINS9_10device_ptrIxEEEENSB_INSC_IjEEEEPNS0_10empty_typeENS0_5tupleIJNS9_16discard_iteratorINS9_11use_defaultEEESH_EEENSJ_IJSM_SI_EEENS0_18inequality_wrapperINS9_8equal_toIxEEEEPmJSH_EEE10hipError_tPvRmT3_T4_T5_T6_T7_T9_mT8_P12ihipStream_tbDpT10_ENKUlT_T0_E_clISt17integral_constantIbLb0EES1D_EEDaS18_S19_EUlS18_E_NS1_11comp_targetILNS1_3genE8ELNS1_11target_archE1030ELNS1_3gpuE2ELNS1_3repE0EEENS1_30default_config_static_selectorELNS0_4arch9wavefront6targetE0EEEvT1_
    .private_segment_fixed_size: 0
    .sgpr_count:     0
    .sgpr_spill_count: 0
    .symbol:         _ZN7rocprim17ROCPRIM_400000_NS6detail17trampoline_kernelINS0_14default_configENS1_25partition_config_selectorILNS1_17partition_subalgoE9ExjbEEZZNS1_14partition_implILS5_9ELb0ES3_jN6thrust23THRUST_200600_302600_NS6detail15normal_iteratorINS9_10device_ptrIxEEEENSB_INSC_IjEEEEPNS0_10empty_typeENS0_5tupleIJNS9_16discard_iteratorINS9_11use_defaultEEESH_EEENSJ_IJSM_SI_EEENS0_18inequality_wrapperINS9_8equal_toIxEEEEPmJSH_EEE10hipError_tPvRmT3_T4_T5_T6_T7_T9_mT8_P12ihipStream_tbDpT10_ENKUlT_T0_E_clISt17integral_constantIbLb0EES1D_EEDaS18_S19_EUlS18_E_NS1_11comp_targetILNS1_3genE8ELNS1_11target_archE1030ELNS1_3gpuE2ELNS1_3repE0EEENS1_30default_config_static_selectorELNS0_4arch9wavefront6targetE0EEEvT1_.kd
    .uniform_work_group_size: 1
    .uses_dynamic_stack: false
    .vgpr_count:     0
    .vgpr_spill_count: 0
    .wavefront_size: 32
    .workgroup_processor_mode: 1
  - .args:
      - .offset:         0
        .size:           144
        .value_kind:     by_value
    .group_segment_fixed_size: 0
    .kernarg_segment_align: 8
    .kernarg_segment_size: 144
    .language:       OpenCL C
    .language_version:
      - 2
      - 0
    .max_flat_workgroup_size: 128
    .name:           _ZN7rocprim17ROCPRIM_400000_NS6detail17trampoline_kernelINS0_14default_configENS1_25partition_config_selectorILNS1_17partition_subalgoE9ExjbEEZZNS1_14partition_implILS5_9ELb0ES3_jN6thrust23THRUST_200600_302600_NS6detail15normal_iteratorINS9_10device_ptrIxEEEENSB_INSC_IjEEEEPNS0_10empty_typeENS0_5tupleIJNS9_16discard_iteratorINS9_11use_defaultEEESH_EEENSJ_IJSM_SI_EEENS0_18inequality_wrapperINS9_8equal_toIxEEEEPmJSH_EEE10hipError_tPvRmT3_T4_T5_T6_T7_T9_mT8_P12ihipStream_tbDpT10_ENKUlT_T0_E_clISt17integral_constantIbLb1EES1D_EEDaS18_S19_EUlS18_E_NS1_11comp_targetILNS1_3genE0ELNS1_11target_archE4294967295ELNS1_3gpuE0ELNS1_3repE0EEENS1_30default_config_static_selectorELNS0_4arch9wavefront6targetE0EEEvT1_
    .private_segment_fixed_size: 0
    .sgpr_count:     0
    .sgpr_spill_count: 0
    .symbol:         _ZN7rocprim17ROCPRIM_400000_NS6detail17trampoline_kernelINS0_14default_configENS1_25partition_config_selectorILNS1_17partition_subalgoE9ExjbEEZZNS1_14partition_implILS5_9ELb0ES3_jN6thrust23THRUST_200600_302600_NS6detail15normal_iteratorINS9_10device_ptrIxEEEENSB_INSC_IjEEEEPNS0_10empty_typeENS0_5tupleIJNS9_16discard_iteratorINS9_11use_defaultEEESH_EEENSJ_IJSM_SI_EEENS0_18inequality_wrapperINS9_8equal_toIxEEEEPmJSH_EEE10hipError_tPvRmT3_T4_T5_T6_T7_T9_mT8_P12ihipStream_tbDpT10_ENKUlT_T0_E_clISt17integral_constantIbLb1EES1D_EEDaS18_S19_EUlS18_E_NS1_11comp_targetILNS1_3genE0ELNS1_11target_archE4294967295ELNS1_3gpuE0ELNS1_3repE0EEENS1_30default_config_static_selectorELNS0_4arch9wavefront6targetE0EEEvT1_.kd
    .uniform_work_group_size: 1
    .uses_dynamic_stack: false
    .vgpr_count:     0
    .vgpr_spill_count: 0
    .wavefront_size: 32
    .workgroup_processor_mode: 1
  - .args:
      - .offset:         0
        .size:           144
        .value_kind:     by_value
    .group_segment_fixed_size: 0
    .kernarg_segment_align: 8
    .kernarg_segment_size: 144
    .language:       OpenCL C
    .language_version:
      - 2
      - 0
    .max_flat_workgroup_size: 512
    .name:           _ZN7rocprim17ROCPRIM_400000_NS6detail17trampoline_kernelINS0_14default_configENS1_25partition_config_selectorILNS1_17partition_subalgoE9ExjbEEZZNS1_14partition_implILS5_9ELb0ES3_jN6thrust23THRUST_200600_302600_NS6detail15normal_iteratorINS9_10device_ptrIxEEEENSB_INSC_IjEEEEPNS0_10empty_typeENS0_5tupleIJNS9_16discard_iteratorINS9_11use_defaultEEESH_EEENSJ_IJSM_SI_EEENS0_18inequality_wrapperINS9_8equal_toIxEEEEPmJSH_EEE10hipError_tPvRmT3_T4_T5_T6_T7_T9_mT8_P12ihipStream_tbDpT10_ENKUlT_T0_E_clISt17integral_constantIbLb1EES1D_EEDaS18_S19_EUlS18_E_NS1_11comp_targetILNS1_3genE5ELNS1_11target_archE942ELNS1_3gpuE9ELNS1_3repE0EEENS1_30default_config_static_selectorELNS0_4arch9wavefront6targetE0EEEvT1_
    .private_segment_fixed_size: 0
    .sgpr_count:     0
    .sgpr_spill_count: 0
    .symbol:         _ZN7rocprim17ROCPRIM_400000_NS6detail17trampoline_kernelINS0_14default_configENS1_25partition_config_selectorILNS1_17partition_subalgoE9ExjbEEZZNS1_14partition_implILS5_9ELb0ES3_jN6thrust23THRUST_200600_302600_NS6detail15normal_iteratorINS9_10device_ptrIxEEEENSB_INSC_IjEEEEPNS0_10empty_typeENS0_5tupleIJNS9_16discard_iteratorINS9_11use_defaultEEESH_EEENSJ_IJSM_SI_EEENS0_18inequality_wrapperINS9_8equal_toIxEEEEPmJSH_EEE10hipError_tPvRmT3_T4_T5_T6_T7_T9_mT8_P12ihipStream_tbDpT10_ENKUlT_T0_E_clISt17integral_constantIbLb1EES1D_EEDaS18_S19_EUlS18_E_NS1_11comp_targetILNS1_3genE5ELNS1_11target_archE942ELNS1_3gpuE9ELNS1_3repE0EEENS1_30default_config_static_selectorELNS0_4arch9wavefront6targetE0EEEvT1_.kd
    .uniform_work_group_size: 1
    .uses_dynamic_stack: false
    .vgpr_count:     0
    .vgpr_spill_count: 0
    .wavefront_size: 32
    .workgroup_processor_mode: 1
  - .args:
      - .offset:         0
        .size:           144
        .value_kind:     by_value
    .group_segment_fixed_size: 0
    .kernarg_segment_align: 8
    .kernarg_segment_size: 144
    .language:       OpenCL C
    .language_version:
      - 2
      - 0
    .max_flat_workgroup_size: 192
    .name:           _ZN7rocprim17ROCPRIM_400000_NS6detail17trampoline_kernelINS0_14default_configENS1_25partition_config_selectorILNS1_17partition_subalgoE9ExjbEEZZNS1_14partition_implILS5_9ELb0ES3_jN6thrust23THRUST_200600_302600_NS6detail15normal_iteratorINS9_10device_ptrIxEEEENSB_INSC_IjEEEEPNS0_10empty_typeENS0_5tupleIJNS9_16discard_iteratorINS9_11use_defaultEEESH_EEENSJ_IJSM_SI_EEENS0_18inequality_wrapperINS9_8equal_toIxEEEEPmJSH_EEE10hipError_tPvRmT3_T4_T5_T6_T7_T9_mT8_P12ihipStream_tbDpT10_ENKUlT_T0_E_clISt17integral_constantIbLb1EES1D_EEDaS18_S19_EUlS18_E_NS1_11comp_targetILNS1_3genE4ELNS1_11target_archE910ELNS1_3gpuE8ELNS1_3repE0EEENS1_30default_config_static_selectorELNS0_4arch9wavefront6targetE0EEEvT1_
    .private_segment_fixed_size: 0
    .sgpr_count:     0
    .sgpr_spill_count: 0
    .symbol:         _ZN7rocprim17ROCPRIM_400000_NS6detail17trampoline_kernelINS0_14default_configENS1_25partition_config_selectorILNS1_17partition_subalgoE9ExjbEEZZNS1_14partition_implILS5_9ELb0ES3_jN6thrust23THRUST_200600_302600_NS6detail15normal_iteratorINS9_10device_ptrIxEEEENSB_INSC_IjEEEEPNS0_10empty_typeENS0_5tupleIJNS9_16discard_iteratorINS9_11use_defaultEEESH_EEENSJ_IJSM_SI_EEENS0_18inequality_wrapperINS9_8equal_toIxEEEEPmJSH_EEE10hipError_tPvRmT3_T4_T5_T6_T7_T9_mT8_P12ihipStream_tbDpT10_ENKUlT_T0_E_clISt17integral_constantIbLb1EES1D_EEDaS18_S19_EUlS18_E_NS1_11comp_targetILNS1_3genE4ELNS1_11target_archE910ELNS1_3gpuE8ELNS1_3repE0EEENS1_30default_config_static_selectorELNS0_4arch9wavefront6targetE0EEEvT1_.kd
    .uniform_work_group_size: 1
    .uses_dynamic_stack: false
    .vgpr_count:     0
    .vgpr_spill_count: 0
    .wavefront_size: 32
    .workgroup_processor_mode: 1
  - .args:
      - .offset:         0
        .size:           144
        .value_kind:     by_value
    .group_segment_fixed_size: 0
    .kernarg_segment_align: 8
    .kernarg_segment_size: 144
    .language:       OpenCL C
    .language_version:
      - 2
      - 0
    .max_flat_workgroup_size: 128
    .name:           _ZN7rocprim17ROCPRIM_400000_NS6detail17trampoline_kernelINS0_14default_configENS1_25partition_config_selectorILNS1_17partition_subalgoE9ExjbEEZZNS1_14partition_implILS5_9ELb0ES3_jN6thrust23THRUST_200600_302600_NS6detail15normal_iteratorINS9_10device_ptrIxEEEENSB_INSC_IjEEEEPNS0_10empty_typeENS0_5tupleIJNS9_16discard_iteratorINS9_11use_defaultEEESH_EEENSJ_IJSM_SI_EEENS0_18inequality_wrapperINS9_8equal_toIxEEEEPmJSH_EEE10hipError_tPvRmT3_T4_T5_T6_T7_T9_mT8_P12ihipStream_tbDpT10_ENKUlT_T0_E_clISt17integral_constantIbLb1EES1D_EEDaS18_S19_EUlS18_E_NS1_11comp_targetILNS1_3genE3ELNS1_11target_archE908ELNS1_3gpuE7ELNS1_3repE0EEENS1_30default_config_static_selectorELNS0_4arch9wavefront6targetE0EEEvT1_
    .private_segment_fixed_size: 0
    .sgpr_count:     0
    .sgpr_spill_count: 0
    .symbol:         _ZN7rocprim17ROCPRIM_400000_NS6detail17trampoline_kernelINS0_14default_configENS1_25partition_config_selectorILNS1_17partition_subalgoE9ExjbEEZZNS1_14partition_implILS5_9ELb0ES3_jN6thrust23THRUST_200600_302600_NS6detail15normal_iteratorINS9_10device_ptrIxEEEENSB_INSC_IjEEEEPNS0_10empty_typeENS0_5tupleIJNS9_16discard_iteratorINS9_11use_defaultEEESH_EEENSJ_IJSM_SI_EEENS0_18inequality_wrapperINS9_8equal_toIxEEEEPmJSH_EEE10hipError_tPvRmT3_T4_T5_T6_T7_T9_mT8_P12ihipStream_tbDpT10_ENKUlT_T0_E_clISt17integral_constantIbLb1EES1D_EEDaS18_S19_EUlS18_E_NS1_11comp_targetILNS1_3genE3ELNS1_11target_archE908ELNS1_3gpuE7ELNS1_3repE0EEENS1_30default_config_static_selectorELNS0_4arch9wavefront6targetE0EEEvT1_.kd
    .uniform_work_group_size: 1
    .uses_dynamic_stack: false
    .vgpr_count:     0
    .vgpr_spill_count: 0
    .wavefront_size: 32
    .workgroup_processor_mode: 1
  - .args:
      - .offset:         0
        .size:           144
        .value_kind:     by_value
    .group_segment_fixed_size: 0
    .kernarg_segment_align: 8
    .kernarg_segment_size: 144
    .language:       OpenCL C
    .language_version:
      - 2
      - 0
    .max_flat_workgroup_size: 256
    .name:           _ZN7rocprim17ROCPRIM_400000_NS6detail17trampoline_kernelINS0_14default_configENS1_25partition_config_selectorILNS1_17partition_subalgoE9ExjbEEZZNS1_14partition_implILS5_9ELb0ES3_jN6thrust23THRUST_200600_302600_NS6detail15normal_iteratorINS9_10device_ptrIxEEEENSB_INSC_IjEEEEPNS0_10empty_typeENS0_5tupleIJNS9_16discard_iteratorINS9_11use_defaultEEESH_EEENSJ_IJSM_SI_EEENS0_18inequality_wrapperINS9_8equal_toIxEEEEPmJSH_EEE10hipError_tPvRmT3_T4_T5_T6_T7_T9_mT8_P12ihipStream_tbDpT10_ENKUlT_T0_E_clISt17integral_constantIbLb1EES1D_EEDaS18_S19_EUlS18_E_NS1_11comp_targetILNS1_3genE2ELNS1_11target_archE906ELNS1_3gpuE6ELNS1_3repE0EEENS1_30default_config_static_selectorELNS0_4arch9wavefront6targetE0EEEvT1_
    .private_segment_fixed_size: 0
    .sgpr_count:     0
    .sgpr_spill_count: 0
    .symbol:         _ZN7rocprim17ROCPRIM_400000_NS6detail17trampoline_kernelINS0_14default_configENS1_25partition_config_selectorILNS1_17partition_subalgoE9ExjbEEZZNS1_14partition_implILS5_9ELb0ES3_jN6thrust23THRUST_200600_302600_NS6detail15normal_iteratorINS9_10device_ptrIxEEEENSB_INSC_IjEEEEPNS0_10empty_typeENS0_5tupleIJNS9_16discard_iteratorINS9_11use_defaultEEESH_EEENSJ_IJSM_SI_EEENS0_18inequality_wrapperINS9_8equal_toIxEEEEPmJSH_EEE10hipError_tPvRmT3_T4_T5_T6_T7_T9_mT8_P12ihipStream_tbDpT10_ENKUlT_T0_E_clISt17integral_constantIbLb1EES1D_EEDaS18_S19_EUlS18_E_NS1_11comp_targetILNS1_3genE2ELNS1_11target_archE906ELNS1_3gpuE6ELNS1_3repE0EEENS1_30default_config_static_selectorELNS0_4arch9wavefront6targetE0EEEvT1_.kd
    .uniform_work_group_size: 1
    .uses_dynamic_stack: false
    .vgpr_count:     0
    .vgpr_spill_count: 0
    .wavefront_size: 32
    .workgroup_processor_mode: 1
  - .args:
      - .offset:         0
        .size:           144
        .value_kind:     by_value
    .group_segment_fixed_size: 0
    .kernarg_segment_align: 8
    .kernarg_segment_size: 144
    .language:       OpenCL C
    .language_version:
      - 2
      - 0
    .max_flat_workgroup_size: 384
    .name:           _ZN7rocprim17ROCPRIM_400000_NS6detail17trampoline_kernelINS0_14default_configENS1_25partition_config_selectorILNS1_17partition_subalgoE9ExjbEEZZNS1_14partition_implILS5_9ELb0ES3_jN6thrust23THRUST_200600_302600_NS6detail15normal_iteratorINS9_10device_ptrIxEEEENSB_INSC_IjEEEEPNS0_10empty_typeENS0_5tupleIJNS9_16discard_iteratorINS9_11use_defaultEEESH_EEENSJ_IJSM_SI_EEENS0_18inequality_wrapperINS9_8equal_toIxEEEEPmJSH_EEE10hipError_tPvRmT3_T4_T5_T6_T7_T9_mT8_P12ihipStream_tbDpT10_ENKUlT_T0_E_clISt17integral_constantIbLb1EES1D_EEDaS18_S19_EUlS18_E_NS1_11comp_targetILNS1_3genE10ELNS1_11target_archE1200ELNS1_3gpuE4ELNS1_3repE0EEENS1_30default_config_static_selectorELNS0_4arch9wavefront6targetE0EEEvT1_
    .private_segment_fixed_size: 0
    .sgpr_count:     0
    .sgpr_spill_count: 0
    .symbol:         _ZN7rocprim17ROCPRIM_400000_NS6detail17trampoline_kernelINS0_14default_configENS1_25partition_config_selectorILNS1_17partition_subalgoE9ExjbEEZZNS1_14partition_implILS5_9ELb0ES3_jN6thrust23THRUST_200600_302600_NS6detail15normal_iteratorINS9_10device_ptrIxEEEENSB_INSC_IjEEEEPNS0_10empty_typeENS0_5tupleIJNS9_16discard_iteratorINS9_11use_defaultEEESH_EEENSJ_IJSM_SI_EEENS0_18inequality_wrapperINS9_8equal_toIxEEEEPmJSH_EEE10hipError_tPvRmT3_T4_T5_T6_T7_T9_mT8_P12ihipStream_tbDpT10_ENKUlT_T0_E_clISt17integral_constantIbLb1EES1D_EEDaS18_S19_EUlS18_E_NS1_11comp_targetILNS1_3genE10ELNS1_11target_archE1200ELNS1_3gpuE4ELNS1_3repE0EEENS1_30default_config_static_selectorELNS0_4arch9wavefront6targetE0EEEvT1_.kd
    .uniform_work_group_size: 1
    .uses_dynamic_stack: false
    .vgpr_count:     0
    .vgpr_spill_count: 0
    .wavefront_size: 32
    .workgroup_processor_mode: 1
  - .args:
      - .offset:         0
        .size:           144
        .value_kind:     by_value
    .group_segment_fixed_size: 33800
    .kernarg_segment_align: 8
    .kernarg_segment_size: 144
    .language:       OpenCL C
    .language_version:
      - 2
      - 0
    .max_flat_workgroup_size: 512
    .name:           _ZN7rocprim17ROCPRIM_400000_NS6detail17trampoline_kernelINS0_14default_configENS1_25partition_config_selectorILNS1_17partition_subalgoE9ExjbEEZZNS1_14partition_implILS5_9ELb0ES3_jN6thrust23THRUST_200600_302600_NS6detail15normal_iteratorINS9_10device_ptrIxEEEENSB_INSC_IjEEEEPNS0_10empty_typeENS0_5tupleIJNS9_16discard_iteratorINS9_11use_defaultEEESH_EEENSJ_IJSM_SI_EEENS0_18inequality_wrapperINS9_8equal_toIxEEEEPmJSH_EEE10hipError_tPvRmT3_T4_T5_T6_T7_T9_mT8_P12ihipStream_tbDpT10_ENKUlT_T0_E_clISt17integral_constantIbLb1EES1D_EEDaS18_S19_EUlS18_E_NS1_11comp_targetILNS1_3genE9ELNS1_11target_archE1100ELNS1_3gpuE3ELNS1_3repE0EEENS1_30default_config_static_selectorELNS0_4arch9wavefront6targetE0EEEvT1_
    .private_segment_fixed_size: 0
    .sgpr_count:     26
    .sgpr_spill_count: 0
    .symbol:         _ZN7rocprim17ROCPRIM_400000_NS6detail17trampoline_kernelINS0_14default_configENS1_25partition_config_selectorILNS1_17partition_subalgoE9ExjbEEZZNS1_14partition_implILS5_9ELb0ES3_jN6thrust23THRUST_200600_302600_NS6detail15normal_iteratorINS9_10device_ptrIxEEEENSB_INSC_IjEEEEPNS0_10empty_typeENS0_5tupleIJNS9_16discard_iteratorINS9_11use_defaultEEESH_EEENSJ_IJSM_SI_EEENS0_18inequality_wrapperINS9_8equal_toIxEEEEPmJSH_EEE10hipError_tPvRmT3_T4_T5_T6_T7_T9_mT8_P12ihipStream_tbDpT10_ENKUlT_T0_E_clISt17integral_constantIbLb1EES1D_EEDaS18_S19_EUlS18_E_NS1_11comp_targetILNS1_3genE9ELNS1_11target_archE1100ELNS1_3gpuE3ELNS1_3repE0EEENS1_30default_config_static_selectorELNS0_4arch9wavefront6targetE0EEEvT1_.kd
    .uniform_work_group_size: 1
    .uses_dynamic_stack: false
    .vgpr_count:     61
    .vgpr_spill_count: 0
    .wavefront_size: 32
    .workgroup_processor_mode: 1
  - .args:
      - .offset:         0
        .size:           144
        .value_kind:     by_value
    .group_segment_fixed_size: 0
    .kernarg_segment_align: 8
    .kernarg_segment_size: 144
    .language:       OpenCL C
    .language_version:
      - 2
      - 0
    .max_flat_workgroup_size: 512
    .name:           _ZN7rocprim17ROCPRIM_400000_NS6detail17trampoline_kernelINS0_14default_configENS1_25partition_config_selectorILNS1_17partition_subalgoE9ExjbEEZZNS1_14partition_implILS5_9ELb0ES3_jN6thrust23THRUST_200600_302600_NS6detail15normal_iteratorINS9_10device_ptrIxEEEENSB_INSC_IjEEEEPNS0_10empty_typeENS0_5tupleIJNS9_16discard_iteratorINS9_11use_defaultEEESH_EEENSJ_IJSM_SI_EEENS0_18inequality_wrapperINS9_8equal_toIxEEEEPmJSH_EEE10hipError_tPvRmT3_T4_T5_T6_T7_T9_mT8_P12ihipStream_tbDpT10_ENKUlT_T0_E_clISt17integral_constantIbLb1EES1D_EEDaS18_S19_EUlS18_E_NS1_11comp_targetILNS1_3genE8ELNS1_11target_archE1030ELNS1_3gpuE2ELNS1_3repE0EEENS1_30default_config_static_selectorELNS0_4arch9wavefront6targetE0EEEvT1_
    .private_segment_fixed_size: 0
    .sgpr_count:     0
    .sgpr_spill_count: 0
    .symbol:         _ZN7rocprim17ROCPRIM_400000_NS6detail17trampoline_kernelINS0_14default_configENS1_25partition_config_selectorILNS1_17partition_subalgoE9ExjbEEZZNS1_14partition_implILS5_9ELb0ES3_jN6thrust23THRUST_200600_302600_NS6detail15normal_iteratorINS9_10device_ptrIxEEEENSB_INSC_IjEEEEPNS0_10empty_typeENS0_5tupleIJNS9_16discard_iteratorINS9_11use_defaultEEESH_EEENSJ_IJSM_SI_EEENS0_18inequality_wrapperINS9_8equal_toIxEEEEPmJSH_EEE10hipError_tPvRmT3_T4_T5_T6_T7_T9_mT8_P12ihipStream_tbDpT10_ENKUlT_T0_E_clISt17integral_constantIbLb1EES1D_EEDaS18_S19_EUlS18_E_NS1_11comp_targetILNS1_3genE8ELNS1_11target_archE1030ELNS1_3gpuE2ELNS1_3repE0EEENS1_30default_config_static_selectorELNS0_4arch9wavefront6targetE0EEEvT1_.kd
    .uniform_work_group_size: 1
    .uses_dynamic_stack: false
    .vgpr_count:     0
    .vgpr_spill_count: 0
    .wavefront_size: 32
    .workgroup_processor_mode: 1
  - .args:
      - .offset:         0
        .size:           128
        .value_kind:     by_value
    .group_segment_fixed_size: 0
    .kernarg_segment_align: 8
    .kernarg_segment_size: 128
    .language:       OpenCL C
    .language_version:
      - 2
      - 0
    .max_flat_workgroup_size: 128
    .name:           _ZN7rocprim17ROCPRIM_400000_NS6detail17trampoline_kernelINS0_14default_configENS1_25partition_config_selectorILNS1_17partition_subalgoE9ExjbEEZZNS1_14partition_implILS5_9ELb0ES3_jN6thrust23THRUST_200600_302600_NS6detail15normal_iteratorINS9_10device_ptrIxEEEENSB_INSC_IjEEEEPNS0_10empty_typeENS0_5tupleIJNS9_16discard_iteratorINS9_11use_defaultEEESH_EEENSJ_IJSM_SI_EEENS0_18inequality_wrapperINS9_8equal_toIxEEEEPmJSH_EEE10hipError_tPvRmT3_T4_T5_T6_T7_T9_mT8_P12ihipStream_tbDpT10_ENKUlT_T0_E_clISt17integral_constantIbLb1EES1C_IbLb0EEEEDaS18_S19_EUlS18_E_NS1_11comp_targetILNS1_3genE0ELNS1_11target_archE4294967295ELNS1_3gpuE0ELNS1_3repE0EEENS1_30default_config_static_selectorELNS0_4arch9wavefront6targetE0EEEvT1_
    .private_segment_fixed_size: 0
    .sgpr_count:     0
    .sgpr_spill_count: 0
    .symbol:         _ZN7rocprim17ROCPRIM_400000_NS6detail17trampoline_kernelINS0_14default_configENS1_25partition_config_selectorILNS1_17partition_subalgoE9ExjbEEZZNS1_14partition_implILS5_9ELb0ES3_jN6thrust23THRUST_200600_302600_NS6detail15normal_iteratorINS9_10device_ptrIxEEEENSB_INSC_IjEEEEPNS0_10empty_typeENS0_5tupleIJNS9_16discard_iteratorINS9_11use_defaultEEESH_EEENSJ_IJSM_SI_EEENS0_18inequality_wrapperINS9_8equal_toIxEEEEPmJSH_EEE10hipError_tPvRmT3_T4_T5_T6_T7_T9_mT8_P12ihipStream_tbDpT10_ENKUlT_T0_E_clISt17integral_constantIbLb1EES1C_IbLb0EEEEDaS18_S19_EUlS18_E_NS1_11comp_targetILNS1_3genE0ELNS1_11target_archE4294967295ELNS1_3gpuE0ELNS1_3repE0EEENS1_30default_config_static_selectorELNS0_4arch9wavefront6targetE0EEEvT1_.kd
    .uniform_work_group_size: 1
    .uses_dynamic_stack: false
    .vgpr_count:     0
    .vgpr_spill_count: 0
    .wavefront_size: 32
    .workgroup_processor_mode: 1
  - .args:
      - .offset:         0
        .size:           128
        .value_kind:     by_value
    .group_segment_fixed_size: 0
    .kernarg_segment_align: 8
    .kernarg_segment_size: 128
    .language:       OpenCL C
    .language_version:
      - 2
      - 0
    .max_flat_workgroup_size: 512
    .name:           _ZN7rocprim17ROCPRIM_400000_NS6detail17trampoline_kernelINS0_14default_configENS1_25partition_config_selectorILNS1_17partition_subalgoE9ExjbEEZZNS1_14partition_implILS5_9ELb0ES3_jN6thrust23THRUST_200600_302600_NS6detail15normal_iteratorINS9_10device_ptrIxEEEENSB_INSC_IjEEEEPNS0_10empty_typeENS0_5tupleIJNS9_16discard_iteratorINS9_11use_defaultEEESH_EEENSJ_IJSM_SI_EEENS0_18inequality_wrapperINS9_8equal_toIxEEEEPmJSH_EEE10hipError_tPvRmT3_T4_T5_T6_T7_T9_mT8_P12ihipStream_tbDpT10_ENKUlT_T0_E_clISt17integral_constantIbLb1EES1C_IbLb0EEEEDaS18_S19_EUlS18_E_NS1_11comp_targetILNS1_3genE5ELNS1_11target_archE942ELNS1_3gpuE9ELNS1_3repE0EEENS1_30default_config_static_selectorELNS0_4arch9wavefront6targetE0EEEvT1_
    .private_segment_fixed_size: 0
    .sgpr_count:     0
    .sgpr_spill_count: 0
    .symbol:         _ZN7rocprim17ROCPRIM_400000_NS6detail17trampoline_kernelINS0_14default_configENS1_25partition_config_selectorILNS1_17partition_subalgoE9ExjbEEZZNS1_14partition_implILS5_9ELb0ES3_jN6thrust23THRUST_200600_302600_NS6detail15normal_iteratorINS9_10device_ptrIxEEEENSB_INSC_IjEEEEPNS0_10empty_typeENS0_5tupleIJNS9_16discard_iteratorINS9_11use_defaultEEESH_EEENSJ_IJSM_SI_EEENS0_18inequality_wrapperINS9_8equal_toIxEEEEPmJSH_EEE10hipError_tPvRmT3_T4_T5_T6_T7_T9_mT8_P12ihipStream_tbDpT10_ENKUlT_T0_E_clISt17integral_constantIbLb1EES1C_IbLb0EEEEDaS18_S19_EUlS18_E_NS1_11comp_targetILNS1_3genE5ELNS1_11target_archE942ELNS1_3gpuE9ELNS1_3repE0EEENS1_30default_config_static_selectorELNS0_4arch9wavefront6targetE0EEEvT1_.kd
    .uniform_work_group_size: 1
    .uses_dynamic_stack: false
    .vgpr_count:     0
    .vgpr_spill_count: 0
    .wavefront_size: 32
    .workgroup_processor_mode: 1
  - .args:
      - .offset:         0
        .size:           128
        .value_kind:     by_value
    .group_segment_fixed_size: 0
    .kernarg_segment_align: 8
    .kernarg_segment_size: 128
    .language:       OpenCL C
    .language_version:
      - 2
      - 0
    .max_flat_workgroup_size: 192
    .name:           _ZN7rocprim17ROCPRIM_400000_NS6detail17trampoline_kernelINS0_14default_configENS1_25partition_config_selectorILNS1_17partition_subalgoE9ExjbEEZZNS1_14partition_implILS5_9ELb0ES3_jN6thrust23THRUST_200600_302600_NS6detail15normal_iteratorINS9_10device_ptrIxEEEENSB_INSC_IjEEEEPNS0_10empty_typeENS0_5tupleIJNS9_16discard_iteratorINS9_11use_defaultEEESH_EEENSJ_IJSM_SI_EEENS0_18inequality_wrapperINS9_8equal_toIxEEEEPmJSH_EEE10hipError_tPvRmT3_T4_T5_T6_T7_T9_mT8_P12ihipStream_tbDpT10_ENKUlT_T0_E_clISt17integral_constantIbLb1EES1C_IbLb0EEEEDaS18_S19_EUlS18_E_NS1_11comp_targetILNS1_3genE4ELNS1_11target_archE910ELNS1_3gpuE8ELNS1_3repE0EEENS1_30default_config_static_selectorELNS0_4arch9wavefront6targetE0EEEvT1_
    .private_segment_fixed_size: 0
    .sgpr_count:     0
    .sgpr_spill_count: 0
    .symbol:         _ZN7rocprim17ROCPRIM_400000_NS6detail17trampoline_kernelINS0_14default_configENS1_25partition_config_selectorILNS1_17partition_subalgoE9ExjbEEZZNS1_14partition_implILS5_9ELb0ES3_jN6thrust23THRUST_200600_302600_NS6detail15normal_iteratorINS9_10device_ptrIxEEEENSB_INSC_IjEEEEPNS0_10empty_typeENS0_5tupleIJNS9_16discard_iteratorINS9_11use_defaultEEESH_EEENSJ_IJSM_SI_EEENS0_18inequality_wrapperINS9_8equal_toIxEEEEPmJSH_EEE10hipError_tPvRmT3_T4_T5_T6_T7_T9_mT8_P12ihipStream_tbDpT10_ENKUlT_T0_E_clISt17integral_constantIbLb1EES1C_IbLb0EEEEDaS18_S19_EUlS18_E_NS1_11comp_targetILNS1_3genE4ELNS1_11target_archE910ELNS1_3gpuE8ELNS1_3repE0EEENS1_30default_config_static_selectorELNS0_4arch9wavefront6targetE0EEEvT1_.kd
    .uniform_work_group_size: 1
    .uses_dynamic_stack: false
    .vgpr_count:     0
    .vgpr_spill_count: 0
    .wavefront_size: 32
    .workgroup_processor_mode: 1
  - .args:
      - .offset:         0
        .size:           128
        .value_kind:     by_value
    .group_segment_fixed_size: 0
    .kernarg_segment_align: 8
    .kernarg_segment_size: 128
    .language:       OpenCL C
    .language_version:
      - 2
      - 0
    .max_flat_workgroup_size: 128
    .name:           _ZN7rocprim17ROCPRIM_400000_NS6detail17trampoline_kernelINS0_14default_configENS1_25partition_config_selectorILNS1_17partition_subalgoE9ExjbEEZZNS1_14partition_implILS5_9ELb0ES3_jN6thrust23THRUST_200600_302600_NS6detail15normal_iteratorINS9_10device_ptrIxEEEENSB_INSC_IjEEEEPNS0_10empty_typeENS0_5tupleIJNS9_16discard_iteratorINS9_11use_defaultEEESH_EEENSJ_IJSM_SI_EEENS0_18inequality_wrapperINS9_8equal_toIxEEEEPmJSH_EEE10hipError_tPvRmT3_T4_T5_T6_T7_T9_mT8_P12ihipStream_tbDpT10_ENKUlT_T0_E_clISt17integral_constantIbLb1EES1C_IbLb0EEEEDaS18_S19_EUlS18_E_NS1_11comp_targetILNS1_3genE3ELNS1_11target_archE908ELNS1_3gpuE7ELNS1_3repE0EEENS1_30default_config_static_selectorELNS0_4arch9wavefront6targetE0EEEvT1_
    .private_segment_fixed_size: 0
    .sgpr_count:     0
    .sgpr_spill_count: 0
    .symbol:         _ZN7rocprim17ROCPRIM_400000_NS6detail17trampoline_kernelINS0_14default_configENS1_25partition_config_selectorILNS1_17partition_subalgoE9ExjbEEZZNS1_14partition_implILS5_9ELb0ES3_jN6thrust23THRUST_200600_302600_NS6detail15normal_iteratorINS9_10device_ptrIxEEEENSB_INSC_IjEEEEPNS0_10empty_typeENS0_5tupleIJNS9_16discard_iteratorINS9_11use_defaultEEESH_EEENSJ_IJSM_SI_EEENS0_18inequality_wrapperINS9_8equal_toIxEEEEPmJSH_EEE10hipError_tPvRmT3_T4_T5_T6_T7_T9_mT8_P12ihipStream_tbDpT10_ENKUlT_T0_E_clISt17integral_constantIbLb1EES1C_IbLb0EEEEDaS18_S19_EUlS18_E_NS1_11comp_targetILNS1_3genE3ELNS1_11target_archE908ELNS1_3gpuE7ELNS1_3repE0EEENS1_30default_config_static_selectorELNS0_4arch9wavefront6targetE0EEEvT1_.kd
    .uniform_work_group_size: 1
    .uses_dynamic_stack: false
    .vgpr_count:     0
    .vgpr_spill_count: 0
    .wavefront_size: 32
    .workgroup_processor_mode: 1
  - .args:
      - .offset:         0
        .size:           128
        .value_kind:     by_value
    .group_segment_fixed_size: 0
    .kernarg_segment_align: 8
    .kernarg_segment_size: 128
    .language:       OpenCL C
    .language_version:
      - 2
      - 0
    .max_flat_workgroup_size: 256
    .name:           _ZN7rocprim17ROCPRIM_400000_NS6detail17trampoline_kernelINS0_14default_configENS1_25partition_config_selectorILNS1_17partition_subalgoE9ExjbEEZZNS1_14partition_implILS5_9ELb0ES3_jN6thrust23THRUST_200600_302600_NS6detail15normal_iteratorINS9_10device_ptrIxEEEENSB_INSC_IjEEEEPNS0_10empty_typeENS0_5tupleIJNS9_16discard_iteratorINS9_11use_defaultEEESH_EEENSJ_IJSM_SI_EEENS0_18inequality_wrapperINS9_8equal_toIxEEEEPmJSH_EEE10hipError_tPvRmT3_T4_T5_T6_T7_T9_mT8_P12ihipStream_tbDpT10_ENKUlT_T0_E_clISt17integral_constantIbLb1EES1C_IbLb0EEEEDaS18_S19_EUlS18_E_NS1_11comp_targetILNS1_3genE2ELNS1_11target_archE906ELNS1_3gpuE6ELNS1_3repE0EEENS1_30default_config_static_selectorELNS0_4arch9wavefront6targetE0EEEvT1_
    .private_segment_fixed_size: 0
    .sgpr_count:     0
    .sgpr_spill_count: 0
    .symbol:         _ZN7rocprim17ROCPRIM_400000_NS6detail17trampoline_kernelINS0_14default_configENS1_25partition_config_selectorILNS1_17partition_subalgoE9ExjbEEZZNS1_14partition_implILS5_9ELb0ES3_jN6thrust23THRUST_200600_302600_NS6detail15normal_iteratorINS9_10device_ptrIxEEEENSB_INSC_IjEEEEPNS0_10empty_typeENS0_5tupleIJNS9_16discard_iteratorINS9_11use_defaultEEESH_EEENSJ_IJSM_SI_EEENS0_18inequality_wrapperINS9_8equal_toIxEEEEPmJSH_EEE10hipError_tPvRmT3_T4_T5_T6_T7_T9_mT8_P12ihipStream_tbDpT10_ENKUlT_T0_E_clISt17integral_constantIbLb1EES1C_IbLb0EEEEDaS18_S19_EUlS18_E_NS1_11comp_targetILNS1_3genE2ELNS1_11target_archE906ELNS1_3gpuE6ELNS1_3repE0EEENS1_30default_config_static_selectorELNS0_4arch9wavefront6targetE0EEEvT1_.kd
    .uniform_work_group_size: 1
    .uses_dynamic_stack: false
    .vgpr_count:     0
    .vgpr_spill_count: 0
    .wavefront_size: 32
    .workgroup_processor_mode: 1
  - .args:
      - .offset:         0
        .size:           128
        .value_kind:     by_value
    .group_segment_fixed_size: 0
    .kernarg_segment_align: 8
    .kernarg_segment_size: 128
    .language:       OpenCL C
    .language_version:
      - 2
      - 0
    .max_flat_workgroup_size: 384
    .name:           _ZN7rocprim17ROCPRIM_400000_NS6detail17trampoline_kernelINS0_14default_configENS1_25partition_config_selectorILNS1_17partition_subalgoE9ExjbEEZZNS1_14partition_implILS5_9ELb0ES3_jN6thrust23THRUST_200600_302600_NS6detail15normal_iteratorINS9_10device_ptrIxEEEENSB_INSC_IjEEEEPNS0_10empty_typeENS0_5tupleIJNS9_16discard_iteratorINS9_11use_defaultEEESH_EEENSJ_IJSM_SI_EEENS0_18inequality_wrapperINS9_8equal_toIxEEEEPmJSH_EEE10hipError_tPvRmT3_T4_T5_T6_T7_T9_mT8_P12ihipStream_tbDpT10_ENKUlT_T0_E_clISt17integral_constantIbLb1EES1C_IbLb0EEEEDaS18_S19_EUlS18_E_NS1_11comp_targetILNS1_3genE10ELNS1_11target_archE1200ELNS1_3gpuE4ELNS1_3repE0EEENS1_30default_config_static_selectorELNS0_4arch9wavefront6targetE0EEEvT1_
    .private_segment_fixed_size: 0
    .sgpr_count:     0
    .sgpr_spill_count: 0
    .symbol:         _ZN7rocprim17ROCPRIM_400000_NS6detail17trampoline_kernelINS0_14default_configENS1_25partition_config_selectorILNS1_17partition_subalgoE9ExjbEEZZNS1_14partition_implILS5_9ELb0ES3_jN6thrust23THRUST_200600_302600_NS6detail15normal_iteratorINS9_10device_ptrIxEEEENSB_INSC_IjEEEEPNS0_10empty_typeENS0_5tupleIJNS9_16discard_iteratorINS9_11use_defaultEEESH_EEENSJ_IJSM_SI_EEENS0_18inequality_wrapperINS9_8equal_toIxEEEEPmJSH_EEE10hipError_tPvRmT3_T4_T5_T6_T7_T9_mT8_P12ihipStream_tbDpT10_ENKUlT_T0_E_clISt17integral_constantIbLb1EES1C_IbLb0EEEEDaS18_S19_EUlS18_E_NS1_11comp_targetILNS1_3genE10ELNS1_11target_archE1200ELNS1_3gpuE4ELNS1_3repE0EEENS1_30default_config_static_selectorELNS0_4arch9wavefront6targetE0EEEvT1_.kd
    .uniform_work_group_size: 1
    .uses_dynamic_stack: false
    .vgpr_count:     0
    .vgpr_spill_count: 0
    .wavefront_size: 32
    .workgroup_processor_mode: 1
  - .args:
      - .offset:         0
        .size:           128
        .value_kind:     by_value
    .group_segment_fixed_size: 33800
    .kernarg_segment_align: 8
    .kernarg_segment_size: 128
    .language:       OpenCL C
    .language_version:
      - 2
      - 0
    .max_flat_workgroup_size: 512
    .name:           _ZN7rocprim17ROCPRIM_400000_NS6detail17trampoline_kernelINS0_14default_configENS1_25partition_config_selectorILNS1_17partition_subalgoE9ExjbEEZZNS1_14partition_implILS5_9ELb0ES3_jN6thrust23THRUST_200600_302600_NS6detail15normal_iteratorINS9_10device_ptrIxEEEENSB_INSC_IjEEEEPNS0_10empty_typeENS0_5tupleIJNS9_16discard_iteratorINS9_11use_defaultEEESH_EEENSJ_IJSM_SI_EEENS0_18inequality_wrapperINS9_8equal_toIxEEEEPmJSH_EEE10hipError_tPvRmT3_T4_T5_T6_T7_T9_mT8_P12ihipStream_tbDpT10_ENKUlT_T0_E_clISt17integral_constantIbLb1EES1C_IbLb0EEEEDaS18_S19_EUlS18_E_NS1_11comp_targetILNS1_3genE9ELNS1_11target_archE1100ELNS1_3gpuE3ELNS1_3repE0EEENS1_30default_config_static_selectorELNS0_4arch9wavefront6targetE0EEEvT1_
    .private_segment_fixed_size: 0
    .sgpr_count:     26
    .sgpr_spill_count: 0
    .symbol:         _ZN7rocprim17ROCPRIM_400000_NS6detail17trampoline_kernelINS0_14default_configENS1_25partition_config_selectorILNS1_17partition_subalgoE9ExjbEEZZNS1_14partition_implILS5_9ELb0ES3_jN6thrust23THRUST_200600_302600_NS6detail15normal_iteratorINS9_10device_ptrIxEEEENSB_INSC_IjEEEEPNS0_10empty_typeENS0_5tupleIJNS9_16discard_iteratorINS9_11use_defaultEEESH_EEENSJ_IJSM_SI_EEENS0_18inequality_wrapperINS9_8equal_toIxEEEEPmJSH_EEE10hipError_tPvRmT3_T4_T5_T6_T7_T9_mT8_P12ihipStream_tbDpT10_ENKUlT_T0_E_clISt17integral_constantIbLb1EES1C_IbLb0EEEEDaS18_S19_EUlS18_E_NS1_11comp_targetILNS1_3genE9ELNS1_11target_archE1100ELNS1_3gpuE3ELNS1_3repE0EEENS1_30default_config_static_selectorELNS0_4arch9wavefront6targetE0EEEvT1_.kd
    .uniform_work_group_size: 1
    .uses_dynamic_stack: false
    .vgpr_count:     59
    .vgpr_spill_count: 0
    .wavefront_size: 32
    .workgroup_processor_mode: 1
  - .args:
      - .offset:         0
        .size:           128
        .value_kind:     by_value
    .group_segment_fixed_size: 0
    .kernarg_segment_align: 8
    .kernarg_segment_size: 128
    .language:       OpenCL C
    .language_version:
      - 2
      - 0
    .max_flat_workgroup_size: 512
    .name:           _ZN7rocprim17ROCPRIM_400000_NS6detail17trampoline_kernelINS0_14default_configENS1_25partition_config_selectorILNS1_17partition_subalgoE9ExjbEEZZNS1_14partition_implILS5_9ELb0ES3_jN6thrust23THRUST_200600_302600_NS6detail15normal_iteratorINS9_10device_ptrIxEEEENSB_INSC_IjEEEEPNS0_10empty_typeENS0_5tupleIJNS9_16discard_iteratorINS9_11use_defaultEEESH_EEENSJ_IJSM_SI_EEENS0_18inequality_wrapperINS9_8equal_toIxEEEEPmJSH_EEE10hipError_tPvRmT3_T4_T5_T6_T7_T9_mT8_P12ihipStream_tbDpT10_ENKUlT_T0_E_clISt17integral_constantIbLb1EES1C_IbLb0EEEEDaS18_S19_EUlS18_E_NS1_11comp_targetILNS1_3genE8ELNS1_11target_archE1030ELNS1_3gpuE2ELNS1_3repE0EEENS1_30default_config_static_selectorELNS0_4arch9wavefront6targetE0EEEvT1_
    .private_segment_fixed_size: 0
    .sgpr_count:     0
    .sgpr_spill_count: 0
    .symbol:         _ZN7rocprim17ROCPRIM_400000_NS6detail17trampoline_kernelINS0_14default_configENS1_25partition_config_selectorILNS1_17partition_subalgoE9ExjbEEZZNS1_14partition_implILS5_9ELb0ES3_jN6thrust23THRUST_200600_302600_NS6detail15normal_iteratorINS9_10device_ptrIxEEEENSB_INSC_IjEEEEPNS0_10empty_typeENS0_5tupleIJNS9_16discard_iteratorINS9_11use_defaultEEESH_EEENSJ_IJSM_SI_EEENS0_18inequality_wrapperINS9_8equal_toIxEEEEPmJSH_EEE10hipError_tPvRmT3_T4_T5_T6_T7_T9_mT8_P12ihipStream_tbDpT10_ENKUlT_T0_E_clISt17integral_constantIbLb1EES1C_IbLb0EEEEDaS18_S19_EUlS18_E_NS1_11comp_targetILNS1_3genE8ELNS1_11target_archE1030ELNS1_3gpuE2ELNS1_3repE0EEENS1_30default_config_static_selectorELNS0_4arch9wavefront6targetE0EEEvT1_.kd
    .uniform_work_group_size: 1
    .uses_dynamic_stack: false
    .vgpr_count:     0
    .vgpr_spill_count: 0
    .wavefront_size: 32
    .workgroup_processor_mode: 1
  - .args:
      - .offset:         0
        .size:           144
        .value_kind:     by_value
    .group_segment_fixed_size: 0
    .kernarg_segment_align: 8
    .kernarg_segment_size: 144
    .language:       OpenCL C
    .language_version:
      - 2
      - 0
    .max_flat_workgroup_size: 128
    .name:           _ZN7rocprim17ROCPRIM_400000_NS6detail17trampoline_kernelINS0_14default_configENS1_25partition_config_selectorILNS1_17partition_subalgoE9ExjbEEZZNS1_14partition_implILS5_9ELb0ES3_jN6thrust23THRUST_200600_302600_NS6detail15normal_iteratorINS9_10device_ptrIxEEEENSB_INSC_IjEEEEPNS0_10empty_typeENS0_5tupleIJNS9_16discard_iteratorINS9_11use_defaultEEESH_EEENSJ_IJSM_SI_EEENS0_18inequality_wrapperINS9_8equal_toIxEEEEPmJSH_EEE10hipError_tPvRmT3_T4_T5_T6_T7_T9_mT8_P12ihipStream_tbDpT10_ENKUlT_T0_E_clISt17integral_constantIbLb0EES1C_IbLb1EEEEDaS18_S19_EUlS18_E_NS1_11comp_targetILNS1_3genE0ELNS1_11target_archE4294967295ELNS1_3gpuE0ELNS1_3repE0EEENS1_30default_config_static_selectorELNS0_4arch9wavefront6targetE0EEEvT1_
    .private_segment_fixed_size: 0
    .sgpr_count:     0
    .sgpr_spill_count: 0
    .symbol:         _ZN7rocprim17ROCPRIM_400000_NS6detail17trampoline_kernelINS0_14default_configENS1_25partition_config_selectorILNS1_17partition_subalgoE9ExjbEEZZNS1_14partition_implILS5_9ELb0ES3_jN6thrust23THRUST_200600_302600_NS6detail15normal_iteratorINS9_10device_ptrIxEEEENSB_INSC_IjEEEEPNS0_10empty_typeENS0_5tupleIJNS9_16discard_iteratorINS9_11use_defaultEEESH_EEENSJ_IJSM_SI_EEENS0_18inequality_wrapperINS9_8equal_toIxEEEEPmJSH_EEE10hipError_tPvRmT3_T4_T5_T6_T7_T9_mT8_P12ihipStream_tbDpT10_ENKUlT_T0_E_clISt17integral_constantIbLb0EES1C_IbLb1EEEEDaS18_S19_EUlS18_E_NS1_11comp_targetILNS1_3genE0ELNS1_11target_archE4294967295ELNS1_3gpuE0ELNS1_3repE0EEENS1_30default_config_static_selectorELNS0_4arch9wavefront6targetE0EEEvT1_.kd
    .uniform_work_group_size: 1
    .uses_dynamic_stack: false
    .vgpr_count:     0
    .vgpr_spill_count: 0
    .wavefront_size: 32
    .workgroup_processor_mode: 1
  - .args:
      - .offset:         0
        .size:           144
        .value_kind:     by_value
    .group_segment_fixed_size: 0
    .kernarg_segment_align: 8
    .kernarg_segment_size: 144
    .language:       OpenCL C
    .language_version:
      - 2
      - 0
    .max_flat_workgroup_size: 512
    .name:           _ZN7rocprim17ROCPRIM_400000_NS6detail17trampoline_kernelINS0_14default_configENS1_25partition_config_selectorILNS1_17partition_subalgoE9ExjbEEZZNS1_14partition_implILS5_9ELb0ES3_jN6thrust23THRUST_200600_302600_NS6detail15normal_iteratorINS9_10device_ptrIxEEEENSB_INSC_IjEEEEPNS0_10empty_typeENS0_5tupleIJNS9_16discard_iteratorINS9_11use_defaultEEESH_EEENSJ_IJSM_SI_EEENS0_18inequality_wrapperINS9_8equal_toIxEEEEPmJSH_EEE10hipError_tPvRmT3_T4_T5_T6_T7_T9_mT8_P12ihipStream_tbDpT10_ENKUlT_T0_E_clISt17integral_constantIbLb0EES1C_IbLb1EEEEDaS18_S19_EUlS18_E_NS1_11comp_targetILNS1_3genE5ELNS1_11target_archE942ELNS1_3gpuE9ELNS1_3repE0EEENS1_30default_config_static_selectorELNS0_4arch9wavefront6targetE0EEEvT1_
    .private_segment_fixed_size: 0
    .sgpr_count:     0
    .sgpr_spill_count: 0
    .symbol:         _ZN7rocprim17ROCPRIM_400000_NS6detail17trampoline_kernelINS0_14default_configENS1_25partition_config_selectorILNS1_17partition_subalgoE9ExjbEEZZNS1_14partition_implILS5_9ELb0ES3_jN6thrust23THRUST_200600_302600_NS6detail15normal_iteratorINS9_10device_ptrIxEEEENSB_INSC_IjEEEEPNS0_10empty_typeENS0_5tupleIJNS9_16discard_iteratorINS9_11use_defaultEEESH_EEENSJ_IJSM_SI_EEENS0_18inequality_wrapperINS9_8equal_toIxEEEEPmJSH_EEE10hipError_tPvRmT3_T4_T5_T6_T7_T9_mT8_P12ihipStream_tbDpT10_ENKUlT_T0_E_clISt17integral_constantIbLb0EES1C_IbLb1EEEEDaS18_S19_EUlS18_E_NS1_11comp_targetILNS1_3genE5ELNS1_11target_archE942ELNS1_3gpuE9ELNS1_3repE0EEENS1_30default_config_static_selectorELNS0_4arch9wavefront6targetE0EEEvT1_.kd
    .uniform_work_group_size: 1
    .uses_dynamic_stack: false
    .vgpr_count:     0
    .vgpr_spill_count: 0
    .wavefront_size: 32
    .workgroup_processor_mode: 1
  - .args:
      - .offset:         0
        .size:           144
        .value_kind:     by_value
    .group_segment_fixed_size: 0
    .kernarg_segment_align: 8
    .kernarg_segment_size: 144
    .language:       OpenCL C
    .language_version:
      - 2
      - 0
    .max_flat_workgroup_size: 192
    .name:           _ZN7rocprim17ROCPRIM_400000_NS6detail17trampoline_kernelINS0_14default_configENS1_25partition_config_selectorILNS1_17partition_subalgoE9ExjbEEZZNS1_14partition_implILS5_9ELb0ES3_jN6thrust23THRUST_200600_302600_NS6detail15normal_iteratorINS9_10device_ptrIxEEEENSB_INSC_IjEEEEPNS0_10empty_typeENS0_5tupleIJNS9_16discard_iteratorINS9_11use_defaultEEESH_EEENSJ_IJSM_SI_EEENS0_18inequality_wrapperINS9_8equal_toIxEEEEPmJSH_EEE10hipError_tPvRmT3_T4_T5_T6_T7_T9_mT8_P12ihipStream_tbDpT10_ENKUlT_T0_E_clISt17integral_constantIbLb0EES1C_IbLb1EEEEDaS18_S19_EUlS18_E_NS1_11comp_targetILNS1_3genE4ELNS1_11target_archE910ELNS1_3gpuE8ELNS1_3repE0EEENS1_30default_config_static_selectorELNS0_4arch9wavefront6targetE0EEEvT1_
    .private_segment_fixed_size: 0
    .sgpr_count:     0
    .sgpr_spill_count: 0
    .symbol:         _ZN7rocprim17ROCPRIM_400000_NS6detail17trampoline_kernelINS0_14default_configENS1_25partition_config_selectorILNS1_17partition_subalgoE9ExjbEEZZNS1_14partition_implILS5_9ELb0ES3_jN6thrust23THRUST_200600_302600_NS6detail15normal_iteratorINS9_10device_ptrIxEEEENSB_INSC_IjEEEEPNS0_10empty_typeENS0_5tupleIJNS9_16discard_iteratorINS9_11use_defaultEEESH_EEENSJ_IJSM_SI_EEENS0_18inequality_wrapperINS9_8equal_toIxEEEEPmJSH_EEE10hipError_tPvRmT3_T4_T5_T6_T7_T9_mT8_P12ihipStream_tbDpT10_ENKUlT_T0_E_clISt17integral_constantIbLb0EES1C_IbLb1EEEEDaS18_S19_EUlS18_E_NS1_11comp_targetILNS1_3genE4ELNS1_11target_archE910ELNS1_3gpuE8ELNS1_3repE0EEENS1_30default_config_static_selectorELNS0_4arch9wavefront6targetE0EEEvT1_.kd
    .uniform_work_group_size: 1
    .uses_dynamic_stack: false
    .vgpr_count:     0
    .vgpr_spill_count: 0
    .wavefront_size: 32
    .workgroup_processor_mode: 1
  - .args:
      - .offset:         0
        .size:           144
        .value_kind:     by_value
    .group_segment_fixed_size: 0
    .kernarg_segment_align: 8
    .kernarg_segment_size: 144
    .language:       OpenCL C
    .language_version:
      - 2
      - 0
    .max_flat_workgroup_size: 128
    .name:           _ZN7rocprim17ROCPRIM_400000_NS6detail17trampoline_kernelINS0_14default_configENS1_25partition_config_selectorILNS1_17partition_subalgoE9ExjbEEZZNS1_14partition_implILS5_9ELb0ES3_jN6thrust23THRUST_200600_302600_NS6detail15normal_iteratorINS9_10device_ptrIxEEEENSB_INSC_IjEEEEPNS0_10empty_typeENS0_5tupleIJNS9_16discard_iteratorINS9_11use_defaultEEESH_EEENSJ_IJSM_SI_EEENS0_18inequality_wrapperINS9_8equal_toIxEEEEPmJSH_EEE10hipError_tPvRmT3_T4_T5_T6_T7_T9_mT8_P12ihipStream_tbDpT10_ENKUlT_T0_E_clISt17integral_constantIbLb0EES1C_IbLb1EEEEDaS18_S19_EUlS18_E_NS1_11comp_targetILNS1_3genE3ELNS1_11target_archE908ELNS1_3gpuE7ELNS1_3repE0EEENS1_30default_config_static_selectorELNS0_4arch9wavefront6targetE0EEEvT1_
    .private_segment_fixed_size: 0
    .sgpr_count:     0
    .sgpr_spill_count: 0
    .symbol:         _ZN7rocprim17ROCPRIM_400000_NS6detail17trampoline_kernelINS0_14default_configENS1_25partition_config_selectorILNS1_17partition_subalgoE9ExjbEEZZNS1_14partition_implILS5_9ELb0ES3_jN6thrust23THRUST_200600_302600_NS6detail15normal_iteratorINS9_10device_ptrIxEEEENSB_INSC_IjEEEEPNS0_10empty_typeENS0_5tupleIJNS9_16discard_iteratorINS9_11use_defaultEEESH_EEENSJ_IJSM_SI_EEENS0_18inequality_wrapperINS9_8equal_toIxEEEEPmJSH_EEE10hipError_tPvRmT3_T4_T5_T6_T7_T9_mT8_P12ihipStream_tbDpT10_ENKUlT_T0_E_clISt17integral_constantIbLb0EES1C_IbLb1EEEEDaS18_S19_EUlS18_E_NS1_11comp_targetILNS1_3genE3ELNS1_11target_archE908ELNS1_3gpuE7ELNS1_3repE0EEENS1_30default_config_static_selectorELNS0_4arch9wavefront6targetE0EEEvT1_.kd
    .uniform_work_group_size: 1
    .uses_dynamic_stack: false
    .vgpr_count:     0
    .vgpr_spill_count: 0
    .wavefront_size: 32
    .workgroup_processor_mode: 1
  - .args:
      - .offset:         0
        .size:           144
        .value_kind:     by_value
    .group_segment_fixed_size: 0
    .kernarg_segment_align: 8
    .kernarg_segment_size: 144
    .language:       OpenCL C
    .language_version:
      - 2
      - 0
    .max_flat_workgroup_size: 256
    .name:           _ZN7rocprim17ROCPRIM_400000_NS6detail17trampoline_kernelINS0_14default_configENS1_25partition_config_selectorILNS1_17partition_subalgoE9ExjbEEZZNS1_14partition_implILS5_9ELb0ES3_jN6thrust23THRUST_200600_302600_NS6detail15normal_iteratorINS9_10device_ptrIxEEEENSB_INSC_IjEEEEPNS0_10empty_typeENS0_5tupleIJNS9_16discard_iteratorINS9_11use_defaultEEESH_EEENSJ_IJSM_SI_EEENS0_18inequality_wrapperINS9_8equal_toIxEEEEPmJSH_EEE10hipError_tPvRmT3_T4_T5_T6_T7_T9_mT8_P12ihipStream_tbDpT10_ENKUlT_T0_E_clISt17integral_constantIbLb0EES1C_IbLb1EEEEDaS18_S19_EUlS18_E_NS1_11comp_targetILNS1_3genE2ELNS1_11target_archE906ELNS1_3gpuE6ELNS1_3repE0EEENS1_30default_config_static_selectorELNS0_4arch9wavefront6targetE0EEEvT1_
    .private_segment_fixed_size: 0
    .sgpr_count:     0
    .sgpr_spill_count: 0
    .symbol:         _ZN7rocprim17ROCPRIM_400000_NS6detail17trampoline_kernelINS0_14default_configENS1_25partition_config_selectorILNS1_17partition_subalgoE9ExjbEEZZNS1_14partition_implILS5_9ELb0ES3_jN6thrust23THRUST_200600_302600_NS6detail15normal_iteratorINS9_10device_ptrIxEEEENSB_INSC_IjEEEEPNS0_10empty_typeENS0_5tupleIJNS9_16discard_iteratorINS9_11use_defaultEEESH_EEENSJ_IJSM_SI_EEENS0_18inequality_wrapperINS9_8equal_toIxEEEEPmJSH_EEE10hipError_tPvRmT3_T4_T5_T6_T7_T9_mT8_P12ihipStream_tbDpT10_ENKUlT_T0_E_clISt17integral_constantIbLb0EES1C_IbLb1EEEEDaS18_S19_EUlS18_E_NS1_11comp_targetILNS1_3genE2ELNS1_11target_archE906ELNS1_3gpuE6ELNS1_3repE0EEENS1_30default_config_static_selectorELNS0_4arch9wavefront6targetE0EEEvT1_.kd
    .uniform_work_group_size: 1
    .uses_dynamic_stack: false
    .vgpr_count:     0
    .vgpr_spill_count: 0
    .wavefront_size: 32
    .workgroup_processor_mode: 1
  - .args:
      - .offset:         0
        .size:           144
        .value_kind:     by_value
    .group_segment_fixed_size: 0
    .kernarg_segment_align: 8
    .kernarg_segment_size: 144
    .language:       OpenCL C
    .language_version:
      - 2
      - 0
    .max_flat_workgroup_size: 384
    .name:           _ZN7rocprim17ROCPRIM_400000_NS6detail17trampoline_kernelINS0_14default_configENS1_25partition_config_selectorILNS1_17partition_subalgoE9ExjbEEZZNS1_14partition_implILS5_9ELb0ES3_jN6thrust23THRUST_200600_302600_NS6detail15normal_iteratorINS9_10device_ptrIxEEEENSB_INSC_IjEEEEPNS0_10empty_typeENS0_5tupleIJNS9_16discard_iteratorINS9_11use_defaultEEESH_EEENSJ_IJSM_SI_EEENS0_18inequality_wrapperINS9_8equal_toIxEEEEPmJSH_EEE10hipError_tPvRmT3_T4_T5_T6_T7_T9_mT8_P12ihipStream_tbDpT10_ENKUlT_T0_E_clISt17integral_constantIbLb0EES1C_IbLb1EEEEDaS18_S19_EUlS18_E_NS1_11comp_targetILNS1_3genE10ELNS1_11target_archE1200ELNS1_3gpuE4ELNS1_3repE0EEENS1_30default_config_static_selectorELNS0_4arch9wavefront6targetE0EEEvT1_
    .private_segment_fixed_size: 0
    .sgpr_count:     0
    .sgpr_spill_count: 0
    .symbol:         _ZN7rocprim17ROCPRIM_400000_NS6detail17trampoline_kernelINS0_14default_configENS1_25partition_config_selectorILNS1_17partition_subalgoE9ExjbEEZZNS1_14partition_implILS5_9ELb0ES3_jN6thrust23THRUST_200600_302600_NS6detail15normal_iteratorINS9_10device_ptrIxEEEENSB_INSC_IjEEEEPNS0_10empty_typeENS0_5tupleIJNS9_16discard_iteratorINS9_11use_defaultEEESH_EEENSJ_IJSM_SI_EEENS0_18inequality_wrapperINS9_8equal_toIxEEEEPmJSH_EEE10hipError_tPvRmT3_T4_T5_T6_T7_T9_mT8_P12ihipStream_tbDpT10_ENKUlT_T0_E_clISt17integral_constantIbLb0EES1C_IbLb1EEEEDaS18_S19_EUlS18_E_NS1_11comp_targetILNS1_3genE10ELNS1_11target_archE1200ELNS1_3gpuE4ELNS1_3repE0EEENS1_30default_config_static_selectorELNS0_4arch9wavefront6targetE0EEEvT1_.kd
    .uniform_work_group_size: 1
    .uses_dynamic_stack: false
    .vgpr_count:     0
    .vgpr_spill_count: 0
    .wavefront_size: 32
    .workgroup_processor_mode: 1
  - .args:
      - .offset:         0
        .size:           144
        .value_kind:     by_value
    .group_segment_fixed_size: 33800
    .kernarg_segment_align: 8
    .kernarg_segment_size: 144
    .language:       OpenCL C
    .language_version:
      - 2
      - 0
    .max_flat_workgroup_size: 512
    .name:           _ZN7rocprim17ROCPRIM_400000_NS6detail17trampoline_kernelINS0_14default_configENS1_25partition_config_selectorILNS1_17partition_subalgoE9ExjbEEZZNS1_14partition_implILS5_9ELb0ES3_jN6thrust23THRUST_200600_302600_NS6detail15normal_iteratorINS9_10device_ptrIxEEEENSB_INSC_IjEEEEPNS0_10empty_typeENS0_5tupleIJNS9_16discard_iteratorINS9_11use_defaultEEESH_EEENSJ_IJSM_SI_EEENS0_18inequality_wrapperINS9_8equal_toIxEEEEPmJSH_EEE10hipError_tPvRmT3_T4_T5_T6_T7_T9_mT8_P12ihipStream_tbDpT10_ENKUlT_T0_E_clISt17integral_constantIbLb0EES1C_IbLb1EEEEDaS18_S19_EUlS18_E_NS1_11comp_targetILNS1_3genE9ELNS1_11target_archE1100ELNS1_3gpuE3ELNS1_3repE0EEENS1_30default_config_static_selectorELNS0_4arch9wavefront6targetE0EEEvT1_
    .private_segment_fixed_size: 0
    .sgpr_count:     26
    .sgpr_spill_count: 0
    .symbol:         _ZN7rocprim17ROCPRIM_400000_NS6detail17trampoline_kernelINS0_14default_configENS1_25partition_config_selectorILNS1_17partition_subalgoE9ExjbEEZZNS1_14partition_implILS5_9ELb0ES3_jN6thrust23THRUST_200600_302600_NS6detail15normal_iteratorINS9_10device_ptrIxEEEENSB_INSC_IjEEEEPNS0_10empty_typeENS0_5tupleIJNS9_16discard_iteratorINS9_11use_defaultEEESH_EEENSJ_IJSM_SI_EEENS0_18inequality_wrapperINS9_8equal_toIxEEEEPmJSH_EEE10hipError_tPvRmT3_T4_T5_T6_T7_T9_mT8_P12ihipStream_tbDpT10_ENKUlT_T0_E_clISt17integral_constantIbLb0EES1C_IbLb1EEEEDaS18_S19_EUlS18_E_NS1_11comp_targetILNS1_3genE9ELNS1_11target_archE1100ELNS1_3gpuE3ELNS1_3repE0EEENS1_30default_config_static_selectorELNS0_4arch9wavefront6targetE0EEEvT1_.kd
    .uniform_work_group_size: 1
    .uses_dynamic_stack: false
    .vgpr_count:     61
    .vgpr_spill_count: 0
    .wavefront_size: 32
    .workgroup_processor_mode: 1
  - .args:
      - .offset:         0
        .size:           144
        .value_kind:     by_value
    .group_segment_fixed_size: 0
    .kernarg_segment_align: 8
    .kernarg_segment_size: 144
    .language:       OpenCL C
    .language_version:
      - 2
      - 0
    .max_flat_workgroup_size: 512
    .name:           _ZN7rocprim17ROCPRIM_400000_NS6detail17trampoline_kernelINS0_14default_configENS1_25partition_config_selectorILNS1_17partition_subalgoE9ExjbEEZZNS1_14partition_implILS5_9ELb0ES3_jN6thrust23THRUST_200600_302600_NS6detail15normal_iteratorINS9_10device_ptrIxEEEENSB_INSC_IjEEEEPNS0_10empty_typeENS0_5tupleIJNS9_16discard_iteratorINS9_11use_defaultEEESH_EEENSJ_IJSM_SI_EEENS0_18inequality_wrapperINS9_8equal_toIxEEEEPmJSH_EEE10hipError_tPvRmT3_T4_T5_T6_T7_T9_mT8_P12ihipStream_tbDpT10_ENKUlT_T0_E_clISt17integral_constantIbLb0EES1C_IbLb1EEEEDaS18_S19_EUlS18_E_NS1_11comp_targetILNS1_3genE8ELNS1_11target_archE1030ELNS1_3gpuE2ELNS1_3repE0EEENS1_30default_config_static_selectorELNS0_4arch9wavefront6targetE0EEEvT1_
    .private_segment_fixed_size: 0
    .sgpr_count:     0
    .sgpr_spill_count: 0
    .symbol:         _ZN7rocprim17ROCPRIM_400000_NS6detail17trampoline_kernelINS0_14default_configENS1_25partition_config_selectorILNS1_17partition_subalgoE9ExjbEEZZNS1_14partition_implILS5_9ELb0ES3_jN6thrust23THRUST_200600_302600_NS6detail15normal_iteratorINS9_10device_ptrIxEEEENSB_INSC_IjEEEEPNS0_10empty_typeENS0_5tupleIJNS9_16discard_iteratorINS9_11use_defaultEEESH_EEENSJ_IJSM_SI_EEENS0_18inequality_wrapperINS9_8equal_toIxEEEEPmJSH_EEE10hipError_tPvRmT3_T4_T5_T6_T7_T9_mT8_P12ihipStream_tbDpT10_ENKUlT_T0_E_clISt17integral_constantIbLb0EES1C_IbLb1EEEEDaS18_S19_EUlS18_E_NS1_11comp_targetILNS1_3genE8ELNS1_11target_archE1030ELNS1_3gpuE2ELNS1_3repE0EEENS1_30default_config_static_selectorELNS0_4arch9wavefront6targetE0EEEvT1_.kd
    .uniform_work_group_size: 1
    .uses_dynamic_stack: false
    .vgpr_count:     0
    .vgpr_spill_count: 0
    .wavefront_size: 32
    .workgroup_processor_mode: 1
  - .args:
      - .offset:         0
        .size:           120
        .value_kind:     by_value
    .group_segment_fixed_size: 0
    .kernarg_segment_align: 8
    .kernarg_segment_size: 120
    .language:       OpenCL C
    .language_version:
      - 2
      - 0
    .max_flat_workgroup_size: 128
    .name:           _ZN7rocprim17ROCPRIM_400000_NS6detail17trampoline_kernelINS0_14default_configENS1_25partition_config_selectorILNS1_17partition_subalgoE9ExjbEEZZNS1_14partition_implILS5_9ELb0ES3_jN6thrust23THRUST_200600_302600_NS6detail15normal_iteratorINS9_10device_ptrIxEEEENSB_INSC_IjEEEEPNS0_10empty_typeENS0_5tupleIJSE_SH_EEENSJ_IJNS9_16discard_iteratorINS9_11use_defaultEEESI_EEENS0_18inequality_wrapperINS9_8equal_toIxEEEEPmJSH_EEE10hipError_tPvRmT3_T4_T5_T6_T7_T9_mT8_P12ihipStream_tbDpT10_ENKUlT_T0_E_clISt17integral_constantIbLb0EES1D_EEDaS18_S19_EUlS18_E_NS1_11comp_targetILNS1_3genE0ELNS1_11target_archE4294967295ELNS1_3gpuE0ELNS1_3repE0EEENS1_30default_config_static_selectorELNS0_4arch9wavefront6targetE0EEEvT1_
    .private_segment_fixed_size: 0
    .sgpr_count:     0
    .sgpr_spill_count: 0
    .symbol:         _ZN7rocprim17ROCPRIM_400000_NS6detail17trampoline_kernelINS0_14default_configENS1_25partition_config_selectorILNS1_17partition_subalgoE9ExjbEEZZNS1_14partition_implILS5_9ELb0ES3_jN6thrust23THRUST_200600_302600_NS6detail15normal_iteratorINS9_10device_ptrIxEEEENSB_INSC_IjEEEEPNS0_10empty_typeENS0_5tupleIJSE_SH_EEENSJ_IJNS9_16discard_iteratorINS9_11use_defaultEEESI_EEENS0_18inequality_wrapperINS9_8equal_toIxEEEEPmJSH_EEE10hipError_tPvRmT3_T4_T5_T6_T7_T9_mT8_P12ihipStream_tbDpT10_ENKUlT_T0_E_clISt17integral_constantIbLb0EES1D_EEDaS18_S19_EUlS18_E_NS1_11comp_targetILNS1_3genE0ELNS1_11target_archE4294967295ELNS1_3gpuE0ELNS1_3repE0EEENS1_30default_config_static_selectorELNS0_4arch9wavefront6targetE0EEEvT1_.kd
    .uniform_work_group_size: 1
    .uses_dynamic_stack: false
    .vgpr_count:     0
    .vgpr_spill_count: 0
    .wavefront_size: 32
    .workgroup_processor_mode: 1
  - .args:
      - .offset:         0
        .size:           120
        .value_kind:     by_value
    .group_segment_fixed_size: 0
    .kernarg_segment_align: 8
    .kernarg_segment_size: 120
    .language:       OpenCL C
    .language_version:
      - 2
      - 0
    .max_flat_workgroup_size: 512
    .name:           _ZN7rocprim17ROCPRIM_400000_NS6detail17trampoline_kernelINS0_14default_configENS1_25partition_config_selectorILNS1_17partition_subalgoE9ExjbEEZZNS1_14partition_implILS5_9ELb0ES3_jN6thrust23THRUST_200600_302600_NS6detail15normal_iteratorINS9_10device_ptrIxEEEENSB_INSC_IjEEEEPNS0_10empty_typeENS0_5tupleIJSE_SH_EEENSJ_IJNS9_16discard_iteratorINS9_11use_defaultEEESI_EEENS0_18inequality_wrapperINS9_8equal_toIxEEEEPmJSH_EEE10hipError_tPvRmT3_T4_T5_T6_T7_T9_mT8_P12ihipStream_tbDpT10_ENKUlT_T0_E_clISt17integral_constantIbLb0EES1D_EEDaS18_S19_EUlS18_E_NS1_11comp_targetILNS1_3genE5ELNS1_11target_archE942ELNS1_3gpuE9ELNS1_3repE0EEENS1_30default_config_static_selectorELNS0_4arch9wavefront6targetE0EEEvT1_
    .private_segment_fixed_size: 0
    .sgpr_count:     0
    .sgpr_spill_count: 0
    .symbol:         _ZN7rocprim17ROCPRIM_400000_NS6detail17trampoline_kernelINS0_14default_configENS1_25partition_config_selectorILNS1_17partition_subalgoE9ExjbEEZZNS1_14partition_implILS5_9ELb0ES3_jN6thrust23THRUST_200600_302600_NS6detail15normal_iteratorINS9_10device_ptrIxEEEENSB_INSC_IjEEEEPNS0_10empty_typeENS0_5tupleIJSE_SH_EEENSJ_IJNS9_16discard_iteratorINS9_11use_defaultEEESI_EEENS0_18inequality_wrapperINS9_8equal_toIxEEEEPmJSH_EEE10hipError_tPvRmT3_T4_T5_T6_T7_T9_mT8_P12ihipStream_tbDpT10_ENKUlT_T0_E_clISt17integral_constantIbLb0EES1D_EEDaS18_S19_EUlS18_E_NS1_11comp_targetILNS1_3genE5ELNS1_11target_archE942ELNS1_3gpuE9ELNS1_3repE0EEENS1_30default_config_static_selectorELNS0_4arch9wavefront6targetE0EEEvT1_.kd
    .uniform_work_group_size: 1
    .uses_dynamic_stack: false
    .vgpr_count:     0
    .vgpr_spill_count: 0
    .wavefront_size: 32
    .workgroup_processor_mode: 1
  - .args:
      - .offset:         0
        .size:           120
        .value_kind:     by_value
    .group_segment_fixed_size: 0
    .kernarg_segment_align: 8
    .kernarg_segment_size: 120
    .language:       OpenCL C
    .language_version:
      - 2
      - 0
    .max_flat_workgroup_size: 192
    .name:           _ZN7rocprim17ROCPRIM_400000_NS6detail17trampoline_kernelINS0_14default_configENS1_25partition_config_selectorILNS1_17partition_subalgoE9ExjbEEZZNS1_14partition_implILS5_9ELb0ES3_jN6thrust23THRUST_200600_302600_NS6detail15normal_iteratorINS9_10device_ptrIxEEEENSB_INSC_IjEEEEPNS0_10empty_typeENS0_5tupleIJSE_SH_EEENSJ_IJNS9_16discard_iteratorINS9_11use_defaultEEESI_EEENS0_18inequality_wrapperINS9_8equal_toIxEEEEPmJSH_EEE10hipError_tPvRmT3_T4_T5_T6_T7_T9_mT8_P12ihipStream_tbDpT10_ENKUlT_T0_E_clISt17integral_constantIbLb0EES1D_EEDaS18_S19_EUlS18_E_NS1_11comp_targetILNS1_3genE4ELNS1_11target_archE910ELNS1_3gpuE8ELNS1_3repE0EEENS1_30default_config_static_selectorELNS0_4arch9wavefront6targetE0EEEvT1_
    .private_segment_fixed_size: 0
    .sgpr_count:     0
    .sgpr_spill_count: 0
    .symbol:         _ZN7rocprim17ROCPRIM_400000_NS6detail17trampoline_kernelINS0_14default_configENS1_25partition_config_selectorILNS1_17partition_subalgoE9ExjbEEZZNS1_14partition_implILS5_9ELb0ES3_jN6thrust23THRUST_200600_302600_NS6detail15normal_iteratorINS9_10device_ptrIxEEEENSB_INSC_IjEEEEPNS0_10empty_typeENS0_5tupleIJSE_SH_EEENSJ_IJNS9_16discard_iteratorINS9_11use_defaultEEESI_EEENS0_18inequality_wrapperINS9_8equal_toIxEEEEPmJSH_EEE10hipError_tPvRmT3_T4_T5_T6_T7_T9_mT8_P12ihipStream_tbDpT10_ENKUlT_T0_E_clISt17integral_constantIbLb0EES1D_EEDaS18_S19_EUlS18_E_NS1_11comp_targetILNS1_3genE4ELNS1_11target_archE910ELNS1_3gpuE8ELNS1_3repE0EEENS1_30default_config_static_selectorELNS0_4arch9wavefront6targetE0EEEvT1_.kd
    .uniform_work_group_size: 1
    .uses_dynamic_stack: false
    .vgpr_count:     0
    .vgpr_spill_count: 0
    .wavefront_size: 32
    .workgroup_processor_mode: 1
  - .args:
      - .offset:         0
        .size:           120
        .value_kind:     by_value
    .group_segment_fixed_size: 0
    .kernarg_segment_align: 8
    .kernarg_segment_size: 120
    .language:       OpenCL C
    .language_version:
      - 2
      - 0
    .max_flat_workgroup_size: 128
    .name:           _ZN7rocprim17ROCPRIM_400000_NS6detail17trampoline_kernelINS0_14default_configENS1_25partition_config_selectorILNS1_17partition_subalgoE9ExjbEEZZNS1_14partition_implILS5_9ELb0ES3_jN6thrust23THRUST_200600_302600_NS6detail15normal_iteratorINS9_10device_ptrIxEEEENSB_INSC_IjEEEEPNS0_10empty_typeENS0_5tupleIJSE_SH_EEENSJ_IJNS9_16discard_iteratorINS9_11use_defaultEEESI_EEENS0_18inequality_wrapperINS9_8equal_toIxEEEEPmJSH_EEE10hipError_tPvRmT3_T4_T5_T6_T7_T9_mT8_P12ihipStream_tbDpT10_ENKUlT_T0_E_clISt17integral_constantIbLb0EES1D_EEDaS18_S19_EUlS18_E_NS1_11comp_targetILNS1_3genE3ELNS1_11target_archE908ELNS1_3gpuE7ELNS1_3repE0EEENS1_30default_config_static_selectorELNS0_4arch9wavefront6targetE0EEEvT1_
    .private_segment_fixed_size: 0
    .sgpr_count:     0
    .sgpr_spill_count: 0
    .symbol:         _ZN7rocprim17ROCPRIM_400000_NS6detail17trampoline_kernelINS0_14default_configENS1_25partition_config_selectorILNS1_17partition_subalgoE9ExjbEEZZNS1_14partition_implILS5_9ELb0ES3_jN6thrust23THRUST_200600_302600_NS6detail15normal_iteratorINS9_10device_ptrIxEEEENSB_INSC_IjEEEEPNS0_10empty_typeENS0_5tupleIJSE_SH_EEENSJ_IJNS9_16discard_iteratorINS9_11use_defaultEEESI_EEENS0_18inequality_wrapperINS9_8equal_toIxEEEEPmJSH_EEE10hipError_tPvRmT3_T4_T5_T6_T7_T9_mT8_P12ihipStream_tbDpT10_ENKUlT_T0_E_clISt17integral_constantIbLb0EES1D_EEDaS18_S19_EUlS18_E_NS1_11comp_targetILNS1_3genE3ELNS1_11target_archE908ELNS1_3gpuE7ELNS1_3repE0EEENS1_30default_config_static_selectorELNS0_4arch9wavefront6targetE0EEEvT1_.kd
    .uniform_work_group_size: 1
    .uses_dynamic_stack: false
    .vgpr_count:     0
    .vgpr_spill_count: 0
    .wavefront_size: 32
    .workgroup_processor_mode: 1
  - .args:
      - .offset:         0
        .size:           120
        .value_kind:     by_value
    .group_segment_fixed_size: 0
    .kernarg_segment_align: 8
    .kernarg_segment_size: 120
    .language:       OpenCL C
    .language_version:
      - 2
      - 0
    .max_flat_workgroup_size: 256
    .name:           _ZN7rocprim17ROCPRIM_400000_NS6detail17trampoline_kernelINS0_14default_configENS1_25partition_config_selectorILNS1_17partition_subalgoE9ExjbEEZZNS1_14partition_implILS5_9ELb0ES3_jN6thrust23THRUST_200600_302600_NS6detail15normal_iteratorINS9_10device_ptrIxEEEENSB_INSC_IjEEEEPNS0_10empty_typeENS0_5tupleIJSE_SH_EEENSJ_IJNS9_16discard_iteratorINS9_11use_defaultEEESI_EEENS0_18inequality_wrapperINS9_8equal_toIxEEEEPmJSH_EEE10hipError_tPvRmT3_T4_T5_T6_T7_T9_mT8_P12ihipStream_tbDpT10_ENKUlT_T0_E_clISt17integral_constantIbLb0EES1D_EEDaS18_S19_EUlS18_E_NS1_11comp_targetILNS1_3genE2ELNS1_11target_archE906ELNS1_3gpuE6ELNS1_3repE0EEENS1_30default_config_static_selectorELNS0_4arch9wavefront6targetE0EEEvT1_
    .private_segment_fixed_size: 0
    .sgpr_count:     0
    .sgpr_spill_count: 0
    .symbol:         _ZN7rocprim17ROCPRIM_400000_NS6detail17trampoline_kernelINS0_14default_configENS1_25partition_config_selectorILNS1_17partition_subalgoE9ExjbEEZZNS1_14partition_implILS5_9ELb0ES3_jN6thrust23THRUST_200600_302600_NS6detail15normal_iteratorINS9_10device_ptrIxEEEENSB_INSC_IjEEEEPNS0_10empty_typeENS0_5tupleIJSE_SH_EEENSJ_IJNS9_16discard_iteratorINS9_11use_defaultEEESI_EEENS0_18inequality_wrapperINS9_8equal_toIxEEEEPmJSH_EEE10hipError_tPvRmT3_T4_T5_T6_T7_T9_mT8_P12ihipStream_tbDpT10_ENKUlT_T0_E_clISt17integral_constantIbLb0EES1D_EEDaS18_S19_EUlS18_E_NS1_11comp_targetILNS1_3genE2ELNS1_11target_archE906ELNS1_3gpuE6ELNS1_3repE0EEENS1_30default_config_static_selectorELNS0_4arch9wavefront6targetE0EEEvT1_.kd
    .uniform_work_group_size: 1
    .uses_dynamic_stack: false
    .vgpr_count:     0
    .vgpr_spill_count: 0
    .wavefront_size: 32
    .workgroup_processor_mode: 1
  - .args:
      - .offset:         0
        .size:           120
        .value_kind:     by_value
    .group_segment_fixed_size: 0
    .kernarg_segment_align: 8
    .kernarg_segment_size: 120
    .language:       OpenCL C
    .language_version:
      - 2
      - 0
    .max_flat_workgroup_size: 384
    .name:           _ZN7rocprim17ROCPRIM_400000_NS6detail17trampoline_kernelINS0_14default_configENS1_25partition_config_selectorILNS1_17partition_subalgoE9ExjbEEZZNS1_14partition_implILS5_9ELb0ES3_jN6thrust23THRUST_200600_302600_NS6detail15normal_iteratorINS9_10device_ptrIxEEEENSB_INSC_IjEEEEPNS0_10empty_typeENS0_5tupleIJSE_SH_EEENSJ_IJNS9_16discard_iteratorINS9_11use_defaultEEESI_EEENS0_18inequality_wrapperINS9_8equal_toIxEEEEPmJSH_EEE10hipError_tPvRmT3_T4_T5_T6_T7_T9_mT8_P12ihipStream_tbDpT10_ENKUlT_T0_E_clISt17integral_constantIbLb0EES1D_EEDaS18_S19_EUlS18_E_NS1_11comp_targetILNS1_3genE10ELNS1_11target_archE1200ELNS1_3gpuE4ELNS1_3repE0EEENS1_30default_config_static_selectorELNS0_4arch9wavefront6targetE0EEEvT1_
    .private_segment_fixed_size: 0
    .sgpr_count:     0
    .sgpr_spill_count: 0
    .symbol:         _ZN7rocprim17ROCPRIM_400000_NS6detail17trampoline_kernelINS0_14default_configENS1_25partition_config_selectorILNS1_17partition_subalgoE9ExjbEEZZNS1_14partition_implILS5_9ELb0ES3_jN6thrust23THRUST_200600_302600_NS6detail15normal_iteratorINS9_10device_ptrIxEEEENSB_INSC_IjEEEEPNS0_10empty_typeENS0_5tupleIJSE_SH_EEENSJ_IJNS9_16discard_iteratorINS9_11use_defaultEEESI_EEENS0_18inequality_wrapperINS9_8equal_toIxEEEEPmJSH_EEE10hipError_tPvRmT3_T4_T5_T6_T7_T9_mT8_P12ihipStream_tbDpT10_ENKUlT_T0_E_clISt17integral_constantIbLb0EES1D_EEDaS18_S19_EUlS18_E_NS1_11comp_targetILNS1_3genE10ELNS1_11target_archE1200ELNS1_3gpuE4ELNS1_3repE0EEENS1_30default_config_static_selectorELNS0_4arch9wavefront6targetE0EEEvT1_.kd
    .uniform_work_group_size: 1
    .uses_dynamic_stack: false
    .vgpr_count:     0
    .vgpr_spill_count: 0
    .wavefront_size: 32
    .workgroup_processor_mode: 1
  - .args:
      - .offset:         0
        .size:           120
        .value_kind:     by_value
    .group_segment_fixed_size: 33800
    .kernarg_segment_align: 8
    .kernarg_segment_size: 120
    .language:       OpenCL C
    .language_version:
      - 2
      - 0
    .max_flat_workgroup_size: 512
    .name:           _ZN7rocprim17ROCPRIM_400000_NS6detail17trampoline_kernelINS0_14default_configENS1_25partition_config_selectorILNS1_17partition_subalgoE9ExjbEEZZNS1_14partition_implILS5_9ELb0ES3_jN6thrust23THRUST_200600_302600_NS6detail15normal_iteratorINS9_10device_ptrIxEEEENSB_INSC_IjEEEEPNS0_10empty_typeENS0_5tupleIJSE_SH_EEENSJ_IJNS9_16discard_iteratorINS9_11use_defaultEEESI_EEENS0_18inequality_wrapperINS9_8equal_toIxEEEEPmJSH_EEE10hipError_tPvRmT3_T4_T5_T6_T7_T9_mT8_P12ihipStream_tbDpT10_ENKUlT_T0_E_clISt17integral_constantIbLb0EES1D_EEDaS18_S19_EUlS18_E_NS1_11comp_targetILNS1_3genE9ELNS1_11target_archE1100ELNS1_3gpuE3ELNS1_3repE0EEENS1_30default_config_static_selectorELNS0_4arch9wavefront6targetE0EEEvT1_
    .private_segment_fixed_size: 0
    .sgpr_count:     26
    .sgpr_spill_count: 0
    .symbol:         _ZN7rocprim17ROCPRIM_400000_NS6detail17trampoline_kernelINS0_14default_configENS1_25partition_config_selectorILNS1_17partition_subalgoE9ExjbEEZZNS1_14partition_implILS5_9ELb0ES3_jN6thrust23THRUST_200600_302600_NS6detail15normal_iteratorINS9_10device_ptrIxEEEENSB_INSC_IjEEEEPNS0_10empty_typeENS0_5tupleIJSE_SH_EEENSJ_IJNS9_16discard_iteratorINS9_11use_defaultEEESI_EEENS0_18inequality_wrapperINS9_8equal_toIxEEEEPmJSH_EEE10hipError_tPvRmT3_T4_T5_T6_T7_T9_mT8_P12ihipStream_tbDpT10_ENKUlT_T0_E_clISt17integral_constantIbLb0EES1D_EEDaS18_S19_EUlS18_E_NS1_11comp_targetILNS1_3genE9ELNS1_11target_archE1100ELNS1_3gpuE3ELNS1_3repE0EEENS1_30default_config_static_selectorELNS0_4arch9wavefront6targetE0EEEvT1_.kd
    .uniform_work_group_size: 1
    .uses_dynamic_stack: false
    .vgpr_count:     60
    .vgpr_spill_count: 0
    .wavefront_size: 32
    .workgroup_processor_mode: 1
  - .args:
      - .offset:         0
        .size:           120
        .value_kind:     by_value
    .group_segment_fixed_size: 0
    .kernarg_segment_align: 8
    .kernarg_segment_size: 120
    .language:       OpenCL C
    .language_version:
      - 2
      - 0
    .max_flat_workgroup_size: 512
    .name:           _ZN7rocprim17ROCPRIM_400000_NS6detail17trampoline_kernelINS0_14default_configENS1_25partition_config_selectorILNS1_17partition_subalgoE9ExjbEEZZNS1_14partition_implILS5_9ELb0ES3_jN6thrust23THRUST_200600_302600_NS6detail15normal_iteratorINS9_10device_ptrIxEEEENSB_INSC_IjEEEEPNS0_10empty_typeENS0_5tupleIJSE_SH_EEENSJ_IJNS9_16discard_iteratorINS9_11use_defaultEEESI_EEENS0_18inequality_wrapperINS9_8equal_toIxEEEEPmJSH_EEE10hipError_tPvRmT3_T4_T5_T6_T7_T9_mT8_P12ihipStream_tbDpT10_ENKUlT_T0_E_clISt17integral_constantIbLb0EES1D_EEDaS18_S19_EUlS18_E_NS1_11comp_targetILNS1_3genE8ELNS1_11target_archE1030ELNS1_3gpuE2ELNS1_3repE0EEENS1_30default_config_static_selectorELNS0_4arch9wavefront6targetE0EEEvT1_
    .private_segment_fixed_size: 0
    .sgpr_count:     0
    .sgpr_spill_count: 0
    .symbol:         _ZN7rocprim17ROCPRIM_400000_NS6detail17trampoline_kernelINS0_14default_configENS1_25partition_config_selectorILNS1_17partition_subalgoE9ExjbEEZZNS1_14partition_implILS5_9ELb0ES3_jN6thrust23THRUST_200600_302600_NS6detail15normal_iteratorINS9_10device_ptrIxEEEENSB_INSC_IjEEEEPNS0_10empty_typeENS0_5tupleIJSE_SH_EEENSJ_IJNS9_16discard_iteratorINS9_11use_defaultEEESI_EEENS0_18inequality_wrapperINS9_8equal_toIxEEEEPmJSH_EEE10hipError_tPvRmT3_T4_T5_T6_T7_T9_mT8_P12ihipStream_tbDpT10_ENKUlT_T0_E_clISt17integral_constantIbLb0EES1D_EEDaS18_S19_EUlS18_E_NS1_11comp_targetILNS1_3genE8ELNS1_11target_archE1030ELNS1_3gpuE2ELNS1_3repE0EEENS1_30default_config_static_selectorELNS0_4arch9wavefront6targetE0EEEvT1_.kd
    .uniform_work_group_size: 1
    .uses_dynamic_stack: false
    .vgpr_count:     0
    .vgpr_spill_count: 0
    .wavefront_size: 32
    .workgroup_processor_mode: 1
  - .args:
      - .offset:         0
        .size:           136
        .value_kind:     by_value
    .group_segment_fixed_size: 0
    .kernarg_segment_align: 8
    .kernarg_segment_size: 136
    .language:       OpenCL C
    .language_version:
      - 2
      - 0
    .max_flat_workgroup_size: 128
    .name:           _ZN7rocprim17ROCPRIM_400000_NS6detail17trampoline_kernelINS0_14default_configENS1_25partition_config_selectorILNS1_17partition_subalgoE9ExjbEEZZNS1_14partition_implILS5_9ELb0ES3_jN6thrust23THRUST_200600_302600_NS6detail15normal_iteratorINS9_10device_ptrIxEEEENSB_INSC_IjEEEEPNS0_10empty_typeENS0_5tupleIJSE_SH_EEENSJ_IJNS9_16discard_iteratorINS9_11use_defaultEEESI_EEENS0_18inequality_wrapperINS9_8equal_toIxEEEEPmJSH_EEE10hipError_tPvRmT3_T4_T5_T6_T7_T9_mT8_P12ihipStream_tbDpT10_ENKUlT_T0_E_clISt17integral_constantIbLb1EES1D_EEDaS18_S19_EUlS18_E_NS1_11comp_targetILNS1_3genE0ELNS1_11target_archE4294967295ELNS1_3gpuE0ELNS1_3repE0EEENS1_30default_config_static_selectorELNS0_4arch9wavefront6targetE0EEEvT1_
    .private_segment_fixed_size: 0
    .sgpr_count:     0
    .sgpr_spill_count: 0
    .symbol:         _ZN7rocprim17ROCPRIM_400000_NS6detail17trampoline_kernelINS0_14default_configENS1_25partition_config_selectorILNS1_17partition_subalgoE9ExjbEEZZNS1_14partition_implILS5_9ELb0ES3_jN6thrust23THRUST_200600_302600_NS6detail15normal_iteratorINS9_10device_ptrIxEEEENSB_INSC_IjEEEEPNS0_10empty_typeENS0_5tupleIJSE_SH_EEENSJ_IJNS9_16discard_iteratorINS9_11use_defaultEEESI_EEENS0_18inequality_wrapperINS9_8equal_toIxEEEEPmJSH_EEE10hipError_tPvRmT3_T4_T5_T6_T7_T9_mT8_P12ihipStream_tbDpT10_ENKUlT_T0_E_clISt17integral_constantIbLb1EES1D_EEDaS18_S19_EUlS18_E_NS1_11comp_targetILNS1_3genE0ELNS1_11target_archE4294967295ELNS1_3gpuE0ELNS1_3repE0EEENS1_30default_config_static_selectorELNS0_4arch9wavefront6targetE0EEEvT1_.kd
    .uniform_work_group_size: 1
    .uses_dynamic_stack: false
    .vgpr_count:     0
    .vgpr_spill_count: 0
    .wavefront_size: 32
    .workgroup_processor_mode: 1
  - .args:
      - .offset:         0
        .size:           136
        .value_kind:     by_value
    .group_segment_fixed_size: 0
    .kernarg_segment_align: 8
    .kernarg_segment_size: 136
    .language:       OpenCL C
    .language_version:
      - 2
      - 0
    .max_flat_workgroup_size: 512
    .name:           _ZN7rocprim17ROCPRIM_400000_NS6detail17trampoline_kernelINS0_14default_configENS1_25partition_config_selectorILNS1_17partition_subalgoE9ExjbEEZZNS1_14partition_implILS5_9ELb0ES3_jN6thrust23THRUST_200600_302600_NS6detail15normal_iteratorINS9_10device_ptrIxEEEENSB_INSC_IjEEEEPNS0_10empty_typeENS0_5tupleIJSE_SH_EEENSJ_IJNS9_16discard_iteratorINS9_11use_defaultEEESI_EEENS0_18inequality_wrapperINS9_8equal_toIxEEEEPmJSH_EEE10hipError_tPvRmT3_T4_T5_T6_T7_T9_mT8_P12ihipStream_tbDpT10_ENKUlT_T0_E_clISt17integral_constantIbLb1EES1D_EEDaS18_S19_EUlS18_E_NS1_11comp_targetILNS1_3genE5ELNS1_11target_archE942ELNS1_3gpuE9ELNS1_3repE0EEENS1_30default_config_static_selectorELNS0_4arch9wavefront6targetE0EEEvT1_
    .private_segment_fixed_size: 0
    .sgpr_count:     0
    .sgpr_spill_count: 0
    .symbol:         _ZN7rocprim17ROCPRIM_400000_NS6detail17trampoline_kernelINS0_14default_configENS1_25partition_config_selectorILNS1_17partition_subalgoE9ExjbEEZZNS1_14partition_implILS5_9ELb0ES3_jN6thrust23THRUST_200600_302600_NS6detail15normal_iteratorINS9_10device_ptrIxEEEENSB_INSC_IjEEEEPNS0_10empty_typeENS0_5tupleIJSE_SH_EEENSJ_IJNS9_16discard_iteratorINS9_11use_defaultEEESI_EEENS0_18inequality_wrapperINS9_8equal_toIxEEEEPmJSH_EEE10hipError_tPvRmT3_T4_T5_T6_T7_T9_mT8_P12ihipStream_tbDpT10_ENKUlT_T0_E_clISt17integral_constantIbLb1EES1D_EEDaS18_S19_EUlS18_E_NS1_11comp_targetILNS1_3genE5ELNS1_11target_archE942ELNS1_3gpuE9ELNS1_3repE0EEENS1_30default_config_static_selectorELNS0_4arch9wavefront6targetE0EEEvT1_.kd
    .uniform_work_group_size: 1
    .uses_dynamic_stack: false
    .vgpr_count:     0
    .vgpr_spill_count: 0
    .wavefront_size: 32
    .workgroup_processor_mode: 1
  - .args:
      - .offset:         0
        .size:           136
        .value_kind:     by_value
    .group_segment_fixed_size: 0
    .kernarg_segment_align: 8
    .kernarg_segment_size: 136
    .language:       OpenCL C
    .language_version:
      - 2
      - 0
    .max_flat_workgroup_size: 192
    .name:           _ZN7rocprim17ROCPRIM_400000_NS6detail17trampoline_kernelINS0_14default_configENS1_25partition_config_selectorILNS1_17partition_subalgoE9ExjbEEZZNS1_14partition_implILS5_9ELb0ES3_jN6thrust23THRUST_200600_302600_NS6detail15normal_iteratorINS9_10device_ptrIxEEEENSB_INSC_IjEEEEPNS0_10empty_typeENS0_5tupleIJSE_SH_EEENSJ_IJNS9_16discard_iteratorINS9_11use_defaultEEESI_EEENS0_18inequality_wrapperINS9_8equal_toIxEEEEPmJSH_EEE10hipError_tPvRmT3_T4_T5_T6_T7_T9_mT8_P12ihipStream_tbDpT10_ENKUlT_T0_E_clISt17integral_constantIbLb1EES1D_EEDaS18_S19_EUlS18_E_NS1_11comp_targetILNS1_3genE4ELNS1_11target_archE910ELNS1_3gpuE8ELNS1_3repE0EEENS1_30default_config_static_selectorELNS0_4arch9wavefront6targetE0EEEvT1_
    .private_segment_fixed_size: 0
    .sgpr_count:     0
    .sgpr_spill_count: 0
    .symbol:         _ZN7rocprim17ROCPRIM_400000_NS6detail17trampoline_kernelINS0_14default_configENS1_25partition_config_selectorILNS1_17partition_subalgoE9ExjbEEZZNS1_14partition_implILS5_9ELb0ES3_jN6thrust23THRUST_200600_302600_NS6detail15normal_iteratorINS9_10device_ptrIxEEEENSB_INSC_IjEEEEPNS0_10empty_typeENS0_5tupleIJSE_SH_EEENSJ_IJNS9_16discard_iteratorINS9_11use_defaultEEESI_EEENS0_18inequality_wrapperINS9_8equal_toIxEEEEPmJSH_EEE10hipError_tPvRmT3_T4_T5_T6_T7_T9_mT8_P12ihipStream_tbDpT10_ENKUlT_T0_E_clISt17integral_constantIbLb1EES1D_EEDaS18_S19_EUlS18_E_NS1_11comp_targetILNS1_3genE4ELNS1_11target_archE910ELNS1_3gpuE8ELNS1_3repE0EEENS1_30default_config_static_selectorELNS0_4arch9wavefront6targetE0EEEvT1_.kd
    .uniform_work_group_size: 1
    .uses_dynamic_stack: false
    .vgpr_count:     0
    .vgpr_spill_count: 0
    .wavefront_size: 32
    .workgroup_processor_mode: 1
  - .args:
      - .offset:         0
        .size:           136
        .value_kind:     by_value
    .group_segment_fixed_size: 0
    .kernarg_segment_align: 8
    .kernarg_segment_size: 136
    .language:       OpenCL C
    .language_version:
      - 2
      - 0
    .max_flat_workgroup_size: 128
    .name:           _ZN7rocprim17ROCPRIM_400000_NS6detail17trampoline_kernelINS0_14default_configENS1_25partition_config_selectorILNS1_17partition_subalgoE9ExjbEEZZNS1_14partition_implILS5_9ELb0ES3_jN6thrust23THRUST_200600_302600_NS6detail15normal_iteratorINS9_10device_ptrIxEEEENSB_INSC_IjEEEEPNS0_10empty_typeENS0_5tupleIJSE_SH_EEENSJ_IJNS9_16discard_iteratorINS9_11use_defaultEEESI_EEENS0_18inequality_wrapperINS9_8equal_toIxEEEEPmJSH_EEE10hipError_tPvRmT3_T4_T5_T6_T7_T9_mT8_P12ihipStream_tbDpT10_ENKUlT_T0_E_clISt17integral_constantIbLb1EES1D_EEDaS18_S19_EUlS18_E_NS1_11comp_targetILNS1_3genE3ELNS1_11target_archE908ELNS1_3gpuE7ELNS1_3repE0EEENS1_30default_config_static_selectorELNS0_4arch9wavefront6targetE0EEEvT1_
    .private_segment_fixed_size: 0
    .sgpr_count:     0
    .sgpr_spill_count: 0
    .symbol:         _ZN7rocprim17ROCPRIM_400000_NS6detail17trampoline_kernelINS0_14default_configENS1_25partition_config_selectorILNS1_17partition_subalgoE9ExjbEEZZNS1_14partition_implILS5_9ELb0ES3_jN6thrust23THRUST_200600_302600_NS6detail15normal_iteratorINS9_10device_ptrIxEEEENSB_INSC_IjEEEEPNS0_10empty_typeENS0_5tupleIJSE_SH_EEENSJ_IJNS9_16discard_iteratorINS9_11use_defaultEEESI_EEENS0_18inequality_wrapperINS9_8equal_toIxEEEEPmJSH_EEE10hipError_tPvRmT3_T4_T5_T6_T7_T9_mT8_P12ihipStream_tbDpT10_ENKUlT_T0_E_clISt17integral_constantIbLb1EES1D_EEDaS18_S19_EUlS18_E_NS1_11comp_targetILNS1_3genE3ELNS1_11target_archE908ELNS1_3gpuE7ELNS1_3repE0EEENS1_30default_config_static_selectorELNS0_4arch9wavefront6targetE0EEEvT1_.kd
    .uniform_work_group_size: 1
    .uses_dynamic_stack: false
    .vgpr_count:     0
    .vgpr_spill_count: 0
    .wavefront_size: 32
    .workgroup_processor_mode: 1
  - .args:
      - .offset:         0
        .size:           136
        .value_kind:     by_value
    .group_segment_fixed_size: 0
    .kernarg_segment_align: 8
    .kernarg_segment_size: 136
    .language:       OpenCL C
    .language_version:
      - 2
      - 0
    .max_flat_workgroup_size: 256
    .name:           _ZN7rocprim17ROCPRIM_400000_NS6detail17trampoline_kernelINS0_14default_configENS1_25partition_config_selectorILNS1_17partition_subalgoE9ExjbEEZZNS1_14partition_implILS5_9ELb0ES3_jN6thrust23THRUST_200600_302600_NS6detail15normal_iteratorINS9_10device_ptrIxEEEENSB_INSC_IjEEEEPNS0_10empty_typeENS0_5tupleIJSE_SH_EEENSJ_IJNS9_16discard_iteratorINS9_11use_defaultEEESI_EEENS0_18inequality_wrapperINS9_8equal_toIxEEEEPmJSH_EEE10hipError_tPvRmT3_T4_T5_T6_T7_T9_mT8_P12ihipStream_tbDpT10_ENKUlT_T0_E_clISt17integral_constantIbLb1EES1D_EEDaS18_S19_EUlS18_E_NS1_11comp_targetILNS1_3genE2ELNS1_11target_archE906ELNS1_3gpuE6ELNS1_3repE0EEENS1_30default_config_static_selectorELNS0_4arch9wavefront6targetE0EEEvT1_
    .private_segment_fixed_size: 0
    .sgpr_count:     0
    .sgpr_spill_count: 0
    .symbol:         _ZN7rocprim17ROCPRIM_400000_NS6detail17trampoline_kernelINS0_14default_configENS1_25partition_config_selectorILNS1_17partition_subalgoE9ExjbEEZZNS1_14partition_implILS5_9ELb0ES3_jN6thrust23THRUST_200600_302600_NS6detail15normal_iteratorINS9_10device_ptrIxEEEENSB_INSC_IjEEEEPNS0_10empty_typeENS0_5tupleIJSE_SH_EEENSJ_IJNS9_16discard_iteratorINS9_11use_defaultEEESI_EEENS0_18inequality_wrapperINS9_8equal_toIxEEEEPmJSH_EEE10hipError_tPvRmT3_T4_T5_T6_T7_T9_mT8_P12ihipStream_tbDpT10_ENKUlT_T0_E_clISt17integral_constantIbLb1EES1D_EEDaS18_S19_EUlS18_E_NS1_11comp_targetILNS1_3genE2ELNS1_11target_archE906ELNS1_3gpuE6ELNS1_3repE0EEENS1_30default_config_static_selectorELNS0_4arch9wavefront6targetE0EEEvT1_.kd
    .uniform_work_group_size: 1
    .uses_dynamic_stack: false
    .vgpr_count:     0
    .vgpr_spill_count: 0
    .wavefront_size: 32
    .workgroup_processor_mode: 1
  - .args:
      - .offset:         0
        .size:           136
        .value_kind:     by_value
    .group_segment_fixed_size: 0
    .kernarg_segment_align: 8
    .kernarg_segment_size: 136
    .language:       OpenCL C
    .language_version:
      - 2
      - 0
    .max_flat_workgroup_size: 384
    .name:           _ZN7rocprim17ROCPRIM_400000_NS6detail17trampoline_kernelINS0_14default_configENS1_25partition_config_selectorILNS1_17partition_subalgoE9ExjbEEZZNS1_14partition_implILS5_9ELb0ES3_jN6thrust23THRUST_200600_302600_NS6detail15normal_iteratorINS9_10device_ptrIxEEEENSB_INSC_IjEEEEPNS0_10empty_typeENS0_5tupleIJSE_SH_EEENSJ_IJNS9_16discard_iteratorINS9_11use_defaultEEESI_EEENS0_18inequality_wrapperINS9_8equal_toIxEEEEPmJSH_EEE10hipError_tPvRmT3_T4_T5_T6_T7_T9_mT8_P12ihipStream_tbDpT10_ENKUlT_T0_E_clISt17integral_constantIbLb1EES1D_EEDaS18_S19_EUlS18_E_NS1_11comp_targetILNS1_3genE10ELNS1_11target_archE1200ELNS1_3gpuE4ELNS1_3repE0EEENS1_30default_config_static_selectorELNS0_4arch9wavefront6targetE0EEEvT1_
    .private_segment_fixed_size: 0
    .sgpr_count:     0
    .sgpr_spill_count: 0
    .symbol:         _ZN7rocprim17ROCPRIM_400000_NS6detail17trampoline_kernelINS0_14default_configENS1_25partition_config_selectorILNS1_17partition_subalgoE9ExjbEEZZNS1_14partition_implILS5_9ELb0ES3_jN6thrust23THRUST_200600_302600_NS6detail15normal_iteratorINS9_10device_ptrIxEEEENSB_INSC_IjEEEEPNS0_10empty_typeENS0_5tupleIJSE_SH_EEENSJ_IJNS9_16discard_iteratorINS9_11use_defaultEEESI_EEENS0_18inequality_wrapperINS9_8equal_toIxEEEEPmJSH_EEE10hipError_tPvRmT3_T4_T5_T6_T7_T9_mT8_P12ihipStream_tbDpT10_ENKUlT_T0_E_clISt17integral_constantIbLb1EES1D_EEDaS18_S19_EUlS18_E_NS1_11comp_targetILNS1_3genE10ELNS1_11target_archE1200ELNS1_3gpuE4ELNS1_3repE0EEENS1_30default_config_static_selectorELNS0_4arch9wavefront6targetE0EEEvT1_.kd
    .uniform_work_group_size: 1
    .uses_dynamic_stack: false
    .vgpr_count:     0
    .vgpr_spill_count: 0
    .wavefront_size: 32
    .workgroup_processor_mode: 1
  - .args:
      - .offset:         0
        .size:           136
        .value_kind:     by_value
    .group_segment_fixed_size: 33800
    .kernarg_segment_align: 8
    .kernarg_segment_size: 136
    .language:       OpenCL C
    .language_version:
      - 2
      - 0
    .max_flat_workgroup_size: 512
    .name:           _ZN7rocprim17ROCPRIM_400000_NS6detail17trampoline_kernelINS0_14default_configENS1_25partition_config_selectorILNS1_17partition_subalgoE9ExjbEEZZNS1_14partition_implILS5_9ELb0ES3_jN6thrust23THRUST_200600_302600_NS6detail15normal_iteratorINS9_10device_ptrIxEEEENSB_INSC_IjEEEEPNS0_10empty_typeENS0_5tupleIJSE_SH_EEENSJ_IJNS9_16discard_iteratorINS9_11use_defaultEEESI_EEENS0_18inequality_wrapperINS9_8equal_toIxEEEEPmJSH_EEE10hipError_tPvRmT3_T4_T5_T6_T7_T9_mT8_P12ihipStream_tbDpT10_ENKUlT_T0_E_clISt17integral_constantIbLb1EES1D_EEDaS18_S19_EUlS18_E_NS1_11comp_targetILNS1_3genE9ELNS1_11target_archE1100ELNS1_3gpuE3ELNS1_3repE0EEENS1_30default_config_static_selectorELNS0_4arch9wavefront6targetE0EEEvT1_
    .private_segment_fixed_size: 0
    .sgpr_count:     28
    .sgpr_spill_count: 0
    .symbol:         _ZN7rocprim17ROCPRIM_400000_NS6detail17trampoline_kernelINS0_14default_configENS1_25partition_config_selectorILNS1_17partition_subalgoE9ExjbEEZZNS1_14partition_implILS5_9ELb0ES3_jN6thrust23THRUST_200600_302600_NS6detail15normal_iteratorINS9_10device_ptrIxEEEENSB_INSC_IjEEEEPNS0_10empty_typeENS0_5tupleIJSE_SH_EEENSJ_IJNS9_16discard_iteratorINS9_11use_defaultEEESI_EEENS0_18inequality_wrapperINS9_8equal_toIxEEEEPmJSH_EEE10hipError_tPvRmT3_T4_T5_T6_T7_T9_mT8_P12ihipStream_tbDpT10_ENKUlT_T0_E_clISt17integral_constantIbLb1EES1D_EEDaS18_S19_EUlS18_E_NS1_11comp_targetILNS1_3genE9ELNS1_11target_archE1100ELNS1_3gpuE3ELNS1_3repE0EEENS1_30default_config_static_selectorELNS0_4arch9wavefront6targetE0EEEvT1_.kd
    .uniform_work_group_size: 1
    .uses_dynamic_stack: false
    .vgpr_count:     62
    .vgpr_spill_count: 0
    .wavefront_size: 32
    .workgroup_processor_mode: 1
  - .args:
      - .offset:         0
        .size:           136
        .value_kind:     by_value
    .group_segment_fixed_size: 0
    .kernarg_segment_align: 8
    .kernarg_segment_size: 136
    .language:       OpenCL C
    .language_version:
      - 2
      - 0
    .max_flat_workgroup_size: 512
    .name:           _ZN7rocprim17ROCPRIM_400000_NS6detail17trampoline_kernelINS0_14default_configENS1_25partition_config_selectorILNS1_17partition_subalgoE9ExjbEEZZNS1_14partition_implILS5_9ELb0ES3_jN6thrust23THRUST_200600_302600_NS6detail15normal_iteratorINS9_10device_ptrIxEEEENSB_INSC_IjEEEEPNS0_10empty_typeENS0_5tupleIJSE_SH_EEENSJ_IJNS9_16discard_iteratorINS9_11use_defaultEEESI_EEENS0_18inequality_wrapperINS9_8equal_toIxEEEEPmJSH_EEE10hipError_tPvRmT3_T4_T5_T6_T7_T9_mT8_P12ihipStream_tbDpT10_ENKUlT_T0_E_clISt17integral_constantIbLb1EES1D_EEDaS18_S19_EUlS18_E_NS1_11comp_targetILNS1_3genE8ELNS1_11target_archE1030ELNS1_3gpuE2ELNS1_3repE0EEENS1_30default_config_static_selectorELNS0_4arch9wavefront6targetE0EEEvT1_
    .private_segment_fixed_size: 0
    .sgpr_count:     0
    .sgpr_spill_count: 0
    .symbol:         _ZN7rocprim17ROCPRIM_400000_NS6detail17trampoline_kernelINS0_14default_configENS1_25partition_config_selectorILNS1_17partition_subalgoE9ExjbEEZZNS1_14partition_implILS5_9ELb0ES3_jN6thrust23THRUST_200600_302600_NS6detail15normal_iteratorINS9_10device_ptrIxEEEENSB_INSC_IjEEEEPNS0_10empty_typeENS0_5tupleIJSE_SH_EEENSJ_IJNS9_16discard_iteratorINS9_11use_defaultEEESI_EEENS0_18inequality_wrapperINS9_8equal_toIxEEEEPmJSH_EEE10hipError_tPvRmT3_T4_T5_T6_T7_T9_mT8_P12ihipStream_tbDpT10_ENKUlT_T0_E_clISt17integral_constantIbLb1EES1D_EEDaS18_S19_EUlS18_E_NS1_11comp_targetILNS1_3genE8ELNS1_11target_archE1030ELNS1_3gpuE2ELNS1_3repE0EEENS1_30default_config_static_selectorELNS0_4arch9wavefront6targetE0EEEvT1_.kd
    .uniform_work_group_size: 1
    .uses_dynamic_stack: false
    .vgpr_count:     0
    .vgpr_spill_count: 0
    .wavefront_size: 32
    .workgroup_processor_mode: 1
  - .args:
      - .offset:         0
        .size:           120
        .value_kind:     by_value
    .group_segment_fixed_size: 0
    .kernarg_segment_align: 8
    .kernarg_segment_size: 120
    .language:       OpenCL C
    .language_version:
      - 2
      - 0
    .max_flat_workgroup_size: 128
    .name:           _ZN7rocprim17ROCPRIM_400000_NS6detail17trampoline_kernelINS0_14default_configENS1_25partition_config_selectorILNS1_17partition_subalgoE9ExjbEEZZNS1_14partition_implILS5_9ELb0ES3_jN6thrust23THRUST_200600_302600_NS6detail15normal_iteratorINS9_10device_ptrIxEEEENSB_INSC_IjEEEEPNS0_10empty_typeENS0_5tupleIJSE_SH_EEENSJ_IJNS9_16discard_iteratorINS9_11use_defaultEEESI_EEENS0_18inequality_wrapperINS9_8equal_toIxEEEEPmJSH_EEE10hipError_tPvRmT3_T4_T5_T6_T7_T9_mT8_P12ihipStream_tbDpT10_ENKUlT_T0_E_clISt17integral_constantIbLb1EES1C_IbLb0EEEEDaS18_S19_EUlS18_E_NS1_11comp_targetILNS1_3genE0ELNS1_11target_archE4294967295ELNS1_3gpuE0ELNS1_3repE0EEENS1_30default_config_static_selectorELNS0_4arch9wavefront6targetE0EEEvT1_
    .private_segment_fixed_size: 0
    .sgpr_count:     0
    .sgpr_spill_count: 0
    .symbol:         _ZN7rocprim17ROCPRIM_400000_NS6detail17trampoline_kernelINS0_14default_configENS1_25partition_config_selectorILNS1_17partition_subalgoE9ExjbEEZZNS1_14partition_implILS5_9ELb0ES3_jN6thrust23THRUST_200600_302600_NS6detail15normal_iteratorINS9_10device_ptrIxEEEENSB_INSC_IjEEEEPNS0_10empty_typeENS0_5tupleIJSE_SH_EEENSJ_IJNS9_16discard_iteratorINS9_11use_defaultEEESI_EEENS0_18inequality_wrapperINS9_8equal_toIxEEEEPmJSH_EEE10hipError_tPvRmT3_T4_T5_T6_T7_T9_mT8_P12ihipStream_tbDpT10_ENKUlT_T0_E_clISt17integral_constantIbLb1EES1C_IbLb0EEEEDaS18_S19_EUlS18_E_NS1_11comp_targetILNS1_3genE0ELNS1_11target_archE4294967295ELNS1_3gpuE0ELNS1_3repE0EEENS1_30default_config_static_selectorELNS0_4arch9wavefront6targetE0EEEvT1_.kd
    .uniform_work_group_size: 1
    .uses_dynamic_stack: false
    .vgpr_count:     0
    .vgpr_spill_count: 0
    .wavefront_size: 32
    .workgroup_processor_mode: 1
  - .args:
      - .offset:         0
        .size:           120
        .value_kind:     by_value
    .group_segment_fixed_size: 0
    .kernarg_segment_align: 8
    .kernarg_segment_size: 120
    .language:       OpenCL C
    .language_version:
      - 2
      - 0
    .max_flat_workgroup_size: 512
    .name:           _ZN7rocprim17ROCPRIM_400000_NS6detail17trampoline_kernelINS0_14default_configENS1_25partition_config_selectorILNS1_17partition_subalgoE9ExjbEEZZNS1_14partition_implILS5_9ELb0ES3_jN6thrust23THRUST_200600_302600_NS6detail15normal_iteratorINS9_10device_ptrIxEEEENSB_INSC_IjEEEEPNS0_10empty_typeENS0_5tupleIJSE_SH_EEENSJ_IJNS9_16discard_iteratorINS9_11use_defaultEEESI_EEENS0_18inequality_wrapperINS9_8equal_toIxEEEEPmJSH_EEE10hipError_tPvRmT3_T4_T5_T6_T7_T9_mT8_P12ihipStream_tbDpT10_ENKUlT_T0_E_clISt17integral_constantIbLb1EES1C_IbLb0EEEEDaS18_S19_EUlS18_E_NS1_11comp_targetILNS1_3genE5ELNS1_11target_archE942ELNS1_3gpuE9ELNS1_3repE0EEENS1_30default_config_static_selectorELNS0_4arch9wavefront6targetE0EEEvT1_
    .private_segment_fixed_size: 0
    .sgpr_count:     0
    .sgpr_spill_count: 0
    .symbol:         _ZN7rocprim17ROCPRIM_400000_NS6detail17trampoline_kernelINS0_14default_configENS1_25partition_config_selectorILNS1_17partition_subalgoE9ExjbEEZZNS1_14partition_implILS5_9ELb0ES3_jN6thrust23THRUST_200600_302600_NS6detail15normal_iteratorINS9_10device_ptrIxEEEENSB_INSC_IjEEEEPNS0_10empty_typeENS0_5tupleIJSE_SH_EEENSJ_IJNS9_16discard_iteratorINS9_11use_defaultEEESI_EEENS0_18inequality_wrapperINS9_8equal_toIxEEEEPmJSH_EEE10hipError_tPvRmT3_T4_T5_T6_T7_T9_mT8_P12ihipStream_tbDpT10_ENKUlT_T0_E_clISt17integral_constantIbLb1EES1C_IbLb0EEEEDaS18_S19_EUlS18_E_NS1_11comp_targetILNS1_3genE5ELNS1_11target_archE942ELNS1_3gpuE9ELNS1_3repE0EEENS1_30default_config_static_selectorELNS0_4arch9wavefront6targetE0EEEvT1_.kd
    .uniform_work_group_size: 1
    .uses_dynamic_stack: false
    .vgpr_count:     0
    .vgpr_spill_count: 0
    .wavefront_size: 32
    .workgroup_processor_mode: 1
  - .args:
      - .offset:         0
        .size:           120
        .value_kind:     by_value
    .group_segment_fixed_size: 0
    .kernarg_segment_align: 8
    .kernarg_segment_size: 120
    .language:       OpenCL C
    .language_version:
      - 2
      - 0
    .max_flat_workgroup_size: 192
    .name:           _ZN7rocprim17ROCPRIM_400000_NS6detail17trampoline_kernelINS0_14default_configENS1_25partition_config_selectorILNS1_17partition_subalgoE9ExjbEEZZNS1_14partition_implILS5_9ELb0ES3_jN6thrust23THRUST_200600_302600_NS6detail15normal_iteratorINS9_10device_ptrIxEEEENSB_INSC_IjEEEEPNS0_10empty_typeENS0_5tupleIJSE_SH_EEENSJ_IJNS9_16discard_iteratorINS9_11use_defaultEEESI_EEENS0_18inequality_wrapperINS9_8equal_toIxEEEEPmJSH_EEE10hipError_tPvRmT3_T4_T5_T6_T7_T9_mT8_P12ihipStream_tbDpT10_ENKUlT_T0_E_clISt17integral_constantIbLb1EES1C_IbLb0EEEEDaS18_S19_EUlS18_E_NS1_11comp_targetILNS1_3genE4ELNS1_11target_archE910ELNS1_3gpuE8ELNS1_3repE0EEENS1_30default_config_static_selectorELNS0_4arch9wavefront6targetE0EEEvT1_
    .private_segment_fixed_size: 0
    .sgpr_count:     0
    .sgpr_spill_count: 0
    .symbol:         _ZN7rocprim17ROCPRIM_400000_NS6detail17trampoline_kernelINS0_14default_configENS1_25partition_config_selectorILNS1_17partition_subalgoE9ExjbEEZZNS1_14partition_implILS5_9ELb0ES3_jN6thrust23THRUST_200600_302600_NS6detail15normal_iteratorINS9_10device_ptrIxEEEENSB_INSC_IjEEEEPNS0_10empty_typeENS0_5tupleIJSE_SH_EEENSJ_IJNS9_16discard_iteratorINS9_11use_defaultEEESI_EEENS0_18inequality_wrapperINS9_8equal_toIxEEEEPmJSH_EEE10hipError_tPvRmT3_T4_T5_T6_T7_T9_mT8_P12ihipStream_tbDpT10_ENKUlT_T0_E_clISt17integral_constantIbLb1EES1C_IbLb0EEEEDaS18_S19_EUlS18_E_NS1_11comp_targetILNS1_3genE4ELNS1_11target_archE910ELNS1_3gpuE8ELNS1_3repE0EEENS1_30default_config_static_selectorELNS0_4arch9wavefront6targetE0EEEvT1_.kd
    .uniform_work_group_size: 1
    .uses_dynamic_stack: false
    .vgpr_count:     0
    .vgpr_spill_count: 0
    .wavefront_size: 32
    .workgroup_processor_mode: 1
  - .args:
      - .offset:         0
        .size:           120
        .value_kind:     by_value
    .group_segment_fixed_size: 0
    .kernarg_segment_align: 8
    .kernarg_segment_size: 120
    .language:       OpenCL C
    .language_version:
      - 2
      - 0
    .max_flat_workgroup_size: 128
    .name:           _ZN7rocprim17ROCPRIM_400000_NS6detail17trampoline_kernelINS0_14default_configENS1_25partition_config_selectorILNS1_17partition_subalgoE9ExjbEEZZNS1_14partition_implILS5_9ELb0ES3_jN6thrust23THRUST_200600_302600_NS6detail15normal_iteratorINS9_10device_ptrIxEEEENSB_INSC_IjEEEEPNS0_10empty_typeENS0_5tupleIJSE_SH_EEENSJ_IJNS9_16discard_iteratorINS9_11use_defaultEEESI_EEENS0_18inequality_wrapperINS9_8equal_toIxEEEEPmJSH_EEE10hipError_tPvRmT3_T4_T5_T6_T7_T9_mT8_P12ihipStream_tbDpT10_ENKUlT_T0_E_clISt17integral_constantIbLb1EES1C_IbLb0EEEEDaS18_S19_EUlS18_E_NS1_11comp_targetILNS1_3genE3ELNS1_11target_archE908ELNS1_3gpuE7ELNS1_3repE0EEENS1_30default_config_static_selectorELNS0_4arch9wavefront6targetE0EEEvT1_
    .private_segment_fixed_size: 0
    .sgpr_count:     0
    .sgpr_spill_count: 0
    .symbol:         _ZN7rocprim17ROCPRIM_400000_NS6detail17trampoline_kernelINS0_14default_configENS1_25partition_config_selectorILNS1_17partition_subalgoE9ExjbEEZZNS1_14partition_implILS5_9ELb0ES3_jN6thrust23THRUST_200600_302600_NS6detail15normal_iteratorINS9_10device_ptrIxEEEENSB_INSC_IjEEEEPNS0_10empty_typeENS0_5tupleIJSE_SH_EEENSJ_IJNS9_16discard_iteratorINS9_11use_defaultEEESI_EEENS0_18inequality_wrapperINS9_8equal_toIxEEEEPmJSH_EEE10hipError_tPvRmT3_T4_T5_T6_T7_T9_mT8_P12ihipStream_tbDpT10_ENKUlT_T0_E_clISt17integral_constantIbLb1EES1C_IbLb0EEEEDaS18_S19_EUlS18_E_NS1_11comp_targetILNS1_3genE3ELNS1_11target_archE908ELNS1_3gpuE7ELNS1_3repE0EEENS1_30default_config_static_selectorELNS0_4arch9wavefront6targetE0EEEvT1_.kd
    .uniform_work_group_size: 1
    .uses_dynamic_stack: false
    .vgpr_count:     0
    .vgpr_spill_count: 0
    .wavefront_size: 32
    .workgroup_processor_mode: 1
  - .args:
      - .offset:         0
        .size:           120
        .value_kind:     by_value
    .group_segment_fixed_size: 0
    .kernarg_segment_align: 8
    .kernarg_segment_size: 120
    .language:       OpenCL C
    .language_version:
      - 2
      - 0
    .max_flat_workgroup_size: 256
    .name:           _ZN7rocprim17ROCPRIM_400000_NS6detail17trampoline_kernelINS0_14default_configENS1_25partition_config_selectorILNS1_17partition_subalgoE9ExjbEEZZNS1_14partition_implILS5_9ELb0ES3_jN6thrust23THRUST_200600_302600_NS6detail15normal_iteratorINS9_10device_ptrIxEEEENSB_INSC_IjEEEEPNS0_10empty_typeENS0_5tupleIJSE_SH_EEENSJ_IJNS9_16discard_iteratorINS9_11use_defaultEEESI_EEENS0_18inequality_wrapperINS9_8equal_toIxEEEEPmJSH_EEE10hipError_tPvRmT3_T4_T5_T6_T7_T9_mT8_P12ihipStream_tbDpT10_ENKUlT_T0_E_clISt17integral_constantIbLb1EES1C_IbLb0EEEEDaS18_S19_EUlS18_E_NS1_11comp_targetILNS1_3genE2ELNS1_11target_archE906ELNS1_3gpuE6ELNS1_3repE0EEENS1_30default_config_static_selectorELNS0_4arch9wavefront6targetE0EEEvT1_
    .private_segment_fixed_size: 0
    .sgpr_count:     0
    .sgpr_spill_count: 0
    .symbol:         _ZN7rocprim17ROCPRIM_400000_NS6detail17trampoline_kernelINS0_14default_configENS1_25partition_config_selectorILNS1_17partition_subalgoE9ExjbEEZZNS1_14partition_implILS5_9ELb0ES3_jN6thrust23THRUST_200600_302600_NS6detail15normal_iteratorINS9_10device_ptrIxEEEENSB_INSC_IjEEEEPNS0_10empty_typeENS0_5tupleIJSE_SH_EEENSJ_IJNS9_16discard_iteratorINS9_11use_defaultEEESI_EEENS0_18inequality_wrapperINS9_8equal_toIxEEEEPmJSH_EEE10hipError_tPvRmT3_T4_T5_T6_T7_T9_mT8_P12ihipStream_tbDpT10_ENKUlT_T0_E_clISt17integral_constantIbLb1EES1C_IbLb0EEEEDaS18_S19_EUlS18_E_NS1_11comp_targetILNS1_3genE2ELNS1_11target_archE906ELNS1_3gpuE6ELNS1_3repE0EEENS1_30default_config_static_selectorELNS0_4arch9wavefront6targetE0EEEvT1_.kd
    .uniform_work_group_size: 1
    .uses_dynamic_stack: false
    .vgpr_count:     0
    .vgpr_spill_count: 0
    .wavefront_size: 32
    .workgroup_processor_mode: 1
  - .args:
      - .offset:         0
        .size:           120
        .value_kind:     by_value
    .group_segment_fixed_size: 0
    .kernarg_segment_align: 8
    .kernarg_segment_size: 120
    .language:       OpenCL C
    .language_version:
      - 2
      - 0
    .max_flat_workgroup_size: 384
    .name:           _ZN7rocprim17ROCPRIM_400000_NS6detail17trampoline_kernelINS0_14default_configENS1_25partition_config_selectorILNS1_17partition_subalgoE9ExjbEEZZNS1_14partition_implILS5_9ELb0ES3_jN6thrust23THRUST_200600_302600_NS6detail15normal_iteratorINS9_10device_ptrIxEEEENSB_INSC_IjEEEEPNS0_10empty_typeENS0_5tupleIJSE_SH_EEENSJ_IJNS9_16discard_iteratorINS9_11use_defaultEEESI_EEENS0_18inequality_wrapperINS9_8equal_toIxEEEEPmJSH_EEE10hipError_tPvRmT3_T4_T5_T6_T7_T9_mT8_P12ihipStream_tbDpT10_ENKUlT_T0_E_clISt17integral_constantIbLb1EES1C_IbLb0EEEEDaS18_S19_EUlS18_E_NS1_11comp_targetILNS1_3genE10ELNS1_11target_archE1200ELNS1_3gpuE4ELNS1_3repE0EEENS1_30default_config_static_selectorELNS0_4arch9wavefront6targetE0EEEvT1_
    .private_segment_fixed_size: 0
    .sgpr_count:     0
    .sgpr_spill_count: 0
    .symbol:         _ZN7rocprim17ROCPRIM_400000_NS6detail17trampoline_kernelINS0_14default_configENS1_25partition_config_selectorILNS1_17partition_subalgoE9ExjbEEZZNS1_14partition_implILS5_9ELb0ES3_jN6thrust23THRUST_200600_302600_NS6detail15normal_iteratorINS9_10device_ptrIxEEEENSB_INSC_IjEEEEPNS0_10empty_typeENS0_5tupleIJSE_SH_EEENSJ_IJNS9_16discard_iteratorINS9_11use_defaultEEESI_EEENS0_18inequality_wrapperINS9_8equal_toIxEEEEPmJSH_EEE10hipError_tPvRmT3_T4_T5_T6_T7_T9_mT8_P12ihipStream_tbDpT10_ENKUlT_T0_E_clISt17integral_constantIbLb1EES1C_IbLb0EEEEDaS18_S19_EUlS18_E_NS1_11comp_targetILNS1_3genE10ELNS1_11target_archE1200ELNS1_3gpuE4ELNS1_3repE0EEENS1_30default_config_static_selectorELNS0_4arch9wavefront6targetE0EEEvT1_.kd
    .uniform_work_group_size: 1
    .uses_dynamic_stack: false
    .vgpr_count:     0
    .vgpr_spill_count: 0
    .wavefront_size: 32
    .workgroup_processor_mode: 1
  - .args:
      - .offset:         0
        .size:           120
        .value_kind:     by_value
    .group_segment_fixed_size: 33800
    .kernarg_segment_align: 8
    .kernarg_segment_size: 120
    .language:       OpenCL C
    .language_version:
      - 2
      - 0
    .max_flat_workgroup_size: 512
    .name:           _ZN7rocprim17ROCPRIM_400000_NS6detail17trampoline_kernelINS0_14default_configENS1_25partition_config_selectorILNS1_17partition_subalgoE9ExjbEEZZNS1_14partition_implILS5_9ELb0ES3_jN6thrust23THRUST_200600_302600_NS6detail15normal_iteratorINS9_10device_ptrIxEEEENSB_INSC_IjEEEEPNS0_10empty_typeENS0_5tupleIJSE_SH_EEENSJ_IJNS9_16discard_iteratorINS9_11use_defaultEEESI_EEENS0_18inequality_wrapperINS9_8equal_toIxEEEEPmJSH_EEE10hipError_tPvRmT3_T4_T5_T6_T7_T9_mT8_P12ihipStream_tbDpT10_ENKUlT_T0_E_clISt17integral_constantIbLb1EES1C_IbLb0EEEEDaS18_S19_EUlS18_E_NS1_11comp_targetILNS1_3genE9ELNS1_11target_archE1100ELNS1_3gpuE3ELNS1_3repE0EEENS1_30default_config_static_selectorELNS0_4arch9wavefront6targetE0EEEvT1_
    .private_segment_fixed_size: 0
    .sgpr_count:     26
    .sgpr_spill_count: 0
    .symbol:         _ZN7rocprim17ROCPRIM_400000_NS6detail17trampoline_kernelINS0_14default_configENS1_25partition_config_selectorILNS1_17partition_subalgoE9ExjbEEZZNS1_14partition_implILS5_9ELb0ES3_jN6thrust23THRUST_200600_302600_NS6detail15normal_iteratorINS9_10device_ptrIxEEEENSB_INSC_IjEEEEPNS0_10empty_typeENS0_5tupleIJSE_SH_EEENSJ_IJNS9_16discard_iteratorINS9_11use_defaultEEESI_EEENS0_18inequality_wrapperINS9_8equal_toIxEEEEPmJSH_EEE10hipError_tPvRmT3_T4_T5_T6_T7_T9_mT8_P12ihipStream_tbDpT10_ENKUlT_T0_E_clISt17integral_constantIbLb1EES1C_IbLb0EEEEDaS18_S19_EUlS18_E_NS1_11comp_targetILNS1_3genE9ELNS1_11target_archE1100ELNS1_3gpuE3ELNS1_3repE0EEENS1_30default_config_static_selectorELNS0_4arch9wavefront6targetE0EEEvT1_.kd
    .uniform_work_group_size: 1
    .uses_dynamic_stack: false
    .vgpr_count:     60
    .vgpr_spill_count: 0
    .wavefront_size: 32
    .workgroup_processor_mode: 1
  - .args:
      - .offset:         0
        .size:           120
        .value_kind:     by_value
    .group_segment_fixed_size: 0
    .kernarg_segment_align: 8
    .kernarg_segment_size: 120
    .language:       OpenCL C
    .language_version:
      - 2
      - 0
    .max_flat_workgroup_size: 512
    .name:           _ZN7rocprim17ROCPRIM_400000_NS6detail17trampoline_kernelINS0_14default_configENS1_25partition_config_selectorILNS1_17partition_subalgoE9ExjbEEZZNS1_14partition_implILS5_9ELb0ES3_jN6thrust23THRUST_200600_302600_NS6detail15normal_iteratorINS9_10device_ptrIxEEEENSB_INSC_IjEEEEPNS0_10empty_typeENS0_5tupleIJSE_SH_EEENSJ_IJNS9_16discard_iteratorINS9_11use_defaultEEESI_EEENS0_18inequality_wrapperINS9_8equal_toIxEEEEPmJSH_EEE10hipError_tPvRmT3_T4_T5_T6_T7_T9_mT8_P12ihipStream_tbDpT10_ENKUlT_T0_E_clISt17integral_constantIbLb1EES1C_IbLb0EEEEDaS18_S19_EUlS18_E_NS1_11comp_targetILNS1_3genE8ELNS1_11target_archE1030ELNS1_3gpuE2ELNS1_3repE0EEENS1_30default_config_static_selectorELNS0_4arch9wavefront6targetE0EEEvT1_
    .private_segment_fixed_size: 0
    .sgpr_count:     0
    .sgpr_spill_count: 0
    .symbol:         _ZN7rocprim17ROCPRIM_400000_NS6detail17trampoline_kernelINS0_14default_configENS1_25partition_config_selectorILNS1_17partition_subalgoE9ExjbEEZZNS1_14partition_implILS5_9ELb0ES3_jN6thrust23THRUST_200600_302600_NS6detail15normal_iteratorINS9_10device_ptrIxEEEENSB_INSC_IjEEEEPNS0_10empty_typeENS0_5tupleIJSE_SH_EEENSJ_IJNS9_16discard_iteratorINS9_11use_defaultEEESI_EEENS0_18inequality_wrapperINS9_8equal_toIxEEEEPmJSH_EEE10hipError_tPvRmT3_T4_T5_T6_T7_T9_mT8_P12ihipStream_tbDpT10_ENKUlT_T0_E_clISt17integral_constantIbLb1EES1C_IbLb0EEEEDaS18_S19_EUlS18_E_NS1_11comp_targetILNS1_3genE8ELNS1_11target_archE1030ELNS1_3gpuE2ELNS1_3repE0EEENS1_30default_config_static_selectorELNS0_4arch9wavefront6targetE0EEEvT1_.kd
    .uniform_work_group_size: 1
    .uses_dynamic_stack: false
    .vgpr_count:     0
    .vgpr_spill_count: 0
    .wavefront_size: 32
    .workgroup_processor_mode: 1
  - .args:
      - .offset:         0
        .size:           136
        .value_kind:     by_value
    .group_segment_fixed_size: 0
    .kernarg_segment_align: 8
    .kernarg_segment_size: 136
    .language:       OpenCL C
    .language_version:
      - 2
      - 0
    .max_flat_workgroup_size: 128
    .name:           _ZN7rocprim17ROCPRIM_400000_NS6detail17trampoline_kernelINS0_14default_configENS1_25partition_config_selectorILNS1_17partition_subalgoE9ExjbEEZZNS1_14partition_implILS5_9ELb0ES3_jN6thrust23THRUST_200600_302600_NS6detail15normal_iteratorINS9_10device_ptrIxEEEENSB_INSC_IjEEEEPNS0_10empty_typeENS0_5tupleIJSE_SH_EEENSJ_IJNS9_16discard_iteratorINS9_11use_defaultEEESI_EEENS0_18inequality_wrapperINS9_8equal_toIxEEEEPmJSH_EEE10hipError_tPvRmT3_T4_T5_T6_T7_T9_mT8_P12ihipStream_tbDpT10_ENKUlT_T0_E_clISt17integral_constantIbLb0EES1C_IbLb1EEEEDaS18_S19_EUlS18_E_NS1_11comp_targetILNS1_3genE0ELNS1_11target_archE4294967295ELNS1_3gpuE0ELNS1_3repE0EEENS1_30default_config_static_selectorELNS0_4arch9wavefront6targetE0EEEvT1_
    .private_segment_fixed_size: 0
    .sgpr_count:     0
    .sgpr_spill_count: 0
    .symbol:         _ZN7rocprim17ROCPRIM_400000_NS6detail17trampoline_kernelINS0_14default_configENS1_25partition_config_selectorILNS1_17partition_subalgoE9ExjbEEZZNS1_14partition_implILS5_9ELb0ES3_jN6thrust23THRUST_200600_302600_NS6detail15normal_iteratorINS9_10device_ptrIxEEEENSB_INSC_IjEEEEPNS0_10empty_typeENS0_5tupleIJSE_SH_EEENSJ_IJNS9_16discard_iteratorINS9_11use_defaultEEESI_EEENS0_18inequality_wrapperINS9_8equal_toIxEEEEPmJSH_EEE10hipError_tPvRmT3_T4_T5_T6_T7_T9_mT8_P12ihipStream_tbDpT10_ENKUlT_T0_E_clISt17integral_constantIbLb0EES1C_IbLb1EEEEDaS18_S19_EUlS18_E_NS1_11comp_targetILNS1_3genE0ELNS1_11target_archE4294967295ELNS1_3gpuE0ELNS1_3repE0EEENS1_30default_config_static_selectorELNS0_4arch9wavefront6targetE0EEEvT1_.kd
    .uniform_work_group_size: 1
    .uses_dynamic_stack: false
    .vgpr_count:     0
    .vgpr_spill_count: 0
    .wavefront_size: 32
    .workgroup_processor_mode: 1
  - .args:
      - .offset:         0
        .size:           136
        .value_kind:     by_value
    .group_segment_fixed_size: 0
    .kernarg_segment_align: 8
    .kernarg_segment_size: 136
    .language:       OpenCL C
    .language_version:
      - 2
      - 0
    .max_flat_workgroup_size: 512
    .name:           _ZN7rocprim17ROCPRIM_400000_NS6detail17trampoline_kernelINS0_14default_configENS1_25partition_config_selectorILNS1_17partition_subalgoE9ExjbEEZZNS1_14partition_implILS5_9ELb0ES3_jN6thrust23THRUST_200600_302600_NS6detail15normal_iteratorINS9_10device_ptrIxEEEENSB_INSC_IjEEEEPNS0_10empty_typeENS0_5tupleIJSE_SH_EEENSJ_IJNS9_16discard_iteratorINS9_11use_defaultEEESI_EEENS0_18inequality_wrapperINS9_8equal_toIxEEEEPmJSH_EEE10hipError_tPvRmT3_T4_T5_T6_T7_T9_mT8_P12ihipStream_tbDpT10_ENKUlT_T0_E_clISt17integral_constantIbLb0EES1C_IbLb1EEEEDaS18_S19_EUlS18_E_NS1_11comp_targetILNS1_3genE5ELNS1_11target_archE942ELNS1_3gpuE9ELNS1_3repE0EEENS1_30default_config_static_selectorELNS0_4arch9wavefront6targetE0EEEvT1_
    .private_segment_fixed_size: 0
    .sgpr_count:     0
    .sgpr_spill_count: 0
    .symbol:         _ZN7rocprim17ROCPRIM_400000_NS6detail17trampoline_kernelINS0_14default_configENS1_25partition_config_selectorILNS1_17partition_subalgoE9ExjbEEZZNS1_14partition_implILS5_9ELb0ES3_jN6thrust23THRUST_200600_302600_NS6detail15normal_iteratorINS9_10device_ptrIxEEEENSB_INSC_IjEEEEPNS0_10empty_typeENS0_5tupleIJSE_SH_EEENSJ_IJNS9_16discard_iteratorINS9_11use_defaultEEESI_EEENS0_18inequality_wrapperINS9_8equal_toIxEEEEPmJSH_EEE10hipError_tPvRmT3_T4_T5_T6_T7_T9_mT8_P12ihipStream_tbDpT10_ENKUlT_T0_E_clISt17integral_constantIbLb0EES1C_IbLb1EEEEDaS18_S19_EUlS18_E_NS1_11comp_targetILNS1_3genE5ELNS1_11target_archE942ELNS1_3gpuE9ELNS1_3repE0EEENS1_30default_config_static_selectorELNS0_4arch9wavefront6targetE0EEEvT1_.kd
    .uniform_work_group_size: 1
    .uses_dynamic_stack: false
    .vgpr_count:     0
    .vgpr_spill_count: 0
    .wavefront_size: 32
    .workgroup_processor_mode: 1
  - .args:
      - .offset:         0
        .size:           136
        .value_kind:     by_value
    .group_segment_fixed_size: 0
    .kernarg_segment_align: 8
    .kernarg_segment_size: 136
    .language:       OpenCL C
    .language_version:
      - 2
      - 0
    .max_flat_workgroup_size: 192
    .name:           _ZN7rocprim17ROCPRIM_400000_NS6detail17trampoline_kernelINS0_14default_configENS1_25partition_config_selectorILNS1_17partition_subalgoE9ExjbEEZZNS1_14partition_implILS5_9ELb0ES3_jN6thrust23THRUST_200600_302600_NS6detail15normal_iteratorINS9_10device_ptrIxEEEENSB_INSC_IjEEEEPNS0_10empty_typeENS0_5tupleIJSE_SH_EEENSJ_IJNS9_16discard_iteratorINS9_11use_defaultEEESI_EEENS0_18inequality_wrapperINS9_8equal_toIxEEEEPmJSH_EEE10hipError_tPvRmT3_T4_T5_T6_T7_T9_mT8_P12ihipStream_tbDpT10_ENKUlT_T0_E_clISt17integral_constantIbLb0EES1C_IbLb1EEEEDaS18_S19_EUlS18_E_NS1_11comp_targetILNS1_3genE4ELNS1_11target_archE910ELNS1_3gpuE8ELNS1_3repE0EEENS1_30default_config_static_selectorELNS0_4arch9wavefront6targetE0EEEvT1_
    .private_segment_fixed_size: 0
    .sgpr_count:     0
    .sgpr_spill_count: 0
    .symbol:         _ZN7rocprim17ROCPRIM_400000_NS6detail17trampoline_kernelINS0_14default_configENS1_25partition_config_selectorILNS1_17partition_subalgoE9ExjbEEZZNS1_14partition_implILS5_9ELb0ES3_jN6thrust23THRUST_200600_302600_NS6detail15normal_iteratorINS9_10device_ptrIxEEEENSB_INSC_IjEEEEPNS0_10empty_typeENS0_5tupleIJSE_SH_EEENSJ_IJNS9_16discard_iteratorINS9_11use_defaultEEESI_EEENS0_18inequality_wrapperINS9_8equal_toIxEEEEPmJSH_EEE10hipError_tPvRmT3_T4_T5_T6_T7_T9_mT8_P12ihipStream_tbDpT10_ENKUlT_T0_E_clISt17integral_constantIbLb0EES1C_IbLb1EEEEDaS18_S19_EUlS18_E_NS1_11comp_targetILNS1_3genE4ELNS1_11target_archE910ELNS1_3gpuE8ELNS1_3repE0EEENS1_30default_config_static_selectorELNS0_4arch9wavefront6targetE0EEEvT1_.kd
    .uniform_work_group_size: 1
    .uses_dynamic_stack: false
    .vgpr_count:     0
    .vgpr_spill_count: 0
    .wavefront_size: 32
    .workgroup_processor_mode: 1
  - .args:
      - .offset:         0
        .size:           136
        .value_kind:     by_value
    .group_segment_fixed_size: 0
    .kernarg_segment_align: 8
    .kernarg_segment_size: 136
    .language:       OpenCL C
    .language_version:
      - 2
      - 0
    .max_flat_workgroup_size: 128
    .name:           _ZN7rocprim17ROCPRIM_400000_NS6detail17trampoline_kernelINS0_14default_configENS1_25partition_config_selectorILNS1_17partition_subalgoE9ExjbEEZZNS1_14partition_implILS5_9ELb0ES3_jN6thrust23THRUST_200600_302600_NS6detail15normal_iteratorINS9_10device_ptrIxEEEENSB_INSC_IjEEEEPNS0_10empty_typeENS0_5tupleIJSE_SH_EEENSJ_IJNS9_16discard_iteratorINS9_11use_defaultEEESI_EEENS0_18inequality_wrapperINS9_8equal_toIxEEEEPmJSH_EEE10hipError_tPvRmT3_T4_T5_T6_T7_T9_mT8_P12ihipStream_tbDpT10_ENKUlT_T0_E_clISt17integral_constantIbLb0EES1C_IbLb1EEEEDaS18_S19_EUlS18_E_NS1_11comp_targetILNS1_3genE3ELNS1_11target_archE908ELNS1_3gpuE7ELNS1_3repE0EEENS1_30default_config_static_selectorELNS0_4arch9wavefront6targetE0EEEvT1_
    .private_segment_fixed_size: 0
    .sgpr_count:     0
    .sgpr_spill_count: 0
    .symbol:         _ZN7rocprim17ROCPRIM_400000_NS6detail17trampoline_kernelINS0_14default_configENS1_25partition_config_selectorILNS1_17partition_subalgoE9ExjbEEZZNS1_14partition_implILS5_9ELb0ES3_jN6thrust23THRUST_200600_302600_NS6detail15normal_iteratorINS9_10device_ptrIxEEEENSB_INSC_IjEEEEPNS0_10empty_typeENS0_5tupleIJSE_SH_EEENSJ_IJNS9_16discard_iteratorINS9_11use_defaultEEESI_EEENS0_18inequality_wrapperINS9_8equal_toIxEEEEPmJSH_EEE10hipError_tPvRmT3_T4_T5_T6_T7_T9_mT8_P12ihipStream_tbDpT10_ENKUlT_T0_E_clISt17integral_constantIbLb0EES1C_IbLb1EEEEDaS18_S19_EUlS18_E_NS1_11comp_targetILNS1_3genE3ELNS1_11target_archE908ELNS1_3gpuE7ELNS1_3repE0EEENS1_30default_config_static_selectorELNS0_4arch9wavefront6targetE0EEEvT1_.kd
    .uniform_work_group_size: 1
    .uses_dynamic_stack: false
    .vgpr_count:     0
    .vgpr_spill_count: 0
    .wavefront_size: 32
    .workgroup_processor_mode: 1
  - .args:
      - .offset:         0
        .size:           136
        .value_kind:     by_value
    .group_segment_fixed_size: 0
    .kernarg_segment_align: 8
    .kernarg_segment_size: 136
    .language:       OpenCL C
    .language_version:
      - 2
      - 0
    .max_flat_workgroup_size: 256
    .name:           _ZN7rocprim17ROCPRIM_400000_NS6detail17trampoline_kernelINS0_14default_configENS1_25partition_config_selectorILNS1_17partition_subalgoE9ExjbEEZZNS1_14partition_implILS5_9ELb0ES3_jN6thrust23THRUST_200600_302600_NS6detail15normal_iteratorINS9_10device_ptrIxEEEENSB_INSC_IjEEEEPNS0_10empty_typeENS0_5tupleIJSE_SH_EEENSJ_IJNS9_16discard_iteratorINS9_11use_defaultEEESI_EEENS0_18inequality_wrapperINS9_8equal_toIxEEEEPmJSH_EEE10hipError_tPvRmT3_T4_T5_T6_T7_T9_mT8_P12ihipStream_tbDpT10_ENKUlT_T0_E_clISt17integral_constantIbLb0EES1C_IbLb1EEEEDaS18_S19_EUlS18_E_NS1_11comp_targetILNS1_3genE2ELNS1_11target_archE906ELNS1_3gpuE6ELNS1_3repE0EEENS1_30default_config_static_selectorELNS0_4arch9wavefront6targetE0EEEvT1_
    .private_segment_fixed_size: 0
    .sgpr_count:     0
    .sgpr_spill_count: 0
    .symbol:         _ZN7rocprim17ROCPRIM_400000_NS6detail17trampoline_kernelINS0_14default_configENS1_25partition_config_selectorILNS1_17partition_subalgoE9ExjbEEZZNS1_14partition_implILS5_9ELb0ES3_jN6thrust23THRUST_200600_302600_NS6detail15normal_iteratorINS9_10device_ptrIxEEEENSB_INSC_IjEEEEPNS0_10empty_typeENS0_5tupleIJSE_SH_EEENSJ_IJNS9_16discard_iteratorINS9_11use_defaultEEESI_EEENS0_18inequality_wrapperINS9_8equal_toIxEEEEPmJSH_EEE10hipError_tPvRmT3_T4_T5_T6_T7_T9_mT8_P12ihipStream_tbDpT10_ENKUlT_T0_E_clISt17integral_constantIbLb0EES1C_IbLb1EEEEDaS18_S19_EUlS18_E_NS1_11comp_targetILNS1_3genE2ELNS1_11target_archE906ELNS1_3gpuE6ELNS1_3repE0EEENS1_30default_config_static_selectorELNS0_4arch9wavefront6targetE0EEEvT1_.kd
    .uniform_work_group_size: 1
    .uses_dynamic_stack: false
    .vgpr_count:     0
    .vgpr_spill_count: 0
    .wavefront_size: 32
    .workgroup_processor_mode: 1
  - .args:
      - .offset:         0
        .size:           136
        .value_kind:     by_value
    .group_segment_fixed_size: 0
    .kernarg_segment_align: 8
    .kernarg_segment_size: 136
    .language:       OpenCL C
    .language_version:
      - 2
      - 0
    .max_flat_workgroup_size: 384
    .name:           _ZN7rocprim17ROCPRIM_400000_NS6detail17trampoline_kernelINS0_14default_configENS1_25partition_config_selectorILNS1_17partition_subalgoE9ExjbEEZZNS1_14partition_implILS5_9ELb0ES3_jN6thrust23THRUST_200600_302600_NS6detail15normal_iteratorINS9_10device_ptrIxEEEENSB_INSC_IjEEEEPNS0_10empty_typeENS0_5tupleIJSE_SH_EEENSJ_IJNS9_16discard_iteratorINS9_11use_defaultEEESI_EEENS0_18inequality_wrapperINS9_8equal_toIxEEEEPmJSH_EEE10hipError_tPvRmT3_T4_T5_T6_T7_T9_mT8_P12ihipStream_tbDpT10_ENKUlT_T0_E_clISt17integral_constantIbLb0EES1C_IbLb1EEEEDaS18_S19_EUlS18_E_NS1_11comp_targetILNS1_3genE10ELNS1_11target_archE1200ELNS1_3gpuE4ELNS1_3repE0EEENS1_30default_config_static_selectorELNS0_4arch9wavefront6targetE0EEEvT1_
    .private_segment_fixed_size: 0
    .sgpr_count:     0
    .sgpr_spill_count: 0
    .symbol:         _ZN7rocprim17ROCPRIM_400000_NS6detail17trampoline_kernelINS0_14default_configENS1_25partition_config_selectorILNS1_17partition_subalgoE9ExjbEEZZNS1_14partition_implILS5_9ELb0ES3_jN6thrust23THRUST_200600_302600_NS6detail15normal_iteratorINS9_10device_ptrIxEEEENSB_INSC_IjEEEEPNS0_10empty_typeENS0_5tupleIJSE_SH_EEENSJ_IJNS9_16discard_iteratorINS9_11use_defaultEEESI_EEENS0_18inequality_wrapperINS9_8equal_toIxEEEEPmJSH_EEE10hipError_tPvRmT3_T4_T5_T6_T7_T9_mT8_P12ihipStream_tbDpT10_ENKUlT_T0_E_clISt17integral_constantIbLb0EES1C_IbLb1EEEEDaS18_S19_EUlS18_E_NS1_11comp_targetILNS1_3genE10ELNS1_11target_archE1200ELNS1_3gpuE4ELNS1_3repE0EEENS1_30default_config_static_selectorELNS0_4arch9wavefront6targetE0EEEvT1_.kd
    .uniform_work_group_size: 1
    .uses_dynamic_stack: false
    .vgpr_count:     0
    .vgpr_spill_count: 0
    .wavefront_size: 32
    .workgroup_processor_mode: 1
  - .args:
      - .offset:         0
        .size:           136
        .value_kind:     by_value
    .group_segment_fixed_size: 33800
    .kernarg_segment_align: 8
    .kernarg_segment_size: 136
    .language:       OpenCL C
    .language_version:
      - 2
      - 0
    .max_flat_workgroup_size: 512
    .name:           _ZN7rocprim17ROCPRIM_400000_NS6detail17trampoline_kernelINS0_14default_configENS1_25partition_config_selectorILNS1_17partition_subalgoE9ExjbEEZZNS1_14partition_implILS5_9ELb0ES3_jN6thrust23THRUST_200600_302600_NS6detail15normal_iteratorINS9_10device_ptrIxEEEENSB_INSC_IjEEEEPNS0_10empty_typeENS0_5tupleIJSE_SH_EEENSJ_IJNS9_16discard_iteratorINS9_11use_defaultEEESI_EEENS0_18inequality_wrapperINS9_8equal_toIxEEEEPmJSH_EEE10hipError_tPvRmT3_T4_T5_T6_T7_T9_mT8_P12ihipStream_tbDpT10_ENKUlT_T0_E_clISt17integral_constantIbLb0EES1C_IbLb1EEEEDaS18_S19_EUlS18_E_NS1_11comp_targetILNS1_3genE9ELNS1_11target_archE1100ELNS1_3gpuE3ELNS1_3repE0EEENS1_30default_config_static_selectorELNS0_4arch9wavefront6targetE0EEEvT1_
    .private_segment_fixed_size: 0
    .sgpr_count:     28
    .sgpr_spill_count: 0
    .symbol:         _ZN7rocprim17ROCPRIM_400000_NS6detail17trampoline_kernelINS0_14default_configENS1_25partition_config_selectorILNS1_17partition_subalgoE9ExjbEEZZNS1_14partition_implILS5_9ELb0ES3_jN6thrust23THRUST_200600_302600_NS6detail15normal_iteratorINS9_10device_ptrIxEEEENSB_INSC_IjEEEEPNS0_10empty_typeENS0_5tupleIJSE_SH_EEENSJ_IJNS9_16discard_iteratorINS9_11use_defaultEEESI_EEENS0_18inequality_wrapperINS9_8equal_toIxEEEEPmJSH_EEE10hipError_tPvRmT3_T4_T5_T6_T7_T9_mT8_P12ihipStream_tbDpT10_ENKUlT_T0_E_clISt17integral_constantIbLb0EES1C_IbLb1EEEEDaS18_S19_EUlS18_E_NS1_11comp_targetILNS1_3genE9ELNS1_11target_archE1100ELNS1_3gpuE3ELNS1_3repE0EEENS1_30default_config_static_selectorELNS0_4arch9wavefront6targetE0EEEvT1_.kd
    .uniform_work_group_size: 1
    .uses_dynamic_stack: false
    .vgpr_count:     62
    .vgpr_spill_count: 0
    .wavefront_size: 32
    .workgroup_processor_mode: 1
  - .args:
      - .offset:         0
        .size:           136
        .value_kind:     by_value
    .group_segment_fixed_size: 0
    .kernarg_segment_align: 8
    .kernarg_segment_size: 136
    .language:       OpenCL C
    .language_version:
      - 2
      - 0
    .max_flat_workgroup_size: 512
    .name:           _ZN7rocprim17ROCPRIM_400000_NS6detail17trampoline_kernelINS0_14default_configENS1_25partition_config_selectorILNS1_17partition_subalgoE9ExjbEEZZNS1_14partition_implILS5_9ELb0ES3_jN6thrust23THRUST_200600_302600_NS6detail15normal_iteratorINS9_10device_ptrIxEEEENSB_INSC_IjEEEEPNS0_10empty_typeENS0_5tupleIJSE_SH_EEENSJ_IJNS9_16discard_iteratorINS9_11use_defaultEEESI_EEENS0_18inequality_wrapperINS9_8equal_toIxEEEEPmJSH_EEE10hipError_tPvRmT3_T4_T5_T6_T7_T9_mT8_P12ihipStream_tbDpT10_ENKUlT_T0_E_clISt17integral_constantIbLb0EES1C_IbLb1EEEEDaS18_S19_EUlS18_E_NS1_11comp_targetILNS1_3genE8ELNS1_11target_archE1030ELNS1_3gpuE2ELNS1_3repE0EEENS1_30default_config_static_selectorELNS0_4arch9wavefront6targetE0EEEvT1_
    .private_segment_fixed_size: 0
    .sgpr_count:     0
    .sgpr_spill_count: 0
    .symbol:         _ZN7rocprim17ROCPRIM_400000_NS6detail17trampoline_kernelINS0_14default_configENS1_25partition_config_selectorILNS1_17partition_subalgoE9ExjbEEZZNS1_14partition_implILS5_9ELb0ES3_jN6thrust23THRUST_200600_302600_NS6detail15normal_iteratorINS9_10device_ptrIxEEEENSB_INSC_IjEEEEPNS0_10empty_typeENS0_5tupleIJSE_SH_EEENSJ_IJNS9_16discard_iteratorINS9_11use_defaultEEESI_EEENS0_18inequality_wrapperINS9_8equal_toIxEEEEPmJSH_EEE10hipError_tPvRmT3_T4_T5_T6_T7_T9_mT8_P12ihipStream_tbDpT10_ENKUlT_T0_E_clISt17integral_constantIbLb0EES1C_IbLb1EEEEDaS18_S19_EUlS18_E_NS1_11comp_targetILNS1_3genE8ELNS1_11target_archE1030ELNS1_3gpuE2ELNS1_3repE0EEENS1_30default_config_static_selectorELNS0_4arch9wavefront6targetE0EEEvT1_.kd
    .uniform_work_group_size: 1
    .uses_dynamic_stack: false
    .vgpr_count:     0
    .vgpr_spill_count: 0
    .wavefront_size: 32
    .workgroup_processor_mode: 1
  - .args:
      - .offset:         0
        .size:           120
        .value_kind:     by_value
    .group_segment_fixed_size: 0
    .kernarg_segment_align: 8
    .kernarg_segment_size: 120
    .language:       OpenCL C
    .language_version:
      - 2
      - 0
    .max_flat_workgroup_size: 128
    .name:           _ZN7rocprim17ROCPRIM_400000_NS6detail17trampoline_kernelINS0_14default_configENS1_25partition_config_selectorILNS1_17partition_subalgoE9ExjbEEZZNS1_14partition_implILS5_9ELb0ES3_jN6thrust23THRUST_200600_302600_NS6detail15normal_iteratorINS9_10device_ptrIxEEEENSB_INSC_IjEEEEPNS0_10empty_typeENS0_5tupleIJNS9_16discard_iteratorINS9_11use_defaultEEESH_EEENSJ_IJSG_SI_EEENS0_18inequality_wrapperINS9_8equal_toIxEEEEPmJSH_EEE10hipError_tPvRmT3_T4_T5_T6_T7_T9_mT8_P12ihipStream_tbDpT10_ENKUlT_T0_E_clISt17integral_constantIbLb0EES1D_EEDaS18_S19_EUlS18_E_NS1_11comp_targetILNS1_3genE0ELNS1_11target_archE4294967295ELNS1_3gpuE0ELNS1_3repE0EEENS1_30default_config_static_selectorELNS0_4arch9wavefront6targetE0EEEvT1_
    .private_segment_fixed_size: 0
    .sgpr_count:     0
    .sgpr_spill_count: 0
    .symbol:         _ZN7rocprim17ROCPRIM_400000_NS6detail17trampoline_kernelINS0_14default_configENS1_25partition_config_selectorILNS1_17partition_subalgoE9ExjbEEZZNS1_14partition_implILS5_9ELb0ES3_jN6thrust23THRUST_200600_302600_NS6detail15normal_iteratorINS9_10device_ptrIxEEEENSB_INSC_IjEEEEPNS0_10empty_typeENS0_5tupleIJNS9_16discard_iteratorINS9_11use_defaultEEESH_EEENSJ_IJSG_SI_EEENS0_18inequality_wrapperINS9_8equal_toIxEEEEPmJSH_EEE10hipError_tPvRmT3_T4_T5_T6_T7_T9_mT8_P12ihipStream_tbDpT10_ENKUlT_T0_E_clISt17integral_constantIbLb0EES1D_EEDaS18_S19_EUlS18_E_NS1_11comp_targetILNS1_3genE0ELNS1_11target_archE4294967295ELNS1_3gpuE0ELNS1_3repE0EEENS1_30default_config_static_selectorELNS0_4arch9wavefront6targetE0EEEvT1_.kd
    .uniform_work_group_size: 1
    .uses_dynamic_stack: false
    .vgpr_count:     0
    .vgpr_spill_count: 0
    .wavefront_size: 32
    .workgroup_processor_mode: 1
  - .args:
      - .offset:         0
        .size:           120
        .value_kind:     by_value
    .group_segment_fixed_size: 0
    .kernarg_segment_align: 8
    .kernarg_segment_size: 120
    .language:       OpenCL C
    .language_version:
      - 2
      - 0
    .max_flat_workgroup_size: 512
    .name:           _ZN7rocprim17ROCPRIM_400000_NS6detail17trampoline_kernelINS0_14default_configENS1_25partition_config_selectorILNS1_17partition_subalgoE9ExjbEEZZNS1_14partition_implILS5_9ELb0ES3_jN6thrust23THRUST_200600_302600_NS6detail15normal_iteratorINS9_10device_ptrIxEEEENSB_INSC_IjEEEEPNS0_10empty_typeENS0_5tupleIJNS9_16discard_iteratorINS9_11use_defaultEEESH_EEENSJ_IJSG_SI_EEENS0_18inequality_wrapperINS9_8equal_toIxEEEEPmJSH_EEE10hipError_tPvRmT3_T4_T5_T6_T7_T9_mT8_P12ihipStream_tbDpT10_ENKUlT_T0_E_clISt17integral_constantIbLb0EES1D_EEDaS18_S19_EUlS18_E_NS1_11comp_targetILNS1_3genE5ELNS1_11target_archE942ELNS1_3gpuE9ELNS1_3repE0EEENS1_30default_config_static_selectorELNS0_4arch9wavefront6targetE0EEEvT1_
    .private_segment_fixed_size: 0
    .sgpr_count:     0
    .sgpr_spill_count: 0
    .symbol:         _ZN7rocprim17ROCPRIM_400000_NS6detail17trampoline_kernelINS0_14default_configENS1_25partition_config_selectorILNS1_17partition_subalgoE9ExjbEEZZNS1_14partition_implILS5_9ELb0ES3_jN6thrust23THRUST_200600_302600_NS6detail15normal_iteratorINS9_10device_ptrIxEEEENSB_INSC_IjEEEEPNS0_10empty_typeENS0_5tupleIJNS9_16discard_iteratorINS9_11use_defaultEEESH_EEENSJ_IJSG_SI_EEENS0_18inequality_wrapperINS9_8equal_toIxEEEEPmJSH_EEE10hipError_tPvRmT3_T4_T5_T6_T7_T9_mT8_P12ihipStream_tbDpT10_ENKUlT_T0_E_clISt17integral_constantIbLb0EES1D_EEDaS18_S19_EUlS18_E_NS1_11comp_targetILNS1_3genE5ELNS1_11target_archE942ELNS1_3gpuE9ELNS1_3repE0EEENS1_30default_config_static_selectorELNS0_4arch9wavefront6targetE0EEEvT1_.kd
    .uniform_work_group_size: 1
    .uses_dynamic_stack: false
    .vgpr_count:     0
    .vgpr_spill_count: 0
    .wavefront_size: 32
    .workgroup_processor_mode: 1
  - .args:
      - .offset:         0
        .size:           120
        .value_kind:     by_value
    .group_segment_fixed_size: 0
    .kernarg_segment_align: 8
    .kernarg_segment_size: 120
    .language:       OpenCL C
    .language_version:
      - 2
      - 0
    .max_flat_workgroup_size: 192
    .name:           _ZN7rocprim17ROCPRIM_400000_NS6detail17trampoline_kernelINS0_14default_configENS1_25partition_config_selectorILNS1_17partition_subalgoE9ExjbEEZZNS1_14partition_implILS5_9ELb0ES3_jN6thrust23THRUST_200600_302600_NS6detail15normal_iteratorINS9_10device_ptrIxEEEENSB_INSC_IjEEEEPNS0_10empty_typeENS0_5tupleIJNS9_16discard_iteratorINS9_11use_defaultEEESH_EEENSJ_IJSG_SI_EEENS0_18inequality_wrapperINS9_8equal_toIxEEEEPmJSH_EEE10hipError_tPvRmT3_T4_T5_T6_T7_T9_mT8_P12ihipStream_tbDpT10_ENKUlT_T0_E_clISt17integral_constantIbLb0EES1D_EEDaS18_S19_EUlS18_E_NS1_11comp_targetILNS1_3genE4ELNS1_11target_archE910ELNS1_3gpuE8ELNS1_3repE0EEENS1_30default_config_static_selectorELNS0_4arch9wavefront6targetE0EEEvT1_
    .private_segment_fixed_size: 0
    .sgpr_count:     0
    .sgpr_spill_count: 0
    .symbol:         _ZN7rocprim17ROCPRIM_400000_NS6detail17trampoline_kernelINS0_14default_configENS1_25partition_config_selectorILNS1_17partition_subalgoE9ExjbEEZZNS1_14partition_implILS5_9ELb0ES3_jN6thrust23THRUST_200600_302600_NS6detail15normal_iteratorINS9_10device_ptrIxEEEENSB_INSC_IjEEEEPNS0_10empty_typeENS0_5tupleIJNS9_16discard_iteratorINS9_11use_defaultEEESH_EEENSJ_IJSG_SI_EEENS0_18inequality_wrapperINS9_8equal_toIxEEEEPmJSH_EEE10hipError_tPvRmT3_T4_T5_T6_T7_T9_mT8_P12ihipStream_tbDpT10_ENKUlT_T0_E_clISt17integral_constantIbLb0EES1D_EEDaS18_S19_EUlS18_E_NS1_11comp_targetILNS1_3genE4ELNS1_11target_archE910ELNS1_3gpuE8ELNS1_3repE0EEENS1_30default_config_static_selectorELNS0_4arch9wavefront6targetE0EEEvT1_.kd
    .uniform_work_group_size: 1
    .uses_dynamic_stack: false
    .vgpr_count:     0
    .vgpr_spill_count: 0
    .wavefront_size: 32
    .workgroup_processor_mode: 1
  - .args:
      - .offset:         0
        .size:           120
        .value_kind:     by_value
    .group_segment_fixed_size: 0
    .kernarg_segment_align: 8
    .kernarg_segment_size: 120
    .language:       OpenCL C
    .language_version:
      - 2
      - 0
    .max_flat_workgroup_size: 128
    .name:           _ZN7rocprim17ROCPRIM_400000_NS6detail17trampoline_kernelINS0_14default_configENS1_25partition_config_selectorILNS1_17partition_subalgoE9ExjbEEZZNS1_14partition_implILS5_9ELb0ES3_jN6thrust23THRUST_200600_302600_NS6detail15normal_iteratorINS9_10device_ptrIxEEEENSB_INSC_IjEEEEPNS0_10empty_typeENS0_5tupleIJNS9_16discard_iteratorINS9_11use_defaultEEESH_EEENSJ_IJSG_SI_EEENS0_18inequality_wrapperINS9_8equal_toIxEEEEPmJSH_EEE10hipError_tPvRmT3_T4_T5_T6_T7_T9_mT8_P12ihipStream_tbDpT10_ENKUlT_T0_E_clISt17integral_constantIbLb0EES1D_EEDaS18_S19_EUlS18_E_NS1_11comp_targetILNS1_3genE3ELNS1_11target_archE908ELNS1_3gpuE7ELNS1_3repE0EEENS1_30default_config_static_selectorELNS0_4arch9wavefront6targetE0EEEvT1_
    .private_segment_fixed_size: 0
    .sgpr_count:     0
    .sgpr_spill_count: 0
    .symbol:         _ZN7rocprim17ROCPRIM_400000_NS6detail17trampoline_kernelINS0_14default_configENS1_25partition_config_selectorILNS1_17partition_subalgoE9ExjbEEZZNS1_14partition_implILS5_9ELb0ES3_jN6thrust23THRUST_200600_302600_NS6detail15normal_iteratorINS9_10device_ptrIxEEEENSB_INSC_IjEEEEPNS0_10empty_typeENS0_5tupleIJNS9_16discard_iteratorINS9_11use_defaultEEESH_EEENSJ_IJSG_SI_EEENS0_18inequality_wrapperINS9_8equal_toIxEEEEPmJSH_EEE10hipError_tPvRmT3_T4_T5_T6_T7_T9_mT8_P12ihipStream_tbDpT10_ENKUlT_T0_E_clISt17integral_constantIbLb0EES1D_EEDaS18_S19_EUlS18_E_NS1_11comp_targetILNS1_3genE3ELNS1_11target_archE908ELNS1_3gpuE7ELNS1_3repE0EEENS1_30default_config_static_selectorELNS0_4arch9wavefront6targetE0EEEvT1_.kd
    .uniform_work_group_size: 1
    .uses_dynamic_stack: false
    .vgpr_count:     0
    .vgpr_spill_count: 0
    .wavefront_size: 32
    .workgroup_processor_mode: 1
  - .args:
      - .offset:         0
        .size:           120
        .value_kind:     by_value
    .group_segment_fixed_size: 0
    .kernarg_segment_align: 8
    .kernarg_segment_size: 120
    .language:       OpenCL C
    .language_version:
      - 2
      - 0
    .max_flat_workgroup_size: 256
    .name:           _ZN7rocprim17ROCPRIM_400000_NS6detail17trampoline_kernelINS0_14default_configENS1_25partition_config_selectorILNS1_17partition_subalgoE9ExjbEEZZNS1_14partition_implILS5_9ELb0ES3_jN6thrust23THRUST_200600_302600_NS6detail15normal_iteratorINS9_10device_ptrIxEEEENSB_INSC_IjEEEEPNS0_10empty_typeENS0_5tupleIJNS9_16discard_iteratorINS9_11use_defaultEEESH_EEENSJ_IJSG_SI_EEENS0_18inequality_wrapperINS9_8equal_toIxEEEEPmJSH_EEE10hipError_tPvRmT3_T4_T5_T6_T7_T9_mT8_P12ihipStream_tbDpT10_ENKUlT_T0_E_clISt17integral_constantIbLb0EES1D_EEDaS18_S19_EUlS18_E_NS1_11comp_targetILNS1_3genE2ELNS1_11target_archE906ELNS1_3gpuE6ELNS1_3repE0EEENS1_30default_config_static_selectorELNS0_4arch9wavefront6targetE0EEEvT1_
    .private_segment_fixed_size: 0
    .sgpr_count:     0
    .sgpr_spill_count: 0
    .symbol:         _ZN7rocprim17ROCPRIM_400000_NS6detail17trampoline_kernelINS0_14default_configENS1_25partition_config_selectorILNS1_17partition_subalgoE9ExjbEEZZNS1_14partition_implILS5_9ELb0ES3_jN6thrust23THRUST_200600_302600_NS6detail15normal_iteratorINS9_10device_ptrIxEEEENSB_INSC_IjEEEEPNS0_10empty_typeENS0_5tupleIJNS9_16discard_iteratorINS9_11use_defaultEEESH_EEENSJ_IJSG_SI_EEENS0_18inequality_wrapperINS9_8equal_toIxEEEEPmJSH_EEE10hipError_tPvRmT3_T4_T5_T6_T7_T9_mT8_P12ihipStream_tbDpT10_ENKUlT_T0_E_clISt17integral_constantIbLb0EES1D_EEDaS18_S19_EUlS18_E_NS1_11comp_targetILNS1_3genE2ELNS1_11target_archE906ELNS1_3gpuE6ELNS1_3repE0EEENS1_30default_config_static_selectorELNS0_4arch9wavefront6targetE0EEEvT1_.kd
    .uniform_work_group_size: 1
    .uses_dynamic_stack: false
    .vgpr_count:     0
    .vgpr_spill_count: 0
    .wavefront_size: 32
    .workgroup_processor_mode: 1
  - .args:
      - .offset:         0
        .size:           120
        .value_kind:     by_value
    .group_segment_fixed_size: 0
    .kernarg_segment_align: 8
    .kernarg_segment_size: 120
    .language:       OpenCL C
    .language_version:
      - 2
      - 0
    .max_flat_workgroup_size: 384
    .name:           _ZN7rocprim17ROCPRIM_400000_NS6detail17trampoline_kernelINS0_14default_configENS1_25partition_config_selectorILNS1_17partition_subalgoE9ExjbEEZZNS1_14partition_implILS5_9ELb0ES3_jN6thrust23THRUST_200600_302600_NS6detail15normal_iteratorINS9_10device_ptrIxEEEENSB_INSC_IjEEEEPNS0_10empty_typeENS0_5tupleIJNS9_16discard_iteratorINS9_11use_defaultEEESH_EEENSJ_IJSG_SI_EEENS0_18inequality_wrapperINS9_8equal_toIxEEEEPmJSH_EEE10hipError_tPvRmT3_T4_T5_T6_T7_T9_mT8_P12ihipStream_tbDpT10_ENKUlT_T0_E_clISt17integral_constantIbLb0EES1D_EEDaS18_S19_EUlS18_E_NS1_11comp_targetILNS1_3genE10ELNS1_11target_archE1200ELNS1_3gpuE4ELNS1_3repE0EEENS1_30default_config_static_selectorELNS0_4arch9wavefront6targetE0EEEvT1_
    .private_segment_fixed_size: 0
    .sgpr_count:     0
    .sgpr_spill_count: 0
    .symbol:         _ZN7rocprim17ROCPRIM_400000_NS6detail17trampoline_kernelINS0_14default_configENS1_25partition_config_selectorILNS1_17partition_subalgoE9ExjbEEZZNS1_14partition_implILS5_9ELb0ES3_jN6thrust23THRUST_200600_302600_NS6detail15normal_iteratorINS9_10device_ptrIxEEEENSB_INSC_IjEEEEPNS0_10empty_typeENS0_5tupleIJNS9_16discard_iteratorINS9_11use_defaultEEESH_EEENSJ_IJSG_SI_EEENS0_18inequality_wrapperINS9_8equal_toIxEEEEPmJSH_EEE10hipError_tPvRmT3_T4_T5_T6_T7_T9_mT8_P12ihipStream_tbDpT10_ENKUlT_T0_E_clISt17integral_constantIbLb0EES1D_EEDaS18_S19_EUlS18_E_NS1_11comp_targetILNS1_3genE10ELNS1_11target_archE1200ELNS1_3gpuE4ELNS1_3repE0EEENS1_30default_config_static_selectorELNS0_4arch9wavefront6targetE0EEEvT1_.kd
    .uniform_work_group_size: 1
    .uses_dynamic_stack: false
    .vgpr_count:     0
    .vgpr_spill_count: 0
    .wavefront_size: 32
    .workgroup_processor_mode: 1
  - .args:
      - .offset:         0
        .size:           120
        .value_kind:     by_value
    .group_segment_fixed_size: 33800
    .kernarg_segment_align: 8
    .kernarg_segment_size: 120
    .language:       OpenCL C
    .language_version:
      - 2
      - 0
    .max_flat_workgroup_size: 512
    .name:           _ZN7rocprim17ROCPRIM_400000_NS6detail17trampoline_kernelINS0_14default_configENS1_25partition_config_selectorILNS1_17partition_subalgoE9ExjbEEZZNS1_14partition_implILS5_9ELb0ES3_jN6thrust23THRUST_200600_302600_NS6detail15normal_iteratorINS9_10device_ptrIxEEEENSB_INSC_IjEEEEPNS0_10empty_typeENS0_5tupleIJNS9_16discard_iteratorINS9_11use_defaultEEESH_EEENSJ_IJSG_SI_EEENS0_18inequality_wrapperINS9_8equal_toIxEEEEPmJSH_EEE10hipError_tPvRmT3_T4_T5_T6_T7_T9_mT8_P12ihipStream_tbDpT10_ENKUlT_T0_E_clISt17integral_constantIbLb0EES1D_EEDaS18_S19_EUlS18_E_NS1_11comp_targetILNS1_3genE9ELNS1_11target_archE1100ELNS1_3gpuE3ELNS1_3repE0EEENS1_30default_config_static_selectorELNS0_4arch9wavefront6targetE0EEEvT1_
    .private_segment_fixed_size: 0
    .sgpr_count:     26
    .sgpr_spill_count: 0
    .symbol:         _ZN7rocprim17ROCPRIM_400000_NS6detail17trampoline_kernelINS0_14default_configENS1_25partition_config_selectorILNS1_17partition_subalgoE9ExjbEEZZNS1_14partition_implILS5_9ELb0ES3_jN6thrust23THRUST_200600_302600_NS6detail15normal_iteratorINS9_10device_ptrIxEEEENSB_INSC_IjEEEEPNS0_10empty_typeENS0_5tupleIJNS9_16discard_iteratorINS9_11use_defaultEEESH_EEENSJ_IJSG_SI_EEENS0_18inequality_wrapperINS9_8equal_toIxEEEEPmJSH_EEE10hipError_tPvRmT3_T4_T5_T6_T7_T9_mT8_P12ihipStream_tbDpT10_ENKUlT_T0_E_clISt17integral_constantIbLb0EES1D_EEDaS18_S19_EUlS18_E_NS1_11comp_targetILNS1_3genE9ELNS1_11target_archE1100ELNS1_3gpuE3ELNS1_3repE0EEENS1_30default_config_static_selectorELNS0_4arch9wavefront6targetE0EEEvT1_.kd
    .uniform_work_group_size: 1
    .uses_dynamic_stack: false
    .vgpr_count:     59
    .vgpr_spill_count: 0
    .wavefront_size: 32
    .workgroup_processor_mode: 1
  - .args:
      - .offset:         0
        .size:           120
        .value_kind:     by_value
    .group_segment_fixed_size: 0
    .kernarg_segment_align: 8
    .kernarg_segment_size: 120
    .language:       OpenCL C
    .language_version:
      - 2
      - 0
    .max_flat_workgroup_size: 512
    .name:           _ZN7rocprim17ROCPRIM_400000_NS6detail17trampoline_kernelINS0_14default_configENS1_25partition_config_selectorILNS1_17partition_subalgoE9ExjbEEZZNS1_14partition_implILS5_9ELb0ES3_jN6thrust23THRUST_200600_302600_NS6detail15normal_iteratorINS9_10device_ptrIxEEEENSB_INSC_IjEEEEPNS0_10empty_typeENS0_5tupleIJNS9_16discard_iteratorINS9_11use_defaultEEESH_EEENSJ_IJSG_SI_EEENS0_18inequality_wrapperINS9_8equal_toIxEEEEPmJSH_EEE10hipError_tPvRmT3_T4_T5_T6_T7_T9_mT8_P12ihipStream_tbDpT10_ENKUlT_T0_E_clISt17integral_constantIbLb0EES1D_EEDaS18_S19_EUlS18_E_NS1_11comp_targetILNS1_3genE8ELNS1_11target_archE1030ELNS1_3gpuE2ELNS1_3repE0EEENS1_30default_config_static_selectorELNS0_4arch9wavefront6targetE0EEEvT1_
    .private_segment_fixed_size: 0
    .sgpr_count:     0
    .sgpr_spill_count: 0
    .symbol:         _ZN7rocprim17ROCPRIM_400000_NS6detail17trampoline_kernelINS0_14default_configENS1_25partition_config_selectorILNS1_17partition_subalgoE9ExjbEEZZNS1_14partition_implILS5_9ELb0ES3_jN6thrust23THRUST_200600_302600_NS6detail15normal_iteratorINS9_10device_ptrIxEEEENSB_INSC_IjEEEEPNS0_10empty_typeENS0_5tupleIJNS9_16discard_iteratorINS9_11use_defaultEEESH_EEENSJ_IJSG_SI_EEENS0_18inequality_wrapperINS9_8equal_toIxEEEEPmJSH_EEE10hipError_tPvRmT3_T4_T5_T6_T7_T9_mT8_P12ihipStream_tbDpT10_ENKUlT_T0_E_clISt17integral_constantIbLb0EES1D_EEDaS18_S19_EUlS18_E_NS1_11comp_targetILNS1_3genE8ELNS1_11target_archE1030ELNS1_3gpuE2ELNS1_3repE0EEENS1_30default_config_static_selectorELNS0_4arch9wavefront6targetE0EEEvT1_.kd
    .uniform_work_group_size: 1
    .uses_dynamic_stack: false
    .vgpr_count:     0
    .vgpr_spill_count: 0
    .wavefront_size: 32
    .workgroup_processor_mode: 1
  - .args:
      - .offset:         0
        .size:           136
        .value_kind:     by_value
    .group_segment_fixed_size: 0
    .kernarg_segment_align: 8
    .kernarg_segment_size: 136
    .language:       OpenCL C
    .language_version:
      - 2
      - 0
    .max_flat_workgroup_size: 128
    .name:           _ZN7rocprim17ROCPRIM_400000_NS6detail17trampoline_kernelINS0_14default_configENS1_25partition_config_selectorILNS1_17partition_subalgoE9ExjbEEZZNS1_14partition_implILS5_9ELb0ES3_jN6thrust23THRUST_200600_302600_NS6detail15normal_iteratorINS9_10device_ptrIxEEEENSB_INSC_IjEEEEPNS0_10empty_typeENS0_5tupleIJNS9_16discard_iteratorINS9_11use_defaultEEESH_EEENSJ_IJSG_SI_EEENS0_18inequality_wrapperINS9_8equal_toIxEEEEPmJSH_EEE10hipError_tPvRmT3_T4_T5_T6_T7_T9_mT8_P12ihipStream_tbDpT10_ENKUlT_T0_E_clISt17integral_constantIbLb1EES1D_EEDaS18_S19_EUlS18_E_NS1_11comp_targetILNS1_3genE0ELNS1_11target_archE4294967295ELNS1_3gpuE0ELNS1_3repE0EEENS1_30default_config_static_selectorELNS0_4arch9wavefront6targetE0EEEvT1_
    .private_segment_fixed_size: 0
    .sgpr_count:     0
    .sgpr_spill_count: 0
    .symbol:         _ZN7rocprim17ROCPRIM_400000_NS6detail17trampoline_kernelINS0_14default_configENS1_25partition_config_selectorILNS1_17partition_subalgoE9ExjbEEZZNS1_14partition_implILS5_9ELb0ES3_jN6thrust23THRUST_200600_302600_NS6detail15normal_iteratorINS9_10device_ptrIxEEEENSB_INSC_IjEEEEPNS0_10empty_typeENS0_5tupleIJNS9_16discard_iteratorINS9_11use_defaultEEESH_EEENSJ_IJSG_SI_EEENS0_18inequality_wrapperINS9_8equal_toIxEEEEPmJSH_EEE10hipError_tPvRmT3_T4_T5_T6_T7_T9_mT8_P12ihipStream_tbDpT10_ENKUlT_T0_E_clISt17integral_constantIbLb1EES1D_EEDaS18_S19_EUlS18_E_NS1_11comp_targetILNS1_3genE0ELNS1_11target_archE4294967295ELNS1_3gpuE0ELNS1_3repE0EEENS1_30default_config_static_selectorELNS0_4arch9wavefront6targetE0EEEvT1_.kd
    .uniform_work_group_size: 1
    .uses_dynamic_stack: false
    .vgpr_count:     0
    .vgpr_spill_count: 0
    .wavefront_size: 32
    .workgroup_processor_mode: 1
  - .args:
      - .offset:         0
        .size:           136
        .value_kind:     by_value
    .group_segment_fixed_size: 0
    .kernarg_segment_align: 8
    .kernarg_segment_size: 136
    .language:       OpenCL C
    .language_version:
      - 2
      - 0
    .max_flat_workgroup_size: 512
    .name:           _ZN7rocprim17ROCPRIM_400000_NS6detail17trampoline_kernelINS0_14default_configENS1_25partition_config_selectorILNS1_17partition_subalgoE9ExjbEEZZNS1_14partition_implILS5_9ELb0ES3_jN6thrust23THRUST_200600_302600_NS6detail15normal_iteratorINS9_10device_ptrIxEEEENSB_INSC_IjEEEEPNS0_10empty_typeENS0_5tupleIJNS9_16discard_iteratorINS9_11use_defaultEEESH_EEENSJ_IJSG_SI_EEENS0_18inequality_wrapperINS9_8equal_toIxEEEEPmJSH_EEE10hipError_tPvRmT3_T4_T5_T6_T7_T9_mT8_P12ihipStream_tbDpT10_ENKUlT_T0_E_clISt17integral_constantIbLb1EES1D_EEDaS18_S19_EUlS18_E_NS1_11comp_targetILNS1_3genE5ELNS1_11target_archE942ELNS1_3gpuE9ELNS1_3repE0EEENS1_30default_config_static_selectorELNS0_4arch9wavefront6targetE0EEEvT1_
    .private_segment_fixed_size: 0
    .sgpr_count:     0
    .sgpr_spill_count: 0
    .symbol:         _ZN7rocprim17ROCPRIM_400000_NS6detail17trampoline_kernelINS0_14default_configENS1_25partition_config_selectorILNS1_17partition_subalgoE9ExjbEEZZNS1_14partition_implILS5_9ELb0ES3_jN6thrust23THRUST_200600_302600_NS6detail15normal_iteratorINS9_10device_ptrIxEEEENSB_INSC_IjEEEEPNS0_10empty_typeENS0_5tupleIJNS9_16discard_iteratorINS9_11use_defaultEEESH_EEENSJ_IJSG_SI_EEENS0_18inequality_wrapperINS9_8equal_toIxEEEEPmJSH_EEE10hipError_tPvRmT3_T4_T5_T6_T7_T9_mT8_P12ihipStream_tbDpT10_ENKUlT_T0_E_clISt17integral_constantIbLb1EES1D_EEDaS18_S19_EUlS18_E_NS1_11comp_targetILNS1_3genE5ELNS1_11target_archE942ELNS1_3gpuE9ELNS1_3repE0EEENS1_30default_config_static_selectorELNS0_4arch9wavefront6targetE0EEEvT1_.kd
    .uniform_work_group_size: 1
    .uses_dynamic_stack: false
    .vgpr_count:     0
    .vgpr_spill_count: 0
    .wavefront_size: 32
    .workgroup_processor_mode: 1
  - .args:
      - .offset:         0
        .size:           136
        .value_kind:     by_value
    .group_segment_fixed_size: 0
    .kernarg_segment_align: 8
    .kernarg_segment_size: 136
    .language:       OpenCL C
    .language_version:
      - 2
      - 0
    .max_flat_workgroup_size: 192
    .name:           _ZN7rocprim17ROCPRIM_400000_NS6detail17trampoline_kernelINS0_14default_configENS1_25partition_config_selectorILNS1_17partition_subalgoE9ExjbEEZZNS1_14partition_implILS5_9ELb0ES3_jN6thrust23THRUST_200600_302600_NS6detail15normal_iteratorINS9_10device_ptrIxEEEENSB_INSC_IjEEEEPNS0_10empty_typeENS0_5tupleIJNS9_16discard_iteratorINS9_11use_defaultEEESH_EEENSJ_IJSG_SI_EEENS0_18inequality_wrapperINS9_8equal_toIxEEEEPmJSH_EEE10hipError_tPvRmT3_T4_T5_T6_T7_T9_mT8_P12ihipStream_tbDpT10_ENKUlT_T0_E_clISt17integral_constantIbLb1EES1D_EEDaS18_S19_EUlS18_E_NS1_11comp_targetILNS1_3genE4ELNS1_11target_archE910ELNS1_3gpuE8ELNS1_3repE0EEENS1_30default_config_static_selectorELNS0_4arch9wavefront6targetE0EEEvT1_
    .private_segment_fixed_size: 0
    .sgpr_count:     0
    .sgpr_spill_count: 0
    .symbol:         _ZN7rocprim17ROCPRIM_400000_NS6detail17trampoline_kernelINS0_14default_configENS1_25partition_config_selectorILNS1_17partition_subalgoE9ExjbEEZZNS1_14partition_implILS5_9ELb0ES3_jN6thrust23THRUST_200600_302600_NS6detail15normal_iteratorINS9_10device_ptrIxEEEENSB_INSC_IjEEEEPNS0_10empty_typeENS0_5tupleIJNS9_16discard_iteratorINS9_11use_defaultEEESH_EEENSJ_IJSG_SI_EEENS0_18inequality_wrapperINS9_8equal_toIxEEEEPmJSH_EEE10hipError_tPvRmT3_T4_T5_T6_T7_T9_mT8_P12ihipStream_tbDpT10_ENKUlT_T0_E_clISt17integral_constantIbLb1EES1D_EEDaS18_S19_EUlS18_E_NS1_11comp_targetILNS1_3genE4ELNS1_11target_archE910ELNS1_3gpuE8ELNS1_3repE0EEENS1_30default_config_static_selectorELNS0_4arch9wavefront6targetE0EEEvT1_.kd
    .uniform_work_group_size: 1
    .uses_dynamic_stack: false
    .vgpr_count:     0
    .vgpr_spill_count: 0
    .wavefront_size: 32
    .workgroup_processor_mode: 1
  - .args:
      - .offset:         0
        .size:           136
        .value_kind:     by_value
    .group_segment_fixed_size: 0
    .kernarg_segment_align: 8
    .kernarg_segment_size: 136
    .language:       OpenCL C
    .language_version:
      - 2
      - 0
    .max_flat_workgroup_size: 128
    .name:           _ZN7rocprim17ROCPRIM_400000_NS6detail17trampoline_kernelINS0_14default_configENS1_25partition_config_selectorILNS1_17partition_subalgoE9ExjbEEZZNS1_14partition_implILS5_9ELb0ES3_jN6thrust23THRUST_200600_302600_NS6detail15normal_iteratorINS9_10device_ptrIxEEEENSB_INSC_IjEEEEPNS0_10empty_typeENS0_5tupleIJNS9_16discard_iteratorINS9_11use_defaultEEESH_EEENSJ_IJSG_SI_EEENS0_18inequality_wrapperINS9_8equal_toIxEEEEPmJSH_EEE10hipError_tPvRmT3_T4_T5_T6_T7_T9_mT8_P12ihipStream_tbDpT10_ENKUlT_T0_E_clISt17integral_constantIbLb1EES1D_EEDaS18_S19_EUlS18_E_NS1_11comp_targetILNS1_3genE3ELNS1_11target_archE908ELNS1_3gpuE7ELNS1_3repE0EEENS1_30default_config_static_selectorELNS0_4arch9wavefront6targetE0EEEvT1_
    .private_segment_fixed_size: 0
    .sgpr_count:     0
    .sgpr_spill_count: 0
    .symbol:         _ZN7rocprim17ROCPRIM_400000_NS6detail17trampoline_kernelINS0_14default_configENS1_25partition_config_selectorILNS1_17partition_subalgoE9ExjbEEZZNS1_14partition_implILS5_9ELb0ES3_jN6thrust23THRUST_200600_302600_NS6detail15normal_iteratorINS9_10device_ptrIxEEEENSB_INSC_IjEEEEPNS0_10empty_typeENS0_5tupleIJNS9_16discard_iteratorINS9_11use_defaultEEESH_EEENSJ_IJSG_SI_EEENS0_18inequality_wrapperINS9_8equal_toIxEEEEPmJSH_EEE10hipError_tPvRmT3_T4_T5_T6_T7_T9_mT8_P12ihipStream_tbDpT10_ENKUlT_T0_E_clISt17integral_constantIbLb1EES1D_EEDaS18_S19_EUlS18_E_NS1_11comp_targetILNS1_3genE3ELNS1_11target_archE908ELNS1_3gpuE7ELNS1_3repE0EEENS1_30default_config_static_selectorELNS0_4arch9wavefront6targetE0EEEvT1_.kd
    .uniform_work_group_size: 1
    .uses_dynamic_stack: false
    .vgpr_count:     0
    .vgpr_spill_count: 0
    .wavefront_size: 32
    .workgroup_processor_mode: 1
  - .args:
      - .offset:         0
        .size:           136
        .value_kind:     by_value
    .group_segment_fixed_size: 0
    .kernarg_segment_align: 8
    .kernarg_segment_size: 136
    .language:       OpenCL C
    .language_version:
      - 2
      - 0
    .max_flat_workgroup_size: 256
    .name:           _ZN7rocprim17ROCPRIM_400000_NS6detail17trampoline_kernelINS0_14default_configENS1_25partition_config_selectorILNS1_17partition_subalgoE9ExjbEEZZNS1_14partition_implILS5_9ELb0ES3_jN6thrust23THRUST_200600_302600_NS6detail15normal_iteratorINS9_10device_ptrIxEEEENSB_INSC_IjEEEEPNS0_10empty_typeENS0_5tupleIJNS9_16discard_iteratorINS9_11use_defaultEEESH_EEENSJ_IJSG_SI_EEENS0_18inequality_wrapperINS9_8equal_toIxEEEEPmJSH_EEE10hipError_tPvRmT3_T4_T5_T6_T7_T9_mT8_P12ihipStream_tbDpT10_ENKUlT_T0_E_clISt17integral_constantIbLb1EES1D_EEDaS18_S19_EUlS18_E_NS1_11comp_targetILNS1_3genE2ELNS1_11target_archE906ELNS1_3gpuE6ELNS1_3repE0EEENS1_30default_config_static_selectorELNS0_4arch9wavefront6targetE0EEEvT1_
    .private_segment_fixed_size: 0
    .sgpr_count:     0
    .sgpr_spill_count: 0
    .symbol:         _ZN7rocprim17ROCPRIM_400000_NS6detail17trampoline_kernelINS0_14default_configENS1_25partition_config_selectorILNS1_17partition_subalgoE9ExjbEEZZNS1_14partition_implILS5_9ELb0ES3_jN6thrust23THRUST_200600_302600_NS6detail15normal_iteratorINS9_10device_ptrIxEEEENSB_INSC_IjEEEEPNS0_10empty_typeENS0_5tupleIJNS9_16discard_iteratorINS9_11use_defaultEEESH_EEENSJ_IJSG_SI_EEENS0_18inequality_wrapperINS9_8equal_toIxEEEEPmJSH_EEE10hipError_tPvRmT3_T4_T5_T6_T7_T9_mT8_P12ihipStream_tbDpT10_ENKUlT_T0_E_clISt17integral_constantIbLb1EES1D_EEDaS18_S19_EUlS18_E_NS1_11comp_targetILNS1_3genE2ELNS1_11target_archE906ELNS1_3gpuE6ELNS1_3repE0EEENS1_30default_config_static_selectorELNS0_4arch9wavefront6targetE0EEEvT1_.kd
    .uniform_work_group_size: 1
    .uses_dynamic_stack: false
    .vgpr_count:     0
    .vgpr_spill_count: 0
    .wavefront_size: 32
    .workgroup_processor_mode: 1
  - .args:
      - .offset:         0
        .size:           136
        .value_kind:     by_value
    .group_segment_fixed_size: 0
    .kernarg_segment_align: 8
    .kernarg_segment_size: 136
    .language:       OpenCL C
    .language_version:
      - 2
      - 0
    .max_flat_workgroup_size: 384
    .name:           _ZN7rocprim17ROCPRIM_400000_NS6detail17trampoline_kernelINS0_14default_configENS1_25partition_config_selectorILNS1_17partition_subalgoE9ExjbEEZZNS1_14partition_implILS5_9ELb0ES3_jN6thrust23THRUST_200600_302600_NS6detail15normal_iteratorINS9_10device_ptrIxEEEENSB_INSC_IjEEEEPNS0_10empty_typeENS0_5tupleIJNS9_16discard_iteratorINS9_11use_defaultEEESH_EEENSJ_IJSG_SI_EEENS0_18inequality_wrapperINS9_8equal_toIxEEEEPmJSH_EEE10hipError_tPvRmT3_T4_T5_T6_T7_T9_mT8_P12ihipStream_tbDpT10_ENKUlT_T0_E_clISt17integral_constantIbLb1EES1D_EEDaS18_S19_EUlS18_E_NS1_11comp_targetILNS1_3genE10ELNS1_11target_archE1200ELNS1_3gpuE4ELNS1_3repE0EEENS1_30default_config_static_selectorELNS0_4arch9wavefront6targetE0EEEvT1_
    .private_segment_fixed_size: 0
    .sgpr_count:     0
    .sgpr_spill_count: 0
    .symbol:         _ZN7rocprim17ROCPRIM_400000_NS6detail17trampoline_kernelINS0_14default_configENS1_25partition_config_selectorILNS1_17partition_subalgoE9ExjbEEZZNS1_14partition_implILS5_9ELb0ES3_jN6thrust23THRUST_200600_302600_NS6detail15normal_iteratorINS9_10device_ptrIxEEEENSB_INSC_IjEEEEPNS0_10empty_typeENS0_5tupleIJNS9_16discard_iteratorINS9_11use_defaultEEESH_EEENSJ_IJSG_SI_EEENS0_18inequality_wrapperINS9_8equal_toIxEEEEPmJSH_EEE10hipError_tPvRmT3_T4_T5_T6_T7_T9_mT8_P12ihipStream_tbDpT10_ENKUlT_T0_E_clISt17integral_constantIbLb1EES1D_EEDaS18_S19_EUlS18_E_NS1_11comp_targetILNS1_3genE10ELNS1_11target_archE1200ELNS1_3gpuE4ELNS1_3repE0EEENS1_30default_config_static_selectorELNS0_4arch9wavefront6targetE0EEEvT1_.kd
    .uniform_work_group_size: 1
    .uses_dynamic_stack: false
    .vgpr_count:     0
    .vgpr_spill_count: 0
    .wavefront_size: 32
    .workgroup_processor_mode: 1
  - .args:
      - .offset:         0
        .size:           136
        .value_kind:     by_value
    .group_segment_fixed_size: 33800
    .kernarg_segment_align: 8
    .kernarg_segment_size: 136
    .language:       OpenCL C
    .language_version:
      - 2
      - 0
    .max_flat_workgroup_size: 512
    .name:           _ZN7rocprim17ROCPRIM_400000_NS6detail17trampoline_kernelINS0_14default_configENS1_25partition_config_selectorILNS1_17partition_subalgoE9ExjbEEZZNS1_14partition_implILS5_9ELb0ES3_jN6thrust23THRUST_200600_302600_NS6detail15normal_iteratorINS9_10device_ptrIxEEEENSB_INSC_IjEEEEPNS0_10empty_typeENS0_5tupleIJNS9_16discard_iteratorINS9_11use_defaultEEESH_EEENSJ_IJSG_SI_EEENS0_18inequality_wrapperINS9_8equal_toIxEEEEPmJSH_EEE10hipError_tPvRmT3_T4_T5_T6_T7_T9_mT8_P12ihipStream_tbDpT10_ENKUlT_T0_E_clISt17integral_constantIbLb1EES1D_EEDaS18_S19_EUlS18_E_NS1_11comp_targetILNS1_3genE9ELNS1_11target_archE1100ELNS1_3gpuE3ELNS1_3repE0EEENS1_30default_config_static_selectorELNS0_4arch9wavefront6targetE0EEEvT1_
    .private_segment_fixed_size: 0
    .sgpr_count:     28
    .sgpr_spill_count: 0
    .symbol:         _ZN7rocprim17ROCPRIM_400000_NS6detail17trampoline_kernelINS0_14default_configENS1_25partition_config_selectorILNS1_17partition_subalgoE9ExjbEEZZNS1_14partition_implILS5_9ELb0ES3_jN6thrust23THRUST_200600_302600_NS6detail15normal_iteratorINS9_10device_ptrIxEEEENSB_INSC_IjEEEEPNS0_10empty_typeENS0_5tupleIJNS9_16discard_iteratorINS9_11use_defaultEEESH_EEENSJ_IJSG_SI_EEENS0_18inequality_wrapperINS9_8equal_toIxEEEEPmJSH_EEE10hipError_tPvRmT3_T4_T5_T6_T7_T9_mT8_P12ihipStream_tbDpT10_ENKUlT_T0_E_clISt17integral_constantIbLb1EES1D_EEDaS18_S19_EUlS18_E_NS1_11comp_targetILNS1_3genE9ELNS1_11target_archE1100ELNS1_3gpuE3ELNS1_3repE0EEENS1_30default_config_static_selectorELNS0_4arch9wavefront6targetE0EEEvT1_.kd
    .uniform_work_group_size: 1
    .uses_dynamic_stack: false
    .vgpr_count:     61
    .vgpr_spill_count: 0
    .wavefront_size: 32
    .workgroup_processor_mode: 1
  - .args:
      - .offset:         0
        .size:           136
        .value_kind:     by_value
    .group_segment_fixed_size: 0
    .kernarg_segment_align: 8
    .kernarg_segment_size: 136
    .language:       OpenCL C
    .language_version:
      - 2
      - 0
    .max_flat_workgroup_size: 512
    .name:           _ZN7rocprim17ROCPRIM_400000_NS6detail17trampoline_kernelINS0_14default_configENS1_25partition_config_selectorILNS1_17partition_subalgoE9ExjbEEZZNS1_14partition_implILS5_9ELb0ES3_jN6thrust23THRUST_200600_302600_NS6detail15normal_iteratorINS9_10device_ptrIxEEEENSB_INSC_IjEEEEPNS0_10empty_typeENS0_5tupleIJNS9_16discard_iteratorINS9_11use_defaultEEESH_EEENSJ_IJSG_SI_EEENS0_18inequality_wrapperINS9_8equal_toIxEEEEPmJSH_EEE10hipError_tPvRmT3_T4_T5_T6_T7_T9_mT8_P12ihipStream_tbDpT10_ENKUlT_T0_E_clISt17integral_constantIbLb1EES1D_EEDaS18_S19_EUlS18_E_NS1_11comp_targetILNS1_3genE8ELNS1_11target_archE1030ELNS1_3gpuE2ELNS1_3repE0EEENS1_30default_config_static_selectorELNS0_4arch9wavefront6targetE0EEEvT1_
    .private_segment_fixed_size: 0
    .sgpr_count:     0
    .sgpr_spill_count: 0
    .symbol:         _ZN7rocprim17ROCPRIM_400000_NS6detail17trampoline_kernelINS0_14default_configENS1_25partition_config_selectorILNS1_17partition_subalgoE9ExjbEEZZNS1_14partition_implILS5_9ELb0ES3_jN6thrust23THRUST_200600_302600_NS6detail15normal_iteratorINS9_10device_ptrIxEEEENSB_INSC_IjEEEEPNS0_10empty_typeENS0_5tupleIJNS9_16discard_iteratorINS9_11use_defaultEEESH_EEENSJ_IJSG_SI_EEENS0_18inequality_wrapperINS9_8equal_toIxEEEEPmJSH_EEE10hipError_tPvRmT3_T4_T5_T6_T7_T9_mT8_P12ihipStream_tbDpT10_ENKUlT_T0_E_clISt17integral_constantIbLb1EES1D_EEDaS18_S19_EUlS18_E_NS1_11comp_targetILNS1_3genE8ELNS1_11target_archE1030ELNS1_3gpuE2ELNS1_3repE0EEENS1_30default_config_static_selectorELNS0_4arch9wavefront6targetE0EEEvT1_.kd
    .uniform_work_group_size: 1
    .uses_dynamic_stack: false
    .vgpr_count:     0
    .vgpr_spill_count: 0
    .wavefront_size: 32
    .workgroup_processor_mode: 1
  - .args:
      - .offset:         0
        .size:           120
        .value_kind:     by_value
    .group_segment_fixed_size: 0
    .kernarg_segment_align: 8
    .kernarg_segment_size: 120
    .language:       OpenCL C
    .language_version:
      - 2
      - 0
    .max_flat_workgroup_size: 128
    .name:           _ZN7rocprim17ROCPRIM_400000_NS6detail17trampoline_kernelINS0_14default_configENS1_25partition_config_selectorILNS1_17partition_subalgoE9ExjbEEZZNS1_14partition_implILS5_9ELb0ES3_jN6thrust23THRUST_200600_302600_NS6detail15normal_iteratorINS9_10device_ptrIxEEEENSB_INSC_IjEEEEPNS0_10empty_typeENS0_5tupleIJNS9_16discard_iteratorINS9_11use_defaultEEESH_EEENSJ_IJSG_SI_EEENS0_18inequality_wrapperINS9_8equal_toIxEEEEPmJSH_EEE10hipError_tPvRmT3_T4_T5_T6_T7_T9_mT8_P12ihipStream_tbDpT10_ENKUlT_T0_E_clISt17integral_constantIbLb1EES1C_IbLb0EEEEDaS18_S19_EUlS18_E_NS1_11comp_targetILNS1_3genE0ELNS1_11target_archE4294967295ELNS1_3gpuE0ELNS1_3repE0EEENS1_30default_config_static_selectorELNS0_4arch9wavefront6targetE0EEEvT1_
    .private_segment_fixed_size: 0
    .sgpr_count:     0
    .sgpr_spill_count: 0
    .symbol:         _ZN7rocprim17ROCPRIM_400000_NS6detail17trampoline_kernelINS0_14default_configENS1_25partition_config_selectorILNS1_17partition_subalgoE9ExjbEEZZNS1_14partition_implILS5_9ELb0ES3_jN6thrust23THRUST_200600_302600_NS6detail15normal_iteratorINS9_10device_ptrIxEEEENSB_INSC_IjEEEEPNS0_10empty_typeENS0_5tupleIJNS9_16discard_iteratorINS9_11use_defaultEEESH_EEENSJ_IJSG_SI_EEENS0_18inequality_wrapperINS9_8equal_toIxEEEEPmJSH_EEE10hipError_tPvRmT3_T4_T5_T6_T7_T9_mT8_P12ihipStream_tbDpT10_ENKUlT_T0_E_clISt17integral_constantIbLb1EES1C_IbLb0EEEEDaS18_S19_EUlS18_E_NS1_11comp_targetILNS1_3genE0ELNS1_11target_archE4294967295ELNS1_3gpuE0ELNS1_3repE0EEENS1_30default_config_static_selectorELNS0_4arch9wavefront6targetE0EEEvT1_.kd
    .uniform_work_group_size: 1
    .uses_dynamic_stack: false
    .vgpr_count:     0
    .vgpr_spill_count: 0
    .wavefront_size: 32
    .workgroup_processor_mode: 1
  - .args:
      - .offset:         0
        .size:           120
        .value_kind:     by_value
    .group_segment_fixed_size: 0
    .kernarg_segment_align: 8
    .kernarg_segment_size: 120
    .language:       OpenCL C
    .language_version:
      - 2
      - 0
    .max_flat_workgroup_size: 512
    .name:           _ZN7rocprim17ROCPRIM_400000_NS6detail17trampoline_kernelINS0_14default_configENS1_25partition_config_selectorILNS1_17partition_subalgoE9ExjbEEZZNS1_14partition_implILS5_9ELb0ES3_jN6thrust23THRUST_200600_302600_NS6detail15normal_iteratorINS9_10device_ptrIxEEEENSB_INSC_IjEEEEPNS0_10empty_typeENS0_5tupleIJNS9_16discard_iteratorINS9_11use_defaultEEESH_EEENSJ_IJSG_SI_EEENS0_18inequality_wrapperINS9_8equal_toIxEEEEPmJSH_EEE10hipError_tPvRmT3_T4_T5_T6_T7_T9_mT8_P12ihipStream_tbDpT10_ENKUlT_T0_E_clISt17integral_constantIbLb1EES1C_IbLb0EEEEDaS18_S19_EUlS18_E_NS1_11comp_targetILNS1_3genE5ELNS1_11target_archE942ELNS1_3gpuE9ELNS1_3repE0EEENS1_30default_config_static_selectorELNS0_4arch9wavefront6targetE0EEEvT1_
    .private_segment_fixed_size: 0
    .sgpr_count:     0
    .sgpr_spill_count: 0
    .symbol:         _ZN7rocprim17ROCPRIM_400000_NS6detail17trampoline_kernelINS0_14default_configENS1_25partition_config_selectorILNS1_17partition_subalgoE9ExjbEEZZNS1_14partition_implILS5_9ELb0ES3_jN6thrust23THRUST_200600_302600_NS6detail15normal_iteratorINS9_10device_ptrIxEEEENSB_INSC_IjEEEEPNS0_10empty_typeENS0_5tupleIJNS9_16discard_iteratorINS9_11use_defaultEEESH_EEENSJ_IJSG_SI_EEENS0_18inequality_wrapperINS9_8equal_toIxEEEEPmJSH_EEE10hipError_tPvRmT3_T4_T5_T6_T7_T9_mT8_P12ihipStream_tbDpT10_ENKUlT_T0_E_clISt17integral_constantIbLb1EES1C_IbLb0EEEEDaS18_S19_EUlS18_E_NS1_11comp_targetILNS1_3genE5ELNS1_11target_archE942ELNS1_3gpuE9ELNS1_3repE0EEENS1_30default_config_static_selectorELNS0_4arch9wavefront6targetE0EEEvT1_.kd
    .uniform_work_group_size: 1
    .uses_dynamic_stack: false
    .vgpr_count:     0
    .vgpr_spill_count: 0
    .wavefront_size: 32
    .workgroup_processor_mode: 1
  - .args:
      - .offset:         0
        .size:           120
        .value_kind:     by_value
    .group_segment_fixed_size: 0
    .kernarg_segment_align: 8
    .kernarg_segment_size: 120
    .language:       OpenCL C
    .language_version:
      - 2
      - 0
    .max_flat_workgroup_size: 192
    .name:           _ZN7rocprim17ROCPRIM_400000_NS6detail17trampoline_kernelINS0_14default_configENS1_25partition_config_selectorILNS1_17partition_subalgoE9ExjbEEZZNS1_14partition_implILS5_9ELb0ES3_jN6thrust23THRUST_200600_302600_NS6detail15normal_iteratorINS9_10device_ptrIxEEEENSB_INSC_IjEEEEPNS0_10empty_typeENS0_5tupleIJNS9_16discard_iteratorINS9_11use_defaultEEESH_EEENSJ_IJSG_SI_EEENS0_18inequality_wrapperINS9_8equal_toIxEEEEPmJSH_EEE10hipError_tPvRmT3_T4_T5_T6_T7_T9_mT8_P12ihipStream_tbDpT10_ENKUlT_T0_E_clISt17integral_constantIbLb1EES1C_IbLb0EEEEDaS18_S19_EUlS18_E_NS1_11comp_targetILNS1_3genE4ELNS1_11target_archE910ELNS1_3gpuE8ELNS1_3repE0EEENS1_30default_config_static_selectorELNS0_4arch9wavefront6targetE0EEEvT1_
    .private_segment_fixed_size: 0
    .sgpr_count:     0
    .sgpr_spill_count: 0
    .symbol:         _ZN7rocprim17ROCPRIM_400000_NS6detail17trampoline_kernelINS0_14default_configENS1_25partition_config_selectorILNS1_17partition_subalgoE9ExjbEEZZNS1_14partition_implILS5_9ELb0ES3_jN6thrust23THRUST_200600_302600_NS6detail15normal_iteratorINS9_10device_ptrIxEEEENSB_INSC_IjEEEEPNS0_10empty_typeENS0_5tupleIJNS9_16discard_iteratorINS9_11use_defaultEEESH_EEENSJ_IJSG_SI_EEENS0_18inequality_wrapperINS9_8equal_toIxEEEEPmJSH_EEE10hipError_tPvRmT3_T4_T5_T6_T7_T9_mT8_P12ihipStream_tbDpT10_ENKUlT_T0_E_clISt17integral_constantIbLb1EES1C_IbLb0EEEEDaS18_S19_EUlS18_E_NS1_11comp_targetILNS1_3genE4ELNS1_11target_archE910ELNS1_3gpuE8ELNS1_3repE0EEENS1_30default_config_static_selectorELNS0_4arch9wavefront6targetE0EEEvT1_.kd
    .uniform_work_group_size: 1
    .uses_dynamic_stack: false
    .vgpr_count:     0
    .vgpr_spill_count: 0
    .wavefront_size: 32
    .workgroup_processor_mode: 1
  - .args:
      - .offset:         0
        .size:           120
        .value_kind:     by_value
    .group_segment_fixed_size: 0
    .kernarg_segment_align: 8
    .kernarg_segment_size: 120
    .language:       OpenCL C
    .language_version:
      - 2
      - 0
    .max_flat_workgroup_size: 128
    .name:           _ZN7rocprim17ROCPRIM_400000_NS6detail17trampoline_kernelINS0_14default_configENS1_25partition_config_selectorILNS1_17partition_subalgoE9ExjbEEZZNS1_14partition_implILS5_9ELb0ES3_jN6thrust23THRUST_200600_302600_NS6detail15normal_iteratorINS9_10device_ptrIxEEEENSB_INSC_IjEEEEPNS0_10empty_typeENS0_5tupleIJNS9_16discard_iteratorINS9_11use_defaultEEESH_EEENSJ_IJSG_SI_EEENS0_18inequality_wrapperINS9_8equal_toIxEEEEPmJSH_EEE10hipError_tPvRmT3_T4_T5_T6_T7_T9_mT8_P12ihipStream_tbDpT10_ENKUlT_T0_E_clISt17integral_constantIbLb1EES1C_IbLb0EEEEDaS18_S19_EUlS18_E_NS1_11comp_targetILNS1_3genE3ELNS1_11target_archE908ELNS1_3gpuE7ELNS1_3repE0EEENS1_30default_config_static_selectorELNS0_4arch9wavefront6targetE0EEEvT1_
    .private_segment_fixed_size: 0
    .sgpr_count:     0
    .sgpr_spill_count: 0
    .symbol:         _ZN7rocprim17ROCPRIM_400000_NS6detail17trampoline_kernelINS0_14default_configENS1_25partition_config_selectorILNS1_17partition_subalgoE9ExjbEEZZNS1_14partition_implILS5_9ELb0ES3_jN6thrust23THRUST_200600_302600_NS6detail15normal_iteratorINS9_10device_ptrIxEEEENSB_INSC_IjEEEEPNS0_10empty_typeENS0_5tupleIJNS9_16discard_iteratorINS9_11use_defaultEEESH_EEENSJ_IJSG_SI_EEENS0_18inequality_wrapperINS9_8equal_toIxEEEEPmJSH_EEE10hipError_tPvRmT3_T4_T5_T6_T7_T9_mT8_P12ihipStream_tbDpT10_ENKUlT_T0_E_clISt17integral_constantIbLb1EES1C_IbLb0EEEEDaS18_S19_EUlS18_E_NS1_11comp_targetILNS1_3genE3ELNS1_11target_archE908ELNS1_3gpuE7ELNS1_3repE0EEENS1_30default_config_static_selectorELNS0_4arch9wavefront6targetE0EEEvT1_.kd
    .uniform_work_group_size: 1
    .uses_dynamic_stack: false
    .vgpr_count:     0
    .vgpr_spill_count: 0
    .wavefront_size: 32
    .workgroup_processor_mode: 1
  - .args:
      - .offset:         0
        .size:           120
        .value_kind:     by_value
    .group_segment_fixed_size: 0
    .kernarg_segment_align: 8
    .kernarg_segment_size: 120
    .language:       OpenCL C
    .language_version:
      - 2
      - 0
    .max_flat_workgroup_size: 256
    .name:           _ZN7rocprim17ROCPRIM_400000_NS6detail17trampoline_kernelINS0_14default_configENS1_25partition_config_selectorILNS1_17partition_subalgoE9ExjbEEZZNS1_14partition_implILS5_9ELb0ES3_jN6thrust23THRUST_200600_302600_NS6detail15normal_iteratorINS9_10device_ptrIxEEEENSB_INSC_IjEEEEPNS0_10empty_typeENS0_5tupleIJNS9_16discard_iteratorINS9_11use_defaultEEESH_EEENSJ_IJSG_SI_EEENS0_18inequality_wrapperINS9_8equal_toIxEEEEPmJSH_EEE10hipError_tPvRmT3_T4_T5_T6_T7_T9_mT8_P12ihipStream_tbDpT10_ENKUlT_T0_E_clISt17integral_constantIbLb1EES1C_IbLb0EEEEDaS18_S19_EUlS18_E_NS1_11comp_targetILNS1_3genE2ELNS1_11target_archE906ELNS1_3gpuE6ELNS1_3repE0EEENS1_30default_config_static_selectorELNS0_4arch9wavefront6targetE0EEEvT1_
    .private_segment_fixed_size: 0
    .sgpr_count:     0
    .sgpr_spill_count: 0
    .symbol:         _ZN7rocprim17ROCPRIM_400000_NS6detail17trampoline_kernelINS0_14default_configENS1_25partition_config_selectorILNS1_17partition_subalgoE9ExjbEEZZNS1_14partition_implILS5_9ELb0ES3_jN6thrust23THRUST_200600_302600_NS6detail15normal_iteratorINS9_10device_ptrIxEEEENSB_INSC_IjEEEEPNS0_10empty_typeENS0_5tupleIJNS9_16discard_iteratorINS9_11use_defaultEEESH_EEENSJ_IJSG_SI_EEENS0_18inequality_wrapperINS9_8equal_toIxEEEEPmJSH_EEE10hipError_tPvRmT3_T4_T5_T6_T7_T9_mT8_P12ihipStream_tbDpT10_ENKUlT_T0_E_clISt17integral_constantIbLb1EES1C_IbLb0EEEEDaS18_S19_EUlS18_E_NS1_11comp_targetILNS1_3genE2ELNS1_11target_archE906ELNS1_3gpuE6ELNS1_3repE0EEENS1_30default_config_static_selectorELNS0_4arch9wavefront6targetE0EEEvT1_.kd
    .uniform_work_group_size: 1
    .uses_dynamic_stack: false
    .vgpr_count:     0
    .vgpr_spill_count: 0
    .wavefront_size: 32
    .workgroup_processor_mode: 1
  - .args:
      - .offset:         0
        .size:           120
        .value_kind:     by_value
    .group_segment_fixed_size: 0
    .kernarg_segment_align: 8
    .kernarg_segment_size: 120
    .language:       OpenCL C
    .language_version:
      - 2
      - 0
    .max_flat_workgroup_size: 384
    .name:           _ZN7rocprim17ROCPRIM_400000_NS6detail17trampoline_kernelINS0_14default_configENS1_25partition_config_selectorILNS1_17partition_subalgoE9ExjbEEZZNS1_14partition_implILS5_9ELb0ES3_jN6thrust23THRUST_200600_302600_NS6detail15normal_iteratorINS9_10device_ptrIxEEEENSB_INSC_IjEEEEPNS0_10empty_typeENS0_5tupleIJNS9_16discard_iteratorINS9_11use_defaultEEESH_EEENSJ_IJSG_SI_EEENS0_18inequality_wrapperINS9_8equal_toIxEEEEPmJSH_EEE10hipError_tPvRmT3_T4_T5_T6_T7_T9_mT8_P12ihipStream_tbDpT10_ENKUlT_T0_E_clISt17integral_constantIbLb1EES1C_IbLb0EEEEDaS18_S19_EUlS18_E_NS1_11comp_targetILNS1_3genE10ELNS1_11target_archE1200ELNS1_3gpuE4ELNS1_3repE0EEENS1_30default_config_static_selectorELNS0_4arch9wavefront6targetE0EEEvT1_
    .private_segment_fixed_size: 0
    .sgpr_count:     0
    .sgpr_spill_count: 0
    .symbol:         _ZN7rocprim17ROCPRIM_400000_NS6detail17trampoline_kernelINS0_14default_configENS1_25partition_config_selectorILNS1_17partition_subalgoE9ExjbEEZZNS1_14partition_implILS5_9ELb0ES3_jN6thrust23THRUST_200600_302600_NS6detail15normal_iteratorINS9_10device_ptrIxEEEENSB_INSC_IjEEEEPNS0_10empty_typeENS0_5tupleIJNS9_16discard_iteratorINS9_11use_defaultEEESH_EEENSJ_IJSG_SI_EEENS0_18inequality_wrapperINS9_8equal_toIxEEEEPmJSH_EEE10hipError_tPvRmT3_T4_T5_T6_T7_T9_mT8_P12ihipStream_tbDpT10_ENKUlT_T0_E_clISt17integral_constantIbLb1EES1C_IbLb0EEEEDaS18_S19_EUlS18_E_NS1_11comp_targetILNS1_3genE10ELNS1_11target_archE1200ELNS1_3gpuE4ELNS1_3repE0EEENS1_30default_config_static_selectorELNS0_4arch9wavefront6targetE0EEEvT1_.kd
    .uniform_work_group_size: 1
    .uses_dynamic_stack: false
    .vgpr_count:     0
    .vgpr_spill_count: 0
    .wavefront_size: 32
    .workgroup_processor_mode: 1
  - .args:
      - .offset:         0
        .size:           120
        .value_kind:     by_value
    .group_segment_fixed_size: 33800
    .kernarg_segment_align: 8
    .kernarg_segment_size: 120
    .language:       OpenCL C
    .language_version:
      - 2
      - 0
    .max_flat_workgroup_size: 512
    .name:           _ZN7rocprim17ROCPRIM_400000_NS6detail17trampoline_kernelINS0_14default_configENS1_25partition_config_selectorILNS1_17partition_subalgoE9ExjbEEZZNS1_14partition_implILS5_9ELb0ES3_jN6thrust23THRUST_200600_302600_NS6detail15normal_iteratorINS9_10device_ptrIxEEEENSB_INSC_IjEEEEPNS0_10empty_typeENS0_5tupleIJNS9_16discard_iteratorINS9_11use_defaultEEESH_EEENSJ_IJSG_SI_EEENS0_18inequality_wrapperINS9_8equal_toIxEEEEPmJSH_EEE10hipError_tPvRmT3_T4_T5_T6_T7_T9_mT8_P12ihipStream_tbDpT10_ENKUlT_T0_E_clISt17integral_constantIbLb1EES1C_IbLb0EEEEDaS18_S19_EUlS18_E_NS1_11comp_targetILNS1_3genE9ELNS1_11target_archE1100ELNS1_3gpuE3ELNS1_3repE0EEENS1_30default_config_static_selectorELNS0_4arch9wavefront6targetE0EEEvT1_
    .private_segment_fixed_size: 0
    .sgpr_count:     26
    .sgpr_spill_count: 0
    .symbol:         _ZN7rocprim17ROCPRIM_400000_NS6detail17trampoline_kernelINS0_14default_configENS1_25partition_config_selectorILNS1_17partition_subalgoE9ExjbEEZZNS1_14partition_implILS5_9ELb0ES3_jN6thrust23THRUST_200600_302600_NS6detail15normal_iteratorINS9_10device_ptrIxEEEENSB_INSC_IjEEEEPNS0_10empty_typeENS0_5tupleIJNS9_16discard_iteratorINS9_11use_defaultEEESH_EEENSJ_IJSG_SI_EEENS0_18inequality_wrapperINS9_8equal_toIxEEEEPmJSH_EEE10hipError_tPvRmT3_T4_T5_T6_T7_T9_mT8_P12ihipStream_tbDpT10_ENKUlT_T0_E_clISt17integral_constantIbLb1EES1C_IbLb0EEEEDaS18_S19_EUlS18_E_NS1_11comp_targetILNS1_3genE9ELNS1_11target_archE1100ELNS1_3gpuE3ELNS1_3repE0EEENS1_30default_config_static_selectorELNS0_4arch9wavefront6targetE0EEEvT1_.kd
    .uniform_work_group_size: 1
    .uses_dynamic_stack: false
    .vgpr_count:     59
    .vgpr_spill_count: 0
    .wavefront_size: 32
    .workgroup_processor_mode: 1
  - .args:
      - .offset:         0
        .size:           120
        .value_kind:     by_value
    .group_segment_fixed_size: 0
    .kernarg_segment_align: 8
    .kernarg_segment_size: 120
    .language:       OpenCL C
    .language_version:
      - 2
      - 0
    .max_flat_workgroup_size: 512
    .name:           _ZN7rocprim17ROCPRIM_400000_NS6detail17trampoline_kernelINS0_14default_configENS1_25partition_config_selectorILNS1_17partition_subalgoE9ExjbEEZZNS1_14partition_implILS5_9ELb0ES3_jN6thrust23THRUST_200600_302600_NS6detail15normal_iteratorINS9_10device_ptrIxEEEENSB_INSC_IjEEEEPNS0_10empty_typeENS0_5tupleIJNS9_16discard_iteratorINS9_11use_defaultEEESH_EEENSJ_IJSG_SI_EEENS0_18inequality_wrapperINS9_8equal_toIxEEEEPmJSH_EEE10hipError_tPvRmT3_T4_T5_T6_T7_T9_mT8_P12ihipStream_tbDpT10_ENKUlT_T0_E_clISt17integral_constantIbLb1EES1C_IbLb0EEEEDaS18_S19_EUlS18_E_NS1_11comp_targetILNS1_3genE8ELNS1_11target_archE1030ELNS1_3gpuE2ELNS1_3repE0EEENS1_30default_config_static_selectorELNS0_4arch9wavefront6targetE0EEEvT1_
    .private_segment_fixed_size: 0
    .sgpr_count:     0
    .sgpr_spill_count: 0
    .symbol:         _ZN7rocprim17ROCPRIM_400000_NS6detail17trampoline_kernelINS0_14default_configENS1_25partition_config_selectorILNS1_17partition_subalgoE9ExjbEEZZNS1_14partition_implILS5_9ELb0ES3_jN6thrust23THRUST_200600_302600_NS6detail15normal_iteratorINS9_10device_ptrIxEEEENSB_INSC_IjEEEEPNS0_10empty_typeENS0_5tupleIJNS9_16discard_iteratorINS9_11use_defaultEEESH_EEENSJ_IJSG_SI_EEENS0_18inequality_wrapperINS9_8equal_toIxEEEEPmJSH_EEE10hipError_tPvRmT3_T4_T5_T6_T7_T9_mT8_P12ihipStream_tbDpT10_ENKUlT_T0_E_clISt17integral_constantIbLb1EES1C_IbLb0EEEEDaS18_S19_EUlS18_E_NS1_11comp_targetILNS1_3genE8ELNS1_11target_archE1030ELNS1_3gpuE2ELNS1_3repE0EEENS1_30default_config_static_selectorELNS0_4arch9wavefront6targetE0EEEvT1_.kd
    .uniform_work_group_size: 1
    .uses_dynamic_stack: false
    .vgpr_count:     0
    .vgpr_spill_count: 0
    .wavefront_size: 32
    .workgroup_processor_mode: 1
  - .args:
      - .offset:         0
        .size:           136
        .value_kind:     by_value
    .group_segment_fixed_size: 0
    .kernarg_segment_align: 8
    .kernarg_segment_size: 136
    .language:       OpenCL C
    .language_version:
      - 2
      - 0
    .max_flat_workgroup_size: 128
    .name:           _ZN7rocprim17ROCPRIM_400000_NS6detail17trampoline_kernelINS0_14default_configENS1_25partition_config_selectorILNS1_17partition_subalgoE9ExjbEEZZNS1_14partition_implILS5_9ELb0ES3_jN6thrust23THRUST_200600_302600_NS6detail15normal_iteratorINS9_10device_ptrIxEEEENSB_INSC_IjEEEEPNS0_10empty_typeENS0_5tupleIJNS9_16discard_iteratorINS9_11use_defaultEEESH_EEENSJ_IJSG_SI_EEENS0_18inequality_wrapperINS9_8equal_toIxEEEEPmJSH_EEE10hipError_tPvRmT3_T4_T5_T6_T7_T9_mT8_P12ihipStream_tbDpT10_ENKUlT_T0_E_clISt17integral_constantIbLb0EES1C_IbLb1EEEEDaS18_S19_EUlS18_E_NS1_11comp_targetILNS1_3genE0ELNS1_11target_archE4294967295ELNS1_3gpuE0ELNS1_3repE0EEENS1_30default_config_static_selectorELNS0_4arch9wavefront6targetE0EEEvT1_
    .private_segment_fixed_size: 0
    .sgpr_count:     0
    .sgpr_spill_count: 0
    .symbol:         _ZN7rocprim17ROCPRIM_400000_NS6detail17trampoline_kernelINS0_14default_configENS1_25partition_config_selectorILNS1_17partition_subalgoE9ExjbEEZZNS1_14partition_implILS5_9ELb0ES3_jN6thrust23THRUST_200600_302600_NS6detail15normal_iteratorINS9_10device_ptrIxEEEENSB_INSC_IjEEEEPNS0_10empty_typeENS0_5tupleIJNS9_16discard_iteratorINS9_11use_defaultEEESH_EEENSJ_IJSG_SI_EEENS0_18inequality_wrapperINS9_8equal_toIxEEEEPmJSH_EEE10hipError_tPvRmT3_T4_T5_T6_T7_T9_mT8_P12ihipStream_tbDpT10_ENKUlT_T0_E_clISt17integral_constantIbLb0EES1C_IbLb1EEEEDaS18_S19_EUlS18_E_NS1_11comp_targetILNS1_3genE0ELNS1_11target_archE4294967295ELNS1_3gpuE0ELNS1_3repE0EEENS1_30default_config_static_selectorELNS0_4arch9wavefront6targetE0EEEvT1_.kd
    .uniform_work_group_size: 1
    .uses_dynamic_stack: false
    .vgpr_count:     0
    .vgpr_spill_count: 0
    .wavefront_size: 32
    .workgroup_processor_mode: 1
  - .args:
      - .offset:         0
        .size:           136
        .value_kind:     by_value
    .group_segment_fixed_size: 0
    .kernarg_segment_align: 8
    .kernarg_segment_size: 136
    .language:       OpenCL C
    .language_version:
      - 2
      - 0
    .max_flat_workgroup_size: 512
    .name:           _ZN7rocprim17ROCPRIM_400000_NS6detail17trampoline_kernelINS0_14default_configENS1_25partition_config_selectorILNS1_17partition_subalgoE9ExjbEEZZNS1_14partition_implILS5_9ELb0ES3_jN6thrust23THRUST_200600_302600_NS6detail15normal_iteratorINS9_10device_ptrIxEEEENSB_INSC_IjEEEEPNS0_10empty_typeENS0_5tupleIJNS9_16discard_iteratorINS9_11use_defaultEEESH_EEENSJ_IJSG_SI_EEENS0_18inequality_wrapperINS9_8equal_toIxEEEEPmJSH_EEE10hipError_tPvRmT3_T4_T5_T6_T7_T9_mT8_P12ihipStream_tbDpT10_ENKUlT_T0_E_clISt17integral_constantIbLb0EES1C_IbLb1EEEEDaS18_S19_EUlS18_E_NS1_11comp_targetILNS1_3genE5ELNS1_11target_archE942ELNS1_3gpuE9ELNS1_3repE0EEENS1_30default_config_static_selectorELNS0_4arch9wavefront6targetE0EEEvT1_
    .private_segment_fixed_size: 0
    .sgpr_count:     0
    .sgpr_spill_count: 0
    .symbol:         _ZN7rocprim17ROCPRIM_400000_NS6detail17trampoline_kernelINS0_14default_configENS1_25partition_config_selectorILNS1_17partition_subalgoE9ExjbEEZZNS1_14partition_implILS5_9ELb0ES3_jN6thrust23THRUST_200600_302600_NS6detail15normal_iteratorINS9_10device_ptrIxEEEENSB_INSC_IjEEEEPNS0_10empty_typeENS0_5tupleIJNS9_16discard_iteratorINS9_11use_defaultEEESH_EEENSJ_IJSG_SI_EEENS0_18inequality_wrapperINS9_8equal_toIxEEEEPmJSH_EEE10hipError_tPvRmT3_T4_T5_T6_T7_T9_mT8_P12ihipStream_tbDpT10_ENKUlT_T0_E_clISt17integral_constantIbLb0EES1C_IbLb1EEEEDaS18_S19_EUlS18_E_NS1_11comp_targetILNS1_3genE5ELNS1_11target_archE942ELNS1_3gpuE9ELNS1_3repE0EEENS1_30default_config_static_selectorELNS0_4arch9wavefront6targetE0EEEvT1_.kd
    .uniform_work_group_size: 1
    .uses_dynamic_stack: false
    .vgpr_count:     0
    .vgpr_spill_count: 0
    .wavefront_size: 32
    .workgroup_processor_mode: 1
  - .args:
      - .offset:         0
        .size:           136
        .value_kind:     by_value
    .group_segment_fixed_size: 0
    .kernarg_segment_align: 8
    .kernarg_segment_size: 136
    .language:       OpenCL C
    .language_version:
      - 2
      - 0
    .max_flat_workgroup_size: 192
    .name:           _ZN7rocprim17ROCPRIM_400000_NS6detail17trampoline_kernelINS0_14default_configENS1_25partition_config_selectorILNS1_17partition_subalgoE9ExjbEEZZNS1_14partition_implILS5_9ELb0ES3_jN6thrust23THRUST_200600_302600_NS6detail15normal_iteratorINS9_10device_ptrIxEEEENSB_INSC_IjEEEEPNS0_10empty_typeENS0_5tupleIJNS9_16discard_iteratorINS9_11use_defaultEEESH_EEENSJ_IJSG_SI_EEENS0_18inequality_wrapperINS9_8equal_toIxEEEEPmJSH_EEE10hipError_tPvRmT3_T4_T5_T6_T7_T9_mT8_P12ihipStream_tbDpT10_ENKUlT_T0_E_clISt17integral_constantIbLb0EES1C_IbLb1EEEEDaS18_S19_EUlS18_E_NS1_11comp_targetILNS1_3genE4ELNS1_11target_archE910ELNS1_3gpuE8ELNS1_3repE0EEENS1_30default_config_static_selectorELNS0_4arch9wavefront6targetE0EEEvT1_
    .private_segment_fixed_size: 0
    .sgpr_count:     0
    .sgpr_spill_count: 0
    .symbol:         _ZN7rocprim17ROCPRIM_400000_NS6detail17trampoline_kernelINS0_14default_configENS1_25partition_config_selectorILNS1_17partition_subalgoE9ExjbEEZZNS1_14partition_implILS5_9ELb0ES3_jN6thrust23THRUST_200600_302600_NS6detail15normal_iteratorINS9_10device_ptrIxEEEENSB_INSC_IjEEEEPNS0_10empty_typeENS0_5tupleIJNS9_16discard_iteratorINS9_11use_defaultEEESH_EEENSJ_IJSG_SI_EEENS0_18inequality_wrapperINS9_8equal_toIxEEEEPmJSH_EEE10hipError_tPvRmT3_T4_T5_T6_T7_T9_mT8_P12ihipStream_tbDpT10_ENKUlT_T0_E_clISt17integral_constantIbLb0EES1C_IbLb1EEEEDaS18_S19_EUlS18_E_NS1_11comp_targetILNS1_3genE4ELNS1_11target_archE910ELNS1_3gpuE8ELNS1_3repE0EEENS1_30default_config_static_selectorELNS0_4arch9wavefront6targetE0EEEvT1_.kd
    .uniform_work_group_size: 1
    .uses_dynamic_stack: false
    .vgpr_count:     0
    .vgpr_spill_count: 0
    .wavefront_size: 32
    .workgroup_processor_mode: 1
  - .args:
      - .offset:         0
        .size:           136
        .value_kind:     by_value
    .group_segment_fixed_size: 0
    .kernarg_segment_align: 8
    .kernarg_segment_size: 136
    .language:       OpenCL C
    .language_version:
      - 2
      - 0
    .max_flat_workgroup_size: 128
    .name:           _ZN7rocprim17ROCPRIM_400000_NS6detail17trampoline_kernelINS0_14default_configENS1_25partition_config_selectorILNS1_17partition_subalgoE9ExjbEEZZNS1_14partition_implILS5_9ELb0ES3_jN6thrust23THRUST_200600_302600_NS6detail15normal_iteratorINS9_10device_ptrIxEEEENSB_INSC_IjEEEEPNS0_10empty_typeENS0_5tupleIJNS9_16discard_iteratorINS9_11use_defaultEEESH_EEENSJ_IJSG_SI_EEENS0_18inequality_wrapperINS9_8equal_toIxEEEEPmJSH_EEE10hipError_tPvRmT3_T4_T5_T6_T7_T9_mT8_P12ihipStream_tbDpT10_ENKUlT_T0_E_clISt17integral_constantIbLb0EES1C_IbLb1EEEEDaS18_S19_EUlS18_E_NS1_11comp_targetILNS1_3genE3ELNS1_11target_archE908ELNS1_3gpuE7ELNS1_3repE0EEENS1_30default_config_static_selectorELNS0_4arch9wavefront6targetE0EEEvT1_
    .private_segment_fixed_size: 0
    .sgpr_count:     0
    .sgpr_spill_count: 0
    .symbol:         _ZN7rocprim17ROCPRIM_400000_NS6detail17trampoline_kernelINS0_14default_configENS1_25partition_config_selectorILNS1_17partition_subalgoE9ExjbEEZZNS1_14partition_implILS5_9ELb0ES3_jN6thrust23THRUST_200600_302600_NS6detail15normal_iteratorINS9_10device_ptrIxEEEENSB_INSC_IjEEEEPNS0_10empty_typeENS0_5tupleIJNS9_16discard_iteratorINS9_11use_defaultEEESH_EEENSJ_IJSG_SI_EEENS0_18inequality_wrapperINS9_8equal_toIxEEEEPmJSH_EEE10hipError_tPvRmT3_T4_T5_T6_T7_T9_mT8_P12ihipStream_tbDpT10_ENKUlT_T0_E_clISt17integral_constantIbLb0EES1C_IbLb1EEEEDaS18_S19_EUlS18_E_NS1_11comp_targetILNS1_3genE3ELNS1_11target_archE908ELNS1_3gpuE7ELNS1_3repE0EEENS1_30default_config_static_selectorELNS0_4arch9wavefront6targetE0EEEvT1_.kd
    .uniform_work_group_size: 1
    .uses_dynamic_stack: false
    .vgpr_count:     0
    .vgpr_spill_count: 0
    .wavefront_size: 32
    .workgroup_processor_mode: 1
  - .args:
      - .offset:         0
        .size:           136
        .value_kind:     by_value
    .group_segment_fixed_size: 0
    .kernarg_segment_align: 8
    .kernarg_segment_size: 136
    .language:       OpenCL C
    .language_version:
      - 2
      - 0
    .max_flat_workgroup_size: 256
    .name:           _ZN7rocprim17ROCPRIM_400000_NS6detail17trampoline_kernelINS0_14default_configENS1_25partition_config_selectorILNS1_17partition_subalgoE9ExjbEEZZNS1_14partition_implILS5_9ELb0ES3_jN6thrust23THRUST_200600_302600_NS6detail15normal_iteratorINS9_10device_ptrIxEEEENSB_INSC_IjEEEEPNS0_10empty_typeENS0_5tupleIJNS9_16discard_iteratorINS9_11use_defaultEEESH_EEENSJ_IJSG_SI_EEENS0_18inequality_wrapperINS9_8equal_toIxEEEEPmJSH_EEE10hipError_tPvRmT3_T4_T5_T6_T7_T9_mT8_P12ihipStream_tbDpT10_ENKUlT_T0_E_clISt17integral_constantIbLb0EES1C_IbLb1EEEEDaS18_S19_EUlS18_E_NS1_11comp_targetILNS1_3genE2ELNS1_11target_archE906ELNS1_3gpuE6ELNS1_3repE0EEENS1_30default_config_static_selectorELNS0_4arch9wavefront6targetE0EEEvT1_
    .private_segment_fixed_size: 0
    .sgpr_count:     0
    .sgpr_spill_count: 0
    .symbol:         _ZN7rocprim17ROCPRIM_400000_NS6detail17trampoline_kernelINS0_14default_configENS1_25partition_config_selectorILNS1_17partition_subalgoE9ExjbEEZZNS1_14partition_implILS5_9ELb0ES3_jN6thrust23THRUST_200600_302600_NS6detail15normal_iteratorINS9_10device_ptrIxEEEENSB_INSC_IjEEEEPNS0_10empty_typeENS0_5tupleIJNS9_16discard_iteratorINS9_11use_defaultEEESH_EEENSJ_IJSG_SI_EEENS0_18inequality_wrapperINS9_8equal_toIxEEEEPmJSH_EEE10hipError_tPvRmT3_T4_T5_T6_T7_T9_mT8_P12ihipStream_tbDpT10_ENKUlT_T0_E_clISt17integral_constantIbLb0EES1C_IbLb1EEEEDaS18_S19_EUlS18_E_NS1_11comp_targetILNS1_3genE2ELNS1_11target_archE906ELNS1_3gpuE6ELNS1_3repE0EEENS1_30default_config_static_selectorELNS0_4arch9wavefront6targetE0EEEvT1_.kd
    .uniform_work_group_size: 1
    .uses_dynamic_stack: false
    .vgpr_count:     0
    .vgpr_spill_count: 0
    .wavefront_size: 32
    .workgroup_processor_mode: 1
  - .args:
      - .offset:         0
        .size:           136
        .value_kind:     by_value
    .group_segment_fixed_size: 0
    .kernarg_segment_align: 8
    .kernarg_segment_size: 136
    .language:       OpenCL C
    .language_version:
      - 2
      - 0
    .max_flat_workgroup_size: 384
    .name:           _ZN7rocprim17ROCPRIM_400000_NS6detail17trampoline_kernelINS0_14default_configENS1_25partition_config_selectorILNS1_17partition_subalgoE9ExjbEEZZNS1_14partition_implILS5_9ELb0ES3_jN6thrust23THRUST_200600_302600_NS6detail15normal_iteratorINS9_10device_ptrIxEEEENSB_INSC_IjEEEEPNS0_10empty_typeENS0_5tupleIJNS9_16discard_iteratorINS9_11use_defaultEEESH_EEENSJ_IJSG_SI_EEENS0_18inequality_wrapperINS9_8equal_toIxEEEEPmJSH_EEE10hipError_tPvRmT3_T4_T5_T6_T7_T9_mT8_P12ihipStream_tbDpT10_ENKUlT_T0_E_clISt17integral_constantIbLb0EES1C_IbLb1EEEEDaS18_S19_EUlS18_E_NS1_11comp_targetILNS1_3genE10ELNS1_11target_archE1200ELNS1_3gpuE4ELNS1_3repE0EEENS1_30default_config_static_selectorELNS0_4arch9wavefront6targetE0EEEvT1_
    .private_segment_fixed_size: 0
    .sgpr_count:     0
    .sgpr_spill_count: 0
    .symbol:         _ZN7rocprim17ROCPRIM_400000_NS6detail17trampoline_kernelINS0_14default_configENS1_25partition_config_selectorILNS1_17partition_subalgoE9ExjbEEZZNS1_14partition_implILS5_9ELb0ES3_jN6thrust23THRUST_200600_302600_NS6detail15normal_iteratorINS9_10device_ptrIxEEEENSB_INSC_IjEEEEPNS0_10empty_typeENS0_5tupleIJNS9_16discard_iteratorINS9_11use_defaultEEESH_EEENSJ_IJSG_SI_EEENS0_18inequality_wrapperINS9_8equal_toIxEEEEPmJSH_EEE10hipError_tPvRmT3_T4_T5_T6_T7_T9_mT8_P12ihipStream_tbDpT10_ENKUlT_T0_E_clISt17integral_constantIbLb0EES1C_IbLb1EEEEDaS18_S19_EUlS18_E_NS1_11comp_targetILNS1_3genE10ELNS1_11target_archE1200ELNS1_3gpuE4ELNS1_3repE0EEENS1_30default_config_static_selectorELNS0_4arch9wavefront6targetE0EEEvT1_.kd
    .uniform_work_group_size: 1
    .uses_dynamic_stack: false
    .vgpr_count:     0
    .vgpr_spill_count: 0
    .wavefront_size: 32
    .workgroup_processor_mode: 1
  - .args:
      - .offset:         0
        .size:           136
        .value_kind:     by_value
    .group_segment_fixed_size: 33800
    .kernarg_segment_align: 8
    .kernarg_segment_size: 136
    .language:       OpenCL C
    .language_version:
      - 2
      - 0
    .max_flat_workgroup_size: 512
    .name:           _ZN7rocprim17ROCPRIM_400000_NS6detail17trampoline_kernelINS0_14default_configENS1_25partition_config_selectorILNS1_17partition_subalgoE9ExjbEEZZNS1_14partition_implILS5_9ELb0ES3_jN6thrust23THRUST_200600_302600_NS6detail15normal_iteratorINS9_10device_ptrIxEEEENSB_INSC_IjEEEEPNS0_10empty_typeENS0_5tupleIJNS9_16discard_iteratorINS9_11use_defaultEEESH_EEENSJ_IJSG_SI_EEENS0_18inequality_wrapperINS9_8equal_toIxEEEEPmJSH_EEE10hipError_tPvRmT3_T4_T5_T6_T7_T9_mT8_P12ihipStream_tbDpT10_ENKUlT_T0_E_clISt17integral_constantIbLb0EES1C_IbLb1EEEEDaS18_S19_EUlS18_E_NS1_11comp_targetILNS1_3genE9ELNS1_11target_archE1100ELNS1_3gpuE3ELNS1_3repE0EEENS1_30default_config_static_selectorELNS0_4arch9wavefront6targetE0EEEvT1_
    .private_segment_fixed_size: 0
    .sgpr_count:     28
    .sgpr_spill_count: 0
    .symbol:         _ZN7rocprim17ROCPRIM_400000_NS6detail17trampoline_kernelINS0_14default_configENS1_25partition_config_selectorILNS1_17partition_subalgoE9ExjbEEZZNS1_14partition_implILS5_9ELb0ES3_jN6thrust23THRUST_200600_302600_NS6detail15normal_iteratorINS9_10device_ptrIxEEEENSB_INSC_IjEEEEPNS0_10empty_typeENS0_5tupleIJNS9_16discard_iteratorINS9_11use_defaultEEESH_EEENSJ_IJSG_SI_EEENS0_18inequality_wrapperINS9_8equal_toIxEEEEPmJSH_EEE10hipError_tPvRmT3_T4_T5_T6_T7_T9_mT8_P12ihipStream_tbDpT10_ENKUlT_T0_E_clISt17integral_constantIbLb0EES1C_IbLb1EEEEDaS18_S19_EUlS18_E_NS1_11comp_targetILNS1_3genE9ELNS1_11target_archE1100ELNS1_3gpuE3ELNS1_3repE0EEENS1_30default_config_static_selectorELNS0_4arch9wavefront6targetE0EEEvT1_.kd
    .uniform_work_group_size: 1
    .uses_dynamic_stack: false
    .vgpr_count:     61
    .vgpr_spill_count: 0
    .wavefront_size: 32
    .workgroup_processor_mode: 1
  - .args:
      - .offset:         0
        .size:           136
        .value_kind:     by_value
    .group_segment_fixed_size: 0
    .kernarg_segment_align: 8
    .kernarg_segment_size: 136
    .language:       OpenCL C
    .language_version:
      - 2
      - 0
    .max_flat_workgroup_size: 512
    .name:           _ZN7rocprim17ROCPRIM_400000_NS6detail17trampoline_kernelINS0_14default_configENS1_25partition_config_selectorILNS1_17partition_subalgoE9ExjbEEZZNS1_14partition_implILS5_9ELb0ES3_jN6thrust23THRUST_200600_302600_NS6detail15normal_iteratorINS9_10device_ptrIxEEEENSB_INSC_IjEEEEPNS0_10empty_typeENS0_5tupleIJNS9_16discard_iteratorINS9_11use_defaultEEESH_EEENSJ_IJSG_SI_EEENS0_18inequality_wrapperINS9_8equal_toIxEEEEPmJSH_EEE10hipError_tPvRmT3_T4_T5_T6_T7_T9_mT8_P12ihipStream_tbDpT10_ENKUlT_T0_E_clISt17integral_constantIbLb0EES1C_IbLb1EEEEDaS18_S19_EUlS18_E_NS1_11comp_targetILNS1_3genE8ELNS1_11target_archE1030ELNS1_3gpuE2ELNS1_3repE0EEENS1_30default_config_static_selectorELNS0_4arch9wavefront6targetE0EEEvT1_
    .private_segment_fixed_size: 0
    .sgpr_count:     0
    .sgpr_spill_count: 0
    .symbol:         _ZN7rocprim17ROCPRIM_400000_NS6detail17trampoline_kernelINS0_14default_configENS1_25partition_config_selectorILNS1_17partition_subalgoE9ExjbEEZZNS1_14partition_implILS5_9ELb0ES3_jN6thrust23THRUST_200600_302600_NS6detail15normal_iteratorINS9_10device_ptrIxEEEENSB_INSC_IjEEEEPNS0_10empty_typeENS0_5tupleIJNS9_16discard_iteratorINS9_11use_defaultEEESH_EEENSJ_IJSG_SI_EEENS0_18inequality_wrapperINS9_8equal_toIxEEEEPmJSH_EEE10hipError_tPvRmT3_T4_T5_T6_T7_T9_mT8_P12ihipStream_tbDpT10_ENKUlT_T0_E_clISt17integral_constantIbLb0EES1C_IbLb1EEEEDaS18_S19_EUlS18_E_NS1_11comp_targetILNS1_3genE8ELNS1_11target_archE1030ELNS1_3gpuE2ELNS1_3repE0EEENS1_30default_config_static_selectorELNS0_4arch9wavefront6targetE0EEEvT1_.kd
    .uniform_work_group_size: 1
    .uses_dynamic_stack: false
    .vgpr_count:     0
    .vgpr_spill_count: 0
    .wavefront_size: 32
    .workgroup_processor_mode: 1
  - .args:
      - .offset:         0
        .size:           128
        .value_kind:     by_value
    .group_segment_fixed_size: 0
    .kernarg_segment_align: 8
    .kernarg_segment_size: 128
    .language:       OpenCL C
    .language_version:
      - 2
      - 0
    .max_flat_workgroup_size: 256
    .name:           _ZN7rocprim17ROCPRIM_400000_NS6detail17trampoline_kernelINS0_14default_configENS1_25partition_config_selectorILNS1_17partition_subalgoE9EijbEEZZNS1_14partition_implILS5_9ELb0ES3_jN6thrust23THRUST_200600_302600_NS6detail15normal_iteratorINS9_10device_ptrIiEEEENSB_INSC_IjEEEEPNS0_10empty_typeENS0_5tupleIJNS9_16discard_iteratorINS9_11use_defaultEEESH_EEENSJ_IJSM_SI_EEENS0_18inequality_wrapperINS9_8equal_toIiEEEEPmJSH_EEE10hipError_tPvRmT3_T4_T5_T6_T7_T9_mT8_P12ihipStream_tbDpT10_ENKUlT_T0_E_clISt17integral_constantIbLb0EES1D_EEDaS18_S19_EUlS18_E_NS1_11comp_targetILNS1_3genE0ELNS1_11target_archE4294967295ELNS1_3gpuE0ELNS1_3repE0EEENS1_30default_config_static_selectorELNS0_4arch9wavefront6targetE0EEEvT1_
    .private_segment_fixed_size: 0
    .sgpr_count:     0
    .sgpr_spill_count: 0
    .symbol:         _ZN7rocprim17ROCPRIM_400000_NS6detail17trampoline_kernelINS0_14default_configENS1_25partition_config_selectorILNS1_17partition_subalgoE9EijbEEZZNS1_14partition_implILS5_9ELb0ES3_jN6thrust23THRUST_200600_302600_NS6detail15normal_iteratorINS9_10device_ptrIiEEEENSB_INSC_IjEEEEPNS0_10empty_typeENS0_5tupleIJNS9_16discard_iteratorINS9_11use_defaultEEESH_EEENSJ_IJSM_SI_EEENS0_18inequality_wrapperINS9_8equal_toIiEEEEPmJSH_EEE10hipError_tPvRmT3_T4_T5_T6_T7_T9_mT8_P12ihipStream_tbDpT10_ENKUlT_T0_E_clISt17integral_constantIbLb0EES1D_EEDaS18_S19_EUlS18_E_NS1_11comp_targetILNS1_3genE0ELNS1_11target_archE4294967295ELNS1_3gpuE0ELNS1_3repE0EEENS1_30default_config_static_selectorELNS0_4arch9wavefront6targetE0EEEvT1_.kd
    .uniform_work_group_size: 1
    .uses_dynamic_stack: false
    .vgpr_count:     0
    .vgpr_spill_count: 0
    .wavefront_size: 32
    .workgroup_processor_mode: 1
  - .args:
      - .offset:         0
        .size:           128
        .value_kind:     by_value
    .group_segment_fixed_size: 0
    .kernarg_segment_align: 8
    .kernarg_segment_size: 128
    .language:       OpenCL C
    .language_version:
      - 2
      - 0
    .max_flat_workgroup_size: 512
    .name:           _ZN7rocprim17ROCPRIM_400000_NS6detail17trampoline_kernelINS0_14default_configENS1_25partition_config_selectorILNS1_17partition_subalgoE9EijbEEZZNS1_14partition_implILS5_9ELb0ES3_jN6thrust23THRUST_200600_302600_NS6detail15normal_iteratorINS9_10device_ptrIiEEEENSB_INSC_IjEEEEPNS0_10empty_typeENS0_5tupleIJNS9_16discard_iteratorINS9_11use_defaultEEESH_EEENSJ_IJSM_SI_EEENS0_18inequality_wrapperINS9_8equal_toIiEEEEPmJSH_EEE10hipError_tPvRmT3_T4_T5_T6_T7_T9_mT8_P12ihipStream_tbDpT10_ENKUlT_T0_E_clISt17integral_constantIbLb0EES1D_EEDaS18_S19_EUlS18_E_NS1_11comp_targetILNS1_3genE5ELNS1_11target_archE942ELNS1_3gpuE9ELNS1_3repE0EEENS1_30default_config_static_selectorELNS0_4arch9wavefront6targetE0EEEvT1_
    .private_segment_fixed_size: 0
    .sgpr_count:     0
    .sgpr_spill_count: 0
    .symbol:         _ZN7rocprim17ROCPRIM_400000_NS6detail17trampoline_kernelINS0_14default_configENS1_25partition_config_selectorILNS1_17partition_subalgoE9EijbEEZZNS1_14partition_implILS5_9ELb0ES3_jN6thrust23THRUST_200600_302600_NS6detail15normal_iteratorINS9_10device_ptrIiEEEENSB_INSC_IjEEEEPNS0_10empty_typeENS0_5tupleIJNS9_16discard_iteratorINS9_11use_defaultEEESH_EEENSJ_IJSM_SI_EEENS0_18inequality_wrapperINS9_8equal_toIiEEEEPmJSH_EEE10hipError_tPvRmT3_T4_T5_T6_T7_T9_mT8_P12ihipStream_tbDpT10_ENKUlT_T0_E_clISt17integral_constantIbLb0EES1D_EEDaS18_S19_EUlS18_E_NS1_11comp_targetILNS1_3genE5ELNS1_11target_archE942ELNS1_3gpuE9ELNS1_3repE0EEENS1_30default_config_static_selectorELNS0_4arch9wavefront6targetE0EEEvT1_.kd
    .uniform_work_group_size: 1
    .uses_dynamic_stack: false
    .vgpr_count:     0
    .vgpr_spill_count: 0
    .wavefront_size: 32
    .workgroup_processor_mode: 1
  - .args:
      - .offset:         0
        .size:           128
        .value_kind:     by_value
    .group_segment_fixed_size: 0
    .kernarg_segment_align: 8
    .kernarg_segment_size: 128
    .language:       OpenCL C
    .language_version:
      - 2
      - 0
    .max_flat_workgroup_size: 192
    .name:           _ZN7rocprim17ROCPRIM_400000_NS6detail17trampoline_kernelINS0_14default_configENS1_25partition_config_selectorILNS1_17partition_subalgoE9EijbEEZZNS1_14partition_implILS5_9ELb0ES3_jN6thrust23THRUST_200600_302600_NS6detail15normal_iteratorINS9_10device_ptrIiEEEENSB_INSC_IjEEEEPNS0_10empty_typeENS0_5tupleIJNS9_16discard_iteratorINS9_11use_defaultEEESH_EEENSJ_IJSM_SI_EEENS0_18inequality_wrapperINS9_8equal_toIiEEEEPmJSH_EEE10hipError_tPvRmT3_T4_T5_T6_T7_T9_mT8_P12ihipStream_tbDpT10_ENKUlT_T0_E_clISt17integral_constantIbLb0EES1D_EEDaS18_S19_EUlS18_E_NS1_11comp_targetILNS1_3genE4ELNS1_11target_archE910ELNS1_3gpuE8ELNS1_3repE0EEENS1_30default_config_static_selectorELNS0_4arch9wavefront6targetE0EEEvT1_
    .private_segment_fixed_size: 0
    .sgpr_count:     0
    .sgpr_spill_count: 0
    .symbol:         _ZN7rocprim17ROCPRIM_400000_NS6detail17trampoline_kernelINS0_14default_configENS1_25partition_config_selectorILNS1_17partition_subalgoE9EijbEEZZNS1_14partition_implILS5_9ELb0ES3_jN6thrust23THRUST_200600_302600_NS6detail15normal_iteratorINS9_10device_ptrIiEEEENSB_INSC_IjEEEEPNS0_10empty_typeENS0_5tupleIJNS9_16discard_iteratorINS9_11use_defaultEEESH_EEENSJ_IJSM_SI_EEENS0_18inequality_wrapperINS9_8equal_toIiEEEEPmJSH_EEE10hipError_tPvRmT3_T4_T5_T6_T7_T9_mT8_P12ihipStream_tbDpT10_ENKUlT_T0_E_clISt17integral_constantIbLb0EES1D_EEDaS18_S19_EUlS18_E_NS1_11comp_targetILNS1_3genE4ELNS1_11target_archE910ELNS1_3gpuE8ELNS1_3repE0EEENS1_30default_config_static_selectorELNS0_4arch9wavefront6targetE0EEEvT1_.kd
    .uniform_work_group_size: 1
    .uses_dynamic_stack: false
    .vgpr_count:     0
    .vgpr_spill_count: 0
    .wavefront_size: 32
    .workgroup_processor_mode: 1
  - .args:
      - .offset:         0
        .size:           128
        .value_kind:     by_value
    .group_segment_fixed_size: 0
    .kernarg_segment_align: 8
    .kernarg_segment_size: 128
    .language:       OpenCL C
    .language_version:
      - 2
      - 0
    .max_flat_workgroup_size: 256
    .name:           _ZN7rocprim17ROCPRIM_400000_NS6detail17trampoline_kernelINS0_14default_configENS1_25partition_config_selectorILNS1_17partition_subalgoE9EijbEEZZNS1_14partition_implILS5_9ELb0ES3_jN6thrust23THRUST_200600_302600_NS6detail15normal_iteratorINS9_10device_ptrIiEEEENSB_INSC_IjEEEEPNS0_10empty_typeENS0_5tupleIJNS9_16discard_iteratorINS9_11use_defaultEEESH_EEENSJ_IJSM_SI_EEENS0_18inequality_wrapperINS9_8equal_toIiEEEEPmJSH_EEE10hipError_tPvRmT3_T4_T5_T6_T7_T9_mT8_P12ihipStream_tbDpT10_ENKUlT_T0_E_clISt17integral_constantIbLb0EES1D_EEDaS18_S19_EUlS18_E_NS1_11comp_targetILNS1_3genE3ELNS1_11target_archE908ELNS1_3gpuE7ELNS1_3repE0EEENS1_30default_config_static_selectorELNS0_4arch9wavefront6targetE0EEEvT1_
    .private_segment_fixed_size: 0
    .sgpr_count:     0
    .sgpr_spill_count: 0
    .symbol:         _ZN7rocprim17ROCPRIM_400000_NS6detail17trampoline_kernelINS0_14default_configENS1_25partition_config_selectorILNS1_17partition_subalgoE9EijbEEZZNS1_14partition_implILS5_9ELb0ES3_jN6thrust23THRUST_200600_302600_NS6detail15normal_iteratorINS9_10device_ptrIiEEEENSB_INSC_IjEEEEPNS0_10empty_typeENS0_5tupleIJNS9_16discard_iteratorINS9_11use_defaultEEESH_EEENSJ_IJSM_SI_EEENS0_18inequality_wrapperINS9_8equal_toIiEEEEPmJSH_EEE10hipError_tPvRmT3_T4_T5_T6_T7_T9_mT8_P12ihipStream_tbDpT10_ENKUlT_T0_E_clISt17integral_constantIbLb0EES1D_EEDaS18_S19_EUlS18_E_NS1_11comp_targetILNS1_3genE3ELNS1_11target_archE908ELNS1_3gpuE7ELNS1_3repE0EEENS1_30default_config_static_selectorELNS0_4arch9wavefront6targetE0EEEvT1_.kd
    .uniform_work_group_size: 1
    .uses_dynamic_stack: false
    .vgpr_count:     0
    .vgpr_spill_count: 0
    .wavefront_size: 32
    .workgroup_processor_mode: 1
  - .args:
      - .offset:         0
        .size:           128
        .value_kind:     by_value
    .group_segment_fixed_size: 0
    .kernarg_segment_align: 8
    .kernarg_segment_size: 128
    .language:       OpenCL C
    .language_version:
      - 2
      - 0
    .max_flat_workgroup_size: 256
    .name:           _ZN7rocprim17ROCPRIM_400000_NS6detail17trampoline_kernelINS0_14default_configENS1_25partition_config_selectorILNS1_17partition_subalgoE9EijbEEZZNS1_14partition_implILS5_9ELb0ES3_jN6thrust23THRUST_200600_302600_NS6detail15normal_iteratorINS9_10device_ptrIiEEEENSB_INSC_IjEEEEPNS0_10empty_typeENS0_5tupleIJNS9_16discard_iteratorINS9_11use_defaultEEESH_EEENSJ_IJSM_SI_EEENS0_18inequality_wrapperINS9_8equal_toIiEEEEPmJSH_EEE10hipError_tPvRmT3_T4_T5_T6_T7_T9_mT8_P12ihipStream_tbDpT10_ENKUlT_T0_E_clISt17integral_constantIbLb0EES1D_EEDaS18_S19_EUlS18_E_NS1_11comp_targetILNS1_3genE2ELNS1_11target_archE906ELNS1_3gpuE6ELNS1_3repE0EEENS1_30default_config_static_selectorELNS0_4arch9wavefront6targetE0EEEvT1_
    .private_segment_fixed_size: 0
    .sgpr_count:     0
    .sgpr_spill_count: 0
    .symbol:         _ZN7rocprim17ROCPRIM_400000_NS6detail17trampoline_kernelINS0_14default_configENS1_25partition_config_selectorILNS1_17partition_subalgoE9EijbEEZZNS1_14partition_implILS5_9ELb0ES3_jN6thrust23THRUST_200600_302600_NS6detail15normal_iteratorINS9_10device_ptrIiEEEENSB_INSC_IjEEEEPNS0_10empty_typeENS0_5tupleIJNS9_16discard_iteratorINS9_11use_defaultEEESH_EEENSJ_IJSM_SI_EEENS0_18inequality_wrapperINS9_8equal_toIiEEEEPmJSH_EEE10hipError_tPvRmT3_T4_T5_T6_T7_T9_mT8_P12ihipStream_tbDpT10_ENKUlT_T0_E_clISt17integral_constantIbLb0EES1D_EEDaS18_S19_EUlS18_E_NS1_11comp_targetILNS1_3genE2ELNS1_11target_archE906ELNS1_3gpuE6ELNS1_3repE0EEENS1_30default_config_static_selectorELNS0_4arch9wavefront6targetE0EEEvT1_.kd
    .uniform_work_group_size: 1
    .uses_dynamic_stack: false
    .vgpr_count:     0
    .vgpr_spill_count: 0
    .wavefront_size: 32
    .workgroup_processor_mode: 1
  - .args:
      - .offset:         0
        .size:           128
        .value_kind:     by_value
    .group_segment_fixed_size: 0
    .kernarg_segment_align: 8
    .kernarg_segment_size: 128
    .language:       OpenCL C
    .language_version:
      - 2
      - 0
    .max_flat_workgroup_size: 384
    .name:           _ZN7rocprim17ROCPRIM_400000_NS6detail17trampoline_kernelINS0_14default_configENS1_25partition_config_selectorILNS1_17partition_subalgoE9EijbEEZZNS1_14partition_implILS5_9ELb0ES3_jN6thrust23THRUST_200600_302600_NS6detail15normal_iteratorINS9_10device_ptrIiEEEENSB_INSC_IjEEEEPNS0_10empty_typeENS0_5tupleIJNS9_16discard_iteratorINS9_11use_defaultEEESH_EEENSJ_IJSM_SI_EEENS0_18inequality_wrapperINS9_8equal_toIiEEEEPmJSH_EEE10hipError_tPvRmT3_T4_T5_T6_T7_T9_mT8_P12ihipStream_tbDpT10_ENKUlT_T0_E_clISt17integral_constantIbLb0EES1D_EEDaS18_S19_EUlS18_E_NS1_11comp_targetILNS1_3genE10ELNS1_11target_archE1200ELNS1_3gpuE4ELNS1_3repE0EEENS1_30default_config_static_selectorELNS0_4arch9wavefront6targetE0EEEvT1_
    .private_segment_fixed_size: 0
    .sgpr_count:     0
    .sgpr_spill_count: 0
    .symbol:         _ZN7rocprim17ROCPRIM_400000_NS6detail17trampoline_kernelINS0_14default_configENS1_25partition_config_selectorILNS1_17partition_subalgoE9EijbEEZZNS1_14partition_implILS5_9ELb0ES3_jN6thrust23THRUST_200600_302600_NS6detail15normal_iteratorINS9_10device_ptrIiEEEENSB_INSC_IjEEEEPNS0_10empty_typeENS0_5tupleIJNS9_16discard_iteratorINS9_11use_defaultEEESH_EEENSJ_IJSM_SI_EEENS0_18inequality_wrapperINS9_8equal_toIiEEEEPmJSH_EEE10hipError_tPvRmT3_T4_T5_T6_T7_T9_mT8_P12ihipStream_tbDpT10_ENKUlT_T0_E_clISt17integral_constantIbLb0EES1D_EEDaS18_S19_EUlS18_E_NS1_11comp_targetILNS1_3genE10ELNS1_11target_archE1200ELNS1_3gpuE4ELNS1_3repE0EEENS1_30default_config_static_selectorELNS0_4arch9wavefront6targetE0EEEvT1_.kd
    .uniform_work_group_size: 1
    .uses_dynamic_stack: false
    .vgpr_count:     0
    .vgpr_spill_count: 0
    .wavefront_size: 32
    .workgroup_processor_mode: 1
  - .args:
      - .offset:         0
        .size:           128
        .value_kind:     by_value
    .group_segment_fixed_size: 12680
    .kernarg_segment_align: 8
    .kernarg_segment_size: 128
    .language:       OpenCL C
    .language_version:
      - 2
      - 0
    .max_flat_workgroup_size: 384
    .name:           _ZN7rocprim17ROCPRIM_400000_NS6detail17trampoline_kernelINS0_14default_configENS1_25partition_config_selectorILNS1_17partition_subalgoE9EijbEEZZNS1_14partition_implILS5_9ELb0ES3_jN6thrust23THRUST_200600_302600_NS6detail15normal_iteratorINS9_10device_ptrIiEEEENSB_INSC_IjEEEEPNS0_10empty_typeENS0_5tupleIJNS9_16discard_iteratorINS9_11use_defaultEEESH_EEENSJ_IJSM_SI_EEENS0_18inequality_wrapperINS9_8equal_toIiEEEEPmJSH_EEE10hipError_tPvRmT3_T4_T5_T6_T7_T9_mT8_P12ihipStream_tbDpT10_ENKUlT_T0_E_clISt17integral_constantIbLb0EES1D_EEDaS18_S19_EUlS18_E_NS1_11comp_targetILNS1_3genE9ELNS1_11target_archE1100ELNS1_3gpuE3ELNS1_3repE0EEENS1_30default_config_static_selectorELNS0_4arch9wavefront6targetE0EEEvT1_
    .private_segment_fixed_size: 0
    .sgpr_count:     27
    .sgpr_spill_count: 0
    .symbol:         _ZN7rocprim17ROCPRIM_400000_NS6detail17trampoline_kernelINS0_14default_configENS1_25partition_config_selectorILNS1_17partition_subalgoE9EijbEEZZNS1_14partition_implILS5_9ELb0ES3_jN6thrust23THRUST_200600_302600_NS6detail15normal_iteratorINS9_10device_ptrIiEEEENSB_INSC_IjEEEEPNS0_10empty_typeENS0_5tupleIJNS9_16discard_iteratorINS9_11use_defaultEEESH_EEENSJ_IJSM_SI_EEENS0_18inequality_wrapperINS9_8equal_toIiEEEEPmJSH_EEE10hipError_tPvRmT3_T4_T5_T6_T7_T9_mT8_P12ihipStream_tbDpT10_ENKUlT_T0_E_clISt17integral_constantIbLb0EES1D_EEDaS18_S19_EUlS18_E_NS1_11comp_targetILNS1_3genE9ELNS1_11target_archE1100ELNS1_3gpuE3ELNS1_3repE0EEENS1_30default_config_static_selectorELNS0_4arch9wavefront6targetE0EEEvT1_.kd
    .uniform_work_group_size: 1
    .uses_dynamic_stack: false
    .vgpr_count:     51
    .vgpr_spill_count: 0
    .wavefront_size: 32
    .workgroup_processor_mode: 1
  - .args:
      - .offset:         0
        .size:           128
        .value_kind:     by_value
    .group_segment_fixed_size: 0
    .kernarg_segment_align: 8
    .kernarg_segment_size: 128
    .language:       OpenCL C
    .language_version:
      - 2
      - 0
    .max_flat_workgroup_size: 512
    .name:           _ZN7rocprim17ROCPRIM_400000_NS6detail17trampoline_kernelINS0_14default_configENS1_25partition_config_selectorILNS1_17partition_subalgoE9EijbEEZZNS1_14partition_implILS5_9ELb0ES3_jN6thrust23THRUST_200600_302600_NS6detail15normal_iteratorINS9_10device_ptrIiEEEENSB_INSC_IjEEEEPNS0_10empty_typeENS0_5tupleIJNS9_16discard_iteratorINS9_11use_defaultEEESH_EEENSJ_IJSM_SI_EEENS0_18inequality_wrapperINS9_8equal_toIiEEEEPmJSH_EEE10hipError_tPvRmT3_T4_T5_T6_T7_T9_mT8_P12ihipStream_tbDpT10_ENKUlT_T0_E_clISt17integral_constantIbLb0EES1D_EEDaS18_S19_EUlS18_E_NS1_11comp_targetILNS1_3genE8ELNS1_11target_archE1030ELNS1_3gpuE2ELNS1_3repE0EEENS1_30default_config_static_selectorELNS0_4arch9wavefront6targetE0EEEvT1_
    .private_segment_fixed_size: 0
    .sgpr_count:     0
    .sgpr_spill_count: 0
    .symbol:         _ZN7rocprim17ROCPRIM_400000_NS6detail17trampoline_kernelINS0_14default_configENS1_25partition_config_selectorILNS1_17partition_subalgoE9EijbEEZZNS1_14partition_implILS5_9ELb0ES3_jN6thrust23THRUST_200600_302600_NS6detail15normal_iteratorINS9_10device_ptrIiEEEENSB_INSC_IjEEEEPNS0_10empty_typeENS0_5tupleIJNS9_16discard_iteratorINS9_11use_defaultEEESH_EEENSJ_IJSM_SI_EEENS0_18inequality_wrapperINS9_8equal_toIiEEEEPmJSH_EEE10hipError_tPvRmT3_T4_T5_T6_T7_T9_mT8_P12ihipStream_tbDpT10_ENKUlT_T0_E_clISt17integral_constantIbLb0EES1D_EEDaS18_S19_EUlS18_E_NS1_11comp_targetILNS1_3genE8ELNS1_11target_archE1030ELNS1_3gpuE2ELNS1_3repE0EEENS1_30default_config_static_selectorELNS0_4arch9wavefront6targetE0EEEvT1_.kd
    .uniform_work_group_size: 1
    .uses_dynamic_stack: false
    .vgpr_count:     0
    .vgpr_spill_count: 0
    .wavefront_size: 32
    .workgroup_processor_mode: 1
  - .args:
      - .offset:         0
        .size:           144
        .value_kind:     by_value
    .group_segment_fixed_size: 0
    .kernarg_segment_align: 8
    .kernarg_segment_size: 144
    .language:       OpenCL C
    .language_version:
      - 2
      - 0
    .max_flat_workgroup_size: 256
    .name:           _ZN7rocprim17ROCPRIM_400000_NS6detail17trampoline_kernelINS0_14default_configENS1_25partition_config_selectorILNS1_17partition_subalgoE9EijbEEZZNS1_14partition_implILS5_9ELb0ES3_jN6thrust23THRUST_200600_302600_NS6detail15normal_iteratorINS9_10device_ptrIiEEEENSB_INSC_IjEEEEPNS0_10empty_typeENS0_5tupleIJNS9_16discard_iteratorINS9_11use_defaultEEESH_EEENSJ_IJSM_SI_EEENS0_18inequality_wrapperINS9_8equal_toIiEEEEPmJSH_EEE10hipError_tPvRmT3_T4_T5_T6_T7_T9_mT8_P12ihipStream_tbDpT10_ENKUlT_T0_E_clISt17integral_constantIbLb1EES1D_EEDaS18_S19_EUlS18_E_NS1_11comp_targetILNS1_3genE0ELNS1_11target_archE4294967295ELNS1_3gpuE0ELNS1_3repE0EEENS1_30default_config_static_selectorELNS0_4arch9wavefront6targetE0EEEvT1_
    .private_segment_fixed_size: 0
    .sgpr_count:     0
    .sgpr_spill_count: 0
    .symbol:         _ZN7rocprim17ROCPRIM_400000_NS6detail17trampoline_kernelINS0_14default_configENS1_25partition_config_selectorILNS1_17partition_subalgoE9EijbEEZZNS1_14partition_implILS5_9ELb0ES3_jN6thrust23THRUST_200600_302600_NS6detail15normal_iteratorINS9_10device_ptrIiEEEENSB_INSC_IjEEEEPNS0_10empty_typeENS0_5tupleIJNS9_16discard_iteratorINS9_11use_defaultEEESH_EEENSJ_IJSM_SI_EEENS0_18inequality_wrapperINS9_8equal_toIiEEEEPmJSH_EEE10hipError_tPvRmT3_T4_T5_T6_T7_T9_mT8_P12ihipStream_tbDpT10_ENKUlT_T0_E_clISt17integral_constantIbLb1EES1D_EEDaS18_S19_EUlS18_E_NS1_11comp_targetILNS1_3genE0ELNS1_11target_archE4294967295ELNS1_3gpuE0ELNS1_3repE0EEENS1_30default_config_static_selectorELNS0_4arch9wavefront6targetE0EEEvT1_.kd
    .uniform_work_group_size: 1
    .uses_dynamic_stack: false
    .vgpr_count:     0
    .vgpr_spill_count: 0
    .wavefront_size: 32
    .workgroup_processor_mode: 1
  - .args:
      - .offset:         0
        .size:           144
        .value_kind:     by_value
    .group_segment_fixed_size: 0
    .kernarg_segment_align: 8
    .kernarg_segment_size: 144
    .language:       OpenCL C
    .language_version:
      - 2
      - 0
    .max_flat_workgroup_size: 512
    .name:           _ZN7rocprim17ROCPRIM_400000_NS6detail17trampoline_kernelINS0_14default_configENS1_25partition_config_selectorILNS1_17partition_subalgoE9EijbEEZZNS1_14partition_implILS5_9ELb0ES3_jN6thrust23THRUST_200600_302600_NS6detail15normal_iteratorINS9_10device_ptrIiEEEENSB_INSC_IjEEEEPNS0_10empty_typeENS0_5tupleIJNS9_16discard_iteratorINS9_11use_defaultEEESH_EEENSJ_IJSM_SI_EEENS0_18inequality_wrapperINS9_8equal_toIiEEEEPmJSH_EEE10hipError_tPvRmT3_T4_T5_T6_T7_T9_mT8_P12ihipStream_tbDpT10_ENKUlT_T0_E_clISt17integral_constantIbLb1EES1D_EEDaS18_S19_EUlS18_E_NS1_11comp_targetILNS1_3genE5ELNS1_11target_archE942ELNS1_3gpuE9ELNS1_3repE0EEENS1_30default_config_static_selectorELNS0_4arch9wavefront6targetE0EEEvT1_
    .private_segment_fixed_size: 0
    .sgpr_count:     0
    .sgpr_spill_count: 0
    .symbol:         _ZN7rocprim17ROCPRIM_400000_NS6detail17trampoline_kernelINS0_14default_configENS1_25partition_config_selectorILNS1_17partition_subalgoE9EijbEEZZNS1_14partition_implILS5_9ELb0ES3_jN6thrust23THRUST_200600_302600_NS6detail15normal_iteratorINS9_10device_ptrIiEEEENSB_INSC_IjEEEEPNS0_10empty_typeENS0_5tupleIJNS9_16discard_iteratorINS9_11use_defaultEEESH_EEENSJ_IJSM_SI_EEENS0_18inequality_wrapperINS9_8equal_toIiEEEEPmJSH_EEE10hipError_tPvRmT3_T4_T5_T6_T7_T9_mT8_P12ihipStream_tbDpT10_ENKUlT_T0_E_clISt17integral_constantIbLb1EES1D_EEDaS18_S19_EUlS18_E_NS1_11comp_targetILNS1_3genE5ELNS1_11target_archE942ELNS1_3gpuE9ELNS1_3repE0EEENS1_30default_config_static_selectorELNS0_4arch9wavefront6targetE0EEEvT1_.kd
    .uniform_work_group_size: 1
    .uses_dynamic_stack: false
    .vgpr_count:     0
    .vgpr_spill_count: 0
    .wavefront_size: 32
    .workgroup_processor_mode: 1
  - .args:
      - .offset:         0
        .size:           144
        .value_kind:     by_value
    .group_segment_fixed_size: 0
    .kernarg_segment_align: 8
    .kernarg_segment_size: 144
    .language:       OpenCL C
    .language_version:
      - 2
      - 0
    .max_flat_workgroup_size: 192
    .name:           _ZN7rocprim17ROCPRIM_400000_NS6detail17trampoline_kernelINS0_14default_configENS1_25partition_config_selectorILNS1_17partition_subalgoE9EijbEEZZNS1_14partition_implILS5_9ELb0ES3_jN6thrust23THRUST_200600_302600_NS6detail15normal_iteratorINS9_10device_ptrIiEEEENSB_INSC_IjEEEEPNS0_10empty_typeENS0_5tupleIJNS9_16discard_iteratorINS9_11use_defaultEEESH_EEENSJ_IJSM_SI_EEENS0_18inequality_wrapperINS9_8equal_toIiEEEEPmJSH_EEE10hipError_tPvRmT3_T4_T5_T6_T7_T9_mT8_P12ihipStream_tbDpT10_ENKUlT_T0_E_clISt17integral_constantIbLb1EES1D_EEDaS18_S19_EUlS18_E_NS1_11comp_targetILNS1_3genE4ELNS1_11target_archE910ELNS1_3gpuE8ELNS1_3repE0EEENS1_30default_config_static_selectorELNS0_4arch9wavefront6targetE0EEEvT1_
    .private_segment_fixed_size: 0
    .sgpr_count:     0
    .sgpr_spill_count: 0
    .symbol:         _ZN7rocprim17ROCPRIM_400000_NS6detail17trampoline_kernelINS0_14default_configENS1_25partition_config_selectorILNS1_17partition_subalgoE9EijbEEZZNS1_14partition_implILS5_9ELb0ES3_jN6thrust23THRUST_200600_302600_NS6detail15normal_iteratorINS9_10device_ptrIiEEEENSB_INSC_IjEEEEPNS0_10empty_typeENS0_5tupleIJNS9_16discard_iteratorINS9_11use_defaultEEESH_EEENSJ_IJSM_SI_EEENS0_18inequality_wrapperINS9_8equal_toIiEEEEPmJSH_EEE10hipError_tPvRmT3_T4_T5_T6_T7_T9_mT8_P12ihipStream_tbDpT10_ENKUlT_T0_E_clISt17integral_constantIbLb1EES1D_EEDaS18_S19_EUlS18_E_NS1_11comp_targetILNS1_3genE4ELNS1_11target_archE910ELNS1_3gpuE8ELNS1_3repE0EEENS1_30default_config_static_selectorELNS0_4arch9wavefront6targetE0EEEvT1_.kd
    .uniform_work_group_size: 1
    .uses_dynamic_stack: false
    .vgpr_count:     0
    .vgpr_spill_count: 0
    .wavefront_size: 32
    .workgroup_processor_mode: 1
  - .args:
      - .offset:         0
        .size:           144
        .value_kind:     by_value
    .group_segment_fixed_size: 0
    .kernarg_segment_align: 8
    .kernarg_segment_size: 144
    .language:       OpenCL C
    .language_version:
      - 2
      - 0
    .max_flat_workgroup_size: 256
    .name:           _ZN7rocprim17ROCPRIM_400000_NS6detail17trampoline_kernelINS0_14default_configENS1_25partition_config_selectorILNS1_17partition_subalgoE9EijbEEZZNS1_14partition_implILS5_9ELb0ES3_jN6thrust23THRUST_200600_302600_NS6detail15normal_iteratorINS9_10device_ptrIiEEEENSB_INSC_IjEEEEPNS0_10empty_typeENS0_5tupleIJNS9_16discard_iteratorINS9_11use_defaultEEESH_EEENSJ_IJSM_SI_EEENS0_18inequality_wrapperINS9_8equal_toIiEEEEPmJSH_EEE10hipError_tPvRmT3_T4_T5_T6_T7_T9_mT8_P12ihipStream_tbDpT10_ENKUlT_T0_E_clISt17integral_constantIbLb1EES1D_EEDaS18_S19_EUlS18_E_NS1_11comp_targetILNS1_3genE3ELNS1_11target_archE908ELNS1_3gpuE7ELNS1_3repE0EEENS1_30default_config_static_selectorELNS0_4arch9wavefront6targetE0EEEvT1_
    .private_segment_fixed_size: 0
    .sgpr_count:     0
    .sgpr_spill_count: 0
    .symbol:         _ZN7rocprim17ROCPRIM_400000_NS6detail17trampoline_kernelINS0_14default_configENS1_25partition_config_selectorILNS1_17partition_subalgoE9EijbEEZZNS1_14partition_implILS5_9ELb0ES3_jN6thrust23THRUST_200600_302600_NS6detail15normal_iteratorINS9_10device_ptrIiEEEENSB_INSC_IjEEEEPNS0_10empty_typeENS0_5tupleIJNS9_16discard_iteratorINS9_11use_defaultEEESH_EEENSJ_IJSM_SI_EEENS0_18inequality_wrapperINS9_8equal_toIiEEEEPmJSH_EEE10hipError_tPvRmT3_T4_T5_T6_T7_T9_mT8_P12ihipStream_tbDpT10_ENKUlT_T0_E_clISt17integral_constantIbLb1EES1D_EEDaS18_S19_EUlS18_E_NS1_11comp_targetILNS1_3genE3ELNS1_11target_archE908ELNS1_3gpuE7ELNS1_3repE0EEENS1_30default_config_static_selectorELNS0_4arch9wavefront6targetE0EEEvT1_.kd
    .uniform_work_group_size: 1
    .uses_dynamic_stack: false
    .vgpr_count:     0
    .vgpr_spill_count: 0
    .wavefront_size: 32
    .workgroup_processor_mode: 1
  - .args:
      - .offset:         0
        .size:           144
        .value_kind:     by_value
    .group_segment_fixed_size: 0
    .kernarg_segment_align: 8
    .kernarg_segment_size: 144
    .language:       OpenCL C
    .language_version:
      - 2
      - 0
    .max_flat_workgroup_size: 256
    .name:           _ZN7rocprim17ROCPRIM_400000_NS6detail17trampoline_kernelINS0_14default_configENS1_25partition_config_selectorILNS1_17partition_subalgoE9EijbEEZZNS1_14partition_implILS5_9ELb0ES3_jN6thrust23THRUST_200600_302600_NS6detail15normal_iteratorINS9_10device_ptrIiEEEENSB_INSC_IjEEEEPNS0_10empty_typeENS0_5tupleIJNS9_16discard_iteratorINS9_11use_defaultEEESH_EEENSJ_IJSM_SI_EEENS0_18inequality_wrapperINS9_8equal_toIiEEEEPmJSH_EEE10hipError_tPvRmT3_T4_T5_T6_T7_T9_mT8_P12ihipStream_tbDpT10_ENKUlT_T0_E_clISt17integral_constantIbLb1EES1D_EEDaS18_S19_EUlS18_E_NS1_11comp_targetILNS1_3genE2ELNS1_11target_archE906ELNS1_3gpuE6ELNS1_3repE0EEENS1_30default_config_static_selectorELNS0_4arch9wavefront6targetE0EEEvT1_
    .private_segment_fixed_size: 0
    .sgpr_count:     0
    .sgpr_spill_count: 0
    .symbol:         _ZN7rocprim17ROCPRIM_400000_NS6detail17trampoline_kernelINS0_14default_configENS1_25partition_config_selectorILNS1_17partition_subalgoE9EijbEEZZNS1_14partition_implILS5_9ELb0ES3_jN6thrust23THRUST_200600_302600_NS6detail15normal_iteratorINS9_10device_ptrIiEEEENSB_INSC_IjEEEEPNS0_10empty_typeENS0_5tupleIJNS9_16discard_iteratorINS9_11use_defaultEEESH_EEENSJ_IJSM_SI_EEENS0_18inequality_wrapperINS9_8equal_toIiEEEEPmJSH_EEE10hipError_tPvRmT3_T4_T5_T6_T7_T9_mT8_P12ihipStream_tbDpT10_ENKUlT_T0_E_clISt17integral_constantIbLb1EES1D_EEDaS18_S19_EUlS18_E_NS1_11comp_targetILNS1_3genE2ELNS1_11target_archE906ELNS1_3gpuE6ELNS1_3repE0EEENS1_30default_config_static_selectorELNS0_4arch9wavefront6targetE0EEEvT1_.kd
    .uniform_work_group_size: 1
    .uses_dynamic_stack: false
    .vgpr_count:     0
    .vgpr_spill_count: 0
    .wavefront_size: 32
    .workgroup_processor_mode: 1
  - .args:
      - .offset:         0
        .size:           144
        .value_kind:     by_value
    .group_segment_fixed_size: 0
    .kernarg_segment_align: 8
    .kernarg_segment_size: 144
    .language:       OpenCL C
    .language_version:
      - 2
      - 0
    .max_flat_workgroup_size: 384
    .name:           _ZN7rocprim17ROCPRIM_400000_NS6detail17trampoline_kernelINS0_14default_configENS1_25partition_config_selectorILNS1_17partition_subalgoE9EijbEEZZNS1_14partition_implILS5_9ELb0ES3_jN6thrust23THRUST_200600_302600_NS6detail15normal_iteratorINS9_10device_ptrIiEEEENSB_INSC_IjEEEEPNS0_10empty_typeENS0_5tupleIJNS9_16discard_iteratorINS9_11use_defaultEEESH_EEENSJ_IJSM_SI_EEENS0_18inequality_wrapperINS9_8equal_toIiEEEEPmJSH_EEE10hipError_tPvRmT3_T4_T5_T6_T7_T9_mT8_P12ihipStream_tbDpT10_ENKUlT_T0_E_clISt17integral_constantIbLb1EES1D_EEDaS18_S19_EUlS18_E_NS1_11comp_targetILNS1_3genE10ELNS1_11target_archE1200ELNS1_3gpuE4ELNS1_3repE0EEENS1_30default_config_static_selectorELNS0_4arch9wavefront6targetE0EEEvT1_
    .private_segment_fixed_size: 0
    .sgpr_count:     0
    .sgpr_spill_count: 0
    .symbol:         _ZN7rocprim17ROCPRIM_400000_NS6detail17trampoline_kernelINS0_14default_configENS1_25partition_config_selectorILNS1_17partition_subalgoE9EijbEEZZNS1_14partition_implILS5_9ELb0ES3_jN6thrust23THRUST_200600_302600_NS6detail15normal_iteratorINS9_10device_ptrIiEEEENSB_INSC_IjEEEEPNS0_10empty_typeENS0_5tupleIJNS9_16discard_iteratorINS9_11use_defaultEEESH_EEENSJ_IJSM_SI_EEENS0_18inequality_wrapperINS9_8equal_toIiEEEEPmJSH_EEE10hipError_tPvRmT3_T4_T5_T6_T7_T9_mT8_P12ihipStream_tbDpT10_ENKUlT_T0_E_clISt17integral_constantIbLb1EES1D_EEDaS18_S19_EUlS18_E_NS1_11comp_targetILNS1_3genE10ELNS1_11target_archE1200ELNS1_3gpuE4ELNS1_3repE0EEENS1_30default_config_static_selectorELNS0_4arch9wavefront6targetE0EEEvT1_.kd
    .uniform_work_group_size: 1
    .uses_dynamic_stack: false
    .vgpr_count:     0
    .vgpr_spill_count: 0
    .wavefront_size: 32
    .workgroup_processor_mode: 1
  - .args:
      - .offset:         0
        .size:           144
        .value_kind:     by_value
    .group_segment_fixed_size: 12680
    .kernarg_segment_align: 8
    .kernarg_segment_size: 144
    .language:       OpenCL C
    .language_version:
      - 2
      - 0
    .max_flat_workgroup_size: 384
    .name:           _ZN7rocprim17ROCPRIM_400000_NS6detail17trampoline_kernelINS0_14default_configENS1_25partition_config_selectorILNS1_17partition_subalgoE9EijbEEZZNS1_14partition_implILS5_9ELb0ES3_jN6thrust23THRUST_200600_302600_NS6detail15normal_iteratorINS9_10device_ptrIiEEEENSB_INSC_IjEEEEPNS0_10empty_typeENS0_5tupleIJNS9_16discard_iteratorINS9_11use_defaultEEESH_EEENSJ_IJSM_SI_EEENS0_18inequality_wrapperINS9_8equal_toIiEEEEPmJSH_EEE10hipError_tPvRmT3_T4_T5_T6_T7_T9_mT8_P12ihipStream_tbDpT10_ENKUlT_T0_E_clISt17integral_constantIbLb1EES1D_EEDaS18_S19_EUlS18_E_NS1_11comp_targetILNS1_3genE9ELNS1_11target_archE1100ELNS1_3gpuE3ELNS1_3repE0EEENS1_30default_config_static_selectorELNS0_4arch9wavefront6targetE0EEEvT1_
    .private_segment_fixed_size: 0
    .sgpr_count:     26
    .sgpr_spill_count: 0
    .symbol:         _ZN7rocprim17ROCPRIM_400000_NS6detail17trampoline_kernelINS0_14default_configENS1_25partition_config_selectorILNS1_17partition_subalgoE9EijbEEZZNS1_14partition_implILS5_9ELb0ES3_jN6thrust23THRUST_200600_302600_NS6detail15normal_iteratorINS9_10device_ptrIiEEEENSB_INSC_IjEEEEPNS0_10empty_typeENS0_5tupleIJNS9_16discard_iteratorINS9_11use_defaultEEESH_EEENSJ_IJSM_SI_EEENS0_18inequality_wrapperINS9_8equal_toIiEEEEPmJSH_EEE10hipError_tPvRmT3_T4_T5_T6_T7_T9_mT8_P12ihipStream_tbDpT10_ENKUlT_T0_E_clISt17integral_constantIbLb1EES1D_EEDaS18_S19_EUlS18_E_NS1_11comp_targetILNS1_3genE9ELNS1_11target_archE1100ELNS1_3gpuE3ELNS1_3repE0EEENS1_30default_config_static_selectorELNS0_4arch9wavefront6targetE0EEEvT1_.kd
    .uniform_work_group_size: 1
    .uses_dynamic_stack: false
    .vgpr_count:     53
    .vgpr_spill_count: 0
    .wavefront_size: 32
    .workgroup_processor_mode: 1
  - .args:
      - .offset:         0
        .size:           144
        .value_kind:     by_value
    .group_segment_fixed_size: 0
    .kernarg_segment_align: 8
    .kernarg_segment_size: 144
    .language:       OpenCL C
    .language_version:
      - 2
      - 0
    .max_flat_workgroup_size: 512
    .name:           _ZN7rocprim17ROCPRIM_400000_NS6detail17trampoline_kernelINS0_14default_configENS1_25partition_config_selectorILNS1_17partition_subalgoE9EijbEEZZNS1_14partition_implILS5_9ELb0ES3_jN6thrust23THRUST_200600_302600_NS6detail15normal_iteratorINS9_10device_ptrIiEEEENSB_INSC_IjEEEEPNS0_10empty_typeENS0_5tupleIJNS9_16discard_iteratorINS9_11use_defaultEEESH_EEENSJ_IJSM_SI_EEENS0_18inequality_wrapperINS9_8equal_toIiEEEEPmJSH_EEE10hipError_tPvRmT3_T4_T5_T6_T7_T9_mT8_P12ihipStream_tbDpT10_ENKUlT_T0_E_clISt17integral_constantIbLb1EES1D_EEDaS18_S19_EUlS18_E_NS1_11comp_targetILNS1_3genE8ELNS1_11target_archE1030ELNS1_3gpuE2ELNS1_3repE0EEENS1_30default_config_static_selectorELNS0_4arch9wavefront6targetE0EEEvT1_
    .private_segment_fixed_size: 0
    .sgpr_count:     0
    .sgpr_spill_count: 0
    .symbol:         _ZN7rocprim17ROCPRIM_400000_NS6detail17trampoline_kernelINS0_14default_configENS1_25partition_config_selectorILNS1_17partition_subalgoE9EijbEEZZNS1_14partition_implILS5_9ELb0ES3_jN6thrust23THRUST_200600_302600_NS6detail15normal_iteratorINS9_10device_ptrIiEEEENSB_INSC_IjEEEEPNS0_10empty_typeENS0_5tupleIJNS9_16discard_iteratorINS9_11use_defaultEEESH_EEENSJ_IJSM_SI_EEENS0_18inequality_wrapperINS9_8equal_toIiEEEEPmJSH_EEE10hipError_tPvRmT3_T4_T5_T6_T7_T9_mT8_P12ihipStream_tbDpT10_ENKUlT_T0_E_clISt17integral_constantIbLb1EES1D_EEDaS18_S19_EUlS18_E_NS1_11comp_targetILNS1_3genE8ELNS1_11target_archE1030ELNS1_3gpuE2ELNS1_3repE0EEENS1_30default_config_static_selectorELNS0_4arch9wavefront6targetE0EEEvT1_.kd
    .uniform_work_group_size: 1
    .uses_dynamic_stack: false
    .vgpr_count:     0
    .vgpr_spill_count: 0
    .wavefront_size: 32
    .workgroup_processor_mode: 1
  - .args:
      - .offset:         0
        .size:           128
        .value_kind:     by_value
    .group_segment_fixed_size: 0
    .kernarg_segment_align: 8
    .kernarg_segment_size: 128
    .language:       OpenCL C
    .language_version:
      - 2
      - 0
    .max_flat_workgroup_size: 256
    .name:           _ZN7rocprim17ROCPRIM_400000_NS6detail17trampoline_kernelINS0_14default_configENS1_25partition_config_selectorILNS1_17partition_subalgoE9EijbEEZZNS1_14partition_implILS5_9ELb0ES3_jN6thrust23THRUST_200600_302600_NS6detail15normal_iteratorINS9_10device_ptrIiEEEENSB_INSC_IjEEEEPNS0_10empty_typeENS0_5tupleIJNS9_16discard_iteratorINS9_11use_defaultEEESH_EEENSJ_IJSM_SI_EEENS0_18inequality_wrapperINS9_8equal_toIiEEEEPmJSH_EEE10hipError_tPvRmT3_T4_T5_T6_T7_T9_mT8_P12ihipStream_tbDpT10_ENKUlT_T0_E_clISt17integral_constantIbLb1EES1C_IbLb0EEEEDaS18_S19_EUlS18_E_NS1_11comp_targetILNS1_3genE0ELNS1_11target_archE4294967295ELNS1_3gpuE0ELNS1_3repE0EEENS1_30default_config_static_selectorELNS0_4arch9wavefront6targetE0EEEvT1_
    .private_segment_fixed_size: 0
    .sgpr_count:     0
    .sgpr_spill_count: 0
    .symbol:         _ZN7rocprim17ROCPRIM_400000_NS6detail17trampoline_kernelINS0_14default_configENS1_25partition_config_selectorILNS1_17partition_subalgoE9EijbEEZZNS1_14partition_implILS5_9ELb0ES3_jN6thrust23THRUST_200600_302600_NS6detail15normal_iteratorINS9_10device_ptrIiEEEENSB_INSC_IjEEEEPNS0_10empty_typeENS0_5tupleIJNS9_16discard_iteratorINS9_11use_defaultEEESH_EEENSJ_IJSM_SI_EEENS0_18inequality_wrapperINS9_8equal_toIiEEEEPmJSH_EEE10hipError_tPvRmT3_T4_T5_T6_T7_T9_mT8_P12ihipStream_tbDpT10_ENKUlT_T0_E_clISt17integral_constantIbLb1EES1C_IbLb0EEEEDaS18_S19_EUlS18_E_NS1_11comp_targetILNS1_3genE0ELNS1_11target_archE4294967295ELNS1_3gpuE0ELNS1_3repE0EEENS1_30default_config_static_selectorELNS0_4arch9wavefront6targetE0EEEvT1_.kd
    .uniform_work_group_size: 1
    .uses_dynamic_stack: false
    .vgpr_count:     0
    .vgpr_spill_count: 0
    .wavefront_size: 32
    .workgroup_processor_mode: 1
  - .args:
      - .offset:         0
        .size:           128
        .value_kind:     by_value
    .group_segment_fixed_size: 0
    .kernarg_segment_align: 8
    .kernarg_segment_size: 128
    .language:       OpenCL C
    .language_version:
      - 2
      - 0
    .max_flat_workgroup_size: 512
    .name:           _ZN7rocprim17ROCPRIM_400000_NS6detail17trampoline_kernelINS0_14default_configENS1_25partition_config_selectorILNS1_17partition_subalgoE9EijbEEZZNS1_14partition_implILS5_9ELb0ES3_jN6thrust23THRUST_200600_302600_NS6detail15normal_iteratorINS9_10device_ptrIiEEEENSB_INSC_IjEEEEPNS0_10empty_typeENS0_5tupleIJNS9_16discard_iteratorINS9_11use_defaultEEESH_EEENSJ_IJSM_SI_EEENS0_18inequality_wrapperINS9_8equal_toIiEEEEPmJSH_EEE10hipError_tPvRmT3_T4_T5_T6_T7_T9_mT8_P12ihipStream_tbDpT10_ENKUlT_T0_E_clISt17integral_constantIbLb1EES1C_IbLb0EEEEDaS18_S19_EUlS18_E_NS1_11comp_targetILNS1_3genE5ELNS1_11target_archE942ELNS1_3gpuE9ELNS1_3repE0EEENS1_30default_config_static_selectorELNS0_4arch9wavefront6targetE0EEEvT1_
    .private_segment_fixed_size: 0
    .sgpr_count:     0
    .sgpr_spill_count: 0
    .symbol:         _ZN7rocprim17ROCPRIM_400000_NS6detail17trampoline_kernelINS0_14default_configENS1_25partition_config_selectorILNS1_17partition_subalgoE9EijbEEZZNS1_14partition_implILS5_9ELb0ES3_jN6thrust23THRUST_200600_302600_NS6detail15normal_iteratorINS9_10device_ptrIiEEEENSB_INSC_IjEEEEPNS0_10empty_typeENS0_5tupleIJNS9_16discard_iteratorINS9_11use_defaultEEESH_EEENSJ_IJSM_SI_EEENS0_18inequality_wrapperINS9_8equal_toIiEEEEPmJSH_EEE10hipError_tPvRmT3_T4_T5_T6_T7_T9_mT8_P12ihipStream_tbDpT10_ENKUlT_T0_E_clISt17integral_constantIbLb1EES1C_IbLb0EEEEDaS18_S19_EUlS18_E_NS1_11comp_targetILNS1_3genE5ELNS1_11target_archE942ELNS1_3gpuE9ELNS1_3repE0EEENS1_30default_config_static_selectorELNS0_4arch9wavefront6targetE0EEEvT1_.kd
    .uniform_work_group_size: 1
    .uses_dynamic_stack: false
    .vgpr_count:     0
    .vgpr_spill_count: 0
    .wavefront_size: 32
    .workgroup_processor_mode: 1
  - .args:
      - .offset:         0
        .size:           128
        .value_kind:     by_value
    .group_segment_fixed_size: 0
    .kernarg_segment_align: 8
    .kernarg_segment_size: 128
    .language:       OpenCL C
    .language_version:
      - 2
      - 0
    .max_flat_workgroup_size: 192
    .name:           _ZN7rocprim17ROCPRIM_400000_NS6detail17trampoline_kernelINS0_14default_configENS1_25partition_config_selectorILNS1_17partition_subalgoE9EijbEEZZNS1_14partition_implILS5_9ELb0ES3_jN6thrust23THRUST_200600_302600_NS6detail15normal_iteratorINS9_10device_ptrIiEEEENSB_INSC_IjEEEEPNS0_10empty_typeENS0_5tupleIJNS9_16discard_iteratorINS9_11use_defaultEEESH_EEENSJ_IJSM_SI_EEENS0_18inequality_wrapperINS9_8equal_toIiEEEEPmJSH_EEE10hipError_tPvRmT3_T4_T5_T6_T7_T9_mT8_P12ihipStream_tbDpT10_ENKUlT_T0_E_clISt17integral_constantIbLb1EES1C_IbLb0EEEEDaS18_S19_EUlS18_E_NS1_11comp_targetILNS1_3genE4ELNS1_11target_archE910ELNS1_3gpuE8ELNS1_3repE0EEENS1_30default_config_static_selectorELNS0_4arch9wavefront6targetE0EEEvT1_
    .private_segment_fixed_size: 0
    .sgpr_count:     0
    .sgpr_spill_count: 0
    .symbol:         _ZN7rocprim17ROCPRIM_400000_NS6detail17trampoline_kernelINS0_14default_configENS1_25partition_config_selectorILNS1_17partition_subalgoE9EijbEEZZNS1_14partition_implILS5_9ELb0ES3_jN6thrust23THRUST_200600_302600_NS6detail15normal_iteratorINS9_10device_ptrIiEEEENSB_INSC_IjEEEEPNS0_10empty_typeENS0_5tupleIJNS9_16discard_iteratorINS9_11use_defaultEEESH_EEENSJ_IJSM_SI_EEENS0_18inequality_wrapperINS9_8equal_toIiEEEEPmJSH_EEE10hipError_tPvRmT3_T4_T5_T6_T7_T9_mT8_P12ihipStream_tbDpT10_ENKUlT_T0_E_clISt17integral_constantIbLb1EES1C_IbLb0EEEEDaS18_S19_EUlS18_E_NS1_11comp_targetILNS1_3genE4ELNS1_11target_archE910ELNS1_3gpuE8ELNS1_3repE0EEENS1_30default_config_static_selectorELNS0_4arch9wavefront6targetE0EEEvT1_.kd
    .uniform_work_group_size: 1
    .uses_dynamic_stack: false
    .vgpr_count:     0
    .vgpr_spill_count: 0
    .wavefront_size: 32
    .workgroup_processor_mode: 1
  - .args:
      - .offset:         0
        .size:           128
        .value_kind:     by_value
    .group_segment_fixed_size: 0
    .kernarg_segment_align: 8
    .kernarg_segment_size: 128
    .language:       OpenCL C
    .language_version:
      - 2
      - 0
    .max_flat_workgroup_size: 256
    .name:           _ZN7rocprim17ROCPRIM_400000_NS6detail17trampoline_kernelINS0_14default_configENS1_25partition_config_selectorILNS1_17partition_subalgoE9EijbEEZZNS1_14partition_implILS5_9ELb0ES3_jN6thrust23THRUST_200600_302600_NS6detail15normal_iteratorINS9_10device_ptrIiEEEENSB_INSC_IjEEEEPNS0_10empty_typeENS0_5tupleIJNS9_16discard_iteratorINS9_11use_defaultEEESH_EEENSJ_IJSM_SI_EEENS0_18inequality_wrapperINS9_8equal_toIiEEEEPmJSH_EEE10hipError_tPvRmT3_T4_T5_T6_T7_T9_mT8_P12ihipStream_tbDpT10_ENKUlT_T0_E_clISt17integral_constantIbLb1EES1C_IbLb0EEEEDaS18_S19_EUlS18_E_NS1_11comp_targetILNS1_3genE3ELNS1_11target_archE908ELNS1_3gpuE7ELNS1_3repE0EEENS1_30default_config_static_selectorELNS0_4arch9wavefront6targetE0EEEvT1_
    .private_segment_fixed_size: 0
    .sgpr_count:     0
    .sgpr_spill_count: 0
    .symbol:         _ZN7rocprim17ROCPRIM_400000_NS6detail17trampoline_kernelINS0_14default_configENS1_25partition_config_selectorILNS1_17partition_subalgoE9EijbEEZZNS1_14partition_implILS5_9ELb0ES3_jN6thrust23THRUST_200600_302600_NS6detail15normal_iteratorINS9_10device_ptrIiEEEENSB_INSC_IjEEEEPNS0_10empty_typeENS0_5tupleIJNS9_16discard_iteratorINS9_11use_defaultEEESH_EEENSJ_IJSM_SI_EEENS0_18inequality_wrapperINS9_8equal_toIiEEEEPmJSH_EEE10hipError_tPvRmT3_T4_T5_T6_T7_T9_mT8_P12ihipStream_tbDpT10_ENKUlT_T0_E_clISt17integral_constantIbLb1EES1C_IbLb0EEEEDaS18_S19_EUlS18_E_NS1_11comp_targetILNS1_3genE3ELNS1_11target_archE908ELNS1_3gpuE7ELNS1_3repE0EEENS1_30default_config_static_selectorELNS0_4arch9wavefront6targetE0EEEvT1_.kd
    .uniform_work_group_size: 1
    .uses_dynamic_stack: false
    .vgpr_count:     0
    .vgpr_spill_count: 0
    .wavefront_size: 32
    .workgroup_processor_mode: 1
  - .args:
      - .offset:         0
        .size:           128
        .value_kind:     by_value
    .group_segment_fixed_size: 0
    .kernarg_segment_align: 8
    .kernarg_segment_size: 128
    .language:       OpenCL C
    .language_version:
      - 2
      - 0
    .max_flat_workgroup_size: 256
    .name:           _ZN7rocprim17ROCPRIM_400000_NS6detail17trampoline_kernelINS0_14default_configENS1_25partition_config_selectorILNS1_17partition_subalgoE9EijbEEZZNS1_14partition_implILS5_9ELb0ES3_jN6thrust23THRUST_200600_302600_NS6detail15normal_iteratorINS9_10device_ptrIiEEEENSB_INSC_IjEEEEPNS0_10empty_typeENS0_5tupleIJNS9_16discard_iteratorINS9_11use_defaultEEESH_EEENSJ_IJSM_SI_EEENS0_18inequality_wrapperINS9_8equal_toIiEEEEPmJSH_EEE10hipError_tPvRmT3_T4_T5_T6_T7_T9_mT8_P12ihipStream_tbDpT10_ENKUlT_T0_E_clISt17integral_constantIbLb1EES1C_IbLb0EEEEDaS18_S19_EUlS18_E_NS1_11comp_targetILNS1_3genE2ELNS1_11target_archE906ELNS1_3gpuE6ELNS1_3repE0EEENS1_30default_config_static_selectorELNS0_4arch9wavefront6targetE0EEEvT1_
    .private_segment_fixed_size: 0
    .sgpr_count:     0
    .sgpr_spill_count: 0
    .symbol:         _ZN7rocprim17ROCPRIM_400000_NS6detail17trampoline_kernelINS0_14default_configENS1_25partition_config_selectorILNS1_17partition_subalgoE9EijbEEZZNS1_14partition_implILS5_9ELb0ES3_jN6thrust23THRUST_200600_302600_NS6detail15normal_iteratorINS9_10device_ptrIiEEEENSB_INSC_IjEEEEPNS0_10empty_typeENS0_5tupleIJNS9_16discard_iteratorINS9_11use_defaultEEESH_EEENSJ_IJSM_SI_EEENS0_18inequality_wrapperINS9_8equal_toIiEEEEPmJSH_EEE10hipError_tPvRmT3_T4_T5_T6_T7_T9_mT8_P12ihipStream_tbDpT10_ENKUlT_T0_E_clISt17integral_constantIbLb1EES1C_IbLb0EEEEDaS18_S19_EUlS18_E_NS1_11comp_targetILNS1_3genE2ELNS1_11target_archE906ELNS1_3gpuE6ELNS1_3repE0EEENS1_30default_config_static_selectorELNS0_4arch9wavefront6targetE0EEEvT1_.kd
    .uniform_work_group_size: 1
    .uses_dynamic_stack: false
    .vgpr_count:     0
    .vgpr_spill_count: 0
    .wavefront_size: 32
    .workgroup_processor_mode: 1
  - .args:
      - .offset:         0
        .size:           128
        .value_kind:     by_value
    .group_segment_fixed_size: 0
    .kernarg_segment_align: 8
    .kernarg_segment_size: 128
    .language:       OpenCL C
    .language_version:
      - 2
      - 0
    .max_flat_workgroup_size: 384
    .name:           _ZN7rocprim17ROCPRIM_400000_NS6detail17trampoline_kernelINS0_14default_configENS1_25partition_config_selectorILNS1_17partition_subalgoE9EijbEEZZNS1_14partition_implILS5_9ELb0ES3_jN6thrust23THRUST_200600_302600_NS6detail15normal_iteratorINS9_10device_ptrIiEEEENSB_INSC_IjEEEEPNS0_10empty_typeENS0_5tupleIJNS9_16discard_iteratorINS9_11use_defaultEEESH_EEENSJ_IJSM_SI_EEENS0_18inequality_wrapperINS9_8equal_toIiEEEEPmJSH_EEE10hipError_tPvRmT3_T4_T5_T6_T7_T9_mT8_P12ihipStream_tbDpT10_ENKUlT_T0_E_clISt17integral_constantIbLb1EES1C_IbLb0EEEEDaS18_S19_EUlS18_E_NS1_11comp_targetILNS1_3genE10ELNS1_11target_archE1200ELNS1_3gpuE4ELNS1_3repE0EEENS1_30default_config_static_selectorELNS0_4arch9wavefront6targetE0EEEvT1_
    .private_segment_fixed_size: 0
    .sgpr_count:     0
    .sgpr_spill_count: 0
    .symbol:         _ZN7rocprim17ROCPRIM_400000_NS6detail17trampoline_kernelINS0_14default_configENS1_25partition_config_selectorILNS1_17partition_subalgoE9EijbEEZZNS1_14partition_implILS5_9ELb0ES3_jN6thrust23THRUST_200600_302600_NS6detail15normal_iteratorINS9_10device_ptrIiEEEENSB_INSC_IjEEEEPNS0_10empty_typeENS0_5tupleIJNS9_16discard_iteratorINS9_11use_defaultEEESH_EEENSJ_IJSM_SI_EEENS0_18inequality_wrapperINS9_8equal_toIiEEEEPmJSH_EEE10hipError_tPvRmT3_T4_T5_T6_T7_T9_mT8_P12ihipStream_tbDpT10_ENKUlT_T0_E_clISt17integral_constantIbLb1EES1C_IbLb0EEEEDaS18_S19_EUlS18_E_NS1_11comp_targetILNS1_3genE10ELNS1_11target_archE1200ELNS1_3gpuE4ELNS1_3repE0EEENS1_30default_config_static_selectorELNS0_4arch9wavefront6targetE0EEEvT1_.kd
    .uniform_work_group_size: 1
    .uses_dynamic_stack: false
    .vgpr_count:     0
    .vgpr_spill_count: 0
    .wavefront_size: 32
    .workgroup_processor_mode: 1
  - .args:
      - .offset:         0
        .size:           128
        .value_kind:     by_value
    .group_segment_fixed_size: 12680
    .kernarg_segment_align: 8
    .kernarg_segment_size: 128
    .language:       OpenCL C
    .language_version:
      - 2
      - 0
    .max_flat_workgroup_size: 384
    .name:           _ZN7rocprim17ROCPRIM_400000_NS6detail17trampoline_kernelINS0_14default_configENS1_25partition_config_selectorILNS1_17partition_subalgoE9EijbEEZZNS1_14partition_implILS5_9ELb0ES3_jN6thrust23THRUST_200600_302600_NS6detail15normal_iteratorINS9_10device_ptrIiEEEENSB_INSC_IjEEEEPNS0_10empty_typeENS0_5tupleIJNS9_16discard_iteratorINS9_11use_defaultEEESH_EEENSJ_IJSM_SI_EEENS0_18inequality_wrapperINS9_8equal_toIiEEEEPmJSH_EEE10hipError_tPvRmT3_T4_T5_T6_T7_T9_mT8_P12ihipStream_tbDpT10_ENKUlT_T0_E_clISt17integral_constantIbLb1EES1C_IbLb0EEEEDaS18_S19_EUlS18_E_NS1_11comp_targetILNS1_3genE9ELNS1_11target_archE1100ELNS1_3gpuE3ELNS1_3repE0EEENS1_30default_config_static_selectorELNS0_4arch9wavefront6targetE0EEEvT1_
    .private_segment_fixed_size: 0
    .sgpr_count:     27
    .sgpr_spill_count: 0
    .symbol:         _ZN7rocprim17ROCPRIM_400000_NS6detail17trampoline_kernelINS0_14default_configENS1_25partition_config_selectorILNS1_17partition_subalgoE9EijbEEZZNS1_14partition_implILS5_9ELb0ES3_jN6thrust23THRUST_200600_302600_NS6detail15normal_iteratorINS9_10device_ptrIiEEEENSB_INSC_IjEEEEPNS0_10empty_typeENS0_5tupleIJNS9_16discard_iteratorINS9_11use_defaultEEESH_EEENSJ_IJSM_SI_EEENS0_18inequality_wrapperINS9_8equal_toIiEEEEPmJSH_EEE10hipError_tPvRmT3_T4_T5_T6_T7_T9_mT8_P12ihipStream_tbDpT10_ENKUlT_T0_E_clISt17integral_constantIbLb1EES1C_IbLb0EEEEDaS18_S19_EUlS18_E_NS1_11comp_targetILNS1_3genE9ELNS1_11target_archE1100ELNS1_3gpuE3ELNS1_3repE0EEENS1_30default_config_static_selectorELNS0_4arch9wavefront6targetE0EEEvT1_.kd
    .uniform_work_group_size: 1
    .uses_dynamic_stack: false
    .vgpr_count:     51
    .vgpr_spill_count: 0
    .wavefront_size: 32
    .workgroup_processor_mode: 1
  - .args:
      - .offset:         0
        .size:           128
        .value_kind:     by_value
    .group_segment_fixed_size: 0
    .kernarg_segment_align: 8
    .kernarg_segment_size: 128
    .language:       OpenCL C
    .language_version:
      - 2
      - 0
    .max_flat_workgroup_size: 512
    .name:           _ZN7rocprim17ROCPRIM_400000_NS6detail17trampoline_kernelINS0_14default_configENS1_25partition_config_selectorILNS1_17partition_subalgoE9EijbEEZZNS1_14partition_implILS5_9ELb0ES3_jN6thrust23THRUST_200600_302600_NS6detail15normal_iteratorINS9_10device_ptrIiEEEENSB_INSC_IjEEEEPNS0_10empty_typeENS0_5tupleIJNS9_16discard_iteratorINS9_11use_defaultEEESH_EEENSJ_IJSM_SI_EEENS0_18inequality_wrapperINS9_8equal_toIiEEEEPmJSH_EEE10hipError_tPvRmT3_T4_T5_T6_T7_T9_mT8_P12ihipStream_tbDpT10_ENKUlT_T0_E_clISt17integral_constantIbLb1EES1C_IbLb0EEEEDaS18_S19_EUlS18_E_NS1_11comp_targetILNS1_3genE8ELNS1_11target_archE1030ELNS1_3gpuE2ELNS1_3repE0EEENS1_30default_config_static_selectorELNS0_4arch9wavefront6targetE0EEEvT1_
    .private_segment_fixed_size: 0
    .sgpr_count:     0
    .sgpr_spill_count: 0
    .symbol:         _ZN7rocprim17ROCPRIM_400000_NS6detail17trampoline_kernelINS0_14default_configENS1_25partition_config_selectorILNS1_17partition_subalgoE9EijbEEZZNS1_14partition_implILS5_9ELb0ES3_jN6thrust23THRUST_200600_302600_NS6detail15normal_iteratorINS9_10device_ptrIiEEEENSB_INSC_IjEEEEPNS0_10empty_typeENS0_5tupleIJNS9_16discard_iteratorINS9_11use_defaultEEESH_EEENSJ_IJSM_SI_EEENS0_18inequality_wrapperINS9_8equal_toIiEEEEPmJSH_EEE10hipError_tPvRmT3_T4_T5_T6_T7_T9_mT8_P12ihipStream_tbDpT10_ENKUlT_T0_E_clISt17integral_constantIbLb1EES1C_IbLb0EEEEDaS18_S19_EUlS18_E_NS1_11comp_targetILNS1_3genE8ELNS1_11target_archE1030ELNS1_3gpuE2ELNS1_3repE0EEENS1_30default_config_static_selectorELNS0_4arch9wavefront6targetE0EEEvT1_.kd
    .uniform_work_group_size: 1
    .uses_dynamic_stack: false
    .vgpr_count:     0
    .vgpr_spill_count: 0
    .wavefront_size: 32
    .workgroup_processor_mode: 1
  - .args:
      - .offset:         0
        .size:           144
        .value_kind:     by_value
    .group_segment_fixed_size: 0
    .kernarg_segment_align: 8
    .kernarg_segment_size: 144
    .language:       OpenCL C
    .language_version:
      - 2
      - 0
    .max_flat_workgroup_size: 256
    .name:           _ZN7rocprim17ROCPRIM_400000_NS6detail17trampoline_kernelINS0_14default_configENS1_25partition_config_selectorILNS1_17partition_subalgoE9EijbEEZZNS1_14partition_implILS5_9ELb0ES3_jN6thrust23THRUST_200600_302600_NS6detail15normal_iteratorINS9_10device_ptrIiEEEENSB_INSC_IjEEEEPNS0_10empty_typeENS0_5tupleIJNS9_16discard_iteratorINS9_11use_defaultEEESH_EEENSJ_IJSM_SI_EEENS0_18inequality_wrapperINS9_8equal_toIiEEEEPmJSH_EEE10hipError_tPvRmT3_T4_T5_T6_T7_T9_mT8_P12ihipStream_tbDpT10_ENKUlT_T0_E_clISt17integral_constantIbLb0EES1C_IbLb1EEEEDaS18_S19_EUlS18_E_NS1_11comp_targetILNS1_3genE0ELNS1_11target_archE4294967295ELNS1_3gpuE0ELNS1_3repE0EEENS1_30default_config_static_selectorELNS0_4arch9wavefront6targetE0EEEvT1_
    .private_segment_fixed_size: 0
    .sgpr_count:     0
    .sgpr_spill_count: 0
    .symbol:         _ZN7rocprim17ROCPRIM_400000_NS6detail17trampoline_kernelINS0_14default_configENS1_25partition_config_selectorILNS1_17partition_subalgoE9EijbEEZZNS1_14partition_implILS5_9ELb0ES3_jN6thrust23THRUST_200600_302600_NS6detail15normal_iteratorINS9_10device_ptrIiEEEENSB_INSC_IjEEEEPNS0_10empty_typeENS0_5tupleIJNS9_16discard_iteratorINS9_11use_defaultEEESH_EEENSJ_IJSM_SI_EEENS0_18inequality_wrapperINS9_8equal_toIiEEEEPmJSH_EEE10hipError_tPvRmT3_T4_T5_T6_T7_T9_mT8_P12ihipStream_tbDpT10_ENKUlT_T0_E_clISt17integral_constantIbLb0EES1C_IbLb1EEEEDaS18_S19_EUlS18_E_NS1_11comp_targetILNS1_3genE0ELNS1_11target_archE4294967295ELNS1_3gpuE0ELNS1_3repE0EEENS1_30default_config_static_selectorELNS0_4arch9wavefront6targetE0EEEvT1_.kd
    .uniform_work_group_size: 1
    .uses_dynamic_stack: false
    .vgpr_count:     0
    .vgpr_spill_count: 0
    .wavefront_size: 32
    .workgroup_processor_mode: 1
  - .args:
      - .offset:         0
        .size:           144
        .value_kind:     by_value
    .group_segment_fixed_size: 0
    .kernarg_segment_align: 8
    .kernarg_segment_size: 144
    .language:       OpenCL C
    .language_version:
      - 2
      - 0
    .max_flat_workgroup_size: 512
    .name:           _ZN7rocprim17ROCPRIM_400000_NS6detail17trampoline_kernelINS0_14default_configENS1_25partition_config_selectorILNS1_17partition_subalgoE9EijbEEZZNS1_14partition_implILS5_9ELb0ES3_jN6thrust23THRUST_200600_302600_NS6detail15normal_iteratorINS9_10device_ptrIiEEEENSB_INSC_IjEEEEPNS0_10empty_typeENS0_5tupleIJNS9_16discard_iteratorINS9_11use_defaultEEESH_EEENSJ_IJSM_SI_EEENS0_18inequality_wrapperINS9_8equal_toIiEEEEPmJSH_EEE10hipError_tPvRmT3_T4_T5_T6_T7_T9_mT8_P12ihipStream_tbDpT10_ENKUlT_T0_E_clISt17integral_constantIbLb0EES1C_IbLb1EEEEDaS18_S19_EUlS18_E_NS1_11comp_targetILNS1_3genE5ELNS1_11target_archE942ELNS1_3gpuE9ELNS1_3repE0EEENS1_30default_config_static_selectorELNS0_4arch9wavefront6targetE0EEEvT1_
    .private_segment_fixed_size: 0
    .sgpr_count:     0
    .sgpr_spill_count: 0
    .symbol:         _ZN7rocprim17ROCPRIM_400000_NS6detail17trampoline_kernelINS0_14default_configENS1_25partition_config_selectorILNS1_17partition_subalgoE9EijbEEZZNS1_14partition_implILS5_9ELb0ES3_jN6thrust23THRUST_200600_302600_NS6detail15normal_iteratorINS9_10device_ptrIiEEEENSB_INSC_IjEEEEPNS0_10empty_typeENS0_5tupleIJNS9_16discard_iteratorINS9_11use_defaultEEESH_EEENSJ_IJSM_SI_EEENS0_18inequality_wrapperINS9_8equal_toIiEEEEPmJSH_EEE10hipError_tPvRmT3_T4_T5_T6_T7_T9_mT8_P12ihipStream_tbDpT10_ENKUlT_T0_E_clISt17integral_constantIbLb0EES1C_IbLb1EEEEDaS18_S19_EUlS18_E_NS1_11comp_targetILNS1_3genE5ELNS1_11target_archE942ELNS1_3gpuE9ELNS1_3repE0EEENS1_30default_config_static_selectorELNS0_4arch9wavefront6targetE0EEEvT1_.kd
    .uniform_work_group_size: 1
    .uses_dynamic_stack: false
    .vgpr_count:     0
    .vgpr_spill_count: 0
    .wavefront_size: 32
    .workgroup_processor_mode: 1
  - .args:
      - .offset:         0
        .size:           144
        .value_kind:     by_value
    .group_segment_fixed_size: 0
    .kernarg_segment_align: 8
    .kernarg_segment_size: 144
    .language:       OpenCL C
    .language_version:
      - 2
      - 0
    .max_flat_workgroup_size: 192
    .name:           _ZN7rocprim17ROCPRIM_400000_NS6detail17trampoline_kernelINS0_14default_configENS1_25partition_config_selectorILNS1_17partition_subalgoE9EijbEEZZNS1_14partition_implILS5_9ELb0ES3_jN6thrust23THRUST_200600_302600_NS6detail15normal_iteratorINS9_10device_ptrIiEEEENSB_INSC_IjEEEEPNS0_10empty_typeENS0_5tupleIJNS9_16discard_iteratorINS9_11use_defaultEEESH_EEENSJ_IJSM_SI_EEENS0_18inequality_wrapperINS9_8equal_toIiEEEEPmJSH_EEE10hipError_tPvRmT3_T4_T5_T6_T7_T9_mT8_P12ihipStream_tbDpT10_ENKUlT_T0_E_clISt17integral_constantIbLb0EES1C_IbLb1EEEEDaS18_S19_EUlS18_E_NS1_11comp_targetILNS1_3genE4ELNS1_11target_archE910ELNS1_3gpuE8ELNS1_3repE0EEENS1_30default_config_static_selectorELNS0_4arch9wavefront6targetE0EEEvT1_
    .private_segment_fixed_size: 0
    .sgpr_count:     0
    .sgpr_spill_count: 0
    .symbol:         _ZN7rocprim17ROCPRIM_400000_NS6detail17trampoline_kernelINS0_14default_configENS1_25partition_config_selectorILNS1_17partition_subalgoE9EijbEEZZNS1_14partition_implILS5_9ELb0ES3_jN6thrust23THRUST_200600_302600_NS6detail15normal_iteratorINS9_10device_ptrIiEEEENSB_INSC_IjEEEEPNS0_10empty_typeENS0_5tupleIJNS9_16discard_iteratorINS9_11use_defaultEEESH_EEENSJ_IJSM_SI_EEENS0_18inequality_wrapperINS9_8equal_toIiEEEEPmJSH_EEE10hipError_tPvRmT3_T4_T5_T6_T7_T9_mT8_P12ihipStream_tbDpT10_ENKUlT_T0_E_clISt17integral_constantIbLb0EES1C_IbLb1EEEEDaS18_S19_EUlS18_E_NS1_11comp_targetILNS1_3genE4ELNS1_11target_archE910ELNS1_3gpuE8ELNS1_3repE0EEENS1_30default_config_static_selectorELNS0_4arch9wavefront6targetE0EEEvT1_.kd
    .uniform_work_group_size: 1
    .uses_dynamic_stack: false
    .vgpr_count:     0
    .vgpr_spill_count: 0
    .wavefront_size: 32
    .workgroup_processor_mode: 1
  - .args:
      - .offset:         0
        .size:           144
        .value_kind:     by_value
    .group_segment_fixed_size: 0
    .kernarg_segment_align: 8
    .kernarg_segment_size: 144
    .language:       OpenCL C
    .language_version:
      - 2
      - 0
    .max_flat_workgroup_size: 256
    .name:           _ZN7rocprim17ROCPRIM_400000_NS6detail17trampoline_kernelINS0_14default_configENS1_25partition_config_selectorILNS1_17partition_subalgoE9EijbEEZZNS1_14partition_implILS5_9ELb0ES3_jN6thrust23THRUST_200600_302600_NS6detail15normal_iteratorINS9_10device_ptrIiEEEENSB_INSC_IjEEEEPNS0_10empty_typeENS0_5tupleIJNS9_16discard_iteratorINS9_11use_defaultEEESH_EEENSJ_IJSM_SI_EEENS0_18inequality_wrapperINS9_8equal_toIiEEEEPmJSH_EEE10hipError_tPvRmT3_T4_T5_T6_T7_T9_mT8_P12ihipStream_tbDpT10_ENKUlT_T0_E_clISt17integral_constantIbLb0EES1C_IbLb1EEEEDaS18_S19_EUlS18_E_NS1_11comp_targetILNS1_3genE3ELNS1_11target_archE908ELNS1_3gpuE7ELNS1_3repE0EEENS1_30default_config_static_selectorELNS0_4arch9wavefront6targetE0EEEvT1_
    .private_segment_fixed_size: 0
    .sgpr_count:     0
    .sgpr_spill_count: 0
    .symbol:         _ZN7rocprim17ROCPRIM_400000_NS6detail17trampoline_kernelINS0_14default_configENS1_25partition_config_selectorILNS1_17partition_subalgoE9EijbEEZZNS1_14partition_implILS5_9ELb0ES3_jN6thrust23THRUST_200600_302600_NS6detail15normal_iteratorINS9_10device_ptrIiEEEENSB_INSC_IjEEEEPNS0_10empty_typeENS0_5tupleIJNS9_16discard_iteratorINS9_11use_defaultEEESH_EEENSJ_IJSM_SI_EEENS0_18inequality_wrapperINS9_8equal_toIiEEEEPmJSH_EEE10hipError_tPvRmT3_T4_T5_T6_T7_T9_mT8_P12ihipStream_tbDpT10_ENKUlT_T0_E_clISt17integral_constantIbLb0EES1C_IbLb1EEEEDaS18_S19_EUlS18_E_NS1_11comp_targetILNS1_3genE3ELNS1_11target_archE908ELNS1_3gpuE7ELNS1_3repE0EEENS1_30default_config_static_selectorELNS0_4arch9wavefront6targetE0EEEvT1_.kd
    .uniform_work_group_size: 1
    .uses_dynamic_stack: false
    .vgpr_count:     0
    .vgpr_spill_count: 0
    .wavefront_size: 32
    .workgroup_processor_mode: 1
  - .args:
      - .offset:         0
        .size:           144
        .value_kind:     by_value
    .group_segment_fixed_size: 0
    .kernarg_segment_align: 8
    .kernarg_segment_size: 144
    .language:       OpenCL C
    .language_version:
      - 2
      - 0
    .max_flat_workgroup_size: 256
    .name:           _ZN7rocprim17ROCPRIM_400000_NS6detail17trampoline_kernelINS0_14default_configENS1_25partition_config_selectorILNS1_17partition_subalgoE9EijbEEZZNS1_14partition_implILS5_9ELb0ES3_jN6thrust23THRUST_200600_302600_NS6detail15normal_iteratorINS9_10device_ptrIiEEEENSB_INSC_IjEEEEPNS0_10empty_typeENS0_5tupleIJNS9_16discard_iteratorINS9_11use_defaultEEESH_EEENSJ_IJSM_SI_EEENS0_18inequality_wrapperINS9_8equal_toIiEEEEPmJSH_EEE10hipError_tPvRmT3_T4_T5_T6_T7_T9_mT8_P12ihipStream_tbDpT10_ENKUlT_T0_E_clISt17integral_constantIbLb0EES1C_IbLb1EEEEDaS18_S19_EUlS18_E_NS1_11comp_targetILNS1_3genE2ELNS1_11target_archE906ELNS1_3gpuE6ELNS1_3repE0EEENS1_30default_config_static_selectorELNS0_4arch9wavefront6targetE0EEEvT1_
    .private_segment_fixed_size: 0
    .sgpr_count:     0
    .sgpr_spill_count: 0
    .symbol:         _ZN7rocprim17ROCPRIM_400000_NS6detail17trampoline_kernelINS0_14default_configENS1_25partition_config_selectorILNS1_17partition_subalgoE9EijbEEZZNS1_14partition_implILS5_9ELb0ES3_jN6thrust23THRUST_200600_302600_NS6detail15normal_iteratorINS9_10device_ptrIiEEEENSB_INSC_IjEEEEPNS0_10empty_typeENS0_5tupleIJNS9_16discard_iteratorINS9_11use_defaultEEESH_EEENSJ_IJSM_SI_EEENS0_18inequality_wrapperINS9_8equal_toIiEEEEPmJSH_EEE10hipError_tPvRmT3_T4_T5_T6_T7_T9_mT8_P12ihipStream_tbDpT10_ENKUlT_T0_E_clISt17integral_constantIbLb0EES1C_IbLb1EEEEDaS18_S19_EUlS18_E_NS1_11comp_targetILNS1_3genE2ELNS1_11target_archE906ELNS1_3gpuE6ELNS1_3repE0EEENS1_30default_config_static_selectorELNS0_4arch9wavefront6targetE0EEEvT1_.kd
    .uniform_work_group_size: 1
    .uses_dynamic_stack: false
    .vgpr_count:     0
    .vgpr_spill_count: 0
    .wavefront_size: 32
    .workgroup_processor_mode: 1
  - .args:
      - .offset:         0
        .size:           144
        .value_kind:     by_value
    .group_segment_fixed_size: 0
    .kernarg_segment_align: 8
    .kernarg_segment_size: 144
    .language:       OpenCL C
    .language_version:
      - 2
      - 0
    .max_flat_workgroup_size: 384
    .name:           _ZN7rocprim17ROCPRIM_400000_NS6detail17trampoline_kernelINS0_14default_configENS1_25partition_config_selectorILNS1_17partition_subalgoE9EijbEEZZNS1_14partition_implILS5_9ELb0ES3_jN6thrust23THRUST_200600_302600_NS6detail15normal_iteratorINS9_10device_ptrIiEEEENSB_INSC_IjEEEEPNS0_10empty_typeENS0_5tupleIJNS9_16discard_iteratorINS9_11use_defaultEEESH_EEENSJ_IJSM_SI_EEENS0_18inequality_wrapperINS9_8equal_toIiEEEEPmJSH_EEE10hipError_tPvRmT3_T4_T5_T6_T7_T9_mT8_P12ihipStream_tbDpT10_ENKUlT_T0_E_clISt17integral_constantIbLb0EES1C_IbLb1EEEEDaS18_S19_EUlS18_E_NS1_11comp_targetILNS1_3genE10ELNS1_11target_archE1200ELNS1_3gpuE4ELNS1_3repE0EEENS1_30default_config_static_selectorELNS0_4arch9wavefront6targetE0EEEvT1_
    .private_segment_fixed_size: 0
    .sgpr_count:     0
    .sgpr_spill_count: 0
    .symbol:         _ZN7rocprim17ROCPRIM_400000_NS6detail17trampoline_kernelINS0_14default_configENS1_25partition_config_selectorILNS1_17partition_subalgoE9EijbEEZZNS1_14partition_implILS5_9ELb0ES3_jN6thrust23THRUST_200600_302600_NS6detail15normal_iteratorINS9_10device_ptrIiEEEENSB_INSC_IjEEEEPNS0_10empty_typeENS0_5tupleIJNS9_16discard_iteratorINS9_11use_defaultEEESH_EEENSJ_IJSM_SI_EEENS0_18inequality_wrapperINS9_8equal_toIiEEEEPmJSH_EEE10hipError_tPvRmT3_T4_T5_T6_T7_T9_mT8_P12ihipStream_tbDpT10_ENKUlT_T0_E_clISt17integral_constantIbLb0EES1C_IbLb1EEEEDaS18_S19_EUlS18_E_NS1_11comp_targetILNS1_3genE10ELNS1_11target_archE1200ELNS1_3gpuE4ELNS1_3repE0EEENS1_30default_config_static_selectorELNS0_4arch9wavefront6targetE0EEEvT1_.kd
    .uniform_work_group_size: 1
    .uses_dynamic_stack: false
    .vgpr_count:     0
    .vgpr_spill_count: 0
    .wavefront_size: 32
    .workgroup_processor_mode: 1
  - .args:
      - .offset:         0
        .size:           144
        .value_kind:     by_value
    .group_segment_fixed_size: 12680
    .kernarg_segment_align: 8
    .kernarg_segment_size: 144
    .language:       OpenCL C
    .language_version:
      - 2
      - 0
    .max_flat_workgroup_size: 384
    .name:           _ZN7rocprim17ROCPRIM_400000_NS6detail17trampoline_kernelINS0_14default_configENS1_25partition_config_selectorILNS1_17partition_subalgoE9EijbEEZZNS1_14partition_implILS5_9ELb0ES3_jN6thrust23THRUST_200600_302600_NS6detail15normal_iteratorINS9_10device_ptrIiEEEENSB_INSC_IjEEEEPNS0_10empty_typeENS0_5tupleIJNS9_16discard_iteratorINS9_11use_defaultEEESH_EEENSJ_IJSM_SI_EEENS0_18inequality_wrapperINS9_8equal_toIiEEEEPmJSH_EEE10hipError_tPvRmT3_T4_T5_T6_T7_T9_mT8_P12ihipStream_tbDpT10_ENKUlT_T0_E_clISt17integral_constantIbLb0EES1C_IbLb1EEEEDaS18_S19_EUlS18_E_NS1_11comp_targetILNS1_3genE9ELNS1_11target_archE1100ELNS1_3gpuE3ELNS1_3repE0EEENS1_30default_config_static_selectorELNS0_4arch9wavefront6targetE0EEEvT1_
    .private_segment_fixed_size: 0
    .sgpr_count:     26
    .sgpr_spill_count: 0
    .symbol:         _ZN7rocprim17ROCPRIM_400000_NS6detail17trampoline_kernelINS0_14default_configENS1_25partition_config_selectorILNS1_17partition_subalgoE9EijbEEZZNS1_14partition_implILS5_9ELb0ES3_jN6thrust23THRUST_200600_302600_NS6detail15normal_iteratorINS9_10device_ptrIiEEEENSB_INSC_IjEEEEPNS0_10empty_typeENS0_5tupleIJNS9_16discard_iteratorINS9_11use_defaultEEESH_EEENSJ_IJSM_SI_EEENS0_18inequality_wrapperINS9_8equal_toIiEEEEPmJSH_EEE10hipError_tPvRmT3_T4_T5_T6_T7_T9_mT8_P12ihipStream_tbDpT10_ENKUlT_T0_E_clISt17integral_constantIbLb0EES1C_IbLb1EEEEDaS18_S19_EUlS18_E_NS1_11comp_targetILNS1_3genE9ELNS1_11target_archE1100ELNS1_3gpuE3ELNS1_3repE0EEENS1_30default_config_static_selectorELNS0_4arch9wavefront6targetE0EEEvT1_.kd
    .uniform_work_group_size: 1
    .uses_dynamic_stack: false
    .vgpr_count:     53
    .vgpr_spill_count: 0
    .wavefront_size: 32
    .workgroup_processor_mode: 1
  - .args:
      - .offset:         0
        .size:           144
        .value_kind:     by_value
    .group_segment_fixed_size: 0
    .kernarg_segment_align: 8
    .kernarg_segment_size: 144
    .language:       OpenCL C
    .language_version:
      - 2
      - 0
    .max_flat_workgroup_size: 512
    .name:           _ZN7rocprim17ROCPRIM_400000_NS6detail17trampoline_kernelINS0_14default_configENS1_25partition_config_selectorILNS1_17partition_subalgoE9EijbEEZZNS1_14partition_implILS5_9ELb0ES3_jN6thrust23THRUST_200600_302600_NS6detail15normal_iteratorINS9_10device_ptrIiEEEENSB_INSC_IjEEEEPNS0_10empty_typeENS0_5tupleIJNS9_16discard_iteratorINS9_11use_defaultEEESH_EEENSJ_IJSM_SI_EEENS0_18inequality_wrapperINS9_8equal_toIiEEEEPmJSH_EEE10hipError_tPvRmT3_T4_T5_T6_T7_T9_mT8_P12ihipStream_tbDpT10_ENKUlT_T0_E_clISt17integral_constantIbLb0EES1C_IbLb1EEEEDaS18_S19_EUlS18_E_NS1_11comp_targetILNS1_3genE8ELNS1_11target_archE1030ELNS1_3gpuE2ELNS1_3repE0EEENS1_30default_config_static_selectorELNS0_4arch9wavefront6targetE0EEEvT1_
    .private_segment_fixed_size: 0
    .sgpr_count:     0
    .sgpr_spill_count: 0
    .symbol:         _ZN7rocprim17ROCPRIM_400000_NS6detail17trampoline_kernelINS0_14default_configENS1_25partition_config_selectorILNS1_17partition_subalgoE9EijbEEZZNS1_14partition_implILS5_9ELb0ES3_jN6thrust23THRUST_200600_302600_NS6detail15normal_iteratorINS9_10device_ptrIiEEEENSB_INSC_IjEEEEPNS0_10empty_typeENS0_5tupleIJNS9_16discard_iteratorINS9_11use_defaultEEESH_EEENSJ_IJSM_SI_EEENS0_18inequality_wrapperINS9_8equal_toIiEEEEPmJSH_EEE10hipError_tPvRmT3_T4_T5_T6_T7_T9_mT8_P12ihipStream_tbDpT10_ENKUlT_T0_E_clISt17integral_constantIbLb0EES1C_IbLb1EEEEDaS18_S19_EUlS18_E_NS1_11comp_targetILNS1_3genE8ELNS1_11target_archE1030ELNS1_3gpuE2ELNS1_3repE0EEENS1_30default_config_static_selectorELNS0_4arch9wavefront6targetE0EEEvT1_.kd
    .uniform_work_group_size: 1
    .uses_dynamic_stack: false
    .vgpr_count:     0
    .vgpr_spill_count: 0
    .wavefront_size: 32
    .workgroup_processor_mode: 1
  - .args:
      - .offset:         0
        .size:           120
        .value_kind:     by_value
    .group_segment_fixed_size: 0
    .kernarg_segment_align: 8
    .kernarg_segment_size: 120
    .language:       OpenCL C
    .language_version:
      - 2
      - 0
    .max_flat_workgroup_size: 256
    .name:           _ZN7rocprim17ROCPRIM_400000_NS6detail17trampoline_kernelINS0_14default_configENS1_25partition_config_selectorILNS1_17partition_subalgoE9EijbEEZZNS1_14partition_implILS5_9ELb0ES3_jN6thrust23THRUST_200600_302600_NS6detail15normal_iteratorINS9_10device_ptrIiEEEENSB_INSC_IjEEEEPNS0_10empty_typeENS0_5tupleIJSE_SH_EEENSJ_IJNS9_16discard_iteratorINS9_11use_defaultEEESI_EEENS0_18inequality_wrapperINS9_8equal_toIiEEEEPmJSH_EEE10hipError_tPvRmT3_T4_T5_T6_T7_T9_mT8_P12ihipStream_tbDpT10_ENKUlT_T0_E_clISt17integral_constantIbLb0EES1D_EEDaS18_S19_EUlS18_E_NS1_11comp_targetILNS1_3genE0ELNS1_11target_archE4294967295ELNS1_3gpuE0ELNS1_3repE0EEENS1_30default_config_static_selectorELNS0_4arch9wavefront6targetE0EEEvT1_
    .private_segment_fixed_size: 0
    .sgpr_count:     0
    .sgpr_spill_count: 0
    .symbol:         _ZN7rocprim17ROCPRIM_400000_NS6detail17trampoline_kernelINS0_14default_configENS1_25partition_config_selectorILNS1_17partition_subalgoE9EijbEEZZNS1_14partition_implILS5_9ELb0ES3_jN6thrust23THRUST_200600_302600_NS6detail15normal_iteratorINS9_10device_ptrIiEEEENSB_INSC_IjEEEEPNS0_10empty_typeENS0_5tupleIJSE_SH_EEENSJ_IJNS9_16discard_iteratorINS9_11use_defaultEEESI_EEENS0_18inequality_wrapperINS9_8equal_toIiEEEEPmJSH_EEE10hipError_tPvRmT3_T4_T5_T6_T7_T9_mT8_P12ihipStream_tbDpT10_ENKUlT_T0_E_clISt17integral_constantIbLb0EES1D_EEDaS18_S19_EUlS18_E_NS1_11comp_targetILNS1_3genE0ELNS1_11target_archE4294967295ELNS1_3gpuE0ELNS1_3repE0EEENS1_30default_config_static_selectorELNS0_4arch9wavefront6targetE0EEEvT1_.kd
    .uniform_work_group_size: 1
    .uses_dynamic_stack: false
    .vgpr_count:     0
    .vgpr_spill_count: 0
    .wavefront_size: 32
    .workgroup_processor_mode: 1
  - .args:
      - .offset:         0
        .size:           120
        .value_kind:     by_value
    .group_segment_fixed_size: 0
    .kernarg_segment_align: 8
    .kernarg_segment_size: 120
    .language:       OpenCL C
    .language_version:
      - 2
      - 0
    .max_flat_workgroup_size: 512
    .name:           _ZN7rocprim17ROCPRIM_400000_NS6detail17trampoline_kernelINS0_14default_configENS1_25partition_config_selectorILNS1_17partition_subalgoE9EijbEEZZNS1_14partition_implILS5_9ELb0ES3_jN6thrust23THRUST_200600_302600_NS6detail15normal_iteratorINS9_10device_ptrIiEEEENSB_INSC_IjEEEEPNS0_10empty_typeENS0_5tupleIJSE_SH_EEENSJ_IJNS9_16discard_iteratorINS9_11use_defaultEEESI_EEENS0_18inequality_wrapperINS9_8equal_toIiEEEEPmJSH_EEE10hipError_tPvRmT3_T4_T5_T6_T7_T9_mT8_P12ihipStream_tbDpT10_ENKUlT_T0_E_clISt17integral_constantIbLb0EES1D_EEDaS18_S19_EUlS18_E_NS1_11comp_targetILNS1_3genE5ELNS1_11target_archE942ELNS1_3gpuE9ELNS1_3repE0EEENS1_30default_config_static_selectorELNS0_4arch9wavefront6targetE0EEEvT1_
    .private_segment_fixed_size: 0
    .sgpr_count:     0
    .sgpr_spill_count: 0
    .symbol:         _ZN7rocprim17ROCPRIM_400000_NS6detail17trampoline_kernelINS0_14default_configENS1_25partition_config_selectorILNS1_17partition_subalgoE9EijbEEZZNS1_14partition_implILS5_9ELb0ES3_jN6thrust23THRUST_200600_302600_NS6detail15normal_iteratorINS9_10device_ptrIiEEEENSB_INSC_IjEEEEPNS0_10empty_typeENS0_5tupleIJSE_SH_EEENSJ_IJNS9_16discard_iteratorINS9_11use_defaultEEESI_EEENS0_18inequality_wrapperINS9_8equal_toIiEEEEPmJSH_EEE10hipError_tPvRmT3_T4_T5_T6_T7_T9_mT8_P12ihipStream_tbDpT10_ENKUlT_T0_E_clISt17integral_constantIbLb0EES1D_EEDaS18_S19_EUlS18_E_NS1_11comp_targetILNS1_3genE5ELNS1_11target_archE942ELNS1_3gpuE9ELNS1_3repE0EEENS1_30default_config_static_selectorELNS0_4arch9wavefront6targetE0EEEvT1_.kd
    .uniform_work_group_size: 1
    .uses_dynamic_stack: false
    .vgpr_count:     0
    .vgpr_spill_count: 0
    .wavefront_size: 32
    .workgroup_processor_mode: 1
  - .args:
      - .offset:         0
        .size:           120
        .value_kind:     by_value
    .group_segment_fixed_size: 0
    .kernarg_segment_align: 8
    .kernarg_segment_size: 120
    .language:       OpenCL C
    .language_version:
      - 2
      - 0
    .max_flat_workgroup_size: 192
    .name:           _ZN7rocprim17ROCPRIM_400000_NS6detail17trampoline_kernelINS0_14default_configENS1_25partition_config_selectorILNS1_17partition_subalgoE9EijbEEZZNS1_14partition_implILS5_9ELb0ES3_jN6thrust23THRUST_200600_302600_NS6detail15normal_iteratorINS9_10device_ptrIiEEEENSB_INSC_IjEEEEPNS0_10empty_typeENS0_5tupleIJSE_SH_EEENSJ_IJNS9_16discard_iteratorINS9_11use_defaultEEESI_EEENS0_18inequality_wrapperINS9_8equal_toIiEEEEPmJSH_EEE10hipError_tPvRmT3_T4_T5_T6_T7_T9_mT8_P12ihipStream_tbDpT10_ENKUlT_T0_E_clISt17integral_constantIbLb0EES1D_EEDaS18_S19_EUlS18_E_NS1_11comp_targetILNS1_3genE4ELNS1_11target_archE910ELNS1_3gpuE8ELNS1_3repE0EEENS1_30default_config_static_selectorELNS0_4arch9wavefront6targetE0EEEvT1_
    .private_segment_fixed_size: 0
    .sgpr_count:     0
    .sgpr_spill_count: 0
    .symbol:         _ZN7rocprim17ROCPRIM_400000_NS6detail17trampoline_kernelINS0_14default_configENS1_25partition_config_selectorILNS1_17partition_subalgoE9EijbEEZZNS1_14partition_implILS5_9ELb0ES3_jN6thrust23THRUST_200600_302600_NS6detail15normal_iteratorINS9_10device_ptrIiEEEENSB_INSC_IjEEEEPNS0_10empty_typeENS0_5tupleIJSE_SH_EEENSJ_IJNS9_16discard_iteratorINS9_11use_defaultEEESI_EEENS0_18inequality_wrapperINS9_8equal_toIiEEEEPmJSH_EEE10hipError_tPvRmT3_T4_T5_T6_T7_T9_mT8_P12ihipStream_tbDpT10_ENKUlT_T0_E_clISt17integral_constantIbLb0EES1D_EEDaS18_S19_EUlS18_E_NS1_11comp_targetILNS1_3genE4ELNS1_11target_archE910ELNS1_3gpuE8ELNS1_3repE0EEENS1_30default_config_static_selectorELNS0_4arch9wavefront6targetE0EEEvT1_.kd
    .uniform_work_group_size: 1
    .uses_dynamic_stack: false
    .vgpr_count:     0
    .vgpr_spill_count: 0
    .wavefront_size: 32
    .workgroup_processor_mode: 1
  - .args:
      - .offset:         0
        .size:           120
        .value_kind:     by_value
    .group_segment_fixed_size: 0
    .kernarg_segment_align: 8
    .kernarg_segment_size: 120
    .language:       OpenCL C
    .language_version:
      - 2
      - 0
    .max_flat_workgroup_size: 256
    .name:           _ZN7rocprim17ROCPRIM_400000_NS6detail17trampoline_kernelINS0_14default_configENS1_25partition_config_selectorILNS1_17partition_subalgoE9EijbEEZZNS1_14partition_implILS5_9ELb0ES3_jN6thrust23THRUST_200600_302600_NS6detail15normal_iteratorINS9_10device_ptrIiEEEENSB_INSC_IjEEEEPNS0_10empty_typeENS0_5tupleIJSE_SH_EEENSJ_IJNS9_16discard_iteratorINS9_11use_defaultEEESI_EEENS0_18inequality_wrapperINS9_8equal_toIiEEEEPmJSH_EEE10hipError_tPvRmT3_T4_T5_T6_T7_T9_mT8_P12ihipStream_tbDpT10_ENKUlT_T0_E_clISt17integral_constantIbLb0EES1D_EEDaS18_S19_EUlS18_E_NS1_11comp_targetILNS1_3genE3ELNS1_11target_archE908ELNS1_3gpuE7ELNS1_3repE0EEENS1_30default_config_static_selectorELNS0_4arch9wavefront6targetE0EEEvT1_
    .private_segment_fixed_size: 0
    .sgpr_count:     0
    .sgpr_spill_count: 0
    .symbol:         _ZN7rocprim17ROCPRIM_400000_NS6detail17trampoline_kernelINS0_14default_configENS1_25partition_config_selectorILNS1_17partition_subalgoE9EijbEEZZNS1_14partition_implILS5_9ELb0ES3_jN6thrust23THRUST_200600_302600_NS6detail15normal_iteratorINS9_10device_ptrIiEEEENSB_INSC_IjEEEEPNS0_10empty_typeENS0_5tupleIJSE_SH_EEENSJ_IJNS9_16discard_iteratorINS9_11use_defaultEEESI_EEENS0_18inequality_wrapperINS9_8equal_toIiEEEEPmJSH_EEE10hipError_tPvRmT3_T4_T5_T6_T7_T9_mT8_P12ihipStream_tbDpT10_ENKUlT_T0_E_clISt17integral_constantIbLb0EES1D_EEDaS18_S19_EUlS18_E_NS1_11comp_targetILNS1_3genE3ELNS1_11target_archE908ELNS1_3gpuE7ELNS1_3repE0EEENS1_30default_config_static_selectorELNS0_4arch9wavefront6targetE0EEEvT1_.kd
    .uniform_work_group_size: 1
    .uses_dynamic_stack: false
    .vgpr_count:     0
    .vgpr_spill_count: 0
    .wavefront_size: 32
    .workgroup_processor_mode: 1
  - .args:
      - .offset:         0
        .size:           120
        .value_kind:     by_value
    .group_segment_fixed_size: 0
    .kernarg_segment_align: 8
    .kernarg_segment_size: 120
    .language:       OpenCL C
    .language_version:
      - 2
      - 0
    .max_flat_workgroup_size: 256
    .name:           _ZN7rocprim17ROCPRIM_400000_NS6detail17trampoline_kernelINS0_14default_configENS1_25partition_config_selectorILNS1_17partition_subalgoE9EijbEEZZNS1_14partition_implILS5_9ELb0ES3_jN6thrust23THRUST_200600_302600_NS6detail15normal_iteratorINS9_10device_ptrIiEEEENSB_INSC_IjEEEEPNS0_10empty_typeENS0_5tupleIJSE_SH_EEENSJ_IJNS9_16discard_iteratorINS9_11use_defaultEEESI_EEENS0_18inequality_wrapperINS9_8equal_toIiEEEEPmJSH_EEE10hipError_tPvRmT3_T4_T5_T6_T7_T9_mT8_P12ihipStream_tbDpT10_ENKUlT_T0_E_clISt17integral_constantIbLb0EES1D_EEDaS18_S19_EUlS18_E_NS1_11comp_targetILNS1_3genE2ELNS1_11target_archE906ELNS1_3gpuE6ELNS1_3repE0EEENS1_30default_config_static_selectorELNS0_4arch9wavefront6targetE0EEEvT1_
    .private_segment_fixed_size: 0
    .sgpr_count:     0
    .sgpr_spill_count: 0
    .symbol:         _ZN7rocprim17ROCPRIM_400000_NS6detail17trampoline_kernelINS0_14default_configENS1_25partition_config_selectorILNS1_17partition_subalgoE9EijbEEZZNS1_14partition_implILS5_9ELb0ES3_jN6thrust23THRUST_200600_302600_NS6detail15normal_iteratorINS9_10device_ptrIiEEEENSB_INSC_IjEEEEPNS0_10empty_typeENS0_5tupleIJSE_SH_EEENSJ_IJNS9_16discard_iteratorINS9_11use_defaultEEESI_EEENS0_18inequality_wrapperINS9_8equal_toIiEEEEPmJSH_EEE10hipError_tPvRmT3_T4_T5_T6_T7_T9_mT8_P12ihipStream_tbDpT10_ENKUlT_T0_E_clISt17integral_constantIbLb0EES1D_EEDaS18_S19_EUlS18_E_NS1_11comp_targetILNS1_3genE2ELNS1_11target_archE906ELNS1_3gpuE6ELNS1_3repE0EEENS1_30default_config_static_selectorELNS0_4arch9wavefront6targetE0EEEvT1_.kd
    .uniform_work_group_size: 1
    .uses_dynamic_stack: false
    .vgpr_count:     0
    .vgpr_spill_count: 0
    .wavefront_size: 32
    .workgroup_processor_mode: 1
  - .args:
      - .offset:         0
        .size:           120
        .value_kind:     by_value
    .group_segment_fixed_size: 0
    .kernarg_segment_align: 8
    .kernarg_segment_size: 120
    .language:       OpenCL C
    .language_version:
      - 2
      - 0
    .max_flat_workgroup_size: 384
    .name:           _ZN7rocprim17ROCPRIM_400000_NS6detail17trampoline_kernelINS0_14default_configENS1_25partition_config_selectorILNS1_17partition_subalgoE9EijbEEZZNS1_14partition_implILS5_9ELb0ES3_jN6thrust23THRUST_200600_302600_NS6detail15normal_iteratorINS9_10device_ptrIiEEEENSB_INSC_IjEEEEPNS0_10empty_typeENS0_5tupleIJSE_SH_EEENSJ_IJNS9_16discard_iteratorINS9_11use_defaultEEESI_EEENS0_18inequality_wrapperINS9_8equal_toIiEEEEPmJSH_EEE10hipError_tPvRmT3_T4_T5_T6_T7_T9_mT8_P12ihipStream_tbDpT10_ENKUlT_T0_E_clISt17integral_constantIbLb0EES1D_EEDaS18_S19_EUlS18_E_NS1_11comp_targetILNS1_3genE10ELNS1_11target_archE1200ELNS1_3gpuE4ELNS1_3repE0EEENS1_30default_config_static_selectorELNS0_4arch9wavefront6targetE0EEEvT1_
    .private_segment_fixed_size: 0
    .sgpr_count:     0
    .sgpr_spill_count: 0
    .symbol:         _ZN7rocprim17ROCPRIM_400000_NS6detail17trampoline_kernelINS0_14default_configENS1_25partition_config_selectorILNS1_17partition_subalgoE9EijbEEZZNS1_14partition_implILS5_9ELb0ES3_jN6thrust23THRUST_200600_302600_NS6detail15normal_iteratorINS9_10device_ptrIiEEEENSB_INSC_IjEEEEPNS0_10empty_typeENS0_5tupleIJSE_SH_EEENSJ_IJNS9_16discard_iteratorINS9_11use_defaultEEESI_EEENS0_18inequality_wrapperINS9_8equal_toIiEEEEPmJSH_EEE10hipError_tPvRmT3_T4_T5_T6_T7_T9_mT8_P12ihipStream_tbDpT10_ENKUlT_T0_E_clISt17integral_constantIbLb0EES1D_EEDaS18_S19_EUlS18_E_NS1_11comp_targetILNS1_3genE10ELNS1_11target_archE1200ELNS1_3gpuE4ELNS1_3repE0EEENS1_30default_config_static_selectorELNS0_4arch9wavefront6targetE0EEEvT1_.kd
    .uniform_work_group_size: 1
    .uses_dynamic_stack: false
    .vgpr_count:     0
    .vgpr_spill_count: 0
    .wavefront_size: 32
    .workgroup_processor_mode: 1
  - .args:
      - .offset:         0
        .size:           120
        .value_kind:     by_value
    .group_segment_fixed_size: 12680
    .kernarg_segment_align: 8
    .kernarg_segment_size: 120
    .language:       OpenCL C
    .language_version:
      - 2
      - 0
    .max_flat_workgroup_size: 384
    .name:           _ZN7rocprim17ROCPRIM_400000_NS6detail17trampoline_kernelINS0_14default_configENS1_25partition_config_selectorILNS1_17partition_subalgoE9EijbEEZZNS1_14partition_implILS5_9ELb0ES3_jN6thrust23THRUST_200600_302600_NS6detail15normal_iteratorINS9_10device_ptrIiEEEENSB_INSC_IjEEEEPNS0_10empty_typeENS0_5tupleIJSE_SH_EEENSJ_IJNS9_16discard_iteratorINS9_11use_defaultEEESI_EEENS0_18inequality_wrapperINS9_8equal_toIiEEEEPmJSH_EEE10hipError_tPvRmT3_T4_T5_T6_T7_T9_mT8_P12ihipStream_tbDpT10_ENKUlT_T0_E_clISt17integral_constantIbLb0EES1D_EEDaS18_S19_EUlS18_E_NS1_11comp_targetILNS1_3genE9ELNS1_11target_archE1100ELNS1_3gpuE3ELNS1_3repE0EEENS1_30default_config_static_selectorELNS0_4arch9wavefront6targetE0EEEvT1_
    .private_segment_fixed_size: 0
    .sgpr_count:     27
    .sgpr_spill_count: 0
    .symbol:         _ZN7rocprim17ROCPRIM_400000_NS6detail17trampoline_kernelINS0_14default_configENS1_25partition_config_selectorILNS1_17partition_subalgoE9EijbEEZZNS1_14partition_implILS5_9ELb0ES3_jN6thrust23THRUST_200600_302600_NS6detail15normal_iteratorINS9_10device_ptrIiEEEENSB_INSC_IjEEEEPNS0_10empty_typeENS0_5tupleIJSE_SH_EEENSJ_IJNS9_16discard_iteratorINS9_11use_defaultEEESI_EEENS0_18inequality_wrapperINS9_8equal_toIiEEEEPmJSH_EEE10hipError_tPvRmT3_T4_T5_T6_T7_T9_mT8_P12ihipStream_tbDpT10_ENKUlT_T0_E_clISt17integral_constantIbLb0EES1D_EEDaS18_S19_EUlS18_E_NS1_11comp_targetILNS1_3genE9ELNS1_11target_archE1100ELNS1_3gpuE3ELNS1_3repE0EEENS1_30default_config_static_selectorELNS0_4arch9wavefront6targetE0EEEvT1_.kd
    .uniform_work_group_size: 1
    .uses_dynamic_stack: false
    .vgpr_count:     51
    .vgpr_spill_count: 0
    .wavefront_size: 32
    .workgroup_processor_mode: 1
  - .args:
      - .offset:         0
        .size:           120
        .value_kind:     by_value
    .group_segment_fixed_size: 0
    .kernarg_segment_align: 8
    .kernarg_segment_size: 120
    .language:       OpenCL C
    .language_version:
      - 2
      - 0
    .max_flat_workgroup_size: 512
    .name:           _ZN7rocprim17ROCPRIM_400000_NS6detail17trampoline_kernelINS0_14default_configENS1_25partition_config_selectorILNS1_17partition_subalgoE9EijbEEZZNS1_14partition_implILS5_9ELb0ES3_jN6thrust23THRUST_200600_302600_NS6detail15normal_iteratorINS9_10device_ptrIiEEEENSB_INSC_IjEEEEPNS0_10empty_typeENS0_5tupleIJSE_SH_EEENSJ_IJNS9_16discard_iteratorINS9_11use_defaultEEESI_EEENS0_18inequality_wrapperINS9_8equal_toIiEEEEPmJSH_EEE10hipError_tPvRmT3_T4_T5_T6_T7_T9_mT8_P12ihipStream_tbDpT10_ENKUlT_T0_E_clISt17integral_constantIbLb0EES1D_EEDaS18_S19_EUlS18_E_NS1_11comp_targetILNS1_3genE8ELNS1_11target_archE1030ELNS1_3gpuE2ELNS1_3repE0EEENS1_30default_config_static_selectorELNS0_4arch9wavefront6targetE0EEEvT1_
    .private_segment_fixed_size: 0
    .sgpr_count:     0
    .sgpr_spill_count: 0
    .symbol:         _ZN7rocprim17ROCPRIM_400000_NS6detail17trampoline_kernelINS0_14default_configENS1_25partition_config_selectorILNS1_17partition_subalgoE9EijbEEZZNS1_14partition_implILS5_9ELb0ES3_jN6thrust23THRUST_200600_302600_NS6detail15normal_iteratorINS9_10device_ptrIiEEEENSB_INSC_IjEEEEPNS0_10empty_typeENS0_5tupleIJSE_SH_EEENSJ_IJNS9_16discard_iteratorINS9_11use_defaultEEESI_EEENS0_18inequality_wrapperINS9_8equal_toIiEEEEPmJSH_EEE10hipError_tPvRmT3_T4_T5_T6_T7_T9_mT8_P12ihipStream_tbDpT10_ENKUlT_T0_E_clISt17integral_constantIbLb0EES1D_EEDaS18_S19_EUlS18_E_NS1_11comp_targetILNS1_3genE8ELNS1_11target_archE1030ELNS1_3gpuE2ELNS1_3repE0EEENS1_30default_config_static_selectorELNS0_4arch9wavefront6targetE0EEEvT1_.kd
    .uniform_work_group_size: 1
    .uses_dynamic_stack: false
    .vgpr_count:     0
    .vgpr_spill_count: 0
    .wavefront_size: 32
    .workgroup_processor_mode: 1
  - .args:
      - .offset:         0
        .size:           136
        .value_kind:     by_value
    .group_segment_fixed_size: 0
    .kernarg_segment_align: 8
    .kernarg_segment_size: 136
    .language:       OpenCL C
    .language_version:
      - 2
      - 0
    .max_flat_workgroup_size: 256
    .name:           _ZN7rocprim17ROCPRIM_400000_NS6detail17trampoline_kernelINS0_14default_configENS1_25partition_config_selectorILNS1_17partition_subalgoE9EijbEEZZNS1_14partition_implILS5_9ELb0ES3_jN6thrust23THRUST_200600_302600_NS6detail15normal_iteratorINS9_10device_ptrIiEEEENSB_INSC_IjEEEEPNS0_10empty_typeENS0_5tupleIJSE_SH_EEENSJ_IJNS9_16discard_iteratorINS9_11use_defaultEEESI_EEENS0_18inequality_wrapperINS9_8equal_toIiEEEEPmJSH_EEE10hipError_tPvRmT3_T4_T5_T6_T7_T9_mT8_P12ihipStream_tbDpT10_ENKUlT_T0_E_clISt17integral_constantIbLb1EES1D_EEDaS18_S19_EUlS18_E_NS1_11comp_targetILNS1_3genE0ELNS1_11target_archE4294967295ELNS1_3gpuE0ELNS1_3repE0EEENS1_30default_config_static_selectorELNS0_4arch9wavefront6targetE0EEEvT1_
    .private_segment_fixed_size: 0
    .sgpr_count:     0
    .sgpr_spill_count: 0
    .symbol:         _ZN7rocprim17ROCPRIM_400000_NS6detail17trampoline_kernelINS0_14default_configENS1_25partition_config_selectorILNS1_17partition_subalgoE9EijbEEZZNS1_14partition_implILS5_9ELb0ES3_jN6thrust23THRUST_200600_302600_NS6detail15normal_iteratorINS9_10device_ptrIiEEEENSB_INSC_IjEEEEPNS0_10empty_typeENS0_5tupleIJSE_SH_EEENSJ_IJNS9_16discard_iteratorINS9_11use_defaultEEESI_EEENS0_18inequality_wrapperINS9_8equal_toIiEEEEPmJSH_EEE10hipError_tPvRmT3_T4_T5_T6_T7_T9_mT8_P12ihipStream_tbDpT10_ENKUlT_T0_E_clISt17integral_constantIbLb1EES1D_EEDaS18_S19_EUlS18_E_NS1_11comp_targetILNS1_3genE0ELNS1_11target_archE4294967295ELNS1_3gpuE0ELNS1_3repE0EEENS1_30default_config_static_selectorELNS0_4arch9wavefront6targetE0EEEvT1_.kd
    .uniform_work_group_size: 1
    .uses_dynamic_stack: false
    .vgpr_count:     0
    .vgpr_spill_count: 0
    .wavefront_size: 32
    .workgroup_processor_mode: 1
  - .args:
      - .offset:         0
        .size:           136
        .value_kind:     by_value
    .group_segment_fixed_size: 0
    .kernarg_segment_align: 8
    .kernarg_segment_size: 136
    .language:       OpenCL C
    .language_version:
      - 2
      - 0
    .max_flat_workgroup_size: 512
    .name:           _ZN7rocprim17ROCPRIM_400000_NS6detail17trampoline_kernelINS0_14default_configENS1_25partition_config_selectorILNS1_17partition_subalgoE9EijbEEZZNS1_14partition_implILS5_9ELb0ES3_jN6thrust23THRUST_200600_302600_NS6detail15normal_iteratorINS9_10device_ptrIiEEEENSB_INSC_IjEEEEPNS0_10empty_typeENS0_5tupleIJSE_SH_EEENSJ_IJNS9_16discard_iteratorINS9_11use_defaultEEESI_EEENS0_18inequality_wrapperINS9_8equal_toIiEEEEPmJSH_EEE10hipError_tPvRmT3_T4_T5_T6_T7_T9_mT8_P12ihipStream_tbDpT10_ENKUlT_T0_E_clISt17integral_constantIbLb1EES1D_EEDaS18_S19_EUlS18_E_NS1_11comp_targetILNS1_3genE5ELNS1_11target_archE942ELNS1_3gpuE9ELNS1_3repE0EEENS1_30default_config_static_selectorELNS0_4arch9wavefront6targetE0EEEvT1_
    .private_segment_fixed_size: 0
    .sgpr_count:     0
    .sgpr_spill_count: 0
    .symbol:         _ZN7rocprim17ROCPRIM_400000_NS6detail17trampoline_kernelINS0_14default_configENS1_25partition_config_selectorILNS1_17partition_subalgoE9EijbEEZZNS1_14partition_implILS5_9ELb0ES3_jN6thrust23THRUST_200600_302600_NS6detail15normal_iteratorINS9_10device_ptrIiEEEENSB_INSC_IjEEEEPNS0_10empty_typeENS0_5tupleIJSE_SH_EEENSJ_IJNS9_16discard_iteratorINS9_11use_defaultEEESI_EEENS0_18inequality_wrapperINS9_8equal_toIiEEEEPmJSH_EEE10hipError_tPvRmT3_T4_T5_T6_T7_T9_mT8_P12ihipStream_tbDpT10_ENKUlT_T0_E_clISt17integral_constantIbLb1EES1D_EEDaS18_S19_EUlS18_E_NS1_11comp_targetILNS1_3genE5ELNS1_11target_archE942ELNS1_3gpuE9ELNS1_3repE0EEENS1_30default_config_static_selectorELNS0_4arch9wavefront6targetE0EEEvT1_.kd
    .uniform_work_group_size: 1
    .uses_dynamic_stack: false
    .vgpr_count:     0
    .vgpr_spill_count: 0
    .wavefront_size: 32
    .workgroup_processor_mode: 1
  - .args:
      - .offset:         0
        .size:           136
        .value_kind:     by_value
    .group_segment_fixed_size: 0
    .kernarg_segment_align: 8
    .kernarg_segment_size: 136
    .language:       OpenCL C
    .language_version:
      - 2
      - 0
    .max_flat_workgroup_size: 192
    .name:           _ZN7rocprim17ROCPRIM_400000_NS6detail17trampoline_kernelINS0_14default_configENS1_25partition_config_selectorILNS1_17partition_subalgoE9EijbEEZZNS1_14partition_implILS5_9ELb0ES3_jN6thrust23THRUST_200600_302600_NS6detail15normal_iteratorINS9_10device_ptrIiEEEENSB_INSC_IjEEEEPNS0_10empty_typeENS0_5tupleIJSE_SH_EEENSJ_IJNS9_16discard_iteratorINS9_11use_defaultEEESI_EEENS0_18inequality_wrapperINS9_8equal_toIiEEEEPmJSH_EEE10hipError_tPvRmT3_T4_T5_T6_T7_T9_mT8_P12ihipStream_tbDpT10_ENKUlT_T0_E_clISt17integral_constantIbLb1EES1D_EEDaS18_S19_EUlS18_E_NS1_11comp_targetILNS1_3genE4ELNS1_11target_archE910ELNS1_3gpuE8ELNS1_3repE0EEENS1_30default_config_static_selectorELNS0_4arch9wavefront6targetE0EEEvT1_
    .private_segment_fixed_size: 0
    .sgpr_count:     0
    .sgpr_spill_count: 0
    .symbol:         _ZN7rocprim17ROCPRIM_400000_NS6detail17trampoline_kernelINS0_14default_configENS1_25partition_config_selectorILNS1_17partition_subalgoE9EijbEEZZNS1_14partition_implILS5_9ELb0ES3_jN6thrust23THRUST_200600_302600_NS6detail15normal_iteratorINS9_10device_ptrIiEEEENSB_INSC_IjEEEEPNS0_10empty_typeENS0_5tupleIJSE_SH_EEENSJ_IJNS9_16discard_iteratorINS9_11use_defaultEEESI_EEENS0_18inequality_wrapperINS9_8equal_toIiEEEEPmJSH_EEE10hipError_tPvRmT3_T4_T5_T6_T7_T9_mT8_P12ihipStream_tbDpT10_ENKUlT_T0_E_clISt17integral_constantIbLb1EES1D_EEDaS18_S19_EUlS18_E_NS1_11comp_targetILNS1_3genE4ELNS1_11target_archE910ELNS1_3gpuE8ELNS1_3repE0EEENS1_30default_config_static_selectorELNS0_4arch9wavefront6targetE0EEEvT1_.kd
    .uniform_work_group_size: 1
    .uses_dynamic_stack: false
    .vgpr_count:     0
    .vgpr_spill_count: 0
    .wavefront_size: 32
    .workgroup_processor_mode: 1
  - .args:
      - .offset:         0
        .size:           136
        .value_kind:     by_value
    .group_segment_fixed_size: 0
    .kernarg_segment_align: 8
    .kernarg_segment_size: 136
    .language:       OpenCL C
    .language_version:
      - 2
      - 0
    .max_flat_workgroup_size: 256
    .name:           _ZN7rocprim17ROCPRIM_400000_NS6detail17trampoline_kernelINS0_14default_configENS1_25partition_config_selectorILNS1_17partition_subalgoE9EijbEEZZNS1_14partition_implILS5_9ELb0ES3_jN6thrust23THRUST_200600_302600_NS6detail15normal_iteratorINS9_10device_ptrIiEEEENSB_INSC_IjEEEEPNS0_10empty_typeENS0_5tupleIJSE_SH_EEENSJ_IJNS9_16discard_iteratorINS9_11use_defaultEEESI_EEENS0_18inequality_wrapperINS9_8equal_toIiEEEEPmJSH_EEE10hipError_tPvRmT3_T4_T5_T6_T7_T9_mT8_P12ihipStream_tbDpT10_ENKUlT_T0_E_clISt17integral_constantIbLb1EES1D_EEDaS18_S19_EUlS18_E_NS1_11comp_targetILNS1_3genE3ELNS1_11target_archE908ELNS1_3gpuE7ELNS1_3repE0EEENS1_30default_config_static_selectorELNS0_4arch9wavefront6targetE0EEEvT1_
    .private_segment_fixed_size: 0
    .sgpr_count:     0
    .sgpr_spill_count: 0
    .symbol:         _ZN7rocprim17ROCPRIM_400000_NS6detail17trampoline_kernelINS0_14default_configENS1_25partition_config_selectorILNS1_17partition_subalgoE9EijbEEZZNS1_14partition_implILS5_9ELb0ES3_jN6thrust23THRUST_200600_302600_NS6detail15normal_iteratorINS9_10device_ptrIiEEEENSB_INSC_IjEEEEPNS0_10empty_typeENS0_5tupleIJSE_SH_EEENSJ_IJNS9_16discard_iteratorINS9_11use_defaultEEESI_EEENS0_18inequality_wrapperINS9_8equal_toIiEEEEPmJSH_EEE10hipError_tPvRmT3_T4_T5_T6_T7_T9_mT8_P12ihipStream_tbDpT10_ENKUlT_T0_E_clISt17integral_constantIbLb1EES1D_EEDaS18_S19_EUlS18_E_NS1_11comp_targetILNS1_3genE3ELNS1_11target_archE908ELNS1_3gpuE7ELNS1_3repE0EEENS1_30default_config_static_selectorELNS0_4arch9wavefront6targetE0EEEvT1_.kd
    .uniform_work_group_size: 1
    .uses_dynamic_stack: false
    .vgpr_count:     0
    .vgpr_spill_count: 0
    .wavefront_size: 32
    .workgroup_processor_mode: 1
  - .args:
      - .offset:         0
        .size:           136
        .value_kind:     by_value
    .group_segment_fixed_size: 0
    .kernarg_segment_align: 8
    .kernarg_segment_size: 136
    .language:       OpenCL C
    .language_version:
      - 2
      - 0
    .max_flat_workgroup_size: 256
    .name:           _ZN7rocprim17ROCPRIM_400000_NS6detail17trampoline_kernelINS0_14default_configENS1_25partition_config_selectorILNS1_17partition_subalgoE9EijbEEZZNS1_14partition_implILS5_9ELb0ES3_jN6thrust23THRUST_200600_302600_NS6detail15normal_iteratorINS9_10device_ptrIiEEEENSB_INSC_IjEEEEPNS0_10empty_typeENS0_5tupleIJSE_SH_EEENSJ_IJNS9_16discard_iteratorINS9_11use_defaultEEESI_EEENS0_18inequality_wrapperINS9_8equal_toIiEEEEPmJSH_EEE10hipError_tPvRmT3_T4_T5_T6_T7_T9_mT8_P12ihipStream_tbDpT10_ENKUlT_T0_E_clISt17integral_constantIbLb1EES1D_EEDaS18_S19_EUlS18_E_NS1_11comp_targetILNS1_3genE2ELNS1_11target_archE906ELNS1_3gpuE6ELNS1_3repE0EEENS1_30default_config_static_selectorELNS0_4arch9wavefront6targetE0EEEvT1_
    .private_segment_fixed_size: 0
    .sgpr_count:     0
    .sgpr_spill_count: 0
    .symbol:         _ZN7rocprim17ROCPRIM_400000_NS6detail17trampoline_kernelINS0_14default_configENS1_25partition_config_selectorILNS1_17partition_subalgoE9EijbEEZZNS1_14partition_implILS5_9ELb0ES3_jN6thrust23THRUST_200600_302600_NS6detail15normal_iteratorINS9_10device_ptrIiEEEENSB_INSC_IjEEEEPNS0_10empty_typeENS0_5tupleIJSE_SH_EEENSJ_IJNS9_16discard_iteratorINS9_11use_defaultEEESI_EEENS0_18inequality_wrapperINS9_8equal_toIiEEEEPmJSH_EEE10hipError_tPvRmT3_T4_T5_T6_T7_T9_mT8_P12ihipStream_tbDpT10_ENKUlT_T0_E_clISt17integral_constantIbLb1EES1D_EEDaS18_S19_EUlS18_E_NS1_11comp_targetILNS1_3genE2ELNS1_11target_archE906ELNS1_3gpuE6ELNS1_3repE0EEENS1_30default_config_static_selectorELNS0_4arch9wavefront6targetE0EEEvT1_.kd
    .uniform_work_group_size: 1
    .uses_dynamic_stack: false
    .vgpr_count:     0
    .vgpr_spill_count: 0
    .wavefront_size: 32
    .workgroup_processor_mode: 1
  - .args:
      - .offset:         0
        .size:           136
        .value_kind:     by_value
    .group_segment_fixed_size: 0
    .kernarg_segment_align: 8
    .kernarg_segment_size: 136
    .language:       OpenCL C
    .language_version:
      - 2
      - 0
    .max_flat_workgroup_size: 384
    .name:           _ZN7rocprim17ROCPRIM_400000_NS6detail17trampoline_kernelINS0_14default_configENS1_25partition_config_selectorILNS1_17partition_subalgoE9EijbEEZZNS1_14partition_implILS5_9ELb0ES3_jN6thrust23THRUST_200600_302600_NS6detail15normal_iteratorINS9_10device_ptrIiEEEENSB_INSC_IjEEEEPNS0_10empty_typeENS0_5tupleIJSE_SH_EEENSJ_IJNS9_16discard_iteratorINS9_11use_defaultEEESI_EEENS0_18inequality_wrapperINS9_8equal_toIiEEEEPmJSH_EEE10hipError_tPvRmT3_T4_T5_T6_T7_T9_mT8_P12ihipStream_tbDpT10_ENKUlT_T0_E_clISt17integral_constantIbLb1EES1D_EEDaS18_S19_EUlS18_E_NS1_11comp_targetILNS1_3genE10ELNS1_11target_archE1200ELNS1_3gpuE4ELNS1_3repE0EEENS1_30default_config_static_selectorELNS0_4arch9wavefront6targetE0EEEvT1_
    .private_segment_fixed_size: 0
    .sgpr_count:     0
    .sgpr_spill_count: 0
    .symbol:         _ZN7rocprim17ROCPRIM_400000_NS6detail17trampoline_kernelINS0_14default_configENS1_25partition_config_selectorILNS1_17partition_subalgoE9EijbEEZZNS1_14partition_implILS5_9ELb0ES3_jN6thrust23THRUST_200600_302600_NS6detail15normal_iteratorINS9_10device_ptrIiEEEENSB_INSC_IjEEEEPNS0_10empty_typeENS0_5tupleIJSE_SH_EEENSJ_IJNS9_16discard_iteratorINS9_11use_defaultEEESI_EEENS0_18inequality_wrapperINS9_8equal_toIiEEEEPmJSH_EEE10hipError_tPvRmT3_T4_T5_T6_T7_T9_mT8_P12ihipStream_tbDpT10_ENKUlT_T0_E_clISt17integral_constantIbLb1EES1D_EEDaS18_S19_EUlS18_E_NS1_11comp_targetILNS1_3genE10ELNS1_11target_archE1200ELNS1_3gpuE4ELNS1_3repE0EEENS1_30default_config_static_selectorELNS0_4arch9wavefront6targetE0EEEvT1_.kd
    .uniform_work_group_size: 1
    .uses_dynamic_stack: false
    .vgpr_count:     0
    .vgpr_spill_count: 0
    .wavefront_size: 32
    .workgroup_processor_mode: 1
  - .args:
      - .offset:         0
        .size:           136
        .value_kind:     by_value
    .group_segment_fixed_size: 12680
    .kernarg_segment_align: 8
    .kernarg_segment_size: 136
    .language:       OpenCL C
    .language_version:
      - 2
      - 0
    .max_flat_workgroup_size: 384
    .name:           _ZN7rocprim17ROCPRIM_400000_NS6detail17trampoline_kernelINS0_14default_configENS1_25partition_config_selectorILNS1_17partition_subalgoE9EijbEEZZNS1_14partition_implILS5_9ELb0ES3_jN6thrust23THRUST_200600_302600_NS6detail15normal_iteratorINS9_10device_ptrIiEEEENSB_INSC_IjEEEEPNS0_10empty_typeENS0_5tupleIJSE_SH_EEENSJ_IJNS9_16discard_iteratorINS9_11use_defaultEEESI_EEENS0_18inequality_wrapperINS9_8equal_toIiEEEEPmJSH_EEE10hipError_tPvRmT3_T4_T5_T6_T7_T9_mT8_P12ihipStream_tbDpT10_ENKUlT_T0_E_clISt17integral_constantIbLb1EES1D_EEDaS18_S19_EUlS18_E_NS1_11comp_targetILNS1_3genE9ELNS1_11target_archE1100ELNS1_3gpuE3ELNS1_3repE0EEENS1_30default_config_static_selectorELNS0_4arch9wavefront6targetE0EEEvT1_
    .private_segment_fixed_size: 0
    .sgpr_count:     28
    .sgpr_spill_count: 0
    .symbol:         _ZN7rocprim17ROCPRIM_400000_NS6detail17trampoline_kernelINS0_14default_configENS1_25partition_config_selectorILNS1_17partition_subalgoE9EijbEEZZNS1_14partition_implILS5_9ELb0ES3_jN6thrust23THRUST_200600_302600_NS6detail15normal_iteratorINS9_10device_ptrIiEEEENSB_INSC_IjEEEEPNS0_10empty_typeENS0_5tupleIJSE_SH_EEENSJ_IJNS9_16discard_iteratorINS9_11use_defaultEEESI_EEENS0_18inequality_wrapperINS9_8equal_toIiEEEEPmJSH_EEE10hipError_tPvRmT3_T4_T5_T6_T7_T9_mT8_P12ihipStream_tbDpT10_ENKUlT_T0_E_clISt17integral_constantIbLb1EES1D_EEDaS18_S19_EUlS18_E_NS1_11comp_targetILNS1_3genE9ELNS1_11target_archE1100ELNS1_3gpuE3ELNS1_3repE0EEENS1_30default_config_static_selectorELNS0_4arch9wavefront6targetE0EEEvT1_.kd
    .uniform_work_group_size: 1
    .uses_dynamic_stack: false
    .vgpr_count:     53
    .vgpr_spill_count: 0
    .wavefront_size: 32
    .workgroup_processor_mode: 1
  - .args:
      - .offset:         0
        .size:           136
        .value_kind:     by_value
    .group_segment_fixed_size: 0
    .kernarg_segment_align: 8
    .kernarg_segment_size: 136
    .language:       OpenCL C
    .language_version:
      - 2
      - 0
    .max_flat_workgroup_size: 512
    .name:           _ZN7rocprim17ROCPRIM_400000_NS6detail17trampoline_kernelINS0_14default_configENS1_25partition_config_selectorILNS1_17partition_subalgoE9EijbEEZZNS1_14partition_implILS5_9ELb0ES3_jN6thrust23THRUST_200600_302600_NS6detail15normal_iteratorINS9_10device_ptrIiEEEENSB_INSC_IjEEEEPNS0_10empty_typeENS0_5tupleIJSE_SH_EEENSJ_IJNS9_16discard_iteratorINS9_11use_defaultEEESI_EEENS0_18inequality_wrapperINS9_8equal_toIiEEEEPmJSH_EEE10hipError_tPvRmT3_T4_T5_T6_T7_T9_mT8_P12ihipStream_tbDpT10_ENKUlT_T0_E_clISt17integral_constantIbLb1EES1D_EEDaS18_S19_EUlS18_E_NS1_11comp_targetILNS1_3genE8ELNS1_11target_archE1030ELNS1_3gpuE2ELNS1_3repE0EEENS1_30default_config_static_selectorELNS0_4arch9wavefront6targetE0EEEvT1_
    .private_segment_fixed_size: 0
    .sgpr_count:     0
    .sgpr_spill_count: 0
    .symbol:         _ZN7rocprim17ROCPRIM_400000_NS6detail17trampoline_kernelINS0_14default_configENS1_25partition_config_selectorILNS1_17partition_subalgoE9EijbEEZZNS1_14partition_implILS5_9ELb0ES3_jN6thrust23THRUST_200600_302600_NS6detail15normal_iteratorINS9_10device_ptrIiEEEENSB_INSC_IjEEEEPNS0_10empty_typeENS0_5tupleIJSE_SH_EEENSJ_IJNS9_16discard_iteratorINS9_11use_defaultEEESI_EEENS0_18inequality_wrapperINS9_8equal_toIiEEEEPmJSH_EEE10hipError_tPvRmT3_T4_T5_T6_T7_T9_mT8_P12ihipStream_tbDpT10_ENKUlT_T0_E_clISt17integral_constantIbLb1EES1D_EEDaS18_S19_EUlS18_E_NS1_11comp_targetILNS1_3genE8ELNS1_11target_archE1030ELNS1_3gpuE2ELNS1_3repE0EEENS1_30default_config_static_selectorELNS0_4arch9wavefront6targetE0EEEvT1_.kd
    .uniform_work_group_size: 1
    .uses_dynamic_stack: false
    .vgpr_count:     0
    .vgpr_spill_count: 0
    .wavefront_size: 32
    .workgroup_processor_mode: 1
  - .args:
      - .offset:         0
        .size:           120
        .value_kind:     by_value
    .group_segment_fixed_size: 0
    .kernarg_segment_align: 8
    .kernarg_segment_size: 120
    .language:       OpenCL C
    .language_version:
      - 2
      - 0
    .max_flat_workgroup_size: 256
    .name:           _ZN7rocprim17ROCPRIM_400000_NS6detail17trampoline_kernelINS0_14default_configENS1_25partition_config_selectorILNS1_17partition_subalgoE9EijbEEZZNS1_14partition_implILS5_9ELb0ES3_jN6thrust23THRUST_200600_302600_NS6detail15normal_iteratorINS9_10device_ptrIiEEEENSB_INSC_IjEEEEPNS0_10empty_typeENS0_5tupleIJSE_SH_EEENSJ_IJNS9_16discard_iteratorINS9_11use_defaultEEESI_EEENS0_18inequality_wrapperINS9_8equal_toIiEEEEPmJSH_EEE10hipError_tPvRmT3_T4_T5_T6_T7_T9_mT8_P12ihipStream_tbDpT10_ENKUlT_T0_E_clISt17integral_constantIbLb1EES1C_IbLb0EEEEDaS18_S19_EUlS18_E_NS1_11comp_targetILNS1_3genE0ELNS1_11target_archE4294967295ELNS1_3gpuE0ELNS1_3repE0EEENS1_30default_config_static_selectorELNS0_4arch9wavefront6targetE0EEEvT1_
    .private_segment_fixed_size: 0
    .sgpr_count:     0
    .sgpr_spill_count: 0
    .symbol:         _ZN7rocprim17ROCPRIM_400000_NS6detail17trampoline_kernelINS0_14default_configENS1_25partition_config_selectorILNS1_17partition_subalgoE9EijbEEZZNS1_14partition_implILS5_9ELb0ES3_jN6thrust23THRUST_200600_302600_NS6detail15normal_iteratorINS9_10device_ptrIiEEEENSB_INSC_IjEEEEPNS0_10empty_typeENS0_5tupleIJSE_SH_EEENSJ_IJNS9_16discard_iteratorINS9_11use_defaultEEESI_EEENS0_18inequality_wrapperINS9_8equal_toIiEEEEPmJSH_EEE10hipError_tPvRmT3_T4_T5_T6_T7_T9_mT8_P12ihipStream_tbDpT10_ENKUlT_T0_E_clISt17integral_constantIbLb1EES1C_IbLb0EEEEDaS18_S19_EUlS18_E_NS1_11comp_targetILNS1_3genE0ELNS1_11target_archE4294967295ELNS1_3gpuE0ELNS1_3repE0EEENS1_30default_config_static_selectorELNS0_4arch9wavefront6targetE0EEEvT1_.kd
    .uniform_work_group_size: 1
    .uses_dynamic_stack: false
    .vgpr_count:     0
    .vgpr_spill_count: 0
    .wavefront_size: 32
    .workgroup_processor_mode: 1
  - .args:
      - .offset:         0
        .size:           120
        .value_kind:     by_value
    .group_segment_fixed_size: 0
    .kernarg_segment_align: 8
    .kernarg_segment_size: 120
    .language:       OpenCL C
    .language_version:
      - 2
      - 0
    .max_flat_workgroup_size: 512
    .name:           _ZN7rocprim17ROCPRIM_400000_NS6detail17trampoline_kernelINS0_14default_configENS1_25partition_config_selectorILNS1_17partition_subalgoE9EijbEEZZNS1_14partition_implILS5_9ELb0ES3_jN6thrust23THRUST_200600_302600_NS6detail15normal_iteratorINS9_10device_ptrIiEEEENSB_INSC_IjEEEEPNS0_10empty_typeENS0_5tupleIJSE_SH_EEENSJ_IJNS9_16discard_iteratorINS9_11use_defaultEEESI_EEENS0_18inequality_wrapperINS9_8equal_toIiEEEEPmJSH_EEE10hipError_tPvRmT3_T4_T5_T6_T7_T9_mT8_P12ihipStream_tbDpT10_ENKUlT_T0_E_clISt17integral_constantIbLb1EES1C_IbLb0EEEEDaS18_S19_EUlS18_E_NS1_11comp_targetILNS1_3genE5ELNS1_11target_archE942ELNS1_3gpuE9ELNS1_3repE0EEENS1_30default_config_static_selectorELNS0_4arch9wavefront6targetE0EEEvT1_
    .private_segment_fixed_size: 0
    .sgpr_count:     0
    .sgpr_spill_count: 0
    .symbol:         _ZN7rocprim17ROCPRIM_400000_NS6detail17trampoline_kernelINS0_14default_configENS1_25partition_config_selectorILNS1_17partition_subalgoE9EijbEEZZNS1_14partition_implILS5_9ELb0ES3_jN6thrust23THRUST_200600_302600_NS6detail15normal_iteratorINS9_10device_ptrIiEEEENSB_INSC_IjEEEEPNS0_10empty_typeENS0_5tupleIJSE_SH_EEENSJ_IJNS9_16discard_iteratorINS9_11use_defaultEEESI_EEENS0_18inequality_wrapperINS9_8equal_toIiEEEEPmJSH_EEE10hipError_tPvRmT3_T4_T5_T6_T7_T9_mT8_P12ihipStream_tbDpT10_ENKUlT_T0_E_clISt17integral_constantIbLb1EES1C_IbLb0EEEEDaS18_S19_EUlS18_E_NS1_11comp_targetILNS1_3genE5ELNS1_11target_archE942ELNS1_3gpuE9ELNS1_3repE0EEENS1_30default_config_static_selectorELNS0_4arch9wavefront6targetE0EEEvT1_.kd
    .uniform_work_group_size: 1
    .uses_dynamic_stack: false
    .vgpr_count:     0
    .vgpr_spill_count: 0
    .wavefront_size: 32
    .workgroup_processor_mode: 1
  - .args:
      - .offset:         0
        .size:           120
        .value_kind:     by_value
    .group_segment_fixed_size: 0
    .kernarg_segment_align: 8
    .kernarg_segment_size: 120
    .language:       OpenCL C
    .language_version:
      - 2
      - 0
    .max_flat_workgroup_size: 192
    .name:           _ZN7rocprim17ROCPRIM_400000_NS6detail17trampoline_kernelINS0_14default_configENS1_25partition_config_selectorILNS1_17partition_subalgoE9EijbEEZZNS1_14partition_implILS5_9ELb0ES3_jN6thrust23THRUST_200600_302600_NS6detail15normal_iteratorINS9_10device_ptrIiEEEENSB_INSC_IjEEEEPNS0_10empty_typeENS0_5tupleIJSE_SH_EEENSJ_IJNS9_16discard_iteratorINS9_11use_defaultEEESI_EEENS0_18inequality_wrapperINS9_8equal_toIiEEEEPmJSH_EEE10hipError_tPvRmT3_T4_T5_T6_T7_T9_mT8_P12ihipStream_tbDpT10_ENKUlT_T0_E_clISt17integral_constantIbLb1EES1C_IbLb0EEEEDaS18_S19_EUlS18_E_NS1_11comp_targetILNS1_3genE4ELNS1_11target_archE910ELNS1_3gpuE8ELNS1_3repE0EEENS1_30default_config_static_selectorELNS0_4arch9wavefront6targetE0EEEvT1_
    .private_segment_fixed_size: 0
    .sgpr_count:     0
    .sgpr_spill_count: 0
    .symbol:         _ZN7rocprim17ROCPRIM_400000_NS6detail17trampoline_kernelINS0_14default_configENS1_25partition_config_selectorILNS1_17partition_subalgoE9EijbEEZZNS1_14partition_implILS5_9ELb0ES3_jN6thrust23THRUST_200600_302600_NS6detail15normal_iteratorINS9_10device_ptrIiEEEENSB_INSC_IjEEEEPNS0_10empty_typeENS0_5tupleIJSE_SH_EEENSJ_IJNS9_16discard_iteratorINS9_11use_defaultEEESI_EEENS0_18inequality_wrapperINS9_8equal_toIiEEEEPmJSH_EEE10hipError_tPvRmT3_T4_T5_T6_T7_T9_mT8_P12ihipStream_tbDpT10_ENKUlT_T0_E_clISt17integral_constantIbLb1EES1C_IbLb0EEEEDaS18_S19_EUlS18_E_NS1_11comp_targetILNS1_3genE4ELNS1_11target_archE910ELNS1_3gpuE8ELNS1_3repE0EEENS1_30default_config_static_selectorELNS0_4arch9wavefront6targetE0EEEvT1_.kd
    .uniform_work_group_size: 1
    .uses_dynamic_stack: false
    .vgpr_count:     0
    .vgpr_spill_count: 0
    .wavefront_size: 32
    .workgroup_processor_mode: 1
  - .args:
      - .offset:         0
        .size:           120
        .value_kind:     by_value
    .group_segment_fixed_size: 0
    .kernarg_segment_align: 8
    .kernarg_segment_size: 120
    .language:       OpenCL C
    .language_version:
      - 2
      - 0
    .max_flat_workgroup_size: 256
    .name:           _ZN7rocprim17ROCPRIM_400000_NS6detail17trampoline_kernelINS0_14default_configENS1_25partition_config_selectorILNS1_17partition_subalgoE9EijbEEZZNS1_14partition_implILS5_9ELb0ES3_jN6thrust23THRUST_200600_302600_NS6detail15normal_iteratorINS9_10device_ptrIiEEEENSB_INSC_IjEEEEPNS0_10empty_typeENS0_5tupleIJSE_SH_EEENSJ_IJNS9_16discard_iteratorINS9_11use_defaultEEESI_EEENS0_18inequality_wrapperINS9_8equal_toIiEEEEPmJSH_EEE10hipError_tPvRmT3_T4_T5_T6_T7_T9_mT8_P12ihipStream_tbDpT10_ENKUlT_T0_E_clISt17integral_constantIbLb1EES1C_IbLb0EEEEDaS18_S19_EUlS18_E_NS1_11comp_targetILNS1_3genE3ELNS1_11target_archE908ELNS1_3gpuE7ELNS1_3repE0EEENS1_30default_config_static_selectorELNS0_4arch9wavefront6targetE0EEEvT1_
    .private_segment_fixed_size: 0
    .sgpr_count:     0
    .sgpr_spill_count: 0
    .symbol:         _ZN7rocprim17ROCPRIM_400000_NS6detail17trampoline_kernelINS0_14default_configENS1_25partition_config_selectorILNS1_17partition_subalgoE9EijbEEZZNS1_14partition_implILS5_9ELb0ES3_jN6thrust23THRUST_200600_302600_NS6detail15normal_iteratorINS9_10device_ptrIiEEEENSB_INSC_IjEEEEPNS0_10empty_typeENS0_5tupleIJSE_SH_EEENSJ_IJNS9_16discard_iteratorINS9_11use_defaultEEESI_EEENS0_18inequality_wrapperINS9_8equal_toIiEEEEPmJSH_EEE10hipError_tPvRmT3_T4_T5_T6_T7_T9_mT8_P12ihipStream_tbDpT10_ENKUlT_T0_E_clISt17integral_constantIbLb1EES1C_IbLb0EEEEDaS18_S19_EUlS18_E_NS1_11comp_targetILNS1_3genE3ELNS1_11target_archE908ELNS1_3gpuE7ELNS1_3repE0EEENS1_30default_config_static_selectorELNS0_4arch9wavefront6targetE0EEEvT1_.kd
    .uniform_work_group_size: 1
    .uses_dynamic_stack: false
    .vgpr_count:     0
    .vgpr_spill_count: 0
    .wavefront_size: 32
    .workgroup_processor_mode: 1
  - .args:
      - .offset:         0
        .size:           120
        .value_kind:     by_value
    .group_segment_fixed_size: 0
    .kernarg_segment_align: 8
    .kernarg_segment_size: 120
    .language:       OpenCL C
    .language_version:
      - 2
      - 0
    .max_flat_workgroup_size: 256
    .name:           _ZN7rocprim17ROCPRIM_400000_NS6detail17trampoline_kernelINS0_14default_configENS1_25partition_config_selectorILNS1_17partition_subalgoE9EijbEEZZNS1_14partition_implILS5_9ELb0ES3_jN6thrust23THRUST_200600_302600_NS6detail15normal_iteratorINS9_10device_ptrIiEEEENSB_INSC_IjEEEEPNS0_10empty_typeENS0_5tupleIJSE_SH_EEENSJ_IJNS9_16discard_iteratorINS9_11use_defaultEEESI_EEENS0_18inequality_wrapperINS9_8equal_toIiEEEEPmJSH_EEE10hipError_tPvRmT3_T4_T5_T6_T7_T9_mT8_P12ihipStream_tbDpT10_ENKUlT_T0_E_clISt17integral_constantIbLb1EES1C_IbLb0EEEEDaS18_S19_EUlS18_E_NS1_11comp_targetILNS1_3genE2ELNS1_11target_archE906ELNS1_3gpuE6ELNS1_3repE0EEENS1_30default_config_static_selectorELNS0_4arch9wavefront6targetE0EEEvT1_
    .private_segment_fixed_size: 0
    .sgpr_count:     0
    .sgpr_spill_count: 0
    .symbol:         _ZN7rocprim17ROCPRIM_400000_NS6detail17trampoline_kernelINS0_14default_configENS1_25partition_config_selectorILNS1_17partition_subalgoE9EijbEEZZNS1_14partition_implILS5_9ELb0ES3_jN6thrust23THRUST_200600_302600_NS6detail15normal_iteratorINS9_10device_ptrIiEEEENSB_INSC_IjEEEEPNS0_10empty_typeENS0_5tupleIJSE_SH_EEENSJ_IJNS9_16discard_iteratorINS9_11use_defaultEEESI_EEENS0_18inequality_wrapperINS9_8equal_toIiEEEEPmJSH_EEE10hipError_tPvRmT3_T4_T5_T6_T7_T9_mT8_P12ihipStream_tbDpT10_ENKUlT_T0_E_clISt17integral_constantIbLb1EES1C_IbLb0EEEEDaS18_S19_EUlS18_E_NS1_11comp_targetILNS1_3genE2ELNS1_11target_archE906ELNS1_3gpuE6ELNS1_3repE0EEENS1_30default_config_static_selectorELNS0_4arch9wavefront6targetE0EEEvT1_.kd
    .uniform_work_group_size: 1
    .uses_dynamic_stack: false
    .vgpr_count:     0
    .vgpr_spill_count: 0
    .wavefront_size: 32
    .workgroup_processor_mode: 1
  - .args:
      - .offset:         0
        .size:           120
        .value_kind:     by_value
    .group_segment_fixed_size: 0
    .kernarg_segment_align: 8
    .kernarg_segment_size: 120
    .language:       OpenCL C
    .language_version:
      - 2
      - 0
    .max_flat_workgroup_size: 384
    .name:           _ZN7rocprim17ROCPRIM_400000_NS6detail17trampoline_kernelINS0_14default_configENS1_25partition_config_selectorILNS1_17partition_subalgoE9EijbEEZZNS1_14partition_implILS5_9ELb0ES3_jN6thrust23THRUST_200600_302600_NS6detail15normal_iteratorINS9_10device_ptrIiEEEENSB_INSC_IjEEEEPNS0_10empty_typeENS0_5tupleIJSE_SH_EEENSJ_IJNS9_16discard_iteratorINS9_11use_defaultEEESI_EEENS0_18inequality_wrapperINS9_8equal_toIiEEEEPmJSH_EEE10hipError_tPvRmT3_T4_T5_T6_T7_T9_mT8_P12ihipStream_tbDpT10_ENKUlT_T0_E_clISt17integral_constantIbLb1EES1C_IbLb0EEEEDaS18_S19_EUlS18_E_NS1_11comp_targetILNS1_3genE10ELNS1_11target_archE1200ELNS1_3gpuE4ELNS1_3repE0EEENS1_30default_config_static_selectorELNS0_4arch9wavefront6targetE0EEEvT1_
    .private_segment_fixed_size: 0
    .sgpr_count:     0
    .sgpr_spill_count: 0
    .symbol:         _ZN7rocprim17ROCPRIM_400000_NS6detail17trampoline_kernelINS0_14default_configENS1_25partition_config_selectorILNS1_17partition_subalgoE9EijbEEZZNS1_14partition_implILS5_9ELb0ES3_jN6thrust23THRUST_200600_302600_NS6detail15normal_iteratorINS9_10device_ptrIiEEEENSB_INSC_IjEEEEPNS0_10empty_typeENS0_5tupleIJSE_SH_EEENSJ_IJNS9_16discard_iteratorINS9_11use_defaultEEESI_EEENS0_18inequality_wrapperINS9_8equal_toIiEEEEPmJSH_EEE10hipError_tPvRmT3_T4_T5_T6_T7_T9_mT8_P12ihipStream_tbDpT10_ENKUlT_T0_E_clISt17integral_constantIbLb1EES1C_IbLb0EEEEDaS18_S19_EUlS18_E_NS1_11comp_targetILNS1_3genE10ELNS1_11target_archE1200ELNS1_3gpuE4ELNS1_3repE0EEENS1_30default_config_static_selectorELNS0_4arch9wavefront6targetE0EEEvT1_.kd
    .uniform_work_group_size: 1
    .uses_dynamic_stack: false
    .vgpr_count:     0
    .vgpr_spill_count: 0
    .wavefront_size: 32
    .workgroup_processor_mode: 1
  - .args:
      - .offset:         0
        .size:           120
        .value_kind:     by_value
    .group_segment_fixed_size: 12680
    .kernarg_segment_align: 8
    .kernarg_segment_size: 120
    .language:       OpenCL C
    .language_version:
      - 2
      - 0
    .max_flat_workgroup_size: 384
    .name:           _ZN7rocprim17ROCPRIM_400000_NS6detail17trampoline_kernelINS0_14default_configENS1_25partition_config_selectorILNS1_17partition_subalgoE9EijbEEZZNS1_14partition_implILS5_9ELb0ES3_jN6thrust23THRUST_200600_302600_NS6detail15normal_iteratorINS9_10device_ptrIiEEEENSB_INSC_IjEEEEPNS0_10empty_typeENS0_5tupleIJSE_SH_EEENSJ_IJNS9_16discard_iteratorINS9_11use_defaultEEESI_EEENS0_18inequality_wrapperINS9_8equal_toIiEEEEPmJSH_EEE10hipError_tPvRmT3_T4_T5_T6_T7_T9_mT8_P12ihipStream_tbDpT10_ENKUlT_T0_E_clISt17integral_constantIbLb1EES1C_IbLb0EEEEDaS18_S19_EUlS18_E_NS1_11comp_targetILNS1_3genE9ELNS1_11target_archE1100ELNS1_3gpuE3ELNS1_3repE0EEENS1_30default_config_static_selectorELNS0_4arch9wavefront6targetE0EEEvT1_
    .private_segment_fixed_size: 0
    .sgpr_count:     27
    .sgpr_spill_count: 0
    .symbol:         _ZN7rocprim17ROCPRIM_400000_NS6detail17trampoline_kernelINS0_14default_configENS1_25partition_config_selectorILNS1_17partition_subalgoE9EijbEEZZNS1_14partition_implILS5_9ELb0ES3_jN6thrust23THRUST_200600_302600_NS6detail15normal_iteratorINS9_10device_ptrIiEEEENSB_INSC_IjEEEEPNS0_10empty_typeENS0_5tupleIJSE_SH_EEENSJ_IJNS9_16discard_iteratorINS9_11use_defaultEEESI_EEENS0_18inequality_wrapperINS9_8equal_toIiEEEEPmJSH_EEE10hipError_tPvRmT3_T4_T5_T6_T7_T9_mT8_P12ihipStream_tbDpT10_ENKUlT_T0_E_clISt17integral_constantIbLb1EES1C_IbLb0EEEEDaS18_S19_EUlS18_E_NS1_11comp_targetILNS1_3genE9ELNS1_11target_archE1100ELNS1_3gpuE3ELNS1_3repE0EEENS1_30default_config_static_selectorELNS0_4arch9wavefront6targetE0EEEvT1_.kd
    .uniform_work_group_size: 1
    .uses_dynamic_stack: false
    .vgpr_count:     51
    .vgpr_spill_count: 0
    .wavefront_size: 32
    .workgroup_processor_mode: 1
  - .args:
      - .offset:         0
        .size:           120
        .value_kind:     by_value
    .group_segment_fixed_size: 0
    .kernarg_segment_align: 8
    .kernarg_segment_size: 120
    .language:       OpenCL C
    .language_version:
      - 2
      - 0
    .max_flat_workgroup_size: 512
    .name:           _ZN7rocprim17ROCPRIM_400000_NS6detail17trampoline_kernelINS0_14default_configENS1_25partition_config_selectorILNS1_17partition_subalgoE9EijbEEZZNS1_14partition_implILS5_9ELb0ES3_jN6thrust23THRUST_200600_302600_NS6detail15normal_iteratorINS9_10device_ptrIiEEEENSB_INSC_IjEEEEPNS0_10empty_typeENS0_5tupleIJSE_SH_EEENSJ_IJNS9_16discard_iteratorINS9_11use_defaultEEESI_EEENS0_18inequality_wrapperINS9_8equal_toIiEEEEPmJSH_EEE10hipError_tPvRmT3_T4_T5_T6_T7_T9_mT8_P12ihipStream_tbDpT10_ENKUlT_T0_E_clISt17integral_constantIbLb1EES1C_IbLb0EEEEDaS18_S19_EUlS18_E_NS1_11comp_targetILNS1_3genE8ELNS1_11target_archE1030ELNS1_3gpuE2ELNS1_3repE0EEENS1_30default_config_static_selectorELNS0_4arch9wavefront6targetE0EEEvT1_
    .private_segment_fixed_size: 0
    .sgpr_count:     0
    .sgpr_spill_count: 0
    .symbol:         _ZN7rocprim17ROCPRIM_400000_NS6detail17trampoline_kernelINS0_14default_configENS1_25partition_config_selectorILNS1_17partition_subalgoE9EijbEEZZNS1_14partition_implILS5_9ELb0ES3_jN6thrust23THRUST_200600_302600_NS6detail15normal_iteratorINS9_10device_ptrIiEEEENSB_INSC_IjEEEEPNS0_10empty_typeENS0_5tupleIJSE_SH_EEENSJ_IJNS9_16discard_iteratorINS9_11use_defaultEEESI_EEENS0_18inequality_wrapperINS9_8equal_toIiEEEEPmJSH_EEE10hipError_tPvRmT3_T4_T5_T6_T7_T9_mT8_P12ihipStream_tbDpT10_ENKUlT_T0_E_clISt17integral_constantIbLb1EES1C_IbLb0EEEEDaS18_S19_EUlS18_E_NS1_11comp_targetILNS1_3genE8ELNS1_11target_archE1030ELNS1_3gpuE2ELNS1_3repE0EEENS1_30default_config_static_selectorELNS0_4arch9wavefront6targetE0EEEvT1_.kd
    .uniform_work_group_size: 1
    .uses_dynamic_stack: false
    .vgpr_count:     0
    .vgpr_spill_count: 0
    .wavefront_size: 32
    .workgroup_processor_mode: 1
  - .args:
      - .offset:         0
        .size:           136
        .value_kind:     by_value
    .group_segment_fixed_size: 0
    .kernarg_segment_align: 8
    .kernarg_segment_size: 136
    .language:       OpenCL C
    .language_version:
      - 2
      - 0
    .max_flat_workgroup_size: 256
    .name:           _ZN7rocprim17ROCPRIM_400000_NS6detail17trampoline_kernelINS0_14default_configENS1_25partition_config_selectorILNS1_17partition_subalgoE9EijbEEZZNS1_14partition_implILS5_9ELb0ES3_jN6thrust23THRUST_200600_302600_NS6detail15normal_iteratorINS9_10device_ptrIiEEEENSB_INSC_IjEEEEPNS0_10empty_typeENS0_5tupleIJSE_SH_EEENSJ_IJNS9_16discard_iteratorINS9_11use_defaultEEESI_EEENS0_18inequality_wrapperINS9_8equal_toIiEEEEPmJSH_EEE10hipError_tPvRmT3_T4_T5_T6_T7_T9_mT8_P12ihipStream_tbDpT10_ENKUlT_T0_E_clISt17integral_constantIbLb0EES1C_IbLb1EEEEDaS18_S19_EUlS18_E_NS1_11comp_targetILNS1_3genE0ELNS1_11target_archE4294967295ELNS1_3gpuE0ELNS1_3repE0EEENS1_30default_config_static_selectorELNS0_4arch9wavefront6targetE0EEEvT1_
    .private_segment_fixed_size: 0
    .sgpr_count:     0
    .sgpr_spill_count: 0
    .symbol:         _ZN7rocprim17ROCPRIM_400000_NS6detail17trampoline_kernelINS0_14default_configENS1_25partition_config_selectorILNS1_17partition_subalgoE9EijbEEZZNS1_14partition_implILS5_9ELb0ES3_jN6thrust23THRUST_200600_302600_NS6detail15normal_iteratorINS9_10device_ptrIiEEEENSB_INSC_IjEEEEPNS0_10empty_typeENS0_5tupleIJSE_SH_EEENSJ_IJNS9_16discard_iteratorINS9_11use_defaultEEESI_EEENS0_18inequality_wrapperINS9_8equal_toIiEEEEPmJSH_EEE10hipError_tPvRmT3_T4_T5_T6_T7_T9_mT8_P12ihipStream_tbDpT10_ENKUlT_T0_E_clISt17integral_constantIbLb0EES1C_IbLb1EEEEDaS18_S19_EUlS18_E_NS1_11comp_targetILNS1_3genE0ELNS1_11target_archE4294967295ELNS1_3gpuE0ELNS1_3repE0EEENS1_30default_config_static_selectorELNS0_4arch9wavefront6targetE0EEEvT1_.kd
    .uniform_work_group_size: 1
    .uses_dynamic_stack: false
    .vgpr_count:     0
    .vgpr_spill_count: 0
    .wavefront_size: 32
    .workgroup_processor_mode: 1
  - .args:
      - .offset:         0
        .size:           136
        .value_kind:     by_value
    .group_segment_fixed_size: 0
    .kernarg_segment_align: 8
    .kernarg_segment_size: 136
    .language:       OpenCL C
    .language_version:
      - 2
      - 0
    .max_flat_workgroup_size: 512
    .name:           _ZN7rocprim17ROCPRIM_400000_NS6detail17trampoline_kernelINS0_14default_configENS1_25partition_config_selectorILNS1_17partition_subalgoE9EijbEEZZNS1_14partition_implILS5_9ELb0ES3_jN6thrust23THRUST_200600_302600_NS6detail15normal_iteratorINS9_10device_ptrIiEEEENSB_INSC_IjEEEEPNS0_10empty_typeENS0_5tupleIJSE_SH_EEENSJ_IJNS9_16discard_iteratorINS9_11use_defaultEEESI_EEENS0_18inequality_wrapperINS9_8equal_toIiEEEEPmJSH_EEE10hipError_tPvRmT3_T4_T5_T6_T7_T9_mT8_P12ihipStream_tbDpT10_ENKUlT_T0_E_clISt17integral_constantIbLb0EES1C_IbLb1EEEEDaS18_S19_EUlS18_E_NS1_11comp_targetILNS1_3genE5ELNS1_11target_archE942ELNS1_3gpuE9ELNS1_3repE0EEENS1_30default_config_static_selectorELNS0_4arch9wavefront6targetE0EEEvT1_
    .private_segment_fixed_size: 0
    .sgpr_count:     0
    .sgpr_spill_count: 0
    .symbol:         _ZN7rocprim17ROCPRIM_400000_NS6detail17trampoline_kernelINS0_14default_configENS1_25partition_config_selectorILNS1_17partition_subalgoE9EijbEEZZNS1_14partition_implILS5_9ELb0ES3_jN6thrust23THRUST_200600_302600_NS6detail15normal_iteratorINS9_10device_ptrIiEEEENSB_INSC_IjEEEEPNS0_10empty_typeENS0_5tupleIJSE_SH_EEENSJ_IJNS9_16discard_iteratorINS9_11use_defaultEEESI_EEENS0_18inequality_wrapperINS9_8equal_toIiEEEEPmJSH_EEE10hipError_tPvRmT3_T4_T5_T6_T7_T9_mT8_P12ihipStream_tbDpT10_ENKUlT_T0_E_clISt17integral_constantIbLb0EES1C_IbLb1EEEEDaS18_S19_EUlS18_E_NS1_11comp_targetILNS1_3genE5ELNS1_11target_archE942ELNS1_3gpuE9ELNS1_3repE0EEENS1_30default_config_static_selectorELNS0_4arch9wavefront6targetE0EEEvT1_.kd
    .uniform_work_group_size: 1
    .uses_dynamic_stack: false
    .vgpr_count:     0
    .vgpr_spill_count: 0
    .wavefront_size: 32
    .workgroup_processor_mode: 1
  - .args:
      - .offset:         0
        .size:           136
        .value_kind:     by_value
    .group_segment_fixed_size: 0
    .kernarg_segment_align: 8
    .kernarg_segment_size: 136
    .language:       OpenCL C
    .language_version:
      - 2
      - 0
    .max_flat_workgroup_size: 192
    .name:           _ZN7rocprim17ROCPRIM_400000_NS6detail17trampoline_kernelINS0_14default_configENS1_25partition_config_selectorILNS1_17partition_subalgoE9EijbEEZZNS1_14partition_implILS5_9ELb0ES3_jN6thrust23THRUST_200600_302600_NS6detail15normal_iteratorINS9_10device_ptrIiEEEENSB_INSC_IjEEEEPNS0_10empty_typeENS0_5tupleIJSE_SH_EEENSJ_IJNS9_16discard_iteratorINS9_11use_defaultEEESI_EEENS0_18inequality_wrapperINS9_8equal_toIiEEEEPmJSH_EEE10hipError_tPvRmT3_T4_T5_T6_T7_T9_mT8_P12ihipStream_tbDpT10_ENKUlT_T0_E_clISt17integral_constantIbLb0EES1C_IbLb1EEEEDaS18_S19_EUlS18_E_NS1_11comp_targetILNS1_3genE4ELNS1_11target_archE910ELNS1_3gpuE8ELNS1_3repE0EEENS1_30default_config_static_selectorELNS0_4arch9wavefront6targetE0EEEvT1_
    .private_segment_fixed_size: 0
    .sgpr_count:     0
    .sgpr_spill_count: 0
    .symbol:         _ZN7rocprim17ROCPRIM_400000_NS6detail17trampoline_kernelINS0_14default_configENS1_25partition_config_selectorILNS1_17partition_subalgoE9EijbEEZZNS1_14partition_implILS5_9ELb0ES3_jN6thrust23THRUST_200600_302600_NS6detail15normal_iteratorINS9_10device_ptrIiEEEENSB_INSC_IjEEEEPNS0_10empty_typeENS0_5tupleIJSE_SH_EEENSJ_IJNS9_16discard_iteratorINS9_11use_defaultEEESI_EEENS0_18inequality_wrapperINS9_8equal_toIiEEEEPmJSH_EEE10hipError_tPvRmT3_T4_T5_T6_T7_T9_mT8_P12ihipStream_tbDpT10_ENKUlT_T0_E_clISt17integral_constantIbLb0EES1C_IbLb1EEEEDaS18_S19_EUlS18_E_NS1_11comp_targetILNS1_3genE4ELNS1_11target_archE910ELNS1_3gpuE8ELNS1_3repE0EEENS1_30default_config_static_selectorELNS0_4arch9wavefront6targetE0EEEvT1_.kd
    .uniform_work_group_size: 1
    .uses_dynamic_stack: false
    .vgpr_count:     0
    .vgpr_spill_count: 0
    .wavefront_size: 32
    .workgroup_processor_mode: 1
  - .args:
      - .offset:         0
        .size:           136
        .value_kind:     by_value
    .group_segment_fixed_size: 0
    .kernarg_segment_align: 8
    .kernarg_segment_size: 136
    .language:       OpenCL C
    .language_version:
      - 2
      - 0
    .max_flat_workgroup_size: 256
    .name:           _ZN7rocprim17ROCPRIM_400000_NS6detail17trampoline_kernelINS0_14default_configENS1_25partition_config_selectorILNS1_17partition_subalgoE9EijbEEZZNS1_14partition_implILS5_9ELb0ES3_jN6thrust23THRUST_200600_302600_NS6detail15normal_iteratorINS9_10device_ptrIiEEEENSB_INSC_IjEEEEPNS0_10empty_typeENS0_5tupleIJSE_SH_EEENSJ_IJNS9_16discard_iteratorINS9_11use_defaultEEESI_EEENS0_18inequality_wrapperINS9_8equal_toIiEEEEPmJSH_EEE10hipError_tPvRmT3_T4_T5_T6_T7_T9_mT8_P12ihipStream_tbDpT10_ENKUlT_T0_E_clISt17integral_constantIbLb0EES1C_IbLb1EEEEDaS18_S19_EUlS18_E_NS1_11comp_targetILNS1_3genE3ELNS1_11target_archE908ELNS1_3gpuE7ELNS1_3repE0EEENS1_30default_config_static_selectorELNS0_4arch9wavefront6targetE0EEEvT1_
    .private_segment_fixed_size: 0
    .sgpr_count:     0
    .sgpr_spill_count: 0
    .symbol:         _ZN7rocprim17ROCPRIM_400000_NS6detail17trampoline_kernelINS0_14default_configENS1_25partition_config_selectorILNS1_17partition_subalgoE9EijbEEZZNS1_14partition_implILS5_9ELb0ES3_jN6thrust23THRUST_200600_302600_NS6detail15normal_iteratorINS9_10device_ptrIiEEEENSB_INSC_IjEEEEPNS0_10empty_typeENS0_5tupleIJSE_SH_EEENSJ_IJNS9_16discard_iteratorINS9_11use_defaultEEESI_EEENS0_18inequality_wrapperINS9_8equal_toIiEEEEPmJSH_EEE10hipError_tPvRmT3_T4_T5_T6_T7_T9_mT8_P12ihipStream_tbDpT10_ENKUlT_T0_E_clISt17integral_constantIbLb0EES1C_IbLb1EEEEDaS18_S19_EUlS18_E_NS1_11comp_targetILNS1_3genE3ELNS1_11target_archE908ELNS1_3gpuE7ELNS1_3repE0EEENS1_30default_config_static_selectorELNS0_4arch9wavefront6targetE0EEEvT1_.kd
    .uniform_work_group_size: 1
    .uses_dynamic_stack: false
    .vgpr_count:     0
    .vgpr_spill_count: 0
    .wavefront_size: 32
    .workgroup_processor_mode: 1
  - .args:
      - .offset:         0
        .size:           136
        .value_kind:     by_value
    .group_segment_fixed_size: 0
    .kernarg_segment_align: 8
    .kernarg_segment_size: 136
    .language:       OpenCL C
    .language_version:
      - 2
      - 0
    .max_flat_workgroup_size: 256
    .name:           _ZN7rocprim17ROCPRIM_400000_NS6detail17trampoline_kernelINS0_14default_configENS1_25partition_config_selectorILNS1_17partition_subalgoE9EijbEEZZNS1_14partition_implILS5_9ELb0ES3_jN6thrust23THRUST_200600_302600_NS6detail15normal_iteratorINS9_10device_ptrIiEEEENSB_INSC_IjEEEEPNS0_10empty_typeENS0_5tupleIJSE_SH_EEENSJ_IJNS9_16discard_iteratorINS9_11use_defaultEEESI_EEENS0_18inequality_wrapperINS9_8equal_toIiEEEEPmJSH_EEE10hipError_tPvRmT3_T4_T5_T6_T7_T9_mT8_P12ihipStream_tbDpT10_ENKUlT_T0_E_clISt17integral_constantIbLb0EES1C_IbLb1EEEEDaS18_S19_EUlS18_E_NS1_11comp_targetILNS1_3genE2ELNS1_11target_archE906ELNS1_3gpuE6ELNS1_3repE0EEENS1_30default_config_static_selectorELNS0_4arch9wavefront6targetE0EEEvT1_
    .private_segment_fixed_size: 0
    .sgpr_count:     0
    .sgpr_spill_count: 0
    .symbol:         _ZN7rocprim17ROCPRIM_400000_NS6detail17trampoline_kernelINS0_14default_configENS1_25partition_config_selectorILNS1_17partition_subalgoE9EijbEEZZNS1_14partition_implILS5_9ELb0ES3_jN6thrust23THRUST_200600_302600_NS6detail15normal_iteratorINS9_10device_ptrIiEEEENSB_INSC_IjEEEEPNS0_10empty_typeENS0_5tupleIJSE_SH_EEENSJ_IJNS9_16discard_iteratorINS9_11use_defaultEEESI_EEENS0_18inequality_wrapperINS9_8equal_toIiEEEEPmJSH_EEE10hipError_tPvRmT3_T4_T5_T6_T7_T9_mT8_P12ihipStream_tbDpT10_ENKUlT_T0_E_clISt17integral_constantIbLb0EES1C_IbLb1EEEEDaS18_S19_EUlS18_E_NS1_11comp_targetILNS1_3genE2ELNS1_11target_archE906ELNS1_3gpuE6ELNS1_3repE0EEENS1_30default_config_static_selectorELNS0_4arch9wavefront6targetE0EEEvT1_.kd
    .uniform_work_group_size: 1
    .uses_dynamic_stack: false
    .vgpr_count:     0
    .vgpr_spill_count: 0
    .wavefront_size: 32
    .workgroup_processor_mode: 1
  - .args:
      - .offset:         0
        .size:           136
        .value_kind:     by_value
    .group_segment_fixed_size: 0
    .kernarg_segment_align: 8
    .kernarg_segment_size: 136
    .language:       OpenCL C
    .language_version:
      - 2
      - 0
    .max_flat_workgroup_size: 384
    .name:           _ZN7rocprim17ROCPRIM_400000_NS6detail17trampoline_kernelINS0_14default_configENS1_25partition_config_selectorILNS1_17partition_subalgoE9EijbEEZZNS1_14partition_implILS5_9ELb0ES3_jN6thrust23THRUST_200600_302600_NS6detail15normal_iteratorINS9_10device_ptrIiEEEENSB_INSC_IjEEEEPNS0_10empty_typeENS0_5tupleIJSE_SH_EEENSJ_IJNS9_16discard_iteratorINS9_11use_defaultEEESI_EEENS0_18inequality_wrapperINS9_8equal_toIiEEEEPmJSH_EEE10hipError_tPvRmT3_T4_T5_T6_T7_T9_mT8_P12ihipStream_tbDpT10_ENKUlT_T0_E_clISt17integral_constantIbLb0EES1C_IbLb1EEEEDaS18_S19_EUlS18_E_NS1_11comp_targetILNS1_3genE10ELNS1_11target_archE1200ELNS1_3gpuE4ELNS1_3repE0EEENS1_30default_config_static_selectorELNS0_4arch9wavefront6targetE0EEEvT1_
    .private_segment_fixed_size: 0
    .sgpr_count:     0
    .sgpr_spill_count: 0
    .symbol:         _ZN7rocprim17ROCPRIM_400000_NS6detail17trampoline_kernelINS0_14default_configENS1_25partition_config_selectorILNS1_17partition_subalgoE9EijbEEZZNS1_14partition_implILS5_9ELb0ES3_jN6thrust23THRUST_200600_302600_NS6detail15normal_iteratorINS9_10device_ptrIiEEEENSB_INSC_IjEEEEPNS0_10empty_typeENS0_5tupleIJSE_SH_EEENSJ_IJNS9_16discard_iteratorINS9_11use_defaultEEESI_EEENS0_18inequality_wrapperINS9_8equal_toIiEEEEPmJSH_EEE10hipError_tPvRmT3_T4_T5_T6_T7_T9_mT8_P12ihipStream_tbDpT10_ENKUlT_T0_E_clISt17integral_constantIbLb0EES1C_IbLb1EEEEDaS18_S19_EUlS18_E_NS1_11comp_targetILNS1_3genE10ELNS1_11target_archE1200ELNS1_3gpuE4ELNS1_3repE0EEENS1_30default_config_static_selectorELNS0_4arch9wavefront6targetE0EEEvT1_.kd
    .uniform_work_group_size: 1
    .uses_dynamic_stack: false
    .vgpr_count:     0
    .vgpr_spill_count: 0
    .wavefront_size: 32
    .workgroup_processor_mode: 1
  - .args:
      - .offset:         0
        .size:           136
        .value_kind:     by_value
    .group_segment_fixed_size: 12680
    .kernarg_segment_align: 8
    .kernarg_segment_size: 136
    .language:       OpenCL C
    .language_version:
      - 2
      - 0
    .max_flat_workgroup_size: 384
    .name:           _ZN7rocprim17ROCPRIM_400000_NS6detail17trampoline_kernelINS0_14default_configENS1_25partition_config_selectorILNS1_17partition_subalgoE9EijbEEZZNS1_14partition_implILS5_9ELb0ES3_jN6thrust23THRUST_200600_302600_NS6detail15normal_iteratorINS9_10device_ptrIiEEEENSB_INSC_IjEEEEPNS0_10empty_typeENS0_5tupleIJSE_SH_EEENSJ_IJNS9_16discard_iteratorINS9_11use_defaultEEESI_EEENS0_18inequality_wrapperINS9_8equal_toIiEEEEPmJSH_EEE10hipError_tPvRmT3_T4_T5_T6_T7_T9_mT8_P12ihipStream_tbDpT10_ENKUlT_T0_E_clISt17integral_constantIbLb0EES1C_IbLb1EEEEDaS18_S19_EUlS18_E_NS1_11comp_targetILNS1_3genE9ELNS1_11target_archE1100ELNS1_3gpuE3ELNS1_3repE0EEENS1_30default_config_static_selectorELNS0_4arch9wavefront6targetE0EEEvT1_
    .private_segment_fixed_size: 0
    .sgpr_count:     28
    .sgpr_spill_count: 0
    .symbol:         _ZN7rocprim17ROCPRIM_400000_NS6detail17trampoline_kernelINS0_14default_configENS1_25partition_config_selectorILNS1_17partition_subalgoE9EijbEEZZNS1_14partition_implILS5_9ELb0ES3_jN6thrust23THRUST_200600_302600_NS6detail15normal_iteratorINS9_10device_ptrIiEEEENSB_INSC_IjEEEEPNS0_10empty_typeENS0_5tupleIJSE_SH_EEENSJ_IJNS9_16discard_iteratorINS9_11use_defaultEEESI_EEENS0_18inequality_wrapperINS9_8equal_toIiEEEEPmJSH_EEE10hipError_tPvRmT3_T4_T5_T6_T7_T9_mT8_P12ihipStream_tbDpT10_ENKUlT_T0_E_clISt17integral_constantIbLb0EES1C_IbLb1EEEEDaS18_S19_EUlS18_E_NS1_11comp_targetILNS1_3genE9ELNS1_11target_archE1100ELNS1_3gpuE3ELNS1_3repE0EEENS1_30default_config_static_selectorELNS0_4arch9wavefront6targetE0EEEvT1_.kd
    .uniform_work_group_size: 1
    .uses_dynamic_stack: false
    .vgpr_count:     53
    .vgpr_spill_count: 0
    .wavefront_size: 32
    .workgroup_processor_mode: 1
  - .args:
      - .offset:         0
        .size:           136
        .value_kind:     by_value
    .group_segment_fixed_size: 0
    .kernarg_segment_align: 8
    .kernarg_segment_size: 136
    .language:       OpenCL C
    .language_version:
      - 2
      - 0
    .max_flat_workgroup_size: 512
    .name:           _ZN7rocprim17ROCPRIM_400000_NS6detail17trampoline_kernelINS0_14default_configENS1_25partition_config_selectorILNS1_17partition_subalgoE9EijbEEZZNS1_14partition_implILS5_9ELb0ES3_jN6thrust23THRUST_200600_302600_NS6detail15normal_iteratorINS9_10device_ptrIiEEEENSB_INSC_IjEEEEPNS0_10empty_typeENS0_5tupleIJSE_SH_EEENSJ_IJNS9_16discard_iteratorINS9_11use_defaultEEESI_EEENS0_18inequality_wrapperINS9_8equal_toIiEEEEPmJSH_EEE10hipError_tPvRmT3_T4_T5_T6_T7_T9_mT8_P12ihipStream_tbDpT10_ENKUlT_T0_E_clISt17integral_constantIbLb0EES1C_IbLb1EEEEDaS18_S19_EUlS18_E_NS1_11comp_targetILNS1_3genE8ELNS1_11target_archE1030ELNS1_3gpuE2ELNS1_3repE0EEENS1_30default_config_static_selectorELNS0_4arch9wavefront6targetE0EEEvT1_
    .private_segment_fixed_size: 0
    .sgpr_count:     0
    .sgpr_spill_count: 0
    .symbol:         _ZN7rocprim17ROCPRIM_400000_NS6detail17trampoline_kernelINS0_14default_configENS1_25partition_config_selectorILNS1_17partition_subalgoE9EijbEEZZNS1_14partition_implILS5_9ELb0ES3_jN6thrust23THRUST_200600_302600_NS6detail15normal_iteratorINS9_10device_ptrIiEEEENSB_INSC_IjEEEEPNS0_10empty_typeENS0_5tupleIJSE_SH_EEENSJ_IJNS9_16discard_iteratorINS9_11use_defaultEEESI_EEENS0_18inequality_wrapperINS9_8equal_toIiEEEEPmJSH_EEE10hipError_tPvRmT3_T4_T5_T6_T7_T9_mT8_P12ihipStream_tbDpT10_ENKUlT_T0_E_clISt17integral_constantIbLb0EES1C_IbLb1EEEEDaS18_S19_EUlS18_E_NS1_11comp_targetILNS1_3genE8ELNS1_11target_archE1030ELNS1_3gpuE2ELNS1_3repE0EEENS1_30default_config_static_selectorELNS0_4arch9wavefront6targetE0EEEvT1_.kd
    .uniform_work_group_size: 1
    .uses_dynamic_stack: false
    .vgpr_count:     0
    .vgpr_spill_count: 0
    .wavefront_size: 32
    .workgroup_processor_mode: 1
  - .args:
      - .offset:         0
        .size:           120
        .value_kind:     by_value
    .group_segment_fixed_size: 0
    .kernarg_segment_align: 8
    .kernarg_segment_size: 120
    .language:       OpenCL C
    .language_version:
      - 2
      - 0
    .max_flat_workgroup_size: 256
    .name:           _ZN7rocprim17ROCPRIM_400000_NS6detail17trampoline_kernelINS0_14default_configENS1_25partition_config_selectorILNS1_17partition_subalgoE9EijbEEZZNS1_14partition_implILS5_9ELb0ES3_jN6thrust23THRUST_200600_302600_NS6detail15normal_iteratorINS9_10device_ptrIiEEEENSB_INSC_IjEEEEPNS0_10empty_typeENS0_5tupleIJNS9_16discard_iteratorINS9_11use_defaultEEESH_EEENSJ_IJSG_SI_EEENS0_18inequality_wrapperINS9_8equal_toIiEEEEPmJSH_EEE10hipError_tPvRmT3_T4_T5_T6_T7_T9_mT8_P12ihipStream_tbDpT10_ENKUlT_T0_E_clISt17integral_constantIbLb0EES1D_EEDaS18_S19_EUlS18_E_NS1_11comp_targetILNS1_3genE0ELNS1_11target_archE4294967295ELNS1_3gpuE0ELNS1_3repE0EEENS1_30default_config_static_selectorELNS0_4arch9wavefront6targetE0EEEvT1_
    .private_segment_fixed_size: 0
    .sgpr_count:     0
    .sgpr_spill_count: 0
    .symbol:         _ZN7rocprim17ROCPRIM_400000_NS6detail17trampoline_kernelINS0_14default_configENS1_25partition_config_selectorILNS1_17partition_subalgoE9EijbEEZZNS1_14partition_implILS5_9ELb0ES3_jN6thrust23THRUST_200600_302600_NS6detail15normal_iteratorINS9_10device_ptrIiEEEENSB_INSC_IjEEEEPNS0_10empty_typeENS0_5tupleIJNS9_16discard_iteratorINS9_11use_defaultEEESH_EEENSJ_IJSG_SI_EEENS0_18inequality_wrapperINS9_8equal_toIiEEEEPmJSH_EEE10hipError_tPvRmT3_T4_T5_T6_T7_T9_mT8_P12ihipStream_tbDpT10_ENKUlT_T0_E_clISt17integral_constantIbLb0EES1D_EEDaS18_S19_EUlS18_E_NS1_11comp_targetILNS1_3genE0ELNS1_11target_archE4294967295ELNS1_3gpuE0ELNS1_3repE0EEENS1_30default_config_static_selectorELNS0_4arch9wavefront6targetE0EEEvT1_.kd
    .uniform_work_group_size: 1
    .uses_dynamic_stack: false
    .vgpr_count:     0
    .vgpr_spill_count: 0
    .wavefront_size: 32
    .workgroup_processor_mode: 1
  - .args:
      - .offset:         0
        .size:           120
        .value_kind:     by_value
    .group_segment_fixed_size: 0
    .kernarg_segment_align: 8
    .kernarg_segment_size: 120
    .language:       OpenCL C
    .language_version:
      - 2
      - 0
    .max_flat_workgroup_size: 512
    .name:           _ZN7rocprim17ROCPRIM_400000_NS6detail17trampoline_kernelINS0_14default_configENS1_25partition_config_selectorILNS1_17partition_subalgoE9EijbEEZZNS1_14partition_implILS5_9ELb0ES3_jN6thrust23THRUST_200600_302600_NS6detail15normal_iteratorINS9_10device_ptrIiEEEENSB_INSC_IjEEEEPNS0_10empty_typeENS0_5tupleIJNS9_16discard_iteratorINS9_11use_defaultEEESH_EEENSJ_IJSG_SI_EEENS0_18inequality_wrapperINS9_8equal_toIiEEEEPmJSH_EEE10hipError_tPvRmT3_T4_T5_T6_T7_T9_mT8_P12ihipStream_tbDpT10_ENKUlT_T0_E_clISt17integral_constantIbLb0EES1D_EEDaS18_S19_EUlS18_E_NS1_11comp_targetILNS1_3genE5ELNS1_11target_archE942ELNS1_3gpuE9ELNS1_3repE0EEENS1_30default_config_static_selectorELNS0_4arch9wavefront6targetE0EEEvT1_
    .private_segment_fixed_size: 0
    .sgpr_count:     0
    .sgpr_spill_count: 0
    .symbol:         _ZN7rocprim17ROCPRIM_400000_NS6detail17trampoline_kernelINS0_14default_configENS1_25partition_config_selectorILNS1_17partition_subalgoE9EijbEEZZNS1_14partition_implILS5_9ELb0ES3_jN6thrust23THRUST_200600_302600_NS6detail15normal_iteratorINS9_10device_ptrIiEEEENSB_INSC_IjEEEEPNS0_10empty_typeENS0_5tupleIJNS9_16discard_iteratorINS9_11use_defaultEEESH_EEENSJ_IJSG_SI_EEENS0_18inequality_wrapperINS9_8equal_toIiEEEEPmJSH_EEE10hipError_tPvRmT3_T4_T5_T6_T7_T9_mT8_P12ihipStream_tbDpT10_ENKUlT_T0_E_clISt17integral_constantIbLb0EES1D_EEDaS18_S19_EUlS18_E_NS1_11comp_targetILNS1_3genE5ELNS1_11target_archE942ELNS1_3gpuE9ELNS1_3repE0EEENS1_30default_config_static_selectorELNS0_4arch9wavefront6targetE0EEEvT1_.kd
    .uniform_work_group_size: 1
    .uses_dynamic_stack: false
    .vgpr_count:     0
    .vgpr_spill_count: 0
    .wavefront_size: 32
    .workgroup_processor_mode: 1
  - .args:
      - .offset:         0
        .size:           120
        .value_kind:     by_value
    .group_segment_fixed_size: 0
    .kernarg_segment_align: 8
    .kernarg_segment_size: 120
    .language:       OpenCL C
    .language_version:
      - 2
      - 0
    .max_flat_workgroup_size: 192
    .name:           _ZN7rocprim17ROCPRIM_400000_NS6detail17trampoline_kernelINS0_14default_configENS1_25partition_config_selectorILNS1_17partition_subalgoE9EijbEEZZNS1_14partition_implILS5_9ELb0ES3_jN6thrust23THRUST_200600_302600_NS6detail15normal_iteratorINS9_10device_ptrIiEEEENSB_INSC_IjEEEEPNS0_10empty_typeENS0_5tupleIJNS9_16discard_iteratorINS9_11use_defaultEEESH_EEENSJ_IJSG_SI_EEENS0_18inequality_wrapperINS9_8equal_toIiEEEEPmJSH_EEE10hipError_tPvRmT3_T4_T5_T6_T7_T9_mT8_P12ihipStream_tbDpT10_ENKUlT_T0_E_clISt17integral_constantIbLb0EES1D_EEDaS18_S19_EUlS18_E_NS1_11comp_targetILNS1_3genE4ELNS1_11target_archE910ELNS1_3gpuE8ELNS1_3repE0EEENS1_30default_config_static_selectorELNS0_4arch9wavefront6targetE0EEEvT1_
    .private_segment_fixed_size: 0
    .sgpr_count:     0
    .sgpr_spill_count: 0
    .symbol:         _ZN7rocprim17ROCPRIM_400000_NS6detail17trampoline_kernelINS0_14default_configENS1_25partition_config_selectorILNS1_17partition_subalgoE9EijbEEZZNS1_14partition_implILS5_9ELb0ES3_jN6thrust23THRUST_200600_302600_NS6detail15normal_iteratorINS9_10device_ptrIiEEEENSB_INSC_IjEEEEPNS0_10empty_typeENS0_5tupleIJNS9_16discard_iteratorINS9_11use_defaultEEESH_EEENSJ_IJSG_SI_EEENS0_18inequality_wrapperINS9_8equal_toIiEEEEPmJSH_EEE10hipError_tPvRmT3_T4_T5_T6_T7_T9_mT8_P12ihipStream_tbDpT10_ENKUlT_T0_E_clISt17integral_constantIbLb0EES1D_EEDaS18_S19_EUlS18_E_NS1_11comp_targetILNS1_3genE4ELNS1_11target_archE910ELNS1_3gpuE8ELNS1_3repE0EEENS1_30default_config_static_selectorELNS0_4arch9wavefront6targetE0EEEvT1_.kd
    .uniform_work_group_size: 1
    .uses_dynamic_stack: false
    .vgpr_count:     0
    .vgpr_spill_count: 0
    .wavefront_size: 32
    .workgroup_processor_mode: 1
  - .args:
      - .offset:         0
        .size:           120
        .value_kind:     by_value
    .group_segment_fixed_size: 0
    .kernarg_segment_align: 8
    .kernarg_segment_size: 120
    .language:       OpenCL C
    .language_version:
      - 2
      - 0
    .max_flat_workgroup_size: 256
    .name:           _ZN7rocprim17ROCPRIM_400000_NS6detail17trampoline_kernelINS0_14default_configENS1_25partition_config_selectorILNS1_17partition_subalgoE9EijbEEZZNS1_14partition_implILS5_9ELb0ES3_jN6thrust23THRUST_200600_302600_NS6detail15normal_iteratorINS9_10device_ptrIiEEEENSB_INSC_IjEEEEPNS0_10empty_typeENS0_5tupleIJNS9_16discard_iteratorINS9_11use_defaultEEESH_EEENSJ_IJSG_SI_EEENS0_18inequality_wrapperINS9_8equal_toIiEEEEPmJSH_EEE10hipError_tPvRmT3_T4_T5_T6_T7_T9_mT8_P12ihipStream_tbDpT10_ENKUlT_T0_E_clISt17integral_constantIbLb0EES1D_EEDaS18_S19_EUlS18_E_NS1_11comp_targetILNS1_3genE3ELNS1_11target_archE908ELNS1_3gpuE7ELNS1_3repE0EEENS1_30default_config_static_selectorELNS0_4arch9wavefront6targetE0EEEvT1_
    .private_segment_fixed_size: 0
    .sgpr_count:     0
    .sgpr_spill_count: 0
    .symbol:         _ZN7rocprim17ROCPRIM_400000_NS6detail17trampoline_kernelINS0_14default_configENS1_25partition_config_selectorILNS1_17partition_subalgoE9EijbEEZZNS1_14partition_implILS5_9ELb0ES3_jN6thrust23THRUST_200600_302600_NS6detail15normal_iteratorINS9_10device_ptrIiEEEENSB_INSC_IjEEEEPNS0_10empty_typeENS0_5tupleIJNS9_16discard_iteratorINS9_11use_defaultEEESH_EEENSJ_IJSG_SI_EEENS0_18inequality_wrapperINS9_8equal_toIiEEEEPmJSH_EEE10hipError_tPvRmT3_T4_T5_T6_T7_T9_mT8_P12ihipStream_tbDpT10_ENKUlT_T0_E_clISt17integral_constantIbLb0EES1D_EEDaS18_S19_EUlS18_E_NS1_11comp_targetILNS1_3genE3ELNS1_11target_archE908ELNS1_3gpuE7ELNS1_3repE0EEENS1_30default_config_static_selectorELNS0_4arch9wavefront6targetE0EEEvT1_.kd
    .uniform_work_group_size: 1
    .uses_dynamic_stack: false
    .vgpr_count:     0
    .vgpr_spill_count: 0
    .wavefront_size: 32
    .workgroup_processor_mode: 1
  - .args:
      - .offset:         0
        .size:           120
        .value_kind:     by_value
    .group_segment_fixed_size: 0
    .kernarg_segment_align: 8
    .kernarg_segment_size: 120
    .language:       OpenCL C
    .language_version:
      - 2
      - 0
    .max_flat_workgroup_size: 256
    .name:           _ZN7rocprim17ROCPRIM_400000_NS6detail17trampoline_kernelINS0_14default_configENS1_25partition_config_selectorILNS1_17partition_subalgoE9EijbEEZZNS1_14partition_implILS5_9ELb0ES3_jN6thrust23THRUST_200600_302600_NS6detail15normal_iteratorINS9_10device_ptrIiEEEENSB_INSC_IjEEEEPNS0_10empty_typeENS0_5tupleIJNS9_16discard_iteratorINS9_11use_defaultEEESH_EEENSJ_IJSG_SI_EEENS0_18inequality_wrapperINS9_8equal_toIiEEEEPmJSH_EEE10hipError_tPvRmT3_T4_T5_T6_T7_T9_mT8_P12ihipStream_tbDpT10_ENKUlT_T0_E_clISt17integral_constantIbLb0EES1D_EEDaS18_S19_EUlS18_E_NS1_11comp_targetILNS1_3genE2ELNS1_11target_archE906ELNS1_3gpuE6ELNS1_3repE0EEENS1_30default_config_static_selectorELNS0_4arch9wavefront6targetE0EEEvT1_
    .private_segment_fixed_size: 0
    .sgpr_count:     0
    .sgpr_spill_count: 0
    .symbol:         _ZN7rocprim17ROCPRIM_400000_NS6detail17trampoline_kernelINS0_14default_configENS1_25partition_config_selectorILNS1_17partition_subalgoE9EijbEEZZNS1_14partition_implILS5_9ELb0ES3_jN6thrust23THRUST_200600_302600_NS6detail15normal_iteratorINS9_10device_ptrIiEEEENSB_INSC_IjEEEEPNS0_10empty_typeENS0_5tupleIJNS9_16discard_iteratorINS9_11use_defaultEEESH_EEENSJ_IJSG_SI_EEENS0_18inequality_wrapperINS9_8equal_toIiEEEEPmJSH_EEE10hipError_tPvRmT3_T4_T5_T6_T7_T9_mT8_P12ihipStream_tbDpT10_ENKUlT_T0_E_clISt17integral_constantIbLb0EES1D_EEDaS18_S19_EUlS18_E_NS1_11comp_targetILNS1_3genE2ELNS1_11target_archE906ELNS1_3gpuE6ELNS1_3repE0EEENS1_30default_config_static_selectorELNS0_4arch9wavefront6targetE0EEEvT1_.kd
    .uniform_work_group_size: 1
    .uses_dynamic_stack: false
    .vgpr_count:     0
    .vgpr_spill_count: 0
    .wavefront_size: 32
    .workgroup_processor_mode: 1
  - .args:
      - .offset:         0
        .size:           120
        .value_kind:     by_value
    .group_segment_fixed_size: 0
    .kernarg_segment_align: 8
    .kernarg_segment_size: 120
    .language:       OpenCL C
    .language_version:
      - 2
      - 0
    .max_flat_workgroup_size: 384
    .name:           _ZN7rocprim17ROCPRIM_400000_NS6detail17trampoline_kernelINS0_14default_configENS1_25partition_config_selectorILNS1_17partition_subalgoE9EijbEEZZNS1_14partition_implILS5_9ELb0ES3_jN6thrust23THRUST_200600_302600_NS6detail15normal_iteratorINS9_10device_ptrIiEEEENSB_INSC_IjEEEEPNS0_10empty_typeENS0_5tupleIJNS9_16discard_iteratorINS9_11use_defaultEEESH_EEENSJ_IJSG_SI_EEENS0_18inequality_wrapperINS9_8equal_toIiEEEEPmJSH_EEE10hipError_tPvRmT3_T4_T5_T6_T7_T9_mT8_P12ihipStream_tbDpT10_ENKUlT_T0_E_clISt17integral_constantIbLb0EES1D_EEDaS18_S19_EUlS18_E_NS1_11comp_targetILNS1_3genE10ELNS1_11target_archE1200ELNS1_3gpuE4ELNS1_3repE0EEENS1_30default_config_static_selectorELNS0_4arch9wavefront6targetE0EEEvT1_
    .private_segment_fixed_size: 0
    .sgpr_count:     0
    .sgpr_spill_count: 0
    .symbol:         _ZN7rocprim17ROCPRIM_400000_NS6detail17trampoline_kernelINS0_14default_configENS1_25partition_config_selectorILNS1_17partition_subalgoE9EijbEEZZNS1_14partition_implILS5_9ELb0ES3_jN6thrust23THRUST_200600_302600_NS6detail15normal_iteratorINS9_10device_ptrIiEEEENSB_INSC_IjEEEEPNS0_10empty_typeENS0_5tupleIJNS9_16discard_iteratorINS9_11use_defaultEEESH_EEENSJ_IJSG_SI_EEENS0_18inequality_wrapperINS9_8equal_toIiEEEEPmJSH_EEE10hipError_tPvRmT3_T4_T5_T6_T7_T9_mT8_P12ihipStream_tbDpT10_ENKUlT_T0_E_clISt17integral_constantIbLb0EES1D_EEDaS18_S19_EUlS18_E_NS1_11comp_targetILNS1_3genE10ELNS1_11target_archE1200ELNS1_3gpuE4ELNS1_3repE0EEENS1_30default_config_static_selectorELNS0_4arch9wavefront6targetE0EEEvT1_.kd
    .uniform_work_group_size: 1
    .uses_dynamic_stack: false
    .vgpr_count:     0
    .vgpr_spill_count: 0
    .wavefront_size: 32
    .workgroup_processor_mode: 1
  - .args:
      - .offset:         0
        .size:           120
        .value_kind:     by_value
    .group_segment_fixed_size: 12680
    .kernarg_segment_align: 8
    .kernarg_segment_size: 120
    .language:       OpenCL C
    .language_version:
      - 2
      - 0
    .max_flat_workgroup_size: 384
    .name:           _ZN7rocprim17ROCPRIM_400000_NS6detail17trampoline_kernelINS0_14default_configENS1_25partition_config_selectorILNS1_17partition_subalgoE9EijbEEZZNS1_14partition_implILS5_9ELb0ES3_jN6thrust23THRUST_200600_302600_NS6detail15normal_iteratorINS9_10device_ptrIiEEEENSB_INSC_IjEEEEPNS0_10empty_typeENS0_5tupleIJNS9_16discard_iteratorINS9_11use_defaultEEESH_EEENSJ_IJSG_SI_EEENS0_18inequality_wrapperINS9_8equal_toIiEEEEPmJSH_EEE10hipError_tPvRmT3_T4_T5_T6_T7_T9_mT8_P12ihipStream_tbDpT10_ENKUlT_T0_E_clISt17integral_constantIbLb0EES1D_EEDaS18_S19_EUlS18_E_NS1_11comp_targetILNS1_3genE9ELNS1_11target_archE1100ELNS1_3gpuE3ELNS1_3repE0EEENS1_30default_config_static_selectorELNS0_4arch9wavefront6targetE0EEEvT1_
    .private_segment_fixed_size: 0
    .sgpr_count:     27
    .sgpr_spill_count: 0
    .symbol:         _ZN7rocprim17ROCPRIM_400000_NS6detail17trampoline_kernelINS0_14default_configENS1_25partition_config_selectorILNS1_17partition_subalgoE9EijbEEZZNS1_14partition_implILS5_9ELb0ES3_jN6thrust23THRUST_200600_302600_NS6detail15normal_iteratorINS9_10device_ptrIiEEEENSB_INSC_IjEEEEPNS0_10empty_typeENS0_5tupleIJNS9_16discard_iteratorINS9_11use_defaultEEESH_EEENSJ_IJSG_SI_EEENS0_18inequality_wrapperINS9_8equal_toIiEEEEPmJSH_EEE10hipError_tPvRmT3_T4_T5_T6_T7_T9_mT8_P12ihipStream_tbDpT10_ENKUlT_T0_E_clISt17integral_constantIbLb0EES1D_EEDaS18_S19_EUlS18_E_NS1_11comp_targetILNS1_3genE9ELNS1_11target_archE1100ELNS1_3gpuE3ELNS1_3repE0EEENS1_30default_config_static_selectorELNS0_4arch9wavefront6targetE0EEEvT1_.kd
    .uniform_work_group_size: 1
    .uses_dynamic_stack: false
    .vgpr_count:     51
    .vgpr_spill_count: 0
    .wavefront_size: 32
    .workgroup_processor_mode: 1
  - .args:
      - .offset:         0
        .size:           120
        .value_kind:     by_value
    .group_segment_fixed_size: 0
    .kernarg_segment_align: 8
    .kernarg_segment_size: 120
    .language:       OpenCL C
    .language_version:
      - 2
      - 0
    .max_flat_workgroup_size: 512
    .name:           _ZN7rocprim17ROCPRIM_400000_NS6detail17trampoline_kernelINS0_14default_configENS1_25partition_config_selectorILNS1_17partition_subalgoE9EijbEEZZNS1_14partition_implILS5_9ELb0ES3_jN6thrust23THRUST_200600_302600_NS6detail15normal_iteratorINS9_10device_ptrIiEEEENSB_INSC_IjEEEEPNS0_10empty_typeENS0_5tupleIJNS9_16discard_iteratorINS9_11use_defaultEEESH_EEENSJ_IJSG_SI_EEENS0_18inequality_wrapperINS9_8equal_toIiEEEEPmJSH_EEE10hipError_tPvRmT3_T4_T5_T6_T7_T9_mT8_P12ihipStream_tbDpT10_ENKUlT_T0_E_clISt17integral_constantIbLb0EES1D_EEDaS18_S19_EUlS18_E_NS1_11comp_targetILNS1_3genE8ELNS1_11target_archE1030ELNS1_3gpuE2ELNS1_3repE0EEENS1_30default_config_static_selectorELNS0_4arch9wavefront6targetE0EEEvT1_
    .private_segment_fixed_size: 0
    .sgpr_count:     0
    .sgpr_spill_count: 0
    .symbol:         _ZN7rocprim17ROCPRIM_400000_NS6detail17trampoline_kernelINS0_14default_configENS1_25partition_config_selectorILNS1_17partition_subalgoE9EijbEEZZNS1_14partition_implILS5_9ELb0ES3_jN6thrust23THRUST_200600_302600_NS6detail15normal_iteratorINS9_10device_ptrIiEEEENSB_INSC_IjEEEEPNS0_10empty_typeENS0_5tupleIJNS9_16discard_iteratorINS9_11use_defaultEEESH_EEENSJ_IJSG_SI_EEENS0_18inequality_wrapperINS9_8equal_toIiEEEEPmJSH_EEE10hipError_tPvRmT3_T4_T5_T6_T7_T9_mT8_P12ihipStream_tbDpT10_ENKUlT_T0_E_clISt17integral_constantIbLb0EES1D_EEDaS18_S19_EUlS18_E_NS1_11comp_targetILNS1_3genE8ELNS1_11target_archE1030ELNS1_3gpuE2ELNS1_3repE0EEENS1_30default_config_static_selectorELNS0_4arch9wavefront6targetE0EEEvT1_.kd
    .uniform_work_group_size: 1
    .uses_dynamic_stack: false
    .vgpr_count:     0
    .vgpr_spill_count: 0
    .wavefront_size: 32
    .workgroup_processor_mode: 1
  - .args:
      - .offset:         0
        .size:           136
        .value_kind:     by_value
    .group_segment_fixed_size: 0
    .kernarg_segment_align: 8
    .kernarg_segment_size: 136
    .language:       OpenCL C
    .language_version:
      - 2
      - 0
    .max_flat_workgroup_size: 256
    .name:           _ZN7rocprim17ROCPRIM_400000_NS6detail17trampoline_kernelINS0_14default_configENS1_25partition_config_selectorILNS1_17partition_subalgoE9EijbEEZZNS1_14partition_implILS5_9ELb0ES3_jN6thrust23THRUST_200600_302600_NS6detail15normal_iteratorINS9_10device_ptrIiEEEENSB_INSC_IjEEEEPNS0_10empty_typeENS0_5tupleIJNS9_16discard_iteratorINS9_11use_defaultEEESH_EEENSJ_IJSG_SI_EEENS0_18inequality_wrapperINS9_8equal_toIiEEEEPmJSH_EEE10hipError_tPvRmT3_T4_T5_T6_T7_T9_mT8_P12ihipStream_tbDpT10_ENKUlT_T0_E_clISt17integral_constantIbLb1EES1D_EEDaS18_S19_EUlS18_E_NS1_11comp_targetILNS1_3genE0ELNS1_11target_archE4294967295ELNS1_3gpuE0ELNS1_3repE0EEENS1_30default_config_static_selectorELNS0_4arch9wavefront6targetE0EEEvT1_
    .private_segment_fixed_size: 0
    .sgpr_count:     0
    .sgpr_spill_count: 0
    .symbol:         _ZN7rocprim17ROCPRIM_400000_NS6detail17trampoline_kernelINS0_14default_configENS1_25partition_config_selectorILNS1_17partition_subalgoE9EijbEEZZNS1_14partition_implILS5_9ELb0ES3_jN6thrust23THRUST_200600_302600_NS6detail15normal_iteratorINS9_10device_ptrIiEEEENSB_INSC_IjEEEEPNS0_10empty_typeENS0_5tupleIJNS9_16discard_iteratorINS9_11use_defaultEEESH_EEENSJ_IJSG_SI_EEENS0_18inequality_wrapperINS9_8equal_toIiEEEEPmJSH_EEE10hipError_tPvRmT3_T4_T5_T6_T7_T9_mT8_P12ihipStream_tbDpT10_ENKUlT_T0_E_clISt17integral_constantIbLb1EES1D_EEDaS18_S19_EUlS18_E_NS1_11comp_targetILNS1_3genE0ELNS1_11target_archE4294967295ELNS1_3gpuE0ELNS1_3repE0EEENS1_30default_config_static_selectorELNS0_4arch9wavefront6targetE0EEEvT1_.kd
    .uniform_work_group_size: 1
    .uses_dynamic_stack: false
    .vgpr_count:     0
    .vgpr_spill_count: 0
    .wavefront_size: 32
    .workgroup_processor_mode: 1
  - .args:
      - .offset:         0
        .size:           136
        .value_kind:     by_value
    .group_segment_fixed_size: 0
    .kernarg_segment_align: 8
    .kernarg_segment_size: 136
    .language:       OpenCL C
    .language_version:
      - 2
      - 0
    .max_flat_workgroup_size: 512
    .name:           _ZN7rocprim17ROCPRIM_400000_NS6detail17trampoline_kernelINS0_14default_configENS1_25partition_config_selectorILNS1_17partition_subalgoE9EijbEEZZNS1_14partition_implILS5_9ELb0ES3_jN6thrust23THRUST_200600_302600_NS6detail15normal_iteratorINS9_10device_ptrIiEEEENSB_INSC_IjEEEEPNS0_10empty_typeENS0_5tupleIJNS9_16discard_iteratorINS9_11use_defaultEEESH_EEENSJ_IJSG_SI_EEENS0_18inequality_wrapperINS9_8equal_toIiEEEEPmJSH_EEE10hipError_tPvRmT3_T4_T5_T6_T7_T9_mT8_P12ihipStream_tbDpT10_ENKUlT_T0_E_clISt17integral_constantIbLb1EES1D_EEDaS18_S19_EUlS18_E_NS1_11comp_targetILNS1_3genE5ELNS1_11target_archE942ELNS1_3gpuE9ELNS1_3repE0EEENS1_30default_config_static_selectorELNS0_4arch9wavefront6targetE0EEEvT1_
    .private_segment_fixed_size: 0
    .sgpr_count:     0
    .sgpr_spill_count: 0
    .symbol:         _ZN7rocprim17ROCPRIM_400000_NS6detail17trampoline_kernelINS0_14default_configENS1_25partition_config_selectorILNS1_17partition_subalgoE9EijbEEZZNS1_14partition_implILS5_9ELb0ES3_jN6thrust23THRUST_200600_302600_NS6detail15normal_iteratorINS9_10device_ptrIiEEEENSB_INSC_IjEEEEPNS0_10empty_typeENS0_5tupleIJNS9_16discard_iteratorINS9_11use_defaultEEESH_EEENSJ_IJSG_SI_EEENS0_18inequality_wrapperINS9_8equal_toIiEEEEPmJSH_EEE10hipError_tPvRmT3_T4_T5_T6_T7_T9_mT8_P12ihipStream_tbDpT10_ENKUlT_T0_E_clISt17integral_constantIbLb1EES1D_EEDaS18_S19_EUlS18_E_NS1_11comp_targetILNS1_3genE5ELNS1_11target_archE942ELNS1_3gpuE9ELNS1_3repE0EEENS1_30default_config_static_selectorELNS0_4arch9wavefront6targetE0EEEvT1_.kd
    .uniform_work_group_size: 1
    .uses_dynamic_stack: false
    .vgpr_count:     0
    .vgpr_spill_count: 0
    .wavefront_size: 32
    .workgroup_processor_mode: 1
  - .args:
      - .offset:         0
        .size:           136
        .value_kind:     by_value
    .group_segment_fixed_size: 0
    .kernarg_segment_align: 8
    .kernarg_segment_size: 136
    .language:       OpenCL C
    .language_version:
      - 2
      - 0
    .max_flat_workgroup_size: 192
    .name:           _ZN7rocprim17ROCPRIM_400000_NS6detail17trampoline_kernelINS0_14default_configENS1_25partition_config_selectorILNS1_17partition_subalgoE9EijbEEZZNS1_14partition_implILS5_9ELb0ES3_jN6thrust23THRUST_200600_302600_NS6detail15normal_iteratorINS9_10device_ptrIiEEEENSB_INSC_IjEEEEPNS0_10empty_typeENS0_5tupleIJNS9_16discard_iteratorINS9_11use_defaultEEESH_EEENSJ_IJSG_SI_EEENS0_18inequality_wrapperINS9_8equal_toIiEEEEPmJSH_EEE10hipError_tPvRmT3_T4_T5_T6_T7_T9_mT8_P12ihipStream_tbDpT10_ENKUlT_T0_E_clISt17integral_constantIbLb1EES1D_EEDaS18_S19_EUlS18_E_NS1_11comp_targetILNS1_3genE4ELNS1_11target_archE910ELNS1_3gpuE8ELNS1_3repE0EEENS1_30default_config_static_selectorELNS0_4arch9wavefront6targetE0EEEvT1_
    .private_segment_fixed_size: 0
    .sgpr_count:     0
    .sgpr_spill_count: 0
    .symbol:         _ZN7rocprim17ROCPRIM_400000_NS6detail17trampoline_kernelINS0_14default_configENS1_25partition_config_selectorILNS1_17partition_subalgoE9EijbEEZZNS1_14partition_implILS5_9ELb0ES3_jN6thrust23THRUST_200600_302600_NS6detail15normal_iteratorINS9_10device_ptrIiEEEENSB_INSC_IjEEEEPNS0_10empty_typeENS0_5tupleIJNS9_16discard_iteratorINS9_11use_defaultEEESH_EEENSJ_IJSG_SI_EEENS0_18inequality_wrapperINS9_8equal_toIiEEEEPmJSH_EEE10hipError_tPvRmT3_T4_T5_T6_T7_T9_mT8_P12ihipStream_tbDpT10_ENKUlT_T0_E_clISt17integral_constantIbLb1EES1D_EEDaS18_S19_EUlS18_E_NS1_11comp_targetILNS1_3genE4ELNS1_11target_archE910ELNS1_3gpuE8ELNS1_3repE0EEENS1_30default_config_static_selectorELNS0_4arch9wavefront6targetE0EEEvT1_.kd
    .uniform_work_group_size: 1
    .uses_dynamic_stack: false
    .vgpr_count:     0
    .vgpr_spill_count: 0
    .wavefront_size: 32
    .workgroup_processor_mode: 1
  - .args:
      - .offset:         0
        .size:           136
        .value_kind:     by_value
    .group_segment_fixed_size: 0
    .kernarg_segment_align: 8
    .kernarg_segment_size: 136
    .language:       OpenCL C
    .language_version:
      - 2
      - 0
    .max_flat_workgroup_size: 256
    .name:           _ZN7rocprim17ROCPRIM_400000_NS6detail17trampoline_kernelINS0_14default_configENS1_25partition_config_selectorILNS1_17partition_subalgoE9EijbEEZZNS1_14partition_implILS5_9ELb0ES3_jN6thrust23THRUST_200600_302600_NS6detail15normal_iteratorINS9_10device_ptrIiEEEENSB_INSC_IjEEEEPNS0_10empty_typeENS0_5tupleIJNS9_16discard_iteratorINS9_11use_defaultEEESH_EEENSJ_IJSG_SI_EEENS0_18inequality_wrapperINS9_8equal_toIiEEEEPmJSH_EEE10hipError_tPvRmT3_T4_T5_T6_T7_T9_mT8_P12ihipStream_tbDpT10_ENKUlT_T0_E_clISt17integral_constantIbLb1EES1D_EEDaS18_S19_EUlS18_E_NS1_11comp_targetILNS1_3genE3ELNS1_11target_archE908ELNS1_3gpuE7ELNS1_3repE0EEENS1_30default_config_static_selectorELNS0_4arch9wavefront6targetE0EEEvT1_
    .private_segment_fixed_size: 0
    .sgpr_count:     0
    .sgpr_spill_count: 0
    .symbol:         _ZN7rocprim17ROCPRIM_400000_NS6detail17trampoline_kernelINS0_14default_configENS1_25partition_config_selectorILNS1_17partition_subalgoE9EijbEEZZNS1_14partition_implILS5_9ELb0ES3_jN6thrust23THRUST_200600_302600_NS6detail15normal_iteratorINS9_10device_ptrIiEEEENSB_INSC_IjEEEEPNS0_10empty_typeENS0_5tupleIJNS9_16discard_iteratorINS9_11use_defaultEEESH_EEENSJ_IJSG_SI_EEENS0_18inequality_wrapperINS9_8equal_toIiEEEEPmJSH_EEE10hipError_tPvRmT3_T4_T5_T6_T7_T9_mT8_P12ihipStream_tbDpT10_ENKUlT_T0_E_clISt17integral_constantIbLb1EES1D_EEDaS18_S19_EUlS18_E_NS1_11comp_targetILNS1_3genE3ELNS1_11target_archE908ELNS1_3gpuE7ELNS1_3repE0EEENS1_30default_config_static_selectorELNS0_4arch9wavefront6targetE0EEEvT1_.kd
    .uniform_work_group_size: 1
    .uses_dynamic_stack: false
    .vgpr_count:     0
    .vgpr_spill_count: 0
    .wavefront_size: 32
    .workgroup_processor_mode: 1
  - .args:
      - .offset:         0
        .size:           136
        .value_kind:     by_value
    .group_segment_fixed_size: 0
    .kernarg_segment_align: 8
    .kernarg_segment_size: 136
    .language:       OpenCL C
    .language_version:
      - 2
      - 0
    .max_flat_workgroup_size: 256
    .name:           _ZN7rocprim17ROCPRIM_400000_NS6detail17trampoline_kernelINS0_14default_configENS1_25partition_config_selectorILNS1_17partition_subalgoE9EijbEEZZNS1_14partition_implILS5_9ELb0ES3_jN6thrust23THRUST_200600_302600_NS6detail15normal_iteratorINS9_10device_ptrIiEEEENSB_INSC_IjEEEEPNS0_10empty_typeENS0_5tupleIJNS9_16discard_iteratorINS9_11use_defaultEEESH_EEENSJ_IJSG_SI_EEENS0_18inequality_wrapperINS9_8equal_toIiEEEEPmJSH_EEE10hipError_tPvRmT3_T4_T5_T6_T7_T9_mT8_P12ihipStream_tbDpT10_ENKUlT_T0_E_clISt17integral_constantIbLb1EES1D_EEDaS18_S19_EUlS18_E_NS1_11comp_targetILNS1_3genE2ELNS1_11target_archE906ELNS1_3gpuE6ELNS1_3repE0EEENS1_30default_config_static_selectorELNS0_4arch9wavefront6targetE0EEEvT1_
    .private_segment_fixed_size: 0
    .sgpr_count:     0
    .sgpr_spill_count: 0
    .symbol:         _ZN7rocprim17ROCPRIM_400000_NS6detail17trampoline_kernelINS0_14default_configENS1_25partition_config_selectorILNS1_17partition_subalgoE9EijbEEZZNS1_14partition_implILS5_9ELb0ES3_jN6thrust23THRUST_200600_302600_NS6detail15normal_iteratorINS9_10device_ptrIiEEEENSB_INSC_IjEEEEPNS0_10empty_typeENS0_5tupleIJNS9_16discard_iteratorINS9_11use_defaultEEESH_EEENSJ_IJSG_SI_EEENS0_18inequality_wrapperINS9_8equal_toIiEEEEPmJSH_EEE10hipError_tPvRmT3_T4_T5_T6_T7_T9_mT8_P12ihipStream_tbDpT10_ENKUlT_T0_E_clISt17integral_constantIbLb1EES1D_EEDaS18_S19_EUlS18_E_NS1_11comp_targetILNS1_3genE2ELNS1_11target_archE906ELNS1_3gpuE6ELNS1_3repE0EEENS1_30default_config_static_selectorELNS0_4arch9wavefront6targetE0EEEvT1_.kd
    .uniform_work_group_size: 1
    .uses_dynamic_stack: false
    .vgpr_count:     0
    .vgpr_spill_count: 0
    .wavefront_size: 32
    .workgroup_processor_mode: 1
  - .args:
      - .offset:         0
        .size:           136
        .value_kind:     by_value
    .group_segment_fixed_size: 0
    .kernarg_segment_align: 8
    .kernarg_segment_size: 136
    .language:       OpenCL C
    .language_version:
      - 2
      - 0
    .max_flat_workgroup_size: 384
    .name:           _ZN7rocprim17ROCPRIM_400000_NS6detail17trampoline_kernelINS0_14default_configENS1_25partition_config_selectorILNS1_17partition_subalgoE9EijbEEZZNS1_14partition_implILS5_9ELb0ES3_jN6thrust23THRUST_200600_302600_NS6detail15normal_iteratorINS9_10device_ptrIiEEEENSB_INSC_IjEEEEPNS0_10empty_typeENS0_5tupleIJNS9_16discard_iteratorINS9_11use_defaultEEESH_EEENSJ_IJSG_SI_EEENS0_18inequality_wrapperINS9_8equal_toIiEEEEPmJSH_EEE10hipError_tPvRmT3_T4_T5_T6_T7_T9_mT8_P12ihipStream_tbDpT10_ENKUlT_T0_E_clISt17integral_constantIbLb1EES1D_EEDaS18_S19_EUlS18_E_NS1_11comp_targetILNS1_3genE10ELNS1_11target_archE1200ELNS1_3gpuE4ELNS1_3repE0EEENS1_30default_config_static_selectorELNS0_4arch9wavefront6targetE0EEEvT1_
    .private_segment_fixed_size: 0
    .sgpr_count:     0
    .sgpr_spill_count: 0
    .symbol:         _ZN7rocprim17ROCPRIM_400000_NS6detail17trampoline_kernelINS0_14default_configENS1_25partition_config_selectorILNS1_17partition_subalgoE9EijbEEZZNS1_14partition_implILS5_9ELb0ES3_jN6thrust23THRUST_200600_302600_NS6detail15normal_iteratorINS9_10device_ptrIiEEEENSB_INSC_IjEEEEPNS0_10empty_typeENS0_5tupleIJNS9_16discard_iteratorINS9_11use_defaultEEESH_EEENSJ_IJSG_SI_EEENS0_18inequality_wrapperINS9_8equal_toIiEEEEPmJSH_EEE10hipError_tPvRmT3_T4_T5_T6_T7_T9_mT8_P12ihipStream_tbDpT10_ENKUlT_T0_E_clISt17integral_constantIbLb1EES1D_EEDaS18_S19_EUlS18_E_NS1_11comp_targetILNS1_3genE10ELNS1_11target_archE1200ELNS1_3gpuE4ELNS1_3repE0EEENS1_30default_config_static_selectorELNS0_4arch9wavefront6targetE0EEEvT1_.kd
    .uniform_work_group_size: 1
    .uses_dynamic_stack: false
    .vgpr_count:     0
    .vgpr_spill_count: 0
    .wavefront_size: 32
    .workgroup_processor_mode: 1
  - .args:
      - .offset:         0
        .size:           136
        .value_kind:     by_value
    .group_segment_fixed_size: 12680
    .kernarg_segment_align: 8
    .kernarg_segment_size: 136
    .language:       OpenCL C
    .language_version:
      - 2
      - 0
    .max_flat_workgroup_size: 384
    .name:           _ZN7rocprim17ROCPRIM_400000_NS6detail17trampoline_kernelINS0_14default_configENS1_25partition_config_selectorILNS1_17partition_subalgoE9EijbEEZZNS1_14partition_implILS5_9ELb0ES3_jN6thrust23THRUST_200600_302600_NS6detail15normal_iteratorINS9_10device_ptrIiEEEENSB_INSC_IjEEEEPNS0_10empty_typeENS0_5tupleIJNS9_16discard_iteratorINS9_11use_defaultEEESH_EEENSJ_IJSG_SI_EEENS0_18inequality_wrapperINS9_8equal_toIiEEEEPmJSH_EEE10hipError_tPvRmT3_T4_T5_T6_T7_T9_mT8_P12ihipStream_tbDpT10_ENKUlT_T0_E_clISt17integral_constantIbLb1EES1D_EEDaS18_S19_EUlS18_E_NS1_11comp_targetILNS1_3genE9ELNS1_11target_archE1100ELNS1_3gpuE3ELNS1_3repE0EEENS1_30default_config_static_selectorELNS0_4arch9wavefront6targetE0EEEvT1_
    .private_segment_fixed_size: 0
    .sgpr_count:     28
    .sgpr_spill_count: 0
    .symbol:         _ZN7rocprim17ROCPRIM_400000_NS6detail17trampoline_kernelINS0_14default_configENS1_25partition_config_selectorILNS1_17partition_subalgoE9EijbEEZZNS1_14partition_implILS5_9ELb0ES3_jN6thrust23THRUST_200600_302600_NS6detail15normal_iteratorINS9_10device_ptrIiEEEENSB_INSC_IjEEEEPNS0_10empty_typeENS0_5tupleIJNS9_16discard_iteratorINS9_11use_defaultEEESH_EEENSJ_IJSG_SI_EEENS0_18inequality_wrapperINS9_8equal_toIiEEEEPmJSH_EEE10hipError_tPvRmT3_T4_T5_T6_T7_T9_mT8_P12ihipStream_tbDpT10_ENKUlT_T0_E_clISt17integral_constantIbLb1EES1D_EEDaS18_S19_EUlS18_E_NS1_11comp_targetILNS1_3genE9ELNS1_11target_archE1100ELNS1_3gpuE3ELNS1_3repE0EEENS1_30default_config_static_selectorELNS0_4arch9wavefront6targetE0EEEvT1_.kd
    .uniform_work_group_size: 1
    .uses_dynamic_stack: false
    .vgpr_count:     53
    .vgpr_spill_count: 0
    .wavefront_size: 32
    .workgroup_processor_mode: 1
  - .args:
      - .offset:         0
        .size:           136
        .value_kind:     by_value
    .group_segment_fixed_size: 0
    .kernarg_segment_align: 8
    .kernarg_segment_size: 136
    .language:       OpenCL C
    .language_version:
      - 2
      - 0
    .max_flat_workgroup_size: 512
    .name:           _ZN7rocprim17ROCPRIM_400000_NS6detail17trampoline_kernelINS0_14default_configENS1_25partition_config_selectorILNS1_17partition_subalgoE9EijbEEZZNS1_14partition_implILS5_9ELb0ES3_jN6thrust23THRUST_200600_302600_NS6detail15normal_iteratorINS9_10device_ptrIiEEEENSB_INSC_IjEEEEPNS0_10empty_typeENS0_5tupleIJNS9_16discard_iteratorINS9_11use_defaultEEESH_EEENSJ_IJSG_SI_EEENS0_18inequality_wrapperINS9_8equal_toIiEEEEPmJSH_EEE10hipError_tPvRmT3_T4_T5_T6_T7_T9_mT8_P12ihipStream_tbDpT10_ENKUlT_T0_E_clISt17integral_constantIbLb1EES1D_EEDaS18_S19_EUlS18_E_NS1_11comp_targetILNS1_3genE8ELNS1_11target_archE1030ELNS1_3gpuE2ELNS1_3repE0EEENS1_30default_config_static_selectorELNS0_4arch9wavefront6targetE0EEEvT1_
    .private_segment_fixed_size: 0
    .sgpr_count:     0
    .sgpr_spill_count: 0
    .symbol:         _ZN7rocprim17ROCPRIM_400000_NS6detail17trampoline_kernelINS0_14default_configENS1_25partition_config_selectorILNS1_17partition_subalgoE9EijbEEZZNS1_14partition_implILS5_9ELb0ES3_jN6thrust23THRUST_200600_302600_NS6detail15normal_iteratorINS9_10device_ptrIiEEEENSB_INSC_IjEEEEPNS0_10empty_typeENS0_5tupleIJNS9_16discard_iteratorINS9_11use_defaultEEESH_EEENSJ_IJSG_SI_EEENS0_18inequality_wrapperINS9_8equal_toIiEEEEPmJSH_EEE10hipError_tPvRmT3_T4_T5_T6_T7_T9_mT8_P12ihipStream_tbDpT10_ENKUlT_T0_E_clISt17integral_constantIbLb1EES1D_EEDaS18_S19_EUlS18_E_NS1_11comp_targetILNS1_3genE8ELNS1_11target_archE1030ELNS1_3gpuE2ELNS1_3repE0EEENS1_30default_config_static_selectorELNS0_4arch9wavefront6targetE0EEEvT1_.kd
    .uniform_work_group_size: 1
    .uses_dynamic_stack: false
    .vgpr_count:     0
    .vgpr_spill_count: 0
    .wavefront_size: 32
    .workgroup_processor_mode: 1
  - .args:
      - .offset:         0
        .size:           120
        .value_kind:     by_value
    .group_segment_fixed_size: 0
    .kernarg_segment_align: 8
    .kernarg_segment_size: 120
    .language:       OpenCL C
    .language_version:
      - 2
      - 0
    .max_flat_workgroup_size: 256
    .name:           _ZN7rocprim17ROCPRIM_400000_NS6detail17trampoline_kernelINS0_14default_configENS1_25partition_config_selectorILNS1_17partition_subalgoE9EijbEEZZNS1_14partition_implILS5_9ELb0ES3_jN6thrust23THRUST_200600_302600_NS6detail15normal_iteratorINS9_10device_ptrIiEEEENSB_INSC_IjEEEEPNS0_10empty_typeENS0_5tupleIJNS9_16discard_iteratorINS9_11use_defaultEEESH_EEENSJ_IJSG_SI_EEENS0_18inequality_wrapperINS9_8equal_toIiEEEEPmJSH_EEE10hipError_tPvRmT3_T4_T5_T6_T7_T9_mT8_P12ihipStream_tbDpT10_ENKUlT_T0_E_clISt17integral_constantIbLb1EES1C_IbLb0EEEEDaS18_S19_EUlS18_E_NS1_11comp_targetILNS1_3genE0ELNS1_11target_archE4294967295ELNS1_3gpuE0ELNS1_3repE0EEENS1_30default_config_static_selectorELNS0_4arch9wavefront6targetE0EEEvT1_
    .private_segment_fixed_size: 0
    .sgpr_count:     0
    .sgpr_spill_count: 0
    .symbol:         _ZN7rocprim17ROCPRIM_400000_NS6detail17trampoline_kernelINS0_14default_configENS1_25partition_config_selectorILNS1_17partition_subalgoE9EijbEEZZNS1_14partition_implILS5_9ELb0ES3_jN6thrust23THRUST_200600_302600_NS6detail15normal_iteratorINS9_10device_ptrIiEEEENSB_INSC_IjEEEEPNS0_10empty_typeENS0_5tupleIJNS9_16discard_iteratorINS9_11use_defaultEEESH_EEENSJ_IJSG_SI_EEENS0_18inequality_wrapperINS9_8equal_toIiEEEEPmJSH_EEE10hipError_tPvRmT3_T4_T5_T6_T7_T9_mT8_P12ihipStream_tbDpT10_ENKUlT_T0_E_clISt17integral_constantIbLb1EES1C_IbLb0EEEEDaS18_S19_EUlS18_E_NS1_11comp_targetILNS1_3genE0ELNS1_11target_archE4294967295ELNS1_3gpuE0ELNS1_3repE0EEENS1_30default_config_static_selectorELNS0_4arch9wavefront6targetE0EEEvT1_.kd
    .uniform_work_group_size: 1
    .uses_dynamic_stack: false
    .vgpr_count:     0
    .vgpr_spill_count: 0
    .wavefront_size: 32
    .workgroup_processor_mode: 1
  - .args:
      - .offset:         0
        .size:           120
        .value_kind:     by_value
    .group_segment_fixed_size: 0
    .kernarg_segment_align: 8
    .kernarg_segment_size: 120
    .language:       OpenCL C
    .language_version:
      - 2
      - 0
    .max_flat_workgroup_size: 512
    .name:           _ZN7rocprim17ROCPRIM_400000_NS6detail17trampoline_kernelINS0_14default_configENS1_25partition_config_selectorILNS1_17partition_subalgoE9EijbEEZZNS1_14partition_implILS5_9ELb0ES3_jN6thrust23THRUST_200600_302600_NS6detail15normal_iteratorINS9_10device_ptrIiEEEENSB_INSC_IjEEEEPNS0_10empty_typeENS0_5tupleIJNS9_16discard_iteratorINS9_11use_defaultEEESH_EEENSJ_IJSG_SI_EEENS0_18inequality_wrapperINS9_8equal_toIiEEEEPmJSH_EEE10hipError_tPvRmT3_T4_T5_T6_T7_T9_mT8_P12ihipStream_tbDpT10_ENKUlT_T0_E_clISt17integral_constantIbLb1EES1C_IbLb0EEEEDaS18_S19_EUlS18_E_NS1_11comp_targetILNS1_3genE5ELNS1_11target_archE942ELNS1_3gpuE9ELNS1_3repE0EEENS1_30default_config_static_selectorELNS0_4arch9wavefront6targetE0EEEvT1_
    .private_segment_fixed_size: 0
    .sgpr_count:     0
    .sgpr_spill_count: 0
    .symbol:         _ZN7rocprim17ROCPRIM_400000_NS6detail17trampoline_kernelINS0_14default_configENS1_25partition_config_selectorILNS1_17partition_subalgoE9EijbEEZZNS1_14partition_implILS5_9ELb0ES3_jN6thrust23THRUST_200600_302600_NS6detail15normal_iteratorINS9_10device_ptrIiEEEENSB_INSC_IjEEEEPNS0_10empty_typeENS0_5tupleIJNS9_16discard_iteratorINS9_11use_defaultEEESH_EEENSJ_IJSG_SI_EEENS0_18inequality_wrapperINS9_8equal_toIiEEEEPmJSH_EEE10hipError_tPvRmT3_T4_T5_T6_T7_T9_mT8_P12ihipStream_tbDpT10_ENKUlT_T0_E_clISt17integral_constantIbLb1EES1C_IbLb0EEEEDaS18_S19_EUlS18_E_NS1_11comp_targetILNS1_3genE5ELNS1_11target_archE942ELNS1_3gpuE9ELNS1_3repE0EEENS1_30default_config_static_selectorELNS0_4arch9wavefront6targetE0EEEvT1_.kd
    .uniform_work_group_size: 1
    .uses_dynamic_stack: false
    .vgpr_count:     0
    .vgpr_spill_count: 0
    .wavefront_size: 32
    .workgroup_processor_mode: 1
  - .args:
      - .offset:         0
        .size:           120
        .value_kind:     by_value
    .group_segment_fixed_size: 0
    .kernarg_segment_align: 8
    .kernarg_segment_size: 120
    .language:       OpenCL C
    .language_version:
      - 2
      - 0
    .max_flat_workgroup_size: 192
    .name:           _ZN7rocprim17ROCPRIM_400000_NS6detail17trampoline_kernelINS0_14default_configENS1_25partition_config_selectorILNS1_17partition_subalgoE9EijbEEZZNS1_14partition_implILS5_9ELb0ES3_jN6thrust23THRUST_200600_302600_NS6detail15normal_iteratorINS9_10device_ptrIiEEEENSB_INSC_IjEEEEPNS0_10empty_typeENS0_5tupleIJNS9_16discard_iteratorINS9_11use_defaultEEESH_EEENSJ_IJSG_SI_EEENS0_18inequality_wrapperINS9_8equal_toIiEEEEPmJSH_EEE10hipError_tPvRmT3_T4_T5_T6_T7_T9_mT8_P12ihipStream_tbDpT10_ENKUlT_T0_E_clISt17integral_constantIbLb1EES1C_IbLb0EEEEDaS18_S19_EUlS18_E_NS1_11comp_targetILNS1_3genE4ELNS1_11target_archE910ELNS1_3gpuE8ELNS1_3repE0EEENS1_30default_config_static_selectorELNS0_4arch9wavefront6targetE0EEEvT1_
    .private_segment_fixed_size: 0
    .sgpr_count:     0
    .sgpr_spill_count: 0
    .symbol:         _ZN7rocprim17ROCPRIM_400000_NS6detail17trampoline_kernelINS0_14default_configENS1_25partition_config_selectorILNS1_17partition_subalgoE9EijbEEZZNS1_14partition_implILS5_9ELb0ES3_jN6thrust23THRUST_200600_302600_NS6detail15normal_iteratorINS9_10device_ptrIiEEEENSB_INSC_IjEEEEPNS0_10empty_typeENS0_5tupleIJNS9_16discard_iteratorINS9_11use_defaultEEESH_EEENSJ_IJSG_SI_EEENS0_18inequality_wrapperINS9_8equal_toIiEEEEPmJSH_EEE10hipError_tPvRmT3_T4_T5_T6_T7_T9_mT8_P12ihipStream_tbDpT10_ENKUlT_T0_E_clISt17integral_constantIbLb1EES1C_IbLb0EEEEDaS18_S19_EUlS18_E_NS1_11comp_targetILNS1_3genE4ELNS1_11target_archE910ELNS1_3gpuE8ELNS1_3repE0EEENS1_30default_config_static_selectorELNS0_4arch9wavefront6targetE0EEEvT1_.kd
    .uniform_work_group_size: 1
    .uses_dynamic_stack: false
    .vgpr_count:     0
    .vgpr_spill_count: 0
    .wavefront_size: 32
    .workgroup_processor_mode: 1
  - .args:
      - .offset:         0
        .size:           120
        .value_kind:     by_value
    .group_segment_fixed_size: 0
    .kernarg_segment_align: 8
    .kernarg_segment_size: 120
    .language:       OpenCL C
    .language_version:
      - 2
      - 0
    .max_flat_workgroup_size: 256
    .name:           _ZN7rocprim17ROCPRIM_400000_NS6detail17trampoline_kernelINS0_14default_configENS1_25partition_config_selectorILNS1_17partition_subalgoE9EijbEEZZNS1_14partition_implILS5_9ELb0ES3_jN6thrust23THRUST_200600_302600_NS6detail15normal_iteratorINS9_10device_ptrIiEEEENSB_INSC_IjEEEEPNS0_10empty_typeENS0_5tupleIJNS9_16discard_iteratorINS9_11use_defaultEEESH_EEENSJ_IJSG_SI_EEENS0_18inequality_wrapperINS9_8equal_toIiEEEEPmJSH_EEE10hipError_tPvRmT3_T4_T5_T6_T7_T9_mT8_P12ihipStream_tbDpT10_ENKUlT_T0_E_clISt17integral_constantIbLb1EES1C_IbLb0EEEEDaS18_S19_EUlS18_E_NS1_11comp_targetILNS1_3genE3ELNS1_11target_archE908ELNS1_3gpuE7ELNS1_3repE0EEENS1_30default_config_static_selectorELNS0_4arch9wavefront6targetE0EEEvT1_
    .private_segment_fixed_size: 0
    .sgpr_count:     0
    .sgpr_spill_count: 0
    .symbol:         _ZN7rocprim17ROCPRIM_400000_NS6detail17trampoline_kernelINS0_14default_configENS1_25partition_config_selectorILNS1_17partition_subalgoE9EijbEEZZNS1_14partition_implILS5_9ELb0ES3_jN6thrust23THRUST_200600_302600_NS6detail15normal_iteratorINS9_10device_ptrIiEEEENSB_INSC_IjEEEEPNS0_10empty_typeENS0_5tupleIJNS9_16discard_iteratorINS9_11use_defaultEEESH_EEENSJ_IJSG_SI_EEENS0_18inequality_wrapperINS9_8equal_toIiEEEEPmJSH_EEE10hipError_tPvRmT3_T4_T5_T6_T7_T9_mT8_P12ihipStream_tbDpT10_ENKUlT_T0_E_clISt17integral_constantIbLb1EES1C_IbLb0EEEEDaS18_S19_EUlS18_E_NS1_11comp_targetILNS1_3genE3ELNS1_11target_archE908ELNS1_3gpuE7ELNS1_3repE0EEENS1_30default_config_static_selectorELNS0_4arch9wavefront6targetE0EEEvT1_.kd
    .uniform_work_group_size: 1
    .uses_dynamic_stack: false
    .vgpr_count:     0
    .vgpr_spill_count: 0
    .wavefront_size: 32
    .workgroup_processor_mode: 1
  - .args:
      - .offset:         0
        .size:           120
        .value_kind:     by_value
    .group_segment_fixed_size: 0
    .kernarg_segment_align: 8
    .kernarg_segment_size: 120
    .language:       OpenCL C
    .language_version:
      - 2
      - 0
    .max_flat_workgroup_size: 256
    .name:           _ZN7rocprim17ROCPRIM_400000_NS6detail17trampoline_kernelINS0_14default_configENS1_25partition_config_selectorILNS1_17partition_subalgoE9EijbEEZZNS1_14partition_implILS5_9ELb0ES3_jN6thrust23THRUST_200600_302600_NS6detail15normal_iteratorINS9_10device_ptrIiEEEENSB_INSC_IjEEEEPNS0_10empty_typeENS0_5tupleIJNS9_16discard_iteratorINS9_11use_defaultEEESH_EEENSJ_IJSG_SI_EEENS0_18inequality_wrapperINS9_8equal_toIiEEEEPmJSH_EEE10hipError_tPvRmT3_T4_T5_T6_T7_T9_mT8_P12ihipStream_tbDpT10_ENKUlT_T0_E_clISt17integral_constantIbLb1EES1C_IbLb0EEEEDaS18_S19_EUlS18_E_NS1_11comp_targetILNS1_3genE2ELNS1_11target_archE906ELNS1_3gpuE6ELNS1_3repE0EEENS1_30default_config_static_selectorELNS0_4arch9wavefront6targetE0EEEvT1_
    .private_segment_fixed_size: 0
    .sgpr_count:     0
    .sgpr_spill_count: 0
    .symbol:         _ZN7rocprim17ROCPRIM_400000_NS6detail17trampoline_kernelINS0_14default_configENS1_25partition_config_selectorILNS1_17partition_subalgoE9EijbEEZZNS1_14partition_implILS5_9ELb0ES3_jN6thrust23THRUST_200600_302600_NS6detail15normal_iteratorINS9_10device_ptrIiEEEENSB_INSC_IjEEEEPNS0_10empty_typeENS0_5tupleIJNS9_16discard_iteratorINS9_11use_defaultEEESH_EEENSJ_IJSG_SI_EEENS0_18inequality_wrapperINS9_8equal_toIiEEEEPmJSH_EEE10hipError_tPvRmT3_T4_T5_T6_T7_T9_mT8_P12ihipStream_tbDpT10_ENKUlT_T0_E_clISt17integral_constantIbLb1EES1C_IbLb0EEEEDaS18_S19_EUlS18_E_NS1_11comp_targetILNS1_3genE2ELNS1_11target_archE906ELNS1_3gpuE6ELNS1_3repE0EEENS1_30default_config_static_selectorELNS0_4arch9wavefront6targetE0EEEvT1_.kd
    .uniform_work_group_size: 1
    .uses_dynamic_stack: false
    .vgpr_count:     0
    .vgpr_spill_count: 0
    .wavefront_size: 32
    .workgroup_processor_mode: 1
  - .args:
      - .offset:         0
        .size:           120
        .value_kind:     by_value
    .group_segment_fixed_size: 0
    .kernarg_segment_align: 8
    .kernarg_segment_size: 120
    .language:       OpenCL C
    .language_version:
      - 2
      - 0
    .max_flat_workgroup_size: 384
    .name:           _ZN7rocprim17ROCPRIM_400000_NS6detail17trampoline_kernelINS0_14default_configENS1_25partition_config_selectorILNS1_17partition_subalgoE9EijbEEZZNS1_14partition_implILS5_9ELb0ES3_jN6thrust23THRUST_200600_302600_NS6detail15normal_iteratorINS9_10device_ptrIiEEEENSB_INSC_IjEEEEPNS0_10empty_typeENS0_5tupleIJNS9_16discard_iteratorINS9_11use_defaultEEESH_EEENSJ_IJSG_SI_EEENS0_18inequality_wrapperINS9_8equal_toIiEEEEPmJSH_EEE10hipError_tPvRmT3_T4_T5_T6_T7_T9_mT8_P12ihipStream_tbDpT10_ENKUlT_T0_E_clISt17integral_constantIbLb1EES1C_IbLb0EEEEDaS18_S19_EUlS18_E_NS1_11comp_targetILNS1_3genE10ELNS1_11target_archE1200ELNS1_3gpuE4ELNS1_3repE0EEENS1_30default_config_static_selectorELNS0_4arch9wavefront6targetE0EEEvT1_
    .private_segment_fixed_size: 0
    .sgpr_count:     0
    .sgpr_spill_count: 0
    .symbol:         _ZN7rocprim17ROCPRIM_400000_NS6detail17trampoline_kernelINS0_14default_configENS1_25partition_config_selectorILNS1_17partition_subalgoE9EijbEEZZNS1_14partition_implILS5_9ELb0ES3_jN6thrust23THRUST_200600_302600_NS6detail15normal_iteratorINS9_10device_ptrIiEEEENSB_INSC_IjEEEEPNS0_10empty_typeENS0_5tupleIJNS9_16discard_iteratorINS9_11use_defaultEEESH_EEENSJ_IJSG_SI_EEENS0_18inequality_wrapperINS9_8equal_toIiEEEEPmJSH_EEE10hipError_tPvRmT3_T4_T5_T6_T7_T9_mT8_P12ihipStream_tbDpT10_ENKUlT_T0_E_clISt17integral_constantIbLb1EES1C_IbLb0EEEEDaS18_S19_EUlS18_E_NS1_11comp_targetILNS1_3genE10ELNS1_11target_archE1200ELNS1_3gpuE4ELNS1_3repE0EEENS1_30default_config_static_selectorELNS0_4arch9wavefront6targetE0EEEvT1_.kd
    .uniform_work_group_size: 1
    .uses_dynamic_stack: false
    .vgpr_count:     0
    .vgpr_spill_count: 0
    .wavefront_size: 32
    .workgroup_processor_mode: 1
  - .args:
      - .offset:         0
        .size:           120
        .value_kind:     by_value
    .group_segment_fixed_size: 12680
    .kernarg_segment_align: 8
    .kernarg_segment_size: 120
    .language:       OpenCL C
    .language_version:
      - 2
      - 0
    .max_flat_workgroup_size: 384
    .name:           _ZN7rocprim17ROCPRIM_400000_NS6detail17trampoline_kernelINS0_14default_configENS1_25partition_config_selectorILNS1_17partition_subalgoE9EijbEEZZNS1_14partition_implILS5_9ELb0ES3_jN6thrust23THRUST_200600_302600_NS6detail15normal_iteratorINS9_10device_ptrIiEEEENSB_INSC_IjEEEEPNS0_10empty_typeENS0_5tupleIJNS9_16discard_iteratorINS9_11use_defaultEEESH_EEENSJ_IJSG_SI_EEENS0_18inequality_wrapperINS9_8equal_toIiEEEEPmJSH_EEE10hipError_tPvRmT3_T4_T5_T6_T7_T9_mT8_P12ihipStream_tbDpT10_ENKUlT_T0_E_clISt17integral_constantIbLb1EES1C_IbLb0EEEEDaS18_S19_EUlS18_E_NS1_11comp_targetILNS1_3genE9ELNS1_11target_archE1100ELNS1_3gpuE3ELNS1_3repE0EEENS1_30default_config_static_selectorELNS0_4arch9wavefront6targetE0EEEvT1_
    .private_segment_fixed_size: 0
    .sgpr_count:     27
    .sgpr_spill_count: 0
    .symbol:         _ZN7rocprim17ROCPRIM_400000_NS6detail17trampoline_kernelINS0_14default_configENS1_25partition_config_selectorILNS1_17partition_subalgoE9EijbEEZZNS1_14partition_implILS5_9ELb0ES3_jN6thrust23THRUST_200600_302600_NS6detail15normal_iteratorINS9_10device_ptrIiEEEENSB_INSC_IjEEEEPNS0_10empty_typeENS0_5tupleIJNS9_16discard_iteratorINS9_11use_defaultEEESH_EEENSJ_IJSG_SI_EEENS0_18inequality_wrapperINS9_8equal_toIiEEEEPmJSH_EEE10hipError_tPvRmT3_T4_T5_T6_T7_T9_mT8_P12ihipStream_tbDpT10_ENKUlT_T0_E_clISt17integral_constantIbLb1EES1C_IbLb0EEEEDaS18_S19_EUlS18_E_NS1_11comp_targetILNS1_3genE9ELNS1_11target_archE1100ELNS1_3gpuE3ELNS1_3repE0EEENS1_30default_config_static_selectorELNS0_4arch9wavefront6targetE0EEEvT1_.kd
    .uniform_work_group_size: 1
    .uses_dynamic_stack: false
    .vgpr_count:     51
    .vgpr_spill_count: 0
    .wavefront_size: 32
    .workgroup_processor_mode: 1
  - .args:
      - .offset:         0
        .size:           120
        .value_kind:     by_value
    .group_segment_fixed_size: 0
    .kernarg_segment_align: 8
    .kernarg_segment_size: 120
    .language:       OpenCL C
    .language_version:
      - 2
      - 0
    .max_flat_workgroup_size: 512
    .name:           _ZN7rocprim17ROCPRIM_400000_NS6detail17trampoline_kernelINS0_14default_configENS1_25partition_config_selectorILNS1_17partition_subalgoE9EijbEEZZNS1_14partition_implILS5_9ELb0ES3_jN6thrust23THRUST_200600_302600_NS6detail15normal_iteratorINS9_10device_ptrIiEEEENSB_INSC_IjEEEEPNS0_10empty_typeENS0_5tupleIJNS9_16discard_iteratorINS9_11use_defaultEEESH_EEENSJ_IJSG_SI_EEENS0_18inequality_wrapperINS9_8equal_toIiEEEEPmJSH_EEE10hipError_tPvRmT3_T4_T5_T6_T7_T9_mT8_P12ihipStream_tbDpT10_ENKUlT_T0_E_clISt17integral_constantIbLb1EES1C_IbLb0EEEEDaS18_S19_EUlS18_E_NS1_11comp_targetILNS1_3genE8ELNS1_11target_archE1030ELNS1_3gpuE2ELNS1_3repE0EEENS1_30default_config_static_selectorELNS0_4arch9wavefront6targetE0EEEvT1_
    .private_segment_fixed_size: 0
    .sgpr_count:     0
    .sgpr_spill_count: 0
    .symbol:         _ZN7rocprim17ROCPRIM_400000_NS6detail17trampoline_kernelINS0_14default_configENS1_25partition_config_selectorILNS1_17partition_subalgoE9EijbEEZZNS1_14partition_implILS5_9ELb0ES3_jN6thrust23THRUST_200600_302600_NS6detail15normal_iteratorINS9_10device_ptrIiEEEENSB_INSC_IjEEEEPNS0_10empty_typeENS0_5tupleIJNS9_16discard_iteratorINS9_11use_defaultEEESH_EEENSJ_IJSG_SI_EEENS0_18inequality_wrapperINS9_8equal_toIiEEEEPmJSH_EEE10hipError_tPvRmT3_T4_T5_T6_T7_T9_mT8_P12ihipStream_tbDpT10_ENKUlT_T0_E_clISt17integral_constantIbLb1EES1C_IbLb0EEEEDaS18_S19_EUlS18_E_NS1_11comp_targetILNS1_3genE8ELNS1_11target_archE1030ELNS1_3gpuE2ELNS1_3repE0EEENS1_30default_config_static_selectorELNS0_4arch9wavefront6targetE0EEEvT1_.kd
    .uniform_work_group_size: 1
    .uses_dynamic_stack: false
    .vgpr_count:     0
    .vgpr_spill_count: 0
    .wavefront_size: 32
    .workgroup_processor_mode: 1
  - .args:
      - .offset:         0
        .size:           136
        .value_kind:     by_value
    .group_segment_fixed_size: 0
    .kernarg_segment_align: 8
    .kernarg_segment_size: 136
    .language:       OpenCL C
    .language_version:
      - 2
      - 0
    .max_flat_workgroup_size: 256
    .name:           _ZN7rocprim17ROCPRIM_400000_NS6detail17trampoline_kernelINS0_14default_configENS1_25partition_config_selectorILNS1_17partition_subalgoE9EijbEEZZNS1_14partition_implILS5_9ELb0ES3_jN6thrust23THRUST_200600_302600_NS6detail15normal_iteratorINS9_10device_ptrIiEEEENSB_INSC_IjEEEEPNS0_10empty_typeENS0_5tupleIJNS9_16discard_iteratorINS9_11use_defaultEEESH_EEENSJ_IJSG_SI_EEENS0_18inequality_wrapperINS9_8equal_toIiEEEEPmJSH_EEE10hipError_tPvRmT3_T4_T5_T6_T7_T9_mT8_P12ihipStream_tbDpT10_ENKUlT_T0_E_clISt17integral_constantIbLb0EES1C_IbLb1EEEEDaS18_S19_EUlS18_E_NS1_11comp_targetILNS1_3genE0ELNS1_11target_archE4294967295ELNS1_3gpuE0ELNS1_3repE0EEENS1_30default_config_static_selectorELNS0_4arch9wavefront6targetE0EEEvT1_
    .private_segment_fixed_size: 0
    .sgpr_count:     0
    .sgpr_spill_count: 0
    .symbol:         _ZN7rocprim17ROCPRIM_400000_NS6detail17trampoline_kernelINS0_14default_configENS1_25partition_config_selectorILNS1_17partition_subalgoE9EijbEEZZNS1_14partition_implILS5_9ELb0ES3_jN6thrust23THRUST_200600_302600_NS6detail15normal_iteratorINS9_10device_ptrIiEEEENSB_INSC_IjEEEEPNS0_10empty_typeENS0_5tupleIJNS9_16discard_iteratorINS9_11use_defaultEEESH_EEENSJ_IJSG_SI_EEENS0_18inequality_wrapperINS9_8equal_toIiEEEEPmJSH_EEE10hipError_tPvRmT3_T4_T5_T6_T7_T9_mT8_P12ihipStream_tbDpT10_ENKUlT_T0_E_clISt17integral_constantIbLb0EES1C_IbLb1EEEEDaS18_S19_EUlS18_E_NS1_11comp_targetILNS1_3genE0ELNS1_11target_archE4294967295ELNS1_3gpuE0ELNS1_3repE0EEENS1_30default_config_static_selectorELNS0_4arch9wavefront6targetE0EEEvT1_.kd
    .uniform_work_group_size: 1
    .uses_dynamic_stack: false
    .vgpr_count:     0
    .vgpr_spill_count: 0
    .wavefront_size: 32
    .workgroup_processor_mode: 1
  - .args:
      - .offset:         0
        .size:           136
        .value_kind:     by_value
    .group_segment_fixed_size: 0
    .kernarg_segment_align: 8
    .kernarg_segment_size: 136
    .language:       OpenCL C
    .language_version:
      - 2
      - 0
    .max_flat_workgroup_size: 512
    .name:           _ZN7rocprim17ROCPRIM_400000_NS6detail17trampoline_kernelINS0_14default_configENS1_25partition_config_selectorILNS1_17partition_subalgoE9EijbEEZZNS1_14partition_implILS5_9ELb0ES3_jN6thrust23THRUST_200600_302600_NS6detail15normal_iteratorINS9_10device_ptrIiEEEENSB_INSC_IjEEEEPNS0_10empty_typeENS0_5tupleIJNS9_16discard_iteratorINS9_11use_defaultEEESH_EEENSJ_IJSG_SI_EEENS0_18inequality_wrapperINS9_8equal_toIiEEEEPmJSH_EEE10hipError_tPvRmT3_T4_T5_T6_T7_T9_mT8_P12ihipStream_tbDpT10_ENKUlT_T0_E_clISt17integral_constantIbLb0EES1C_IbLb1EEEEDaS18_S19_EUlS18_E_NS1_11comp_targetILNS1_3genE5ELNS1_11target_archE942ELNS1_3gpuE9ELNS1_3repE0EEENS1_30default_config_static_selectorELNS0_4arch9wavefront6targetE0EEEvT1_
    .private_segment_fixed_size: 0
    .sgpr_count:     0
    .sgpr_spill_count: 0
    .symbol:         _ZN7rocprim17ROCPRIM_400000_NS6detail17trampoline_kernelINS0_14default_configENS1_25partition_config_selectorILNS1_17partition_subalgoE9EijbEEZZNS1_14partition_implILS5_9ELb0ES3_jN6thrust23THRUST_200600_302600_NS6detail15normal_iteratorINS9_10device_ptrIiEEEENSB_INSC_IjEEEEPNS0_10empty_typeENS0_5tupleIJNS9_16discard_iteratorINS9_11use_defaultEEESH_EEENSJ_IJSG_SI_EEENS0_18inequality_wrapperINS9_8equal_toIiEEEEPmJSH_EEE10hipError_tPvRmT3_T4_T5_T6_T7_T9_mT8_P12ihipStream_tbDpT10_ENKUlT_T0_E_clISt17integral_constantIbLb0EES1C_IbLb1EEEEDaS18_S19_EUlS18_E_NS1_11comp_targetILNS1_3genE5ELNS1_11target_archE942ELNS1_3gpuE9ELNS1_3repE0EEENS1_30default_config_static_selectorELNS0_4arch9wavefront6targetE0EEEvT1_.kd
    .uniform_work_group_size: 1
    .uses_dynamic_stack: false
    .vgpr_count:     0
    .vgpr_spill_count: 0
    .wavefront_size: 32
    .workgroup_processor_mode: 1
  - .args:
      - .offset:         0
        .size:           136
        .value_kind:     by_value
    .group_segment_fixed_size: 0
    .kernarg_segment_align: 8
    .kernarg_segment_size: 136
    .language:       OpenCL C
    .language_version:
      - 2
      - 0
    .max_flat_workgroup_size: 192
    .name:           _ZN7rocprim17ROCPRIM_400000_NS6detail17trampoline_kernelINS0_14default_configENS1_25partition_config_selectorILNS1_17partition_subalgoE9EijbEEZZNS1_14partition_implILS5_9ELb0ES3_jN6thrust23THRUST_200600_302600_NS6detail15normal_iteratorINS9_10device_ptrIiEEEENSB_INSC_IjEEEEPNS0_10empty_typeENS0_5tupleIJNS9_16discard_iteratorINS9_11use_defaultEEESH_EEENSJ_IJSG_SI_EEENS0_18inequality_wrapperINS9_8equal_toIiEEEEPmJSH_EEE10hipError_tPvRmT3_T4_T5_T6_T7_T9_mT8_P12ihipStream_tbDpT10_ENKUlT_T0_E_clISt17integral_constantIbLb0EES1C_IbLb1EEEEDaS18_S19_EUlS18_E_NS1_11comp_targetILNS1_3genE4ELNS1_11target_archE910ELNS1_3gpuE8ELNS1_3repE0EEENS1_30default_config_static_selectorELNS0_4arch9wavefront6targetE0EEEvT1_
    .private_segment_fixed_size: 0
    .sgpr_count:     0
    .sgpr_spill_count: 0
    .symbol:         _ZN7rocprim17ROCPRIM_400000_NS6detail17trampoline_kernelINS0_14default_configENS1_25partition_config_selectorILNS1_17partition_subalgoE9EijbEEZZNS1_14partition_implILS5_9ELb0ES3_jN6thrust23THRUST_200600_302600_NS6detail15normal_iteratorINS9_10device_ptrIiEEEENSB_INSC_IjEEEEPNS0_10empty_typeENS0_5tupleIJNS9_16discard_iteratorINS9_11use_defaultEEESH_EEENSJ_IJSG_SI_EEENS0_18inequality_wrapperINS9_8equal_toIiEEEEPmJSH_EEE10hipError_tPvRmT3_T4_T5_T6_T7_T9_mT8_P12ihipStream_tbDpT10_ENKUlT_T0_E_clISt17integral_constantIbLb0EES1C_IbLb1EEEEDaS18_S19_EUlS18_E_NS1_11comp_targetILNS1_3genE4ELNS1_11target_archE910ELNS1_3gpuE8ELNS1_3repE0EEENS1_30default_config_static_selectorELNS0_4arch9wavefront6targetE0EEEvT1_.kd
    .uniform_work_group_size: 1
    .uses_dynamic_stack: false
    .vgpr_count:     0
    .vgpr_spill_count: 0
    .wavefront_size: 32
    .workgroup_processor_mode: 1
  - .args:
      - .offset:         0
        .size:           136
        .value_kind:     by_value
    .group_segment_fixed_size: 0
    .kernarg_segment_align: 8
    .kernarg_segment_size: 136
    .language:       OpenCL C
    .language_version:
      - 2
      - 0
    .max_flat_workgroup_size: 256
    .name:           _ZN7rocprim17ROCPRIM_400000_NS6detail17trampoline_kernelINS0_14default_configENS1_25partition_config_selectorILNS1_17partition_subalgoE9EijbEEZZNS1_14partition_implILS5_9ELb0ES3_jN6thrust23THRUST_200600_302600_NS6detail15normal_iteratorINS9_10device_ptrIiEEEENSB_INSC_IjEEEEPNS0_10empty_typeENS0_5tupleIJNS9_16discard_iteratorINS9_11use_defaultEEESH_EEENSJ_IJSG_SI_EEENS0_18inequality_wrapperINS9_8equal_toIiEEEEPmJSH_EEE10hipError_tPvRmT3_T4_T5_T6_T7_T9_mT8_P12ihipStream_tbDpT10_ENKUlT_T0_E_clISt17integral_constantIbLb0EES1C_IbLb1EEEEDaS18_S19_EUlS18_E_NS1_11comp_targetILNS1_3genE3ELNS1_11target_archE908ELNS1_3gpuE7ELNS1_3repE0EEENS1_30default_config_static_selectorELNS0_4arch9wavefront6targetE0EEEvT1_
    .private_segment_fixed_size: 0
    .sgpr_count:     0
    .sgpr_spill_count: 0
    .symbol:         _ZN7rocprim17ROCPRIM_400000_NS6detail17trampoline_kernelINS0_14default_configENS1_25partition_config_selectorILNS1_17partition_subalgoE9EijbEEZZNS1_14partition_implILS5_9ELb0ES3_jN6thrust23THRUST_200600_302600_NS6detail15normal_iteratorINS9_10device_ptrIiEEEENSB_INSC_IjEEEEPNS0_10empty_typeENS0_5tupleIJNS9_16discard_iteratorINS9_11use_defaultEEESH_EEENSJ_IJSG_SI_EEENS0_18inequality_wrapperINS9_8equal_toIiEEEEPmJSH_EEE10hipError_tPvRmT3_T4_T5_T6_T7_T9_mT8_P12ihipStream_tbDpT10_ENKUlT_T0_E_clISt17integral_constantIbLb0EES1C_IbLb1EEEEDaS18_S19_EUlS18_E_NS1_11comp_targetILNS1_3genE3ELNS1_11target_archE908ELNS1_3gpuE7ELNS1_3repE0EEENS1_30default_config_static_selectorELNS0_4arch9wavefront6targetE0EEEvT1_.kd
    .uniform_work_group_size: 1
    .uses_dynamic_stack: false
    .vgpr_count:     0
    .vgpr_spill_count: 0
    .wavefront_size: 32
    .workgroup_processor_mode: 1
  - .args:
      - .offset:         0
        .size:           136
        .value_kind:     by_value
    .group_segment_fixed_size: 0
    .kernarg_segment_align: 8
    .kernarg_segment_size: 136
    .language:       OpenCL C
    .language_version:
      - 2
      - 0
    .max_flat_workgroup_size: 256
    .name:           _ZN7rocprim17ROCPRIM_400000_NS6detail17trampoline_kernelINS0_14default_configENS1_25partition_config_selectorILNS1_17partition_subalgoE9EijbEEZZNS1_14partition_implILS5_9ELb0ES3_jN6thrust23THRUST_200600_302600_NS6detail15normal_iteratorINS9_10device_ptrIiEEEENSB_INSC_IjEEEEPNS0_10empty_typeENS0_5tupleIJNS9_16discard_iteratorINS9_11use_defaultEEESH_EEENSJ_IJSG_SI_EEENS0_18inequality_wrapperINS9_8equal_toIiEEEEPmJSH_EEE10hipError_tPvRmT3_T4_T5_T6_T7_T9_mT8_P12ihipStream_tbDpT10_ENKUlT_T0_E_clISt17integral_constantIbLb0EES1C_IbLb1EEEEDaS18_S19_EUlS18_E_NS1_11comp_targetILNS1_3genE2ELNS1_11target_archE906ELNS1_3gpuE6ELNS1_3repE0EEENS1_30default_config_static_selectorELNS0_4arch9wavefront6targetE0EEEvT1_
    .private_segment_fixed_size: 0
    .sgpr_count:     0
    .sgpr_spill_count: 0
    .symbol:         _ZN7rocprim17ROCPRIM_400000_NS6detail17trampoline_kernelINS0_14default_configENS1_25partition_config_selectorILNS1_17partition_subalgoE9EijbEEZZNS1_14partition_implILS5_9ELb0ES3_jN6thrust23THRUST_200600_302600_NS6detail15normal_iteratorINS9_10device_ptrIiEEEENSB_INSC_IjEEEEPNS0_10empty_typeENS0_5tupleIJNS9_16discard_iteratorINS9_11use_defaultEEESH_EEENSJ_IJSG_SI_EEENS0_18inequality_wrapperINS9_8equal_toIiEEEEPmJSH_EEE10hipError_tPvRmT3_T4_T5_T6_T7_T9_mT8_P12ihipStream_tbDpT10_ENKUlT_T0_E_clISt17integral_constantIbLb0EES1C_IbLb1EEEEDaS18_S19_EUlS18_E_NS1_11comp_targetILNS1_3genE2ELNS1_11target_archE906ELNS1_3gpuE6ELNS1_3repE0EEENS1_30default_config_static_selectorELNS0_4arch9wavefront6targetE0EEEvT1_.kd
    .uniform_work_group_size: 1
    .uses_dynamic_stack: false
    .vgpr_count:     0
    .vgpr_spill_count: 0
    .wavefront_size: 32
    .workgroup_processor_mode: 1
  - .args:
      - .offset:         0
        .size:           136
        .value_kind:     by_value
    .group_segment_fixed_size: 0
    .kernarg_segment_align: 8
    .kernarg_segment_size: 136
    .language:       OpenCL C
    .language_version:
      - 2
      - 0
    .max_flat_workgroup_size: 384
    .name:           _ZN7rocprim17ROCPRIM_400000_NS6detail17trampoline_kernelINS0_14default_configENS1_25partition_config_selectorILNS1_17partition_subalgoE9EijbEEZZNS1_14partition_implILS5_9ELb0ES3_jN6thrust23THRUST_200600_302600_NS6detail15normal_iteratorINS9_10device_ptrIiEEEENSB_INSC_IjEEEEPNS0_10empty_typeENS0_5tupleIJNS9_16discard_iteratorINS9_11use_defaultEEESH_EEENSJ_IJSG_SI_EEENS0_18inequality_wrapperINS9_8equal_toIiEEEEPmJSH_EEE10hipError_tPvRmT3_T4_T5_T6_T7_T9_mT8_P12ihipStream_tbDpT10_ENKUlT_T0_E_clISt17integral_constantIbLb0EES1C_IbLb1EEEEDaS18_S19_EUlS18_E_NS1_11comp_targetILNS1_3genE10ELNS1_11target_archE1200ELNS1_3gpuE4ELNS1_3repE0EEENS1_30default_config_static_selectorELNS0_4arch9wavefront6targetE0EEEvT1_
    .private_segment_fixed_size: 0
    .sgpr_count:     0
    .sgpr_spill_count: 0
    .symbol:         _ZN7rocprim17ROCPRIM_400000_NS6detail17trampoline_kernelINS0_14default_configENS1_25partition_config_selectorILNS1_17partition_subalgoE9EijbEEZZNS1_14partition_implILS5_9ELb0ES3_jN6thrust23THRUST_200600_302600_NS6detail15normal_iteratorINS9_10device_ptrIiEEEENSB_INSC_IjEEEEPNS0_10empty_typeENS0_5tupleIJNS9_16discard_iteratorINS9_11use_defaultEEESH_EEENSJ_IJSG_SI_EEENS0_18inequality_wrapperINS9_8equal_toIiEEEEPmJSH_EEE10hipError_tPvRmT3_T4_T5_T6_T7_T9_mT8_P12ihipStream_tbDpT10_ENKUlT_T0_E_clISt17integral_constantIbLb0EES1C_IbLb1EEEEDaS18_S19_EUlS18_E_NS1_11comp_targetILNS1_3genE10ELNS1_11target_archE1200ELNS1_3gpuE4ELNS1_3repE0EEENS1_30default_config_static_selectorELNS0_4arch9wavefront6targetE0EEEvT1_.kd
    .uniform_work_group_size: 1
    .uses_dynamic_stack: false
    .vgpr_count:     0
    .vgpr_spill_count: 0
    .wavefront_size: 32
    .workgroup_processor_mode: 1
  - .args:
      - .offset:         0
        .size:           136
        .value_kind:     by_value
    .group_segment_fixed_size: 12680
    .kernarg_segment_align: 8
    .kernarg_segment_size: 136
    .language:       OpenCL C
    .language_version:
      - 2
      - 0
    .max_flat_workgroup_size: 384
    .name:           _ZN7rocprim17ROCPRIM_400000_NS6detail17trampoline_kernelINS0_14default_configENS1_25partition_config_selectorILNS1_17partition_subalgoE9EijbEEZZNS1_14partition_implILS5_9ELb0ES3_jN6thrust23THRUST_200600_302600_NS6detail15normal_iteratorINS9_10device_ptrIiEEEENSB_INSC_IjEEEEPNS0_10empty_typeENS0_5tupleIJNS9_16discard_iteratorINS9_11use_defaultEEESH_EEENSJ_IJSG_SI_EEENS0_18inequality_wrapperINS9_8equal_toIiEEEEPmJSH_EEE10hipError_tPvRmT3_T4_T5_T6_T7_T9_mT8_P12ihipStream_tbDpT10_ENKUlT_T0_E_clISt17integral_constantIbLb0EES1C_IbLb1EEEEDaS18_S19_EUlS18_E_NS1_11comp_targetILNS1_3genE9ELNS1_11target_archE1100ELNS1_3gpuE3ELNS1_3repE0EEENS1_30default_config_static_selectorELNS0_4arch9wavefront6targetE0EEEvT1_
    .private_segment_fixed_size: 0
    .sgpr_count:     28
    .sgpr_spill_count: 0
    .symbol:         _ZN7rocprim17ROCPRIM_400000_NS6detail17trampoline_kernelINS0_14default_configENS1_25partition_config_selectorILNS1_17partition_subalgoE9EijbEEZZNS1_14partition_implILS5_9ELb0ES3_jN6thrust23THRUST_200600_302600_NS6detail15normal_iteratorINS9_10device_ptrIiEEEENSB_INSC_IjEEEEPNS0_10empty_typeENS0_5tupleIJNS9_16discard_iteratorINS9_11use_defaultEEESH_EEENSJ_IJSG_SI_EEENS0_18inequality_wrapperINS9_8equal_toIiEEEEPmJSH_EEE10hipError_tPvRmT3_T4_T5_T6_T7_T9_mT8_P12ihipStream_tbDpT10_ENKUlT_T0_E_clISt17integral_constantIbLb0EES1C_IbLb1EEEEDaS18_S19_EUlS18_E_NS1_11comp_targetILNS1_3genE9ELNS1_11target_archE1100ELNS1_3gpuE3ELNS1_3repE0EEENS1_30default_config_static_selectorELNS0_4arch9wavefront6targetE0EEEvT1_.kd
    .uniform_work_group_size: 1
    .uses_dynamic_stack: false
    .vgpr_count:     53
    .vgpr_spill_count: 0
    .wavefront_size: 32
    .workgroup_processor_mode: 1
  - .args:
      - .offset:         0
        .size:           136
        .value_kind:     by_value
    .group_segment_fixed_size: 0
    .kernarg_segment_align: 8
    .kernarg_segment_size: 136
    .language:       OpenCL C
    .language_version:
      - 2
      - 0
    .max_flat_workgroup_size: 512
    .name:           _ZN7rocprim17ROCPRIM_400000_NS6detail17trampoline_kernelINS0_14default_configENS1_25partition_config_selectorILNS1_17partition_subalgoE9EijbEEZZNS1_14partition_implILS5_9ELb0ES3_jN6thrust23THRUST_200600_302600_NS6detail15normal_iteratorINS9_10device_ptrIiEEEENSB_INSC_IjEEEEPNS0_10empty_typeENS0_5tupleIJNS9_16discard_iteratorINS9_11use_defaultEEESH_EEENSJ_IJSG_SI_EEENS0_18inequality_wrapperINS9_8equal_toIiEEEEPmJSH_EEE10hipError_tPvRmT3_T4_T5_T6_T7_T9_mT8_P12ihipStream_tbDpT10_ENKUlT_T0_E_clISt17integral_constantIbLb0EES1C_IbLb1EEEEDaS18_S19_EUlS18_E_NS1_11comp_targetILNS1_3genE8ELNS1_11target_archE1030ELNS1_3gpuE2ELNS1_3repE0EEENS1_30default_config_static_selectorELNS0_4arch9wavefront6targetE0EEEvT1_
    .private_segment_fixed_size: 0
    .sgpr_count:     0
    .sgpr_spill_count: 0
    .symbol:         _ZN7rocprim17ROCPRIM_400000_NS6detail17trampoline_kernelINS0_14default_configENS1_25partition_config_selectorILNS1_17partition_subalgoE9EijbEEZZNS1_14partition_implILS5_9ELb0ES3_jN6thrust23THRUST_200600_302600_NS6detail15normal_iteratorINS9_10device_ptrIiEEEENSB_INSC_IjEEEEPNS0_10empty_typeENS0_5tupleIJNS9_16discard_iteratorINS9_11use_defaultEEESH_EEENSJ_IJSG_SI_EEENS0_18inequality_wrapperINS9_8equal_toIiEEEEPmJSH_EEE10hipError_tPvRmT3_T4_T5_T6_T7_T9_mT8_P12ihipStream_tbDpT10_ENKUlT_T0_E_clISt17integral_constantIbLb0EES1C_IbLb1EEEEDaS18_S19_EUlS18_E_NS1_11comp_targetILNS1_3genE8ELNS1_11target_archE1030ELNS1_3gpuE2ELNS1_3repE0EEENS1_30default_config_static_selectorELNS0_4arch9wavefront6targetE0EEEvT1_.kd
    .uniform_work_group_size: 1
    .uses_dynamic_stack: false
    .vgpr_count:     0
    .vgpr_spill_count: 0
    .wavefront_size: 32
    .workgroup_processor_mode: 1
  - .args:
      - .offset:         0
        .size:           128
        .value_kind:     by_value
    .group_segment_fixed_size: 0
    .kernarg_segment_align: 8
    .kernarg_segment_size: 128
    .language:       OpenCL C
    .language_version:
      - 2
      - 0
    .max_flat_workgroup_size: 256
    .name:           _ZN7rocprim17ROCPRIM_400000_NS6detail17trampoline_kernelINS0_14default_configENS1_25partition_config_selectorILNS1_17partition_subalgoE9EsjbEEZZNS1_14partition_implILS5_9ELb0ES3_jN6thrust23THRUST_200600_302600_NS6detail15normal_iteratorINS9_10device_ptrIsEEEENSB_INSC_IjEEEEPNS0_10empty_typeENS0_5tupleIJNS9_16discard_iteratorINS9_11use_defaultEEESH_EEENSJ_IJSM_SI_EEENS0_18inequality_wrapperINS9_8equal_toIsEEEEPmJSH_EEE10hipError_tPvRmT3_T4_T5_T6_T7_T9_mT8_P12ihipStream_tbDpT10_ENKUlT_T0_E_clISt17integral_constantIbLb0EES1D_EEDaS18_S19_EUlS18_E_NS1_11comp_targetILNS1_3genE0ELNS1_11target_archE4294967295ELNS1_3gpuE0ELNS1_3repE0EEENS1_30default_config_static_selectorELNS0_4arch9wavefront6targetE0EEEvT1_
    .private_segment_fixed_size: 0
    .sgpr_count:     0
    .sgpr_spill_count: 0
    .symbol:         _ZN7rocprim17ROCPRIM_400000_NS6detail17trampoline_kernelINS0_14default_configENS1_25partition_config_selectorILNS1_17partition_subalgoE9EsjbEEZZNS1_14partition_implILS5_9ELb0ES3_jN6thrust23THRUST_200600_302600_NS6detail15normal_iteratorINS9_10device_ptrIsEEEENSB_INSC_IjEEEEPNS0_10empty_typeENS0_5tupleIJNS9_16discard_iteratorINS9_11use_defaultEEESH_EEENSJ_IJSM_SI_EEENS0_18inequality_wrapperINS9_8equal_toIsEEEEPmJSH_EEE10hipError_tPvRmT3_T4_T5_T6_T7_T9_mT8_P12ihipStream_tbDpT10_ENKUlT_T0_E_clISt17integral_constantIbLb0EES1D_EEDaS18_S19_EUlS18_E_NS1_11comp_targetILNS1_3genE0ELNS1_11target_archE4294967295ELNS1_3gpuE0ELNS1_3repE0EEENS1_30default_config_static_selectorELNS0_4arch9wavefront6targetE0EEEvT1_.kd
    .uniform_work_group_size: 1
    .uses_dynamic_stack: false
    .vgpr_count:     0
    .vgpr_spill_count: 0
    .wavefront_size: 32
    .workgroup_processor_mode: 1
  - .args:
      - .offset:         0
        .size:           128
        .value_kind:     by_value
    .group_segment_fixed_size: 0
    .kernarg_segment_align: 8
    .kernarg_segment_size: 128
    .language:       OpenCL C
    .language_version:
      - 2
      - 0
    .max_flat_workgroup_size: 512
    .name:           _ZN7rocprim17ROCPRIM_400000_NS6detail17trampoline_kernelINS0_14default_configENS1_25partition_config_selectorILNS1_17partition_subalgoE9EsjbEEZZNS1_14partition_implILS5_9ELb0ES3_jN6thrust23THRUST_200600_302600_NS6detail15normal_iteratorINS9_10device_ptrIsEEEENSB_INSC_IjEEEEPNS0_10empty_typeENS0_5tupleIJNS9_16discard_iteratorINS9_11use_defaultEEESH_EEENSJ_IJSM_SI_EEENS0_18inequality_wrapperINS9_8equal_toIsEEEEPmJSH_EEE10hipError_tPvRmT3_T4_T5_T6_T7_T9_mT8_P12ihipStream_tbDpT10_ENKUlT_T0_E_clISt17integral_constantIbLb0EES1D_EEDaS18_S19_EUlS18_E_NS1_11comp_targetILNS1_3genE5ELNS1_11target_archE942ELNS1_3gpuE9ELNS1_3repE0EEENS1_30default_config_static_selectorELNS0_4arch9wavefront6targetE0EEEvT1_
    .private_segment_fixed_size: 0
    .sgpr_count:     0
    .sgpr_spill_count: 0
    .symbol:         _ZN7rocprim17ROCPRIM_400000_NS6detail17trampoline_kernelINS0_14default_configENS1_25partition_config_selectorILNS1_17partition_subalgoE9EsjbEEZZNS1_14partition_implILS5_9ELb0ES3_jN6thrust23THRUST_200600_302600_NS6detail15normal_iteratorINS9_10device_ptrIsEEEENSB_INSC_IjEEEEPNS0_10empty_typeENS0_5tupleIJNS9_16discard_iteratorINS9_11use_defaultEEESH_EEENSJ_IJSM_SI_EEENS0_18inequality_wrapperINS9_8equal_toIsEEEEPmJSH_EEE10hipError_tPvRmT3_T4_T5_T6_T7_T9_mT8_P12ihipStream_tbDpT10_ENKUlT_T0_E_clISt17integral_constantIbLb0EES1D_EEDaS18_S19_EUlS18_E_NS1_11comp_targetILNS1_3genE5ELNS1_11target_archE942ELNS1_3gpuE9ELNS1_3repE0EEENS1_30default_config_static_selectorELNS0_4arch9wavefront6targetE0EEEvT1_.kd
    .uniform_work_group_size: 1
    .uses_dynamic_stack: false
    .vgpr_count:     0
    .vgpr_spill_count: 0
    .wavefront_size: 32
    .workgroup_processor_mode: 1
  - .args:
      - .offset:         0
        .size:           128
        .value_kind:     by_value
    .group_segment_fixed_size: 0
    .kernarg_segment_align: 8
    .kernarg_segment_size: 128
    .language:       OpenCL C
    .language_version:
      - 2
      - 0
    .max_flat_workgroup_size: 192
    .name:           _ZN7rocprim17ROCPRIM_400000_NS6detail17trampoline_kernelINS0_14default_configENS1_25partition_config_selectorILNS1_17partition_subalgoE9EsjbEEZZNS1_14partition_implILS5_9ELb0ES3_jN6thrust23THRUST_200600_302600_NS6detail15normal_iteratorINS9_10device_ptrIsEEEENSB_INSC_IjEEEEPNS0_10empty_typeENS0_5tupleIJNS9_16discard_iteratorINS9_11use_defaultEEESH_EEENSJ_IJSM_SI_EEENS0_18inequality_wrapperINS9_8equal_toIsEEEEPmJSH_EEE10hipError_tPvRmT3_T4_T5_T6_T7_T9_mT8_P12ihipStream_tbDpT10_ENKUlT_T0_E_clISt17integral_constantIbLb0EES1D_EEDaS18_S19_EUlS18_E_NS1_11comp_targetILNS1_3genE4ELNS1_11target_archE910ELNS1_3gpuE8ELNS1_3repE0EEENS1_30default_config_static_selectorELNS0_4arch9wavefront6targetE0EEEvT1_
    .private_segment_fixed_size: 0
    .sgpr_count:     0
    .sgpr_spill_count: 0
    .symbol:         _ZN7rocprim17ROCPRIM_400000_NS6detail17trampoline_kernelINS0_14default_configENS1_25partition_config_selectorILNS1_17partition_subalgoE9EsjbEEZZNS1_14partition_implILS5_9ELb0ES3_jN6thrust23THRUST_200600_302600_NS6detail15normal_iteratorINS9_10device_ptrIsEEEENSB_INSC_IjEEEEPNS0_10empty_typeENS0_5tupleIJNS9_16discard_iteratorINS9_11use_defaultEEESH_EEENSJ_IJSM_SI_EEENS0_18inequality_wrapperINS9_8equal_toIsEEEEPmJSH_EEE10hipError_tPvRmT3_T4_T5_T6_T7_T9_mT8_P12ihipStream_tbDpT10_ENKUlT_T0_E_clISt17integral_constantIbLb0EES1D_EEDaS18_S19_EUlS18_E_NS1_11comp_targetILNS1_3genE4ELNS1_11target_archE910ELNS1_3gpuE8ELNS1_3repE0EEENS1_30default_config_static_selectorELNS0_4arch9wavefront6targetE0EEEvT1_.kd
    .uniform_work_group_size: 1
    .uses_dynamic_stack: false
    .vgpr_count:     0
    .vgpr_spill_count: 0
    .wavefront_size: 32
    .workgroup_processor_mode: 1
  - .args:
      - .offset:         0
        .size:           128
        .value_kind:     by_value
    .group_segment_fixed_size: 0
    .kernarg_segment_align: 8
    .kernarg_segment_size: 128
    .language:       OpenCL C
    .language_version:
      - 2
      - 0
    .max_flat_workgroup_size: 256
    .name:           _ZN7rocprim17ROCPRIM_400000_NS6detail17trampoline_kernelINS0_14default_configENS1_25partition_config_selectorILNS1_17partition_subalgoE9EsjbEEZZNS1_14partition_implILS5_9ELb0ES3_jN6thrust23THRUST_200600_302600_NS6detail15normal_iteratorINS9_10device_ptrIsEEEENSB_INSC_IjEEEEPNS0_10empty_typeENS0_5tupleIJNS9_16discard_iteratorINS9_11use_defaultEEESH_EEENSJ_IJSM_SI_EEENS0_18inequality_wrapperINS9_8equal_toIsEEEEPmJSH_EEE10hipError_tPvRmT3_T4_T5_T6_T7_T9_mT8_P12ihipStream_tbDpT10_ENKUlT_T0_E_clISt17integral_constantIbLb0EES1D_EEDaS18_S19_EUlS18_E_NS1_11comp_targetILNS1_3genE3ELNS1_11target_archE908ELNS1_3gpuE7ELNS1_3repE0EEENS1_30default_config_static_selectorELNS0_4arch9wavefront6targetE0EEEvT1_
    .private_segment_fixed_size: 0
    .sgpr_count:     0
    .sgpr_spill_count: 0
    .symbol:         _ZN7rocprim17ROCPRIM_400000_NS6detail17trampoline_kernelINS0_14default_configENS1_25partition_config_selectorILNS1_17partition_subalgoE9EsjbEEZZNS1_14partition_implILS5_9ELb0ES3_jN6thrust23THRUST_200600_302600_NS6detail15normal_iteratorINS9_10device_ptrIsEEEENSB_INSC_IjEEEEPNS0_10empty_typeENS0_5tupleIJNS9_16discard_iteratorINS9_11use_defaultEEESH_EEENSJ_IJSM_SI_EEENS0_18inequality_wrapperINS9_8equal_toIsEEEEPmJSH_EEE10hipError_tPvRmT3_T4_T5_T6_T7_T9_mT8_P12ihipStream_tbDpT10_ENKUlT_T0_E_clISt17integral_constantIbLb0EES1D_EEDaS18_S19_EUlS18_E_NS1_11comp_targetILNS1_3genE3ELNS1_11target_archE908ELNS1_3gpuE7ELNS1_3repE0EEENS1_30default_config_static_selectorELNS0_4arch9wavefront6targetE0EEEvT1_.kd
    .uniform_work_group_size: 1
    .uses_dynamic_stack: false
    .vgpr_count:     0
    .vgpr_spill_count: 0
    .wavefront_size: 32
    .workgroup_processor_mode: 1
  - .args:
      - .offset:         0
        .size:           128
        .value_kind:     by_value
    .group_segment_fixed_size: 0
    .kernarg_segment_align: 8
    .kernarg_segment_size: 128
    .language:       OpenCL C
    .language_version:
      - 2
      - 0
    .max_flat_workgroup_size: 256
    .name:           _ZN7rocprim17ROCPRIM_400000_NS6detail17trampoline_kernelINS0_14default_configENS1_25partition_config_selectorILNS1_17partition_subalgoE9EsjbEEZZNS1_14partition_implILS5_9ELb0ES3_jN6thrust23THRUST_200600_302600_NS6detail15normal_iteratorINS9_10device_ptrIsEEEENSB_INSC_IjEEEEPNS0_10empty_typeENS0_5tupleIJNS9_16discard_iteratorINS9_11use_defaultEEESH_EEENSJ_IJSM_SI_EEENS0_18inequality_wrapperINS9_8equal_toIsEEEEPmJSH_EEE10hipError_tPvRmT3_T4_T5_T6_T7_T9_mT8_P12ihipStream_tbDpT10_ENKUlT_T0_E_clISt17integral_constantIbLb0EES1D_EEDaS18_S19_EUlS18_E_NS1_11comp_targetILNS1_3genE2ELNS1_11target_archE906ELNS1_3gpuE6ELNS1_3repE0EEENS1_30default_config_static_selectorELNS0_4arch9wavefront6targetE0EEEvT1_
    .private_segment_fixed_size: 0
    .sgpr_count:     0
    .sgpr_spill_count: 0
    .symbol:         _ZN7rocprim17ROCPRIM_400000_NS6detail17trampoline_kernelINS0_14default_configENS1_25partition_config_selectorILNS1_17partition_subalgoE9EsjbEEZZNS1_14partition_implILS5_9ELb0ES3_jN6thrust23THRUST_200600_302600_NS6detail15normal_iteratorINS9_10device_ptrIsEEEENSB_INSC_IjEEEEPNS0_10empty_typeENS0_5tupleIJNS9_16discard_iteratorINS9_11use_defaultEEESH_EEENSJ_IJSM_SI_EEENS0_18inequality_wrapperINS9_8equal_toIsEEEEPmJSH_EEE10hipError_tPvRmT3_T4_T5_T6_T7_T9_mT8_P12ihipStream_tbDpT10_ENKUlT_T0_E_clISt17integral_constantIbLb0EES1D_EEDaS18_S19_EUlS18_E_NS1_11comp_targetILNS1_3genE2ELNS1_11target_archE906ELNS1_3gpuE6ELNS1_3repE0EEENS1_30default_config_static_selectorELNS0_4arch9wavefront6targetE0EEEvT1_.kd
    .uniform_work_group_size: 1
    .uses_dynamic_stack: false
    .vgpr_count:     0
    .vgpr_spill_count: 0
    .wavefront_size: 32
    .workgroup_processor_mode: 1
  - .args:
      - .offset:         0
        .size:           128
        .value_kind:     by_value
    .group_segment_fixed_size: 0
    .kernarg_segment_align: 8
    .kernarg_segment_size: 128
    .language:       OpenCL C
    .language_version:
      - 2
      - 0
    .max_flat_workgroup_size: 512
    .name:           _ZN7rocprim17ROCPRIM_400000_NS6detail17trampoline_kernelINS0_14default_configENS1_25partition_config_selectorILNS1_17partition_subalgoE9EsjbEEZZNS1_14partition_implILS5_9ELb0ES3_jN6thrust23THRUST_200600_302600_NS6detail15normal_iteratorINS9_10device_ptrIsEEEENSB_INSC_IjEEEEPNS0_10empty_typeENS0_5tupleIJNS9_16discard_iteratorINS9_11use_defaultEEESH_EEENSJ_IJSM_SI_EEENS0_18inequality_wrapperINS9_8equal_toIsEEEEPmJSH_EEE10hipError_tPvRmT3_T4_T5_T6_T7_T9_mT8_P12ihipStream_tbDpT10_ENKUlT_T0_E_clISt17integral_constantIbLb0EES1D_EEDaS18_S19_EUlS18_E_NS1_11comp_targetILNS1_3genE10ELNS1_11target_archE1200ELNS1_3gpuE4ELNS1_3repE0EEENS1_30default_config_static_selectorELNS0_4arch9wavefront6targetE0EEEvT1_
    .private_segment_fixed_size: 0
    .sgpr_count:     0
    .sgpr_spill_count: 0
    .symbol:         _ZN7rocprim17ROCPRIM_400000_NS6detail17trampoline_kernelINS0_14default_configENS1_25partition_config_selectorILNS1_17partition_subalgoE9EsjbEEZZNS1_14partition_implILS5_9ELb0ES3_jN6thrust23THRUST_200600_302600_NS6detail15normal_iteratorINS9_10device_ptrIsEEEENSB_INSC_IjEEEEPNS0_10empty_typeENS0_5tupleIJNS9_16discard_iteratorINS9_11use_defaultEEESH_EEENSJ_IJSM_SI_EEENS0_18inequality_wrapperINS9_8equal_toIsEEEEPmJSH_EEE10hipError_tPvRmT3_T4_T5_T6_T7_T9_mT8_P12ihipStream_tbDpT10_ENKUlT_T0_E_clISt17integral_constantIbLb0EES1D_EEDaS18_S19_EUlS18_E_NS1_11comp_targetILNS1_3genE10ELNS1_11target_archE1200ELNS1_3gpuE4ELNS1_3repE0EEENS1_30default_config_static_selectorELNS0_4arch9wavefront6targetE0EEEvT1_.kd
    .uniform_work_group_size: 1
    .uses_dynamic_stack: false
    .vgpr_count:     0
    .vgpr_spill_count: 0
    .wavefront_size: 32
    .workgroup_processor_mode: 1
  - .args:
      - .offset:         0
        .size:           128
        .value_kind:     by_value
    .group_segment_fixed_size: 5640
    .kernarg_segment_align: 8
    .kernarg_segment_size: 128
    .language:       OpenCL C
    .language_version:
      - 2
      - 0
    .max_flat_workgroup_size: 128
    .name:           _ZN7rocprim17ROCPRIM_400000_NS6detail17trampoline_kernelINS0_14default_configENS1_25partition_config_selectorILNS1_17partition_subalgoE9EsjbEEZZNS1_14partition_implILS5_9ELb0ES3_jN6thrust23THRUST_200600_302600_NS6detail15normal_iteratorINS9_10device_ptrIsEEEENSB_INSC_IjEEEEPNS0_10empty_typeENS0_5tupleIJNS9_16discard_iteratorINS9_11use_defaultEEESH_EEENSJ_IJSM_SI_EEENS0_18inequality_wrapperINS9_8equal_toIsEEEEPmJSH_EEE10hipError_tPvRmT3_T4_T5_T6_T7_T9_mT8_P12ihipStream_tbDpT10_ENKUlT_T0_E_clISt17integral_constantIbLb0EES1D_EEDaS18_S19_EUlS18_E_NS1_11comp_targetILNS1_3genE9ELNS1_11target_archE1100ELNS1_3gpuE3ELNS1_3repE0EEENS1_30default_config_static_selectorELNS0_4arch9wavefront6targetE0EEEvT1_
    .private_segment_fixed_size: 0
    .sgpr_count:     25
    .sgpr_spill_count: 0
    .symbol:         _ZN7rocprim17ROCPRIM_400000_NS6detail17trampoline_kernelINS0_14default_configENS1_25partition_config_selectorILNS1_17partition_subalgoE9EsjbEEZZNS1_14partition_implILS5_9ELb0ES3_jN6thrust23THRUST_200600_302600_NS6detail15normal_iteratorINS9_10device_ptrIsEEEENSB_INSC_IjEEEEPNS0_10empty_typeENS0_5tupleIJNS9_16discard_iteratorINS9_11use_defaultEEESH_EEENSJ_IJSM_SI_EEENS0_18inequality_wrapperINS9_8equal_toIsEEEEPmJSH_EEE10hipError_tPvRmT3_T4_T5_T6_T7_T9_mT8_P12ihipStream_tbDpT10_ENKUlT_T0_E_clISt17integral_constantIbLb0EES1D_EEDaS18_S19_EUlS18_E_NS1_11comp_targetILNS1_3genE9ELNS1_11target_archE1100ELNS1_3gpuE3ELNS1_3repE0EEENS1_30default_config_static_selectorELNS0_4arch9wavefront6targetE0EEEvT1_.kd
    .uniform_work_group_size: 1
    .uses_dynamic_stack: false
    .vgpr_count:     61
    .vgpr_spill_count: 0
    .wavefront_size: 32
    .workgroup_processor_mode: 1
  - .args:
      - .offset:         0
        .size:           128
        .value_kind:     by_value
    .group_segment_fixed_size: 0
    .kernarg_segment_align: 8
    .kernarg_segment_size: 128
    .language:       OpenCL C
    .language_version:
      - 2
      - 0
    .max_flat_workgroup_size: 512
    .name:           _ZN7rocprim17ROCPRIM_400000_NS6detail17trampoline_kernelINS0_14default_configENS1_25partition_config_selectorILNS1_17partition_subalgoE9EsjbEEZZNS1_14partition_implILS5_9ELb0ES3_jN6thrust23THRUST_200600_302600_NS6detail15normal_iteratorINS9_10device_ptrIsEEEENSB_INSC_IjEEEEPNS0_10empty_typeENS0_5tupleIJNS9_16discard_iteratorINS9_11use_defaultEEESH_EEENSJ_IJSM_SI_EEENS0_18inequality_wrapperINS9_8equal_toIsEEEEPmJSH_EEE10hipError_tPvRmT3_T4_T5_T6_T7_T9_mT8_P12ihipStream_tbDpT10_ENKUlT_T0_E_clISt17integral_constantIbLb0EES1D_EEDaS18_S19_EUlS18_E_NS1_11comp_targetILNS1_3genE8ELNS1_11target_archE1030ELNS1_3gpuE2ELNS1_3repE0EEENS1_30default_config_static_selectorELNS0_4arch9wavefront6targetE0EEEvT1_
    .private_segment_fixed_size: 0
    .sgpr_count:     0
    .sgpr_spill_count: 0
    .symbol:         _ZN7rocprim17ROCPRIM_400000_NS6detail17trampoline_kernelINS0_14default_configENS1_25partition_config_selectorILNS1_17partition_subalgoE9EsjbEEZZNS1_14partition_implILS5_9ELb0ES3_jN6thrust23THRUST_200600_302600_NS6detail15normal_iteratorINS9_10device_ptrIsEEEENSB_INSC_IjEEEEPNS0_10empty_typeENS0_5tupleIJNS9_16discard_iteratorINS9_11use_defaultEEESH_EEENSJ_IJSM_SI_EEENS0_18inequality_wrapperINS9_8equal_toIsEEEEPmJSH_EEE10hipError_tPvRmT3_T4_T5_T6_T7_T9_mT8_P12ihipStream_tbDpT10_ENKUlT_T0_E_clISt17integral_constantIbLb0EES1D_EEDaS18_S19_EUlS18_E_NS1_11comp_targetILNS1_3genE8ELNS1_11target_archE1030ELNS1_3gpuE2ELNS1_3repE0EEENS1_30default_config_static_selectorELNS0_4arch9wavefront6targetE0EEEvT1_.kd
    .uniform_work_group_size: 1
    .uses_dynamic_stack: false
    .vgpr_count:     0
    .vgpr_spill_count: 0
    .wavefront_size: 32
    .workgroup_processor_mode: 1
  - .args:
      - .offset:         0
        .size:           144
        .value_kind:     by_value
    .group_segment_fixed_size: 0
    .kernarg_segment_align: 8
    .kernarg_segment_size: 144
    .language:       OpenCL C
    .language_version:
      - 2
      - 0
    .max_flat_workgroup_size: 256
    .name:           _ZN7rocprim17ROCPRIM_400000_NS6detail17trampoline_kernelINS0_14default_configENS1_25partition_config_selectorILNS1_17partition_subalgoE9EsjbEEZZNS1_14partition_implILS5_9ELb0ES3_jN6thrust23THRUST_200600_302600_NS6detail15normal_iteratorINS9_10device_ptrIsEEEENSB_INSC_IjEEEEPNS0_10empty_typeENS0_5tupleIJNS9_16discard_iteratorINS9_11use_defaultEEESH_EEENSJ_IJSM_SI_EEENS0_18inequality_wrapperINS9_8equal_toIsEEEEPmJSH_EEE10hipError_tPvRmT3_T4_T5_T6_T7_T9_mT8_P12ihipStream_tbDpT10_ENKUlT_T0_E_clISt17integral_constantIbLb1EES1D_EEDaS18_S19_EUlS18_E_NS1_11comp_targetILNS1_3genE0ELNS1_11target_archE4294967295ELNS1_3gpuE0ELNS1_3repE0EEENS1_30default_config_static_selectorELNS0_4arch9wavefront6targetE0EEEvT1_
    .private_segment_fixed_size: 0
    .sgpr_count:     0
    .sgpr_spill_count: 0
    .symbol:         _ZN7rocprim17ROCPRIM_400000_NS6detail17trampoline_kernelINS0_14default_configENS1_25partition_config_selectorILNS1_17partition_subalgoE9EsjbEEZZNS1_14partition_implILS5_9ELb0ES3_jN6thrust23THRUST_200600_302600_NS6detail15normal_iteratorINS9_10device_ptrIsEEEENSB_INSC_IjEEEEPNS0_10empty_typeENS0_5tupleIJNS9_16discard_iteratorINS9_11use_defaultEEESH_EEENSJ_IJSM_SI_EEENS0_18inequality_wrapperINS9_8equal_toIsEEEEPmJSH_EEE10hipError_tPvRmT3_T4_T5_T6_T7_T9_mT8_P12ihipStream_tbDpT10_ENKUlT_T0_E_clISt17integral_constantIbLb1EES1D_EEDaS18_S19_EUlS18_E_NS1_11comp_targetILNS1_3genE0ELNS1_11target_archE4294967295ELNS1_3gpuE0ELNS1_3repE0EEENS1_30default_config_static_selectorELNS0_4arch9wavefront6targetE0EEEvT1_.kd
    .uniform_work_group_size: 1
    .uses_dynamic_stack: false
    .vgpr_count:     0
    .vgpr_spill_count: 0
    .wavefront_size: 32
    .workgroup_processor_mode: 1
  - .args:
      - .offset:         0
        .size:           144
        .value_kind:     by_value
    .group_segment_fixed_size: 0
    .kernarg_segment_align: 8
    .kernarg_segment_size: 144
    .language:       OpenCL C
    .language_version:
      - 2
      - 0
    .max_flat_workgroup_size: 512
    .name:           _ZN7rocprim17ROCPRIM_400000_NS6detail17trampoline_kernelINS0_14default_configENS1_25partition_config_selectorILNS1_17partition_subalgoE9EsjbEEZZNS1_14partition_implILS5_9ELb0ES3_jN6thrust23THRUST_200600_302600_NS6detail15normal_iteratorINS9_10device_ptrIsEEEENSB_INSC_IjEEEEPNS0_10empty_typeENS0_5tupleIJNS9_16discard_iteratorINS9_11use_defaultEEESH_EEENSJ_IJSM_SI_EEENS0_18inequality_wrapperINS9_8equal_toIsEEEEPmJSH_EEE10hipError_tPvRmT3_T4_T5_T6_T7_T9_mT8_P12ihipStream_tbDpT10_ENKUlT_T0_E_clISt17integral_constantIbLb1EES1D_EEDaS18_S19_EUlS18_E_NS1_11comp_targetILNS1_3genE5ELNS1_11target_archE942ELNS1_3gpuE9ELNS1_3repE0EEENS1_30default_config_static_selectorELNS0_4arch9wavefront6targetE0EEEvT1_
    .private_segment_fixed_size: 0
    .sgpr_count:     0
    .sgpr_spill_count: 0
    .symbol:         _ZN7rocprim17ROCPRIM_400000_NS6detail17trampoline_kernelINS0_14default_configENS1_25partition_config_selectorILNS1_17partition_subalgoE9EsjbEEZZNS1_14partition_implILS5_9ELb0ES3_jN6thrust23THRUST_200600_302600_NS6detail15normal_iteratorINS9_10device_ptrIsEEEENSB_INSC_IjEEEEPNS0_10empty_typeENS0_5tupleIJNS9_16discard_iteratorINS9_11use_defaultEEESH_EEENSJ_IJSM_SI_EEENS0_18inequality_wrapperINS9_8equal_toIsEEEEPmJSH_EEE10hipError_tPvRmT3_T4_T5_T6_T7_T9_mT8_P12ihipStream_tbDpT10_ENKUlT_T0_E_clISt17integral_constantIbLb1EES1D_EEDaS18_S19_EUlS18_E_NS1_11comp_targetILNS1_3genE5ELNS1_11target_archE942ELNS1_3gpuE9ELNS1_3repE0EEENS1_30default_config_static_selectorELNS0_4arch9wavefront6targetE0EEEvT1_.kd
    .uniform_work_group_size: 1
    .uses_dynamic_stack: false
    .vgpr_count:     0
    .vgpr_spill_count: 0
    .wavefront_size: 32
    .workgroup_processor_mode: 1
  - .args:
      - .offset:         0
        .size:           144
        .value_kind:     by_value
    .group_segment_fixed_size: 0
    .kernarg_segment_align: 8
    .kernarg_segment_size: 144
    .language:       OpenCL C
    .language_version:
      - 2
      - 0
    .max_flat_workgroup_size: 192
    .name:           _ZN7rocprim17ROCPRIM_400000_NS6detail17trampoline_kernelINS0_14default_configENS1_25partition_config_selectorILNS1_17partition_subalgoE9EsjbEEZZNS1_14partition_implILS5_9ELb0ES3_jN6thrust23THRUST_200600_302600_NS6detail15normal_iteratorINS9_10device_ptrIsEEEENSB_INSC_IjEEEEPNS0_10empty_typeENS0_5tupleIJNS9_16discard_iteratorINS9_11use_defaultEEESH_EEENSJ_IJSM_SI_EEENS0_18inequality_wrapperINS9_8equal_toIsEEEEPmJSH_EEE10hipError_tPvRmT3_T4_T5_T6_T7_T9_mT8_P12ihipStream_tbDpT10_ENKUlT_T0_E_clISt17integral_constantIbLb1EES1D_EEDaS18_S19_EUlS18_E_NS1_11comp_targetILNS1_3genE4ELNS1_11target_archE910ELNS1_3gpuE8ELNS1_3repE0EEENS1_30default_config_static_selectorELNS0_4arch9wavefront6targetE0EEEvT1_
    .private_segment_fixed_size: 0
    .sgpr_count:     0
    .sgpr_spill_count: 0
    .symbol:         _ZN7rocprim17ROCPRIM_400000_NS6detail17trampoline_kernelINS0_14default_configENS1_25partition_config_selectorILNS1_17partition_subalgoE9EsjbEEZZNS1_14partition_implILS5_9ELb0ES3_jN6thrust23THRUST_200600_302600_NS6detail15normal_iteratorINS9_10device_ptrIsEEEENSB_INSC_IjEEEEPNS0_10empty_typeENS0_5tupleIJNS9_16discard_iteratorINS9_11use_defaultEEESH_EEENSJ_IJSM_SI_EEENS0_18inequality_wrapperINS9_8equal_toIsEEEEPmJSH_EEE10hipError_tPvRmT3_T4_T5_T6_T7_T9_mT8_P12ihipStream_tbDpT10_ENKUlT_T0_E_clISt17integral_constantIbLb1EES1D_EEDaS18_S19_EUlS18_E_NS1_11comp_targetILNS1_3genE4ELNS1_11target_archE910ELNS1_3gpuE8ELNS1_3repE0EEENS1_30default_config_static_selectorELNS0_4arch9wavefront6targetE0EEEvT1_.kd
    .uniform_work_group_size: 1
    .uses_dynamic_stack: false
    .vgpr_count:     0
    .vgpr_spill_count: 0
    .wavefront_size: 32
    .workgroup_processor_mode: 1
  - .args:
      - .offset:         0
        .size:           144
        .value_kind:     by_value
    .group_segment_fixed_size: 0
    .kernarg_segment_align: 8
    .kernarg_segment_size: 144
    .language:       OpenCL C
    .language_version:
      - 2
      - 0
    .max_flat_workgroup_size: 256
    .name:           _ZN7rocprim17ROCPRIM_400000_NS6detail17trampoline_kernelINS0_14default_configENS1_25partition_config_selectorILNS1_17partition_subalgoE9EsjbEEZZNS1_14partition_implILS5_9ELb0ES3_jN6thrust23THRUST_200600_302600_NS6detail15normal_iteratorINS9_10device_ptrIsEEEENSB_INSC_IjEEEEPNS0_10empty_typeENS0_5tupleIJNS9_16discard_iteratorINS9_11use_defaultEEESH_EEENSJ_IJSM_SI_EEENS0_18inequality_wrapperINS9_8equal_toIsEEEEPmJSH_EEE10hipError_tPvRmT3_T4_T5_T6_T7_T9_mT8_P12ihipStream_tbDpT10_ENKUlT_T0_E_clISt17integral_constantIbLb1EES1D_EEDaS18_S19_EUlS18_E_NS1_11comp_targetILNS1_3genE3ELNS1_11target_archE908ELNS1_3gpuE7ELNS1_3repE0EEENS1_30default_config_static_selectorELNS0_4arch9wavefront6targetE0EEEvT1_
    .private_segment_fixed_size: 0
    .sgpr_count:     0
    .sgpr_spill_count: 0
    .symbol:         _ZN7rocprim17ROCPRIM_400000_NS6detail17trampoline_kernelINS0_14default_configENS1_25partition_config_selectorILNS1_17partition_subalgoE9EsjbEEZZNS1_14partition_implILS5_9ELb0ES3_jN6thrust23THRUST_200600_302600_NS6detail15normal_iteratorINS9_10device_ptrIsEEEENSB_INSC_IjEEEEPNS0_10empty_typeENS0_5tupleIJNS9_16discard_iteratorINS9_11use_defaultEEESH_EEENSJ_IJSM_SI_EEENS0_18inequality_wrapperINS9_8equal_toIsEEEEPmJSH_EEE10hipError_tPvRmT3_T4_T5_T6_T7_T9_mT8_P12ihipStream_tbDpT10_ENKUlT_T0_E_clISt17integral_constantIbLb1EES1D_EEDaS18_S19_EUlS18_E_NS1_11comp_targetILNS1_3genE3ELNS1_11target_archE908ELNS1_3gpuE7ELNS1_3repE0EEENS1_30default_config_static_selectorELNS0_4arch9wavefront6targetE0EEEvT1_.kd
    .uniform_work_group_size: 1
    .uses_dynamic_stack: false
    .vgpr_count:     0
    .vgpr_spill_count: 0
    .wavefront_size: 32
    .workgroup_processor_mode: 1
  - .args:
      - .offset:         0
        .size:           144
        .value_kind:     by_value
    .group_segment_fixed_size: 0
    .kernarg_segment_align: 8
    .kernarg_segment_size: 144
    .language:       OpenCL C
    .language_version:
      - 2
      - 0
    .max_flat_workgroup_size: 256
    .name:           _ZN7rocprim17ROCPRIM_400000_NS6detail17trampoline_kernelINS0_14default_configENS1_25partition_config_selectorILNS1_17partition_subalgoE9EsjbEEZZNS1_14partition_implILS5_9ELb0ES3_jN6thrust23THRUST_200600_302600_NS6detail15normal_iteratorINS9_10device_ptrIsEEEENSB_INSC_IjEEEEPNS0_10empty_typeENS0_5tupleIJNS9_16discard_iteratorINS9_11use_defaultEEESH_EEENSJ_IJSM_SI_EEENS0_18inequality_wrapperINS9_8equal_toIsEEEEPmJSH_EEE10hipError_tPvRmT3_T4_T5_T6_T7_T9_mT8_P12ihipStream_tbDpT10_ENKUlT_T0_E_clISt17integral_constantIbLb1EES1D_EEDaS18_S19_EUlS18_E_NS1_11comp_targetILNS1_3genE2ELNS1_11target_archE906ELNS1_3gpuE6ELNS1_3repE0EEENS1_30default_config_static_selectorELNS0_4arch9wavefront6targetE0EEEvT1_
    .private_segment_fixed_size: 0
    .sgpr_count:     0
    .sgpr_spill_count: 0
    .symbol:         _ZN7rocprim17ROCPRIM_400000_NS6detail17trampoline_kernelINS0_14default_configENS1_25partition_config_selectorILNS1_17partition_subalgoE9EsjbEEZZNS1_14partition_implILS5_9ELb0ES3_jN6thrust23THRUST_200600_302600_NS6detail15normal_iteratorINS9_10device_ptrIsEEEENSB_INSC_IjEEEEPNS0_10empty_typeENS0_5tupleIJNS9_16discard_iteratorINS9_11use_defaultEEESH_EEENSJ_IJSM_SI_EEENS0_18inequality_wrapperINS9_8equal_toIsEEEEPmJSH_EEE10hipError_tPvRmT3_T4_T5_T6_T7_T9_mT8_P12ihipStream_tbDpT10_ENKUlT_T0_E_clISt17integral_constantIbLb1EES1D_EEDaS18_S19_EUlS18_E_NS1_11comp_targetILNS1_3genE2ELNS1_11target_archE906ELNS1_3gpuE6ELNS1_3repE0EEENS1_30default_config_static_selectorELNS0_4arch9wavefront6targetE0EEEvT1_.kd
    .uniform_work_group_size: 1
    .uses_dynamic_stack: false
    .vgpr_count:     0
    .vgpr_spill_count: 0
    .wavefront_size: 32
    .workgroup_processor_mode: 1
  - .args:
      - .offset:         0
        .size:           144
        .value_kind:     by_value
    .group_segment_fixed_size: 0
    .kernarg_segment_align: 8
    .kernarg_segment_size: 144
    .language:       OpenCL C
    .language_version:
      - 2
      - 0
    .max_flat_workgroup_size: 512
    .name:           _ZN7rocprim17ROCPRIM_400000_NS6detail17trampoline_kernelINS0_14default_configENS1_25partition_config_selectorILNS1_17partition_subalgoE9EsjbEEZZNS1_14partition_implILS5_9ELb0ES3_jN6thrust23THRUST_200600_302600_NS6detail15normal_iteratorINS9_10device_ptrIsEEEENSB_INSC_IjEEEEPNS0_10empty_typeENS0_5tupleIJNS9_16discard_iteratorINS9_11use_defaultEEESH_EEENSJ_IJSM_SI_EEENS0_18inequality_wrapperINS9_8equal_toIsEEEEPmJSH_EEE10hipError_tPvRmT3_T4_T5_T6_T7_T9_mT8_P12ihipStream_tbDpT10_ENKUlT_T0_E_clISt17integral_constantIbLb1EES1D_EEDaS18_S19_EUlS18_E_NS1_11comp_targetILNS1_3genE10ELNS1_11target_archE1200ELNS1_3gpuE4ELNS1_3repE0EEENS1_30default_config_static_selectorELNS0_4arch9wavefront6targetE0EEEvT1_
    .private_segment_fixed_size: 0
    .sgpr_count:     0
    .sgpr_spill_count: 0
    .symbol:         _ZN7rocprim17ROCPRIM_400000_NS6detail17trampoline_kernelINS0_14default_configENS1_25partition_config_selectorILNS1_17partition_subalgoE9EsjbEEZZNS1_14partition_implILS5_9ELb0ES3_jN6thrust23THRUST_200600_302600_NS6detail15normal_iteratorINS9_10device_ptrIsEEEENSB_INSC_IjEEEEPNS0_10empty_typeENS0_5tupleIJNS9_16discard_iteratorINS9_11use_defaultEEESH_EEENSJ_IJSM_SI_EEENS0_18inequality_wrapperINS9_8equal_toIsEEEEPmJSH_EEE10hipError_tPvRmT3_T4_T5_T6_T7_T9_mT8_P12ihipStream_tbDpT10_ENKUlT_T0_E_clISt17integral_constantIbLb1EES1D_EEDaS18_S19_EUlS18_E_NS1_11comp_targetILNS1_3genE10ELNS1_11target_archE1200ELNS1_3gpuE4ELNS1_3repE0EEENS1_30default_config_static_selectorELNS0_4arch9wavefront6targetE0EEEvT1_.kd
    .uniform_work_group_size: 1
    .uses_dynamic_stack: false
    .vgpr_count:     0
    .vgpr_spill_count: 0
    .wavefront_size: 32
    .workgroup_processor_mode: 1
  - .args:
      - .offset:         0
        .size:           144
        .value_kind:     by_value
    .group_segment_fixed_size: 5640
    .kernarg_segment_align: 8
    .kernarg_segment_size: 144
    .language:       OpenCL C
    .language_version:
      - 2
      - 0
    .max_flat_workgroup_size: 128
    .name:           _ZN7rocprim17ROCPRIM_400000_NS6detail17trampoline_kernelINS0_14default_configENS1_25partition_config_selectorILNS1_17partition_subalgoE9EsjbEEZZNS1_14partition_implILS5_9ELb0ES3_jN6thrust23THRUST_200600_302600_NS6detail15normal_iteratorINS9_10device_ptrIsEEEENSB_INSC_IjEEEEPNS0_10empty_typeENS0_5tupleIJNS9_16discard_iteratorINS9_11use_defaultEEESH_EEENSJ_IJSM_SI_EEENS0_18inequality_wrapperINS9_8equal_toIsEEEEPmJSH_EEE10hipError_tPvRmT3_T4_T5_T6_T7_T9_mT8_P12ihipStream_tbDpT10_ENKUlT_T0_E_clISt17integral_constantIbLb1EES1D_EEDaS18_S19_EUlS18_E_NS1_11comp_targetILNS1_3genE9ELNS1_11target_archE1100ELNS1_3gpuE3ELNS1_3repE0EEENS1_30default_config_static_selectorELNS0_4arch9wavefront6targetE0EEEvT1_
    .private_segment_fixed_size: 0
    .sgpr_count:     26
    .sgpr_spill_count: 0
    .symbol:         _ZN7rocprim17ROCPRIM_400000_NS6detail17trampoline_kernelINS0_14default_configENS1_25partition_config_selectorILNS1_17partition_subalgoE9EsjbEEZZNS1_14partition_implILS5_9ELb0ES3_jN6thrust23THRUST_200600_302600_NS6detail15normal_iteratorINS9_10device_ptrIsEEEENSB_INSC_IjEEEEPNS0_10empty_typeENS0_5tupleIJNS9_16discard_iteratorINS9_11use_defaultEEESH_EEENSJ_IJSM_SI_EEENS0_18inequality_wrapperINS9_8equal_toIsEEEEPmJSH_EEE10hipError_tPvRmT3_T4_T5_T6_T7_T9_mT8_P12ihipStream_tbDpT10_ENKUlT_T0_E_clISt17integral_constantIbLb1EES1D_EEDaS18_S19_EUlS18_E_NS1_11comp_targetILNS1_3genE9ELNS1_11target_archE1100ELNS1_3gpuE3ELNS1_3repE0EEENS1_30default_config_static_selectorELNS0_4arch9wavefront6targetE0EEEvT1_.kd
    .uniform_work_group_size: 1
    .uses_dynamic_stack: false
    .vgpr_count:     63
    .vgpr_spill_count: 0
    .wavefront_size: 32
    .workgroup_processor_mode: 1
  - .args:
      - .offset:         0
        .size:           144
        .value_kind:     by_value
    .group_segment_fixed_size: 0
    .kernarg_segment_align: 8
    .kernarg_segment_size: 144
    .language:       OpenCL C
    .language_version:
      - 2
      - 0
    .max_flat_workgroup_size: 512
    .name:           _ZN7rocprim17ROCPRIM_400000_NS6detail17trampoline_kernelINS0_14default_configENS1_25partition_config_selectorILNS1_17partition_subalgoE9EsjbEEZZNS1_14partition_implILS5_9ELb0ES3_jN6thrust23THRUST_200600_302600_NS6detail15normal_iteratorINS9_10device_ptrIsEEEENSB_INSC_IjEEEEPNS0_10empty_typeENS0_5tupleIJNS9_16discard_iteratorINS9_11use_defaultEEESH_EEENSJ_IJSM_SI_EEENS0_18inequality_wrapperINS9_8equal_toIsEEEEPmJSH_EEE10hipError_tPvRmT3_T4_T5_T6_T7_T9_mT8_P12ihipStream_tbDpT10_ENKUlT_T0_E_clISt17integral_constantIbLb1EES1D_EEDaS18_S19_EUlS18_E_NS1_11comp_targetILNS1_3genE8ELNS1_11target_archE1030ELNS1_3gpuE2ELNS1_3repE0EEENS1_30default_config_static_selectorELNS0_4arch9wavefront6targetE0EEEvT1_
    .private_segment_fixed_size: 0
    .sgpr_count:     0
    .sgpr_spill_count: 0
    .symbol:         _ZN7rocprim17ROCPRIM_400000_NS6detail17trampoline_kernelINS0_14default_configENS1_25partition_config_selectorILNS1_17partition_subalgoE9EsjbEEZZNS1_14partition_implILS5_9ELb0ES3_jN6thrust23THRUST_200600_302600_NS6detail15normal_iteratorINS9_10device_ptrIsEEEENSB_INSC_IjEEEEPNS0_10empty_typeENS0_5tupleIJNS9_16discard_iteratorINS9_11use_defaultEEESH_EEENSJ_IJSM_SI_EEENS0_18inequality_wrapperINS9_8equal_toIsEEEEPmJSH_EEE10hipError_tPvRmT3_T4_T5_T6_T7_T9_mT8_P12ihipStream_tbDpT10_ENKUlT_T0_E_clISt17integral_constantIbLb1EES1D_EEDaS18_S19_EUlS18_E_NS1_11comp_targetILNS1_3genE8ELNS1_11target_archE1030ELNS1_3gpuE2ELNS1_3repE0EEENS1_30default_config_static_selectorELNS0_4arch9wavefront6targetE0EEEvT1_.kd
    .uniform_work_group_size: 1
    .uses_dynamic_stack: false
    .vgpr_count:     0
    .vgpr_spill_count: 0
    .wavefront_size: 32
    .workgroup_processor_mode: 1
  - .args:
      - .offset:         0
        .size:           128
        .value_kind:     by_value
    .group_segment_fixed_size: 0
    .kernarg_segment_align: 8
    .kernarg_segment_size: 128
    .language:       OpenCL C
    .language_version:
      - 2
      - 0
    .max_flat_workgroup_size: 256
    .name:           _ZN7rocprim17ROCPRIM_400000_NS6detail17trampoline_kernelINS0_14default_configENS1_25partition_config_selectorILNS1_17partition_subalgoE9EsjbEEZZNS1_14partition_implILS5_9ELb0ES3_jN6thrust23THRUST_200600_302600_NS6detail15normal_iteratorINS9_10device_ptrIsEEEENSB_INSC_IjEEEEPNS0_10empty_typeENS0_5tupleIJNS9_16discard_iteratorINS9_11use_defaultEEESH_EEENSJ_IJSM_SI_EEENS0_18inequality_wrapperINS9_8equal_toIsEEEEPmJSH_EEE10hipError_tPvRmT3_T4_T5_T6_T7_T9_mT8_P12ihipStream_tbDpT10_ENKUlT_T0_E_clISt17integral_constantIbLb1EES1C_IbLb0EEEEDaS18_S19_EUlS18_E_NS1_11comp_targetILNS1_3genE0ELNS1_11target_archE4294967295ELNS1_3gpuE0ELNS1_3repE0EEENS1_30default_config_static_selectorELNS0_4arch9wavefront6targetE0EEEvT1_
    .private_segment_fixed_size: 0
    .sgpr_count:     0
    .sgpr_spill_count: 0
    .symbol:         _ZN7rocprim17ROCPRIM_400000_NS6detail17trampoline_kernelINS0_14default_configENS1_25partition_config_selectorILNS1_17partition_subalgoE9EsjbEEZZNS1_14partition_implILS5_9ELb0ES3_jN6thrust23THRUST_200600_302600_NS6detail15normal_iteratorINS9_10device_ptrIsEEEENSB_INSC_IjEEEEPNS0_10empty_typeENS0_5tupleIJNS9_16discard_iteratorINS9_11use_defaultEEESH_EEENSJ_IJSM_SI_EEENS0_18inequality_wrapperINS9_8equal_toIsEEEEPmJSH_EEE10hipError_tPvRmT3_T4_T5_T6_T7_T9_mT8_P12ihipStream_tbDpT10_ENKUlT_T0_E_clISt17integral_constantIbLb1EES1C_IbLb0EEEEDaS18_S19_EUlS18_E_NS1_11comp_targetILNS1_3genE0ELNS1_11target_archE4294967295ELNS1_3gpuE0ELNS1_3repE0EEENS1_30default_config_static_selectorELNS0_4arch9wavefront6targetE0EEEvT1_.kd
    .uniform_work_group_size: 1
    .uses_dynamic_stack: false
    .vgpr_count:     0
    .vgpr_spill_count: 0
    .wavefront_size: 32
    .workgroup_processor_mode: 1
  - .args:
      - .offset:         0
        .size:           128
        .value_kind:     by_value
    .group_segment_fixed_size: 0
    .kernarg_segment_align: 8
    .kernarg_segment_size: 128
    .language:       OpenCL C
    .language_version:
      - 2
      - 0
    .max_flat_workgroup_size: 512
    .name:           _ZN7rocprim17ROCPRIM_400000_NS6detail17trampoline_kernelINS0_14default_configENS1_25partition_config_selectorILNS1_17partition_subalgoE9EsjbEEZZNS1_14partition_implILS5_9ELb0ES3_jN6thrust23THRUST_200600_302600_NS6detail15normal_iteratorINS9_10device_ptrIsEEEENSB_INSC_IjEEEEPNS0_10empty_typeENS0_5tupleIJNS9_16discard_iteratorINS9_11use_defaultEEESH_EEENSJ_IJSM_SI_EEENS0_18inequality_wrapperINS9_8equal_toIsEEEEPmJSH_EEE10hipError_tPvRmT3_T4_T5_T6_T7_T9_mT8_P12ihipStream_tbDpT10_ENKUlT_T0_E_clISt17integral_constantIbLb1EES1C_IbLb0EEEEDaS18_S19_EUlS18_E_NS1_11comp_targetILNS1_3genE5ELNS1_11target_archE942ELNS1_3gpuE9ELNS1_3repE0EEENS1_30default_config_static_selectorELNS0_4arch9wavefront6targetE0EEEvT1_
    .private_segment_fixed_size: 0
    .sgpr_count:     0
    .sgpr_spill_count: 0
    .symbol:         _ZN7rocprim17ROCPRIM_400000_NS6detail17trampoline_kernelINS0_14default_configENS1_25partition_config_selectorILNS1_17partition_subalgoE9EsjbEEZZNS1_14partition_implILS5_9ELb0ES3_jN6thrust23THRUST_200600_302600_NS6detail15normal_iteratorINS9_10device_ptrIsEEEENSB_INSC_IjEEEEPNS0_10empty_typeENS0_5tupleIJNS9_16discard_iteratorINS9_11use_defaultEEESH_EEENSJ_IJSM_SI_EEENS0_18inequality_wrapperINS9_8equal_toIsEEEEPmJSH_EEE10hipError_tPvRmT3_T4_T5_T6_T7_T9_mT8_P12ihipStream_tbDpT10_ENKUlT_T0_E_clISt17integral_constantIbLb1EES1C_IbLb0EEEEDaS18_S19_EUlS18_E_NS1_11comp_targetILNS1_3genE5ELNS1_11target_archE942ELNS1_3gpuE9ELNS1_3repE0EEENS1_30default_config_static_selectorELNS0_4arch9wavefront6targetE0EEEvT1_.kd
    .uniform_work_group_size: 1
    .uses_dynamic_stack: false
    .vgpr_count:     0
    .vgpr_spill_count: 0
    .wavefront_size: 32
    .workgroup_processor_mode: 1
  - .args:
      - .offset:         0
        .size:           128
        .value_kind:     by_value
    .group_segment_fixed_size: 0
    .kernarg_segment_align: 8
    .kernarg_segment_size: 128
    .language:       OpenCL C
    .language_version:
      - 2
      - 0
    .max_flat_workgroup_size: 192
    .name:           _ZN7rocprim17ROCPRIM_400000_NS6detail17trampoline_kernelINS0_14default_configENS1_25partition_config_selectorILNS1_17partition_subalgoE9EsjbEEZZNS1_14partition_implILS5_9ELb0ES3_jN6thrust23THRUST_200600_302600_NS6detail15normal_iteratorINS9_10device_ptrIsEEEENSB_INSC_IjEEEEPNS0_10empty_typeENS0_5tupleIJNS9_16discard_iteratorINS9_11use_defaultEEESH_EEENSJ_IJSM_SI_EEENS0_18inequality_wrapperINS9_8equal_toIsEEEEPmJSH_EEE10hipError_tPvRmT3_T4_T5_T6_T7_T9_mT8_P12ihipStream_tbDpT10_ENKUlT_T0_E_clISt17integral_constantIbLb1EES1C_IbLb0EEEEDaS18_S19_EUlS18_E_NS1_11comp_targetILNS1_3genE4ELNS1_11target_archE910ELNS1_3gpuE8ELNS1_3repE0EEENS1_30default_config_static_selectorELNS0_4arch9wavefront6targetE0EEEvT1_
    .private_segment_fixed_size: 0
    .sgpr_count:     0
    .sgpr_spill_count: 0
    .symbol:         _ZN7rocprim17ROCPRIM_400000_NS6detail17trampoline_kernelINS0_14default_configENS1_25partition_config_selectorILNS1_17partition_subalgoE9EsjbEEZZNS1_14partition_implILS5_9ELb0ES3_jN6thrust23THRUST_200600_302600_NS6detail15normal_iteratorINS9_10device_ptrIsEEEENSB_INSC_IjEEEEPNS0_10empty_typeENS0_5tupleIJNS9_16discard_iteratorINS9_11use_defaultEEESH_EEENSJ_IJSM_SI_EEENS0_18inequality_wrapperINS9_8equal_toIsEEEEPmJSH_EEE10hipError_tPvRmT3_T4_T5_T6_T7_T9_mT8_P12ihipStream_tbDpT10_ENKUlT_T0_E_clISt17integral_constantIbLb1EES1C_IbLb0EEEEDaS18_S19_EUlS18_E_NS1_11comp_targetILNS1_3genE4ELNS1_11target_archE910ELNS1_3gpuE8ELNS1_3repE0EEENS1_30default_config_static_selectorELNS0_4arch9wavefront6targetE0EEEvT1_.kd
    .uniform_work_group_size: 1
    .uses_dynamic_stack: false
    .vgpr_count:     0
    .vgpr_spill_count: 0
    .wavefront_size: 32
    .workgroup_processor_mode: 1
  - .args:
      - .offset:         0
        .size:           128
        .value_kind:     by_value
    .group_segment_fixed_size: 0
    .kernarg_segment_align: 8
    .kernarg_segment_size: 128
    .language:       OpenCL C
    .language_version:
      - 2
      - 0
    .max_flat_workgroup_size: 256
    .name:           _ZN7rocprim17ROCPRIM_400000_NS6detail17trampoline_kernelINS0_14default_configENS1_25partition_config_selectorILNS1_17partition_subalgoE9EsjbEEZZNS1_14partition_implILS5_9ELb0ES3_jN6thrust23THRUST_200600_302600_NS6detail15normal_iteratorINS9_10device_ptrIsEEEENSB_INSC_IjEEEEPNS0_10empty_typeENS0_5tupleIJNS9_16discard_iteratorINS9_11use_defaultEEESH_EEENSJ_IJSM_SI_EEENS0_18inequality_wrapperINS9_8equal_toIsEEEEPmJSH_EEE10hipError_tPvRmT3_T4_T5_T6_T7_T9_mT8_P12ihipStream_tbDpT10_ENKUlT_T0_E_clISt17integral_constantIbLb1EES1C_IbLb0EEEEDaS18_S19_EUlS18_E_NS1_11comp_targetILNS1_3genE3ELNS1_11target_archE908ELNS1_3gpuE7ELNS1_3repE0EEENS1_30default_config_static_selectorELNS0_4arch9wavefront6targetE0EEEvT1_
    .private_segment_fixed_size: 0
    .sgpr_count:     0
    .sgpr_spill_count: 0
    .symbol:         _ZN7rocprim17ROCPRIM_400000_NS6detail17trampoline_kernelINS0_14default_configENS1_25partition_config_selectorILNS1_17partition_subalgoE9EsjbEEZZNS1_14partition_implILS5_9ELb0ES3_jN6thrust23THRUST_200600_302600_NS6detail15normal_iteratorINS9_10device_ptrIsEEEENSB_INSC_IjEEEEPNS0_10empty_typeENS0_5tupleIJNS9_16discard_iteratorINS9_11use_defaultEEESH_EEENSJ_IJSM_SI_EEENS0_18inequality_wrapperINS9_8equal_toIsEEEEPmJSH_EEE10hipError_tPvRmT3_T4_T5_T6_T7_T9_mT8_P12ihipStream_tbDpT10_ENKUlT_T0_E_clISt17integral_constantIbLb1EES1C_IbLb0EEEEDaS18_S19_EUlS18_E_NS1_11comp_targetILNS1_3genE3ELNS1_11target_archE908ELNS1_3gpuE7ELNS1_3repE0EEENS1_30default_config_static_selectorELNS0_4arch9wavefront6targetE0EEEvT1_.kd
    .uniform_work_group_size: 1
    .uses_dynamic_stack: false
    .vgpr_count:     0
    .vgpr_spill_count: 0
    .wavefront_size: 32
    .workgroup_processor_mode: 1
  - .args:
      - .offset:         0
        .size:           128
        .value_kind:     by_value
    .group_segment_fixed_size: 0
    .kernarg_segment_align: 8
    .kernarg_segment_size: 128
    .language:       OpenCL C
    .language_version:
      - 2
      - 0
    .max_flat_workgroup_size: 256
    .name:           _ZN7rocprim17ROCPRIM_400000_NS6detail17trampoline_kernelINS0_14default_configENS1_25partition_config_selectorILNS1_17partition_subalgoE9EsjbEEZZNS1_14partition_implILS5_9ELb0ES3_jN6thrust23THRUST_200600_302600_NS6detail15normal_iteratorINS9_10device_ptrIsEEEENSB_INSC_IjEEEEPNS0_10empty_typeENS0_5tupleIJNS9_16discard_iteratorINS9_11use_defaultEEESH_EEENSJ_IJSM_SI_EEENS0_18inequality_wrapperINS9_8equal_toIsEEEEPmJSH_EEE10hipError_tPvRmT3_T4_T5_T6_T7_T9_mT8_P12ihipStream_tbDpT10_ENKUlT_T0_E_clISt17integral_constantIbLb1EES1C_IbLb0EEEEDaS18_S19_EUlS18_E_NS1_11comp_targetILNS1_3genE2ELNS1_11target_archE906ELNS1_3gpuE6ELNS1_3repE0EEENS1_30default_config_static_selectorELNS0_4arch9wavefront6targetE0EEEvT1_
    .private_segment_fixed_size: 0
    .sgpr_count:     0
    .sgpr_spill_count: 0
    .symbol:         _ZN7rocprim17ROCPRIM_400000_NS6detail17trampoline_kernelINS0_14default_configENS1_25partition_config_selectorILNS1_17partition_subalgoE9EsjbEEZZNS1_14partition_implILS5_9ELb0ES3_jN6thrust23THRUST_200600_302600_NS6detail15normal_iteratorINS9_10device_ptrIsEEEENSB_INSC_IjEEEEPNS0_10empty_typeENS0_5tupleIJNS9_16discard_iteratorINS9_11use_defaultEEESH_EEENSJ_IJSM_SI_EEENS0_18inequality_wrapperINS9_8equal_toIsEEEEPmJSH_EEE10hipError_tPvRmT3_T4_T5_T6_T7_T9_mT8_P12ihipStream_tbDpT10_ENKUlT_T0_E_clISt17integral_constantIbLb1EES1C_IbLb0EEEEDaS18_S19_EUlS18_E_NS1_11comp_targetILNS1_3genE2ELNS1_11target_archE906ELNS1_3gpuE6ELNS1_3repE0EEENS1_30default_config_static_selectorELNS0_4arch9wavefront6targetE0EEEvT1_.kd
    .uniform_work_group_size: 1
    .uses_dynamic_stack: false
    .vgpr_count:     0
    .vgpr_spill_count: 0
    .wavefront_size: 32
    .workgroup_processor_mode: 1
  - .args:
      - .offset:         0
        .size:           128
        .value_kind:     by_value
    .group_segment_fixed_size: 0
    .kernarg_segment_align: 8
    .kernarg_segment_size: 128
    .language:       OpenCL C
    .language_version:
      - 2
      - 0
    .max_flat_workgroup_size: 512
    .name:           _ZN7rocprim17ROCPRIM_400000_NS6detail17trampoline_kernelINS0_14default_configENS1_25partition_config_selectorILNS1_17partition_subalgoE9EsjbEEZZNS1_14partition_implILS5_9ELb0ES3_jN6thrust23THRUST_200600_302600_NS6detail15normal_iteratorINS9_10device_ptrIsEEEENSB_INSC_IjEEEEPNS0_10empty_typeENS0_5tupleIJNS9_16discard_iteratorINS9_11use_defaultEEESH_EEENSJ_IJSM_SI_EEENS0_18inequality_wrapperINS9_8equal_toIsEEEEPmJSH_EEE10hipError_tPvRmT3_T4_T5_T6_T7_T9_mT8_P12ihipStream_tbDpT10_ENKUlT_T0_E_clISt17integral_constantIbLb1EES1C_IbLb0EEEEDaS18_S19_EUlS18_E_NS1_11comp_targetILNS1_3genE10ELNS1_11target_archE1200ELNS1_3gpuE4ELNS1_3repE0EEENS1_30default_config_static_selectorELNS0_4arch9wavefront6targetE0EEEvT1_
    .private_segment_fixed_size: 0
    .sgpr_count:     0
    .sgpr_spill_count: 0
    .symbol:         _ZN7rocprim17ROCPRIM_400000_NS6detail17trampoline_kernelINS0_14default_configENS1_25partition_config_selectorILNS1_17partition_subalgoE9EsjbEEZZNS1_14partition_implILS5_9ELb0ES3_jN6thrust23THRUST_200600_302600_NS6detail15normal_iteratorINS9_10device_ptrIsEEEENSB_INSC_IjEEEEPNS0_10empty_typeENS0_5tupleIJNS9_16discard_iteratorINS9_11use_defaultEEESH_EEENSJ_IJSM_SI_EEENS0_18inequality_wrapperINS9_8equal_toIsEEEEPmJSH_EEE10hipError_tPvRmT3_T4_T5_T6_T7_T9_mT8_P12ihipStream_tbDpT10_ENKUlT_T0_E_clISt17integral_constantIbLb1EES1C_IbLb0EEEEDaS18_S19_EUlS18_E_NS1_11comp_targetILNS1_3genE10ELNS1_11target_archE1200ELNS1_3gpuE4ELNS1_3repE0EEENS1_30default_config_static_selectorELNS0_4arch9wavefront6targetE0EEEvT1_.kd
    .uniform_work_group_size: 1
    .uses_dynamic_stack: false
    .vgpr_count:     0
    .vgpr_spill_count: 0
    .wavefront_size: 32
    .workgroup_processor_mode: 1
  - .args:
      - .offset:         0
        .size:           128
        .value_kind:     by_value
    .group_segment_fixed_size: 5640
    .kernarg_segment_align: 8
    .kernarg_segment_size: 128
    .language:       OpenCL C
    .language_version:
      - 2
      - 0
    .max_flat_workgroup_size: 128
    .name:           _ZN7rocprim17ROCPRIM_400000_NS6detail17trampoline_kernelINS0_14default_configENS1_25partition_config_selectorILNS1_17partition_subalgoE9EsjbEEZZNS1_14partition_implILS5_9ELb0ES3_jN6thrust23THRUST_200600_302600_NS6detail15normal_iteratorINS9_10device_ptrIsEEEENSB_INSC_IjEEEEPNS0_10empty_typeENS0_5tupleIJNS9_16discard_iteratorINS9_11use_defaultEEESH_EEENSJ_IJSM_SI_EEENS0_18inequality_wrapperINS9_8equal_toIsEEEEPmJSH_EEE10hipError_tPvRmT3_T4_T5_T6_T7_T9_mT8_P12ihipStream_tbDpT10_ENKUlT_T0_E_clISt17integral_constantIbLb1EES1C_IbLb0EEEEDaS18_S19_EUlS18_E_NS1_11comp_targetILNS1_3genE9ELNS1_11target_archE1100ELNS1_3gpuE3ELNS1_3repE0EEENS1_30default_config_static_selectorELNS0_4arch9wavefront6targetE0EEEvT1_
    .private_segment_fixed_size: 0
    .sgpr_count:     25
    .sgpr_spill_count: 0
    .symbol:         _ZN7rocprim17ROCPRIM_400000_NS6detail17trampoline_kernelINS0_14default_configENS1_25partition_config_selectorILNS1_17partition_subalgoE9EsjbEEZZNS1_14partition_implILS5_9ELb0ES3_jN6thrust23THRUST_200600_302600_NS6detail15normal_iteratorINS9_10device_ptrIsEEEENSB_INSC_IjEEEEPNS0_10empty_typeENS0_5tupleIJNS9_16discard_iteratorINS9_11use_defaultEEESH_EEENSJ_IJSM_SI_EEENS0_18inequality_wrapperINS9_8equal_toIsEEEEPmJSH_EEE10hipError_tPvRmT3_T4_T5_T6_T7_T9_mT8_P12ihipStream_tbDpT10_ENKUlT_T0_E_clISt17integral_constantIbLb1EES1C_IbLb0EEEEDaS18_S19_EUlS18_E_NS1_11comp_targetILNS1_3genE9ELNS1_11target_archE1100ELNS1_3gpuE3ELNS1_3repE0EEENS1_30default_config_static_selectorELNS0_4arch9wavefront6targetE0EEEvT1_.kd
    .uniform_work_group_size: 1
    .uses_dynamic_stack: false
    .vgpr_count:     61
    .vgpr_spill_count: 0
    .wavefront_size: 32
    .workgroup_processor_mode: 1
  - .args:
      - .offset:         0
        .size:           128
        .value_kind:     by_value
    .group_segment_fixed_size: 0
    .kernarg_segment_align: 8
    .kernarg_segment_size: 128
    .language:       OpenCL C
    .language_version:
      - 2
      - 0
    .max_flat_workgroup_size: 512
    .name:           _ZN7rocprim17ROCPRIM_400000_NS6detail17trampoline_kernelINS0_14default_configENS1_25partition_config_selectorILNS1_17partition_subalgoE9EsjbEEZZNS1_14partition_implILS5_9ELb0ES3_jN6thrust23THRUST_200600_302600_NS6detail15normal_iteratorINS9_10device_ptrIsEEEENSB_INSC_IjEEEEPNS0_10empty_typeENS0_5tupleIJNS9_16discard_iteratorINS9_11use_defaultEEESH_EEENSJ_IJSM_SI_EEENS0_18inequality_wrapperINS9_8equal_toIsEEEEPmJSH_EEE10hipError_tPvRmT3_T4_T5_T6_T7_T9_mT8_P12ihipStream_tbDpT10_ENKUlT_T0_E_clISt17integral_constantIbLb1EES1C_IbLb0EEEEDaS18_S19_EUlS18_E_NS1_11comp_targetILNS1_3genE8ELNS1_11target_archE1030ELNS1_3gpuE2ELNS1_3repE0EEENS1_30default_config_static_selectorELNS0_4arch9wavefront6targetE0EEEvT1_
    .private_segment_fixed_size: 0
    .sgpr_count:     0
    .sgpr_spill_count: 0
    .symbol:         _ZN7rocprim17ROCPRIM_400000_NS6detail17trampoline_kernelINS0_14default_configENS1_25partition_config_selectorILNS1_17partition_subalgoE9EsjbEEZZNS1_14partition_implILS5_9ELb0ES3_jN6thrust23THRUST_200600_302600_NS6detail15normal_iteratorINS9_10device_ptrIsEEEENSB_INSC_IjEEEEPNS0_10empty_typeENS0_5tupleIJNS9_16discard_iteratorINS9_11use_defaultEEESH_EEENSJ_IJSM_SI_EEENS0_18inequality_wrapperINS9_8equal_toIsEEEEPmJSH_EEE10hipError_tPvRmT3_T4_T5_T6_T7_T9_mT8_P12ihipStream_tbDpT10_ENKUlT_T0_E_clISt17integral_constantIbLb1EES1C_IbLb0EEEEDaS18_S19_EUlS18_E_NS1_11comp_targetILNS1_3genE8ELNS1_11target_archE1030ELNS1_3gpuE2ELNS1_3repE0EEENS1_30default_config_static_selectorELNS0_4arch9wavefront6targetE0EEEvT1_.kd
    .uniform_work_group_size: 1
    .uses_dynamic_stack: false
    .vgpr_count:     0
    .vgpr_spill_count: 0
    .wavefront_size: 32
    .workgroup_processor_mode: 1
  - .args:
      - .offset:         0
        .size:           144
        .value_kind:     by_value
    .group_segment_fixed_size: 0
    .kernarg_segment_align: 8
    .kernarg_segment_size: 144
    .language:       OpenCL C
    .language_version:
      - 2
      - 0
    .max_flat_workgroup_size: 256
    .name:           _ZN7rocprim17ROCPRIM_400000_NS6detail17trampoline_kernelINS0_14default_configENS1_25partition_config_selectorILNS1_17partition_subalgoE9EsjbEEZZNS1_14partition_implILS5_9ELb0ES3_jN6thrust23THRUST_200600_302600_NS6detail15normal_iteratorINS9_10device_ptrIsEEEENSB_INSC_IjEEEEPNS0_10empty_typeENS0_5tupleIJNS9_16discard_iteratorINS9_11use_defaultEEESH_EEENSJ_IJSM_SI_EEENS0_18inequality_wrapperINS9_8equal_toIsEEEEPmJSH_EEE10hipError_tPvRmT3_T4_T5_T6_T7_T9_mT8_P12ihipStream_tbDpT10_ENKUlT_T0_E_clISt17integral_constantIbLb0EES1C_IbLb1EEEEDaS18_S19_EUlS18_E_NS1_11comp_targetILNS1_3genE0ELNS1_11target_archE4294967295ELNS1_3gpuE0ELNS1_3repE0EEENS1_30default_config_static_selectorELNS0_4arch9wavefront6targetE0EEEvT1_
    .private_segment_fixed_size: 0
    .sgpr_count:     0
    .sgpr_spill_count: 0
    .symbol:         _ZN7rocprim17ROCPRIM_400000_NS6detail17trampoline_kernelINS0_14default_configENS1_25partition_config_selectorILNS1_17partition_subalgoE9EsjbEEZZNS1_14partition_implILS5_9ELb0ES3_jN6thrust23THRUST_200600_302600_NS6detail15normal_iteratorINS9_10device_ptrIsEEEENSB_INSC_IjEEEEPNS0_10empty_typeENS0_5tupleIJNS9_16discard_iteratorINS9_11use_defaultEEESH_EEENSJ_IJSM_SI_EEENS0_18inequality_wrapperINS9_8equal_toIsEEEEPmJSH_EEE10hipError_tPvRmT3_T4_T5_T6_T7_T9_mT8_P12ihipStream_tbDpT10_ENKUlT_T0_E_clISt17integral_constantIbLb0EES1C_IbLb1EEEEDaS18_S19_EUlS18_E_NS1_11comp_targetILNS1_3genE0ELNS1_11target_archE4294967295ELNS1_3gpuE0ELNS1_3repE0EEENS1_30default_config_static_selectorELNS0_4arch9wavefront6targetE0EEEvT1_.kd
    .uniform_work_group_size: 1
    .uses_dynamic_stack: false
    .vgpr_count:     0
    .vgpr_spill_count: 0
    .wavefront_size: 32
    .workgroup_processor_mode: 1
  - .args:
      - .offset:         0
        .size:           144
        .value_kind:     by_value
    .group_segment_fixed_size: 0
    .kernarg_segment_align: 8
    .kernarg_segment_size: 144
    .language:       OpenCL C
    .language_version:
      - 2
      - 0
    .max_flat_workgroup_size: 512
    .name:           _ZN7rocprim17ROCPRIM_400000_NS6detail17trampoline_kernelINS0_14default_configENS1_25partition_config_selectorILNS1_17partition_subalgoE9EsjbEEZZNS1_14partition_implILS5_9ELb0ES3_jN6thrust23THRUST_200600_302600_NS6detail15normal_iteratorINS9_10device_ptrIsEEEENSB_INSC_IjEEEEPNS0_10empty_typeENS0_5tupleIJNS9_16discard_iteratorINS9_11use_defaultEEESH_EEENSJ_IJSM_SI_EEENS0_18inequality_wrapperINS9_8equal_toIsEEEEPmJSH_EEE10hipError_tPvRmT3_T4_T5_T6_T7_T9_mT8_P12ihipStream_tbDpT10_ENKUlT_T0_E_clISt17integral_constantIbLb0EES1C_IbLb1EEEEDaS18_S19_EUlS18_E_NS1_11comp_targetILNS1_3genE5ELNS1_11target_archE942ELNS1_3gpuE9ELNS1_3repE0EEENS1_30default_config_static_selectorELNS0_4arch9wavefront6targetE0EEEvT1_
    .private_segment_fixed_size: 0
    .sgpr_count:     0
    .sgpr_spill_count: 0
    .symbol:         _ZN7rocprim17ROCPRIM_400000_NS6detail17trampoline_kernelINS0_14default_configENS1_25partition_config_selectorILNS1_17partition_subalgoE9EsjbEEZZNS1_14partition_implILS5_9ELb0ES3_jN6thrust23THRUST_200600_302600_NS6detail15normal_iteratorINS9_10device_ptrIsEEEENSB_INSC_IjEEEEPNS0_10empty_typeENS0_5tupleIJNS9_16discard_iteratorINS9_11use_defaultEEESH_EEENSJ_IJSM_SI_EEENS0_18inequality_wrapperINS9_8equal_toIsEEEEPmJSH_EEE10hipError_tPvRmT3_T4_T5_T6_T7_T9_mT8_P12ihipStream_tbDpT10_ENKUlT_T0_E_clISt17integral_constantIbLb0EES1C_IbLb1EEEEDaS18_S19_EUlS18_E_NS1_11comp_targetILNS1_3genE5ELNS1_11target_archE942ELNS1_3gpuE9ELNS1_3repE0EEENS1_30default_config_static_selectorELNS0_4arch9wavefront6targetE0EEEvT1_.kd
    .uniform_work_group_size: 1
    .uses_dynamic_stack: false
    .vgpr_count:     0
    .vgpr_spill_count: 0
    .wavefront_size: 32
    .workgroup_processor_mode: 1
  - .args:
      - .offset:         0
        .size:           144
        .value_kind:     by_value
    .group_segment_fixed_size: 0
    .kernarg_segment_align: 8
    .kernarg_segment_size: 144
    .language:       OpenCL C
    .language_version:
      - 2
      - 0
    .max_flat_workgroup_size: 192
    .name:           _ZN7rocprim17ROCPRIM_400000_NS6detail17trampoline_kernelINS0_14default_configENS1_25partition_config_selectorILNS1_17partition_subalgoE9EsjbEEZZNS1_14partition_implILS5_9ELb0ES3_jN6thrust23THRUST_200600_302600_NS6detail15normal_iteratorINS9_10device_ptrIsEEEENSB_INSC_IjEEEEPNS0_10empty_typeENS0_5tupleIJNS9_16discard_iteratorINS9_11use_defaultEEESH_EEENSJ_IJSM_SI_EEENS0_18inequality_wrapperINS9_8equal_toIsEEEEPmJSH_EEE10hipError_tPvRmT3_T4_T5_T6_T7_T9_mT8_P12ihipStream_tbDpT10_ENKUlT_T0_E_clISt17integral_constantIbLb0EES1C_IbLb1EEEEDaS18_S19_EUlS18_E_NS1_11comp_targetILNS1_3genE4ELNS1_11target_archE910ELNS1_3gpuE8ELNS1_3repE0EEENS1_30default_config_static_selectorELNS0_4arch9wavefront6targetE0EEEvT1_
    .private_segment_fixed_size: 0
    .sgpr_count:     0
    .sgpr_spill_count: 0
    .symbol:         _ZN7rocprim17ROCPRIM_400000_NS6detail17trampoline_kernelINS0_14default_configENS1_25partition_config_selectorILNS1_17partition_subalgoE9EsjbEEZZNS1_14partition_implILS5_9ELb0ES3_jN6thrust23THRUST_200600_302600_NS6detail15normal_iteratorINS9_10device_ptrIsEEEENSB_INSC_IjEEEEPNS0_10empty_typeENS0_5tupleIJNS9_16discard_iteratorINS9_11use_defaultEEESH_EEENSJ_IJSM_SI_EEENS0_18inequality_wrapperINS9_8equal_toIsEEEEPmJSH_EEE10hipError_tPvRmT3_T4_T5_T6_T7_T9_mT8_P12ihipStream_tbDpT10_ENKUlT_T0_E_clISt17integral_constantIbLb0EES1C_IbLb1EEEEDaS18_S19_EUlS18_E_NS1_11comp_targetILNS1_3genE4ELNS1_11target_archE910ELNS1_3gpuE8ELNS1_3repE0EEENS1_30default_config_static_selectorELNS0_4arch9wavefront6targetE0EEEvT1_.kd
    .uniform_work_group_size: 1
    .uses_dynamic_stack: false
    .vgpr_count:     0
    .vgpr_spill_count: 0
    .wavefront_size: 32
    .workgroup_processor_mode: 1
  - .args:
      - .offset:         0
        .size:           144
        .value_kind:     by_value
    .group_segment_fixed_size: 0
    .kernarg_segment_align: 8
    .kernarg_segment_size: 144
    .language:       OpenCL C
    .language_version:
      - 2
      - 0
    .max_flat_workgroup_size: 256
    .name:           _ZN7rocprim17ROCPRIM_400000_NS6detail17trampoline_kernelINS0_14default_configENS1_25partition_config_selectorILNS1_17partition_subalgoE9EsjbEEZZNS1_14partition_implILS5_9ELb0ES3_jN6thrust23THRUST_200600_302600_NS6detail15normal_iteratorINS9_10device_ptrIsEEEENSB_INSC_IjEEEEPNS0_10empty_typeENS0_5tupleIJNS9_16discard_iteratorINS9_11use_defaultEEESH_EEENSJ_IJSM_SI_EEENS0_18inequality_wrapperINS9_8equal_toIsEEEEPmJSH_EEE10hipError_tPvRmT3_T4_T5_T6_T7_T9_mT8_P12ihipStream_tbDpT10_ENKUlT_T0_E_clISt17integral_constantIbLb0EES1C_IbLb1EEEEDaS18_S19_EUlS18_E_NS1_11comp_targetILNS1_3genE3ELNS1_11target_archE908ELNS1_3gpuE7ELNS1_3repE0EEENS1_30default_config_static_selectorELNS0_4arch9wavefront6targetE0EEEvT1_
    .private_segment_fixed_size: 0
    .sgpr_count:     0
    .sgpr_spill_count: 0
    .symbol:         _ZN7rocprim17ROCPRIM_400000_NS6detail17trampoline_kernelINS0_14default_configENS1_25partition_config_selectorILNS1_17partition_subalgoE9EsjbEEZZNS1_14partition_implILS5_9ELb0ES3_jN6thrust23THRUST_200600_302600_NS6detail15normal_iteratorINS9_10device_ptrIsEEEENSB_INSC_IjEEEEPNS0_10empty_typeENS0_5tupleIJNS9_16discard_iteratorINS9_11use_defaultEEESH_EEENSJ_IJSM_SI_EEENS0_18inequality_wrapperINS9_8equal_toIsEEEEPmJSH_EEE10hipError_tPvRmT3_T4_T5_T6_T7_T9_mT8_P12ihipStream_tbDpT10_ENKUlT_T0_E_clISt17integral_constantIbLb0EES1C_IbLb1EEEEDaS18_S19_EUlS18_E_NS1_11comp_targetILNS1_3genE3ELNS1_11target_archE908ELNS1_3gpuE7ELNS1_3repE0EEENS1_30default_config_static_selectorELNS0_4arch9wavefront6targetE0EEEvT1_.kd
    .uniform_work_group_size: 1
    .uses_dynamic_stack: false
    .vgpr_count:     0
    .vgpr_spill_count: 0
    .wavefront_size: 32
    .workgroup_processor_mode: 1
  - .args:
      - .offset:         0
        .size:           144
        .value_kind:     by_value
    .group_segment_fixed_size: 0
    .kernarg_segment_align: 8
    .kernarg_segment_size: 144
    .language:       OpenCL C
    .language_version:
      - 2
      - 0
    .max_flat_workgroup_size: 256
    .name:           _ZN7rocprim17ROCPRIM_400000_NS6detail17trampoline_kernelINS0_14default_configENS1_25partition_config_selectorILNS1_17partition_subalgoE9EsjbEEZZNS1_14partition_implILS5_9ELb0ES3_jN6thrust23THRUST_200600_302600_NS6detail15normal_iteratorINS9_10device_ptrIsEEEENSB_INSC_IjEEEEPNS0_10empty_typeENS0_5tupleIJNS9_16discard_iteratorINS9_11use_defaultEEESH_EEENSJ_IJSM_SI_EEENS0_18inequality_wrapperINS9_8equal_toIsEEEEPmJSH_EEE10hipError_tPvRmT3_T4_T5_T6_T7_T9_mT8_P12ihipStream_tbDpT10_ENKUlT_T0_E_clISt17integral_constantIbLb0EES1C_IbLb1EEEEDaS18_S19_EUlS18_E_NS1_11comp_targetILNS1_3genE2ELNS1_11target_archE906ELNS1_3gpuE6ELNS1_3repE0EEENS1_30default_config_static_selectorELNS0_4arch9wavefront6targetE0EEEvT1_
    .private_segment_fixed_size: 0
    .sgpr_count:     0
    .sgpr_spill_count: 0
    .symbol:         _ZN7rocprim17ROCPRIM_400000_NS6detail17trampoline_kernelINS0_14default_configENS1_25partition_config_selectorILNS1_17partition_subalgoE9EsjbEEZZNS1_14partition_implILS5_9ELb0ES3_jN6thrust23THRUST_200600_302600_NS6detail15normal_iteratorINS9_10device_ptrIsEEEENSB_INSC_IjEEEEPNS0_10empty_typeENS0_5tupleIJNS9_16discard_iteratorINS9_11use_defaultEEESH_EEENSJ_IJSM_SI_EEENS0_18inequality_wrapperINS9_8equal_toIsEEEEPmJSH_EEE10hipError_tPvRmT3_T4_T5_T6_T7_T9_mT8_P12ihipStream_tbDpT10_ENKUlT_T0_E_clISt17integral_constantIbLb0EES1C_IbLb1EEEEDaS18_S19_EUlS18_E_NS1_11comp_targetILNS1_3genE2ELNS1_11target_archE906ELNS1_3gpuE6ELNS1_3repE0EEENS1_30default_config_static_selectorELNS0_4arch9wavefront6targetE0EEEvT1_.kd
    .uniform_work_group_size: 1
    .uses_dynamic_stack: false
    .vgpr_count:     0
    .vgpr_spill_count: 0
    .wavefront_size: 32
    .workgroup_processor_mode: 1
  - .args:
      - .offset:         0
        .size:           144
        .value_kind:     by_value
    .group_segment_fixed_size: 0
    .kernarg_segment_align: 8
    .kernarg_segment_size: 144
    .language:       OpenCL C
    .language_version:
      - 2
      - 0
    .max_flat_workgroup_size: 512
    .name:           _ZN7rocprim17ROCPRIM_400000_NS6detail17trampoline_kernelINS0_14default_configENS1_25partition_config_selectorILNS1_17partition_subalgoE9EsjbEEZZNS1_14partition_implILS5_9ELb0ES3_jN6thrust23THRUST_200600_302600_NS6detail15normal_iteratorINS9_10device_ptrIsEEEENSB_INSC_IjEEEEPNS0_10empty_typeENS0_5tupleIJNS9_16discard_iteratorINS9_11use_defaultEEESH_EEENSJ_IJSM_SI_EEENS0_18inequality_wrapperINS9_8equal_toIsEEEEPmJSH_EEE10hipError_tPvRmT3_T4_T5_T6_T7_T9_mT8_P12ihipStream_tbDpT10_ENKUlT_T0_E_clISt17integral_constantIbLb0EES1C_IbLb1EEEEDaS18_S19_EUlS18_E_NS1_11comp_targetILNS1_3genE10ELNS1_11target_archE1200ELNS1_3gpuE4ELNS1_3repE0EEENS1_30default_config_static_selectorELNS0_4arch9wavefront6targetE0EEEvT1_
    .private_segment_fixed_size: 0
    .sgpr_count:     0
    .sgpr_spill_count: 0
    .symbol:         _ZN7rocprim17ROCPRIM_400000_NS6detail17trampoline_kernelINS0_14default_configENS1_25partition_config_selectorILNS1_17partition_subalgoE9EsjbEEZZNS1_14partition_implILS5_9ELb0ES3_jN6thrust23THRUST_200600_302600_NS6detail15normal_iteratorINS9_10device_ptrIsEEEENSB_INSC_IjEEEEPNS0_10empty_typeENS0_5tupleIJNS9_16discard_iteratorINS9_11use_defaultEEESH_EEENSJ_IJSM_SI_EEENS0_18inequality_wrapperINS9_8equal_toIsEEEEPmJSH_EEE10hipError_tPvRmT3_T4_T5_T6_T7_T9_mT8_P12ihipStream_tbDpT10_ENKUlT_T0_E_clISt17integral_constantIbLb0EES1C_IbLb1EEEEDaS18_S19_EUlS18_E_NS1_11comp_targetILNS1_3genE10ELNS1_11target_archE1200ELNS1_3gpuE4ELNS1_3repE0EEENS1_30default_config_static_selectorELNS0_4arch9wavefront6targetE0EEEvT1_.kd
    .uniform_work_group_size: 1
    .uses_dynamic_stack: false
    .vgpr_count:     0
    .vgpr_spill_count: 0
    .wavefront_size: 32
    .workgroup_processor_mode: 1
  - .args:
      - .offset:         0
        .size:           144
        .value_kind:     by_value
    .group_segment_fixed_size: 5640
    .kernarg_segment_align: 8
    .kernarg_segment_size: 144
    .language:       OpenCL C
    .language_version:
      - 2
      - 0
    .max_flat_workgroup_size: 128
    .name:           _ZN7rocprim17ROCPRIM_400000_NS6detail17trampoline_kernelINS0_14default_configENS1_25partition_config_selectorILNS1_17partition_subalgoE9EsjbEEZZNS1_14partition_implILS5_9ELb0ES3_jN6thrust23THRUST_200600_302600_NS6detail15normal_iteratorINS9_10device_ptrIsEEEENSB_INSC_IjEEEEPNS0_10empty_typeENS0_5tupleIJNS9_16discard_iteratorINS9_11use_defaultEEESH_EEENSJ_IJSM_SI_EEENS0_18inequality_wrapperINS9_8equal_toIsEEEEPmJSH_EEE10hipError_tPvRmT3_T4_T5_T6_T7_T9_mT8_P12ihipStream_tbDpT10_ENKUlT_T0_E_clISt17integral_constantIbLb0EES1C_IbLb1EEEEDaS18_S19_EUlS18_E_NS1_11comp_targetILNS1_3genE9ELNS1_11target_archE1100ELNS1_3gpuE3ELNS1_3repE0EEENS1_30default_config_static_selectorELNS0_4arch9wavefront6targetE0EEEvT1_
    .private_segment_fixed_size: 0
    .sgpr_count:     26
    .sgpr_spill_count: 0
    .symbol:         _ZN7rocprim17ROCPRIM_400000_NS6detail17trampoline_kernelINS0_14default_configENS1_25partition_config_selectorILNS1_17partition_subalgoE9EsjbEEZZNS1_14partition_implILS5_9ELb0ES3_jN6thrust23THRUST_200600_302600_NS6detail15normal_iteratorINS9_10device_ptrIsEEEENSB_INSC_IjEEEEPNS0_10empty_typeENS0_5tupleIJNS9_16discard_iteratorINS9_11use_defaultEEESH_EEENSJ_IJSM_SI_EEENS0_18inequality_wrapperINS9_8equal_toIsEEEEPmJSH_EEE10hipError_tPvRmT3_T4_T5_T6_T7_T9_mT8_P12ihipStream_tbDpT10_ENKUlT_T0_E_clISt17integral_constantIbLb0EES1C_IbLb1EEEEDaS18_S19_EUlS18_E_NS1_11comp_targetILNS1_3genE9ELNS1_11target_archE1100ELNS1_3gpuE3ELNS1_3repE0EEENS1_30default_config_static_selectorELNS0_4arch9wavefront6targetE0EEEvT1_.kd
    .uniform_work_group_size: 1
    .uses_dynamic_stack: false
    .vgpr_count:     63
    .vgpr_spill_count: 0
    .wavefront_size: 32
    .workgroup_processor_mode: 1
  - .args:
      - .offset:         0
        .size:           144
        .value_kind:     by_value
    .group_segment_fixed_size: 0
    .kernarg_segment_align: 8
    .kernarg_segment_size: 144
    .language:       OpenCL C
    .language_version:
      - 2
      - 0
    .max_flat_workgroup_size: 512
    .name:           _ZN7rocprim17ROCPRIM_400000_NS6detail17trampoline_kernelINS0_14default_configENS1_25partition_config_selectorILNS1_17partition_subalgoE9EsjbEEZZNS1_14partition_implILS5_9ELb0ES3_jN6thrust23THRUST_200600_302600_NS6detail15normal_iteratorINS9_10device_ptrIsEEEENSB_INSC_IjEEEEPNS0_10empty_typeENS0_5tupleIJNS9_16discard_iteratorINS9_11use_defaultEEESH_EEENSJ_IJSM_SI_EEENS0_18inequality_wrapperINS9_8equal_toIsEEEEPmJSH_EEE10hipError_tPvRmT3_T4_T5_T6_T7_T9_mT8_P12ihipStream_tbDpT10_ENKUlT_T0_E_clISt17integral_constantIbLb0EES1C_IbLb1EEEEDaS18_S19_EUlS18_E_NS1_11comp_targetILNS1_3genE8ELNS1_11target_archE1030ELNS1_3gpuE2ELNS1_3repE0EEENS1_30default_config_static_selectorELNS0_4arch9wavefront6targetE0EEEvT1_
    .private_segment_fixed_size: 0
    .sgpr_count:     0
    .sgpr_spill_count: 0
    .symbol:         _ZN7rocprim17ROCPRIM_400000_NS6detail17trampoline_kernelINS0_14default_configENS1_25partition_config_selectorILNS1_17partition_subalgoE9EsjbEEZZNS1_14partition_implILS5_9ELb0ES3_jN6thrust23THRUST_200600_302600_NS6detail15normal_iteratorINS9_10device_ptrIsEEEENSB_INSC_IjEEEEPNS0_10empty_typeENS0_5tupleIJNS9_16discard_iteratorINS9_11use_defaultEEESH_EEENSJ_IJSM_SI_EEENS0_18inequality_wrapperINS9_8equal_toIsEEEEPmJSH_EEE10hipError_tPvRmT3_T4_T5_T6_T7_T9_mT8_P12ihipStream_tbDpT10_ENKUlT_T0_E_clISt17integral_constantIbLb0EES1C_IbLb1EEEEDaS18_S19_EUlS18_E_NS1_11comp_targetILNS1_3genE8ELNS1_11target_archE1030ELNS1_3gpuE2ELNS1_3repE0EEENS1_30default_config_static_selectorELNS0_4arch9wavefront6targetE0EEEvT1_.kd
    .uniform_work_group_size: 1
    .uses_dynamic_stack: false
    .vgpr_count:     0
    .vgpr_spill_count: 0
    .wavefront_size: 32
    .workgroup_processor_mode: 1
  - .args:
      - .offset:         0
        .size:           120
        .value_kind:     by_value
    .group_segment_fixed_size: 0
    .kernarg_segment_align: 8
    .kernarg_segment_size: 120
    .language:       OpenCL C
    .language_version:
      - 2
      - 0
    .max_flat_workgroup_size: 256
    .name:           _ZN7rocprim17ROCPRIM_400000_NS6detail17trampoline_kernelINS0_14default_configENS1_25partition_config_selectorILNS1_17partition_subalgoE9EsjbEEZZNS1_14partition_implILS5_9ELb0ES3_jN6thrust23THRUST_200600_302600_NS6detail15normal_iteratorINS9_10device_ptrIsEEEENSB_INSC_IjEEEEPNS0_10empty_typeENS0_5tupleIJSE_SH_EEENSJ_IJNS9_16discard_iteratorINS9_11use_defaultEEESI_EEENS0_18inequality_wrapperINS9_8equal_toIsEEEEPmJSH_EEE10hipError_tPvRmT3_T4_T5_T6_T7_T9_mT8_P12ihipStream_tbDpT10_ENKUlT_T0_E_clISt17integral_constantIbLb0EES1D_EEDaS18_S19_EUlS18_E_NS1_11comp_targetILNS1_3genE0ELNS1_11target_archE4294967295ELNS1_3gpuE0ELNS1_3repE0EEENS1_30default_config_static_selectorELNS0_4arch9wavefront6targetE0EEEvT1_
    .private_segment_fixed_size: 0
    .sgpr_count:     0
    .sgpr_spill_count: 0
    .symbol:         _ZN7rocprim17ROCPRIM_400000_NS6detail17trampoline_kernelINS0_14default_configENS1_25partition_config_selectorILNS1_17partition_subalgoE9EsjbEEZZNS1_14partition_implILS5_9ELb0ES3_jN6thrust23THRUST_200600_302600_NS6detail15normal_iteratorINS9_10device_ptrIsEEEENSB_INSC_IjEEEEPNS0_10empty_typeENS0_5tupleIJSE_SH_EEENSJ_IJNS9_16discard_iteratorINS9_11use_defaultEEESI_EEENS0_18inequality_wrapperINS9_8equal_toIsEEEEPmJSH_EEE10hipError_tPvRmT3_T4_T5_T6_T7_T9_mT8_P12ihipStream_tbDpT10_ENKUlT_T0_E_clISt17integral_constantIbLb0EES1D_EEDaS18_S19_EUlS18_E_NS1_11comp_targetILNS1_3genE0ELNS1_11target_archE4294967295ELNS1_3gpuE0ELNS1_3repE0EEENS1_30default_config_static_selectorELNS0_4arch9wavefront6targetE0EEEvT1_.kd
    .uniform_work_group_size: 1
    .uses_dynamic_stack: false
    .vgpr_count:     0
    .vgpr_spill_count: 0
    .wavefront_size: 32
    .workgroup_processor_mode: 1
  - .args:
      - .offset:         0
        .size:           120
        .value_kind:     by_value
    .group_segment_fixed_size: 0
    .kernarg_segment_align: 8
    .kernarg_segment_size: 120
    .language:       OpenCL C
    .language_version:
      - 2
      - 0
    .max_flat_workgroup_size: 512
    .name:           _ZN7rocprim17ROCPRIM_400000_NS6detail17trampoline_kernelINS0_14default_configENS1_25partition_config_selectorILNS1_17partition_subalgoE9EsjbEEZZNS1_14partition_implILS5_9ELb0ES3_jN6thrust23THRUST_200600_302600_NS6detail15normal_iteratorINS9_10device_ptrIsEEEENSB_INSC_IjEEEEPNS0_10empty_typeENS0_5tupleIJSE_SH_EEENSJ_IJNS9_16discard_iteratorINS9_11use_defaultEEESI_EEENS0_18inequality_wrapperINS9_8equal_toIsEEEEPmJSH_EEE10hipError_tPvRmT3_T4_T5_T6_T7_T9_mT8_P12ihipStream_tbDpT10_ENKUlT_T0_E_clISt17integral_constantIbLb0EES1D_EEDaS18_S19_EUlS18_E_NS1_11comp_targetILNS1_3genE5ELNS1_11target_archE942ELNS1_3gpuE9ELNS1_3repE0EEENS1_30default_config_static_selectorELNS0_4arch9wavefront6targetE0EEEvT1_
    .private_segment_fixed_size: 0
    .sgpr_count:     0
    .sgpr_spill_count: 0
    .symbol:         _ZN7rocprim17ROCPRIM_400000_NS6detail17trampoline_kernelINS0_14default_configENS1_25partition_config_selectorILNS1_17partition_subalgoE9EsjbEEZZNS1_14partition_implILS5_9ELb0ES3_jN6thrust23THRUST_200600_302600_NS6detail15normal_iteratorINS9_10device_ptrIsEEEENSB_INSC_IjEEEEPNS0_10empty_typeENS0_5tupleIJSE_SH_EEENSJ_IJNS9_16discard_iteratorINS9_11use_defaultEEESI_EEENS0_18inequality_wrapperINS9_8equal_toIsEEEEPmJSH_EEE10hipError_tPvRmT3_T4_T5_T6_T7_T9_mT8_P12ihipStream_tbDpT10_ENKUlT_T0_E_clISt17integral_constantIbLb0EES1D_EEDaS18_S19_EUlS18_E_NS1_11comp_targetILNS1_3genE5ELNS1_11target_archE942ELNS1_3gpuE9ELNS1_3repE0EEENS1_30default_config_static_selectorELNS0_4arch9wavefront6targetE0EEEvT1_.kd
    .uniform_work_group_size: 1
    .uses_dynamic_stack: false
    .vgpr_count:     0
    .vgpr_spill_count: 0
    .wavefront_size: 32
    .workgroup_processor_mode: 1
  - .args:
      - .offset:         0
        .size:           120
        .value_kind:     by_value
    .group_segment_fixed_size: 0
    .kernarg_segment_align: 8
    .kernarg_segment_size: 120
    .language:       OpenCL C
    .language_version:
      - 2
      - 0
    .max_flat_workgroup_size: 192
    .name:           _ZN7rocprim17ROCPRIM_400000_NS6detail17trampoline_kernelINS0_14default_configENS1_25partition_config_selectorILNS1_17partition_subalgoE9EsjbEEZZNS1_14partition_implILS5_9ELb0ES3_jN6thrust23THRUST_200600_302600_NS6detail15normal_iteratorINS9_10device_ptrIsEEEENSB_INSC_IjEEEEPNS0_10empty_typeENS0_5tupleIJSE_SH_EEENSJ_IJNS9_16discard_iteratorINS9_11use_defaultEEESI_EEENS0_18inequality_wrapperINS9_8equal_toIsEEEEPmJSH_EEE10hipError_tPvRmT3_T4_T5_T6_T7_T9_mT8_P12ihipStream_tbDpT10_ENKUlT_T0_E_clISt17integral_constantIbLb0EES1D_EEDaS18_S19_EUlS18_E_NS1_11comp_targetILNS1_3genE4ELNS1_11target_archE910ELNS1_3gpuE8ELNS1_3repE0EEENS1_30default_config_static_selectorELNS0_4arch9wavefront6targetE0EEEvT1_
    .private_segment_fixed_size: 0
    .sgpr_count:     0
    .sgpr_spill_count: 0
    .symbol:         _ZN7rocprim17ROCPRIM_400000_NS6detail17trampoline_kernelINS0_14default_configENS1_25partition_config_selectorILNS1_17partition_subalgoE9EsjbEEZZNS1_14partition_implILS5_9ELb0ES3_jN6thrust23THRUST_200600_302600_NS6detail15normal_iteratorINS9_10device_ptrIsEEEENSB_INSC_IjEEEEPNS0_10empty_typeENS0_5tupleIJSE_SH_EEENSJ_IJNS9_16discard_iteratorINS9_11use_defaultEEESI_EEENS0_18inequality_wrapperINS9_8equal_toIsEEEEPmJSH_EEE10hipError_tPvRmT3_T4_T5_T6_T7_T9_mT8_P12ihipStream_tbDpT10_ENKUlT_T0_E_clISt17integral_constantIbLb0EES1D_EEDaS18_S19_EUlS18_E_NS1_11comp_targetILNS1_3genE4ELNS1_11target_archE910ELNS1_3gpuE8ELNS1_3repE0EEENS1_30default_config_static_selectorELNS0_4arch9wavefront6targetE0EEEvT1_.kd
    .uniform_work_group_size: 1
    .uses_dynamic_stack: false
    .vgpr_count:     0
    .vgpr_spill_count: 0
    .wavefront_size: 32
    .workgroup_processor_mode: 1
  - .args:
      - .offset:         0
        .size:           120
        .value_kind:     by_value
    .group_segment_fixed_size: 0
    .kernarg_segment_align: 8
    .kernarg_segment_size: 120
    .language:       OpenCL C
    .language_version:
      - 2
      - 0
    .max_flat_workgroup_size: 256
    .name:           _ZN7rocprim17ROCPRIM_400000_NS6detail17trampoline_kernelINS0_14default_configENS1_25partition_config_selectorILNS1_17partition_subalgoE9EsjbEEZZNS1_14partition_implILS5_9ELb0ES3_jN6thrust23THRUST_200600_302600_NS6detail15normal_iteratorINS9_10device_ptrIsEEEENSB_INSC_IjEEEEPNS0_10empty_typeENS0_5tupleIJSE_SH_EEENSJ_IJNS9_16discard_iteratorINS9_11use_defaultEEESI_EEENS0_18inequality_wrapperINS9_8equal_toIsEEEEPmJSH_EEE10hipError_tPvRmT3_T4_T5_T6_T7_T9_mT8_P12ihipStream_tbDpT10_ENKUlT_T0_E_clISt17integral_constantIbLb0EES1D_EEDaS18_S19_EUlS18_E_NS1_11comp_targetILNS1_3genE3ELNS1_11target_archE908ELNS1_3gpuE7ELNS1_3repE0EEENS1_30default_config_static_selectorELNS0_4arch9wavefront6targetE0EEEvT1_
    .private_segment_fixed_size: 0
    .sgpr_count:     0
    .sgpr_spill_count: 0
    .symbol:         _ZN7rocprim17ROCPRIM_400000_NS6detail17trampoline_kernelINS0_14default_configENS1_25partition_config_selectorILNS1_17partition_subalgoE9EsjbEEZZNS1_14partition_implILS5_9ELb0ES3_jN6thrust23THRUST_200600_302600_NS6detail15normal_iteratorINS9_10device_ptrIsEEEENSB_INSC_IjEEEEPNS0_10empty_typeENS0_5tupleIJSE_SH_EEENSJ_IJNS9_16discard_iteratorINS9_11use_defaultEEESI_EEENS0_18inequality_wrapperINS9_8equal_toIsEEEEPmJSH_EEE10hipError_tPvRmT3_T4_T5_T6_T7_T9_mT8_P12ihipStream_tbDpT10_ENKUlT_T0_E_clISt17integral_constantIbLb0EES1D_EEDaS18_S19_EUlS18_E_NS1_11comp_targetILNS1_3genE3ELNS1_11target_archE908ELNS1_3gpuE7ELNS1_3repE0EEENS1_30default_config_static_selectorELNS0_4arch9wavefront6targetE0EEEvT1_.kd
    .uniform_work_group_size: 1
    .uses_dynamic_stack: false
    .vgpr_count:     0
    .vgpr_spill_count: 0
    .wavefront_size: 32
    .workgroup_processor_mode: 1
  - .args:
      - .offset:         0
        .size:           120
        .value_kind:     by_value
    .group_segment_fixed_size: 0
    .kernarg_segment_align: 8
    .kernarg_segment_size: 120
    .language:       OpenCL C
    .language_version:
      - 2
      - 0
    .max_flat_workgroup_size: 256
    .name:           _ZN7rocprim17ROCPRIM_400000_NS6detail17trampoline_kernelINS0_14default_configENS1_25partition_config_selectorILNS1_17partition_subalgoE9EsjbEEZZNS1_14partition_implILS5_9ELb0ES3_jN6thrust23THRUST_200600_302600_NS6detail15normal_iteratorINS9_10device_ptrIsEEEENSB_INSC_IjEEEEPNS0_10empty_typeENS0_5tupleIJSE_SH_EEENSJ_IJNS9_16discard_iteratorINS9_11use_defaultEEESI_EEENS0_18inequality_wrapperINS9_8equal_toIsEEEEPmJSH_EEE10hipError_tPvRmT3_T4_T5_T6_T7_T9_mT8_P12ihipStream_tbDpT10_ENKUlT_T0_E_clISt17integral_constantIbLb0EES1D_EEDaS18_S19_EUlS18_E_NS1_11comp_targetILNS1_3genE2ELNS1_11target_archE906ELNS1_3gpuE6ELNS1_3repE0EEENS1_30default_config_static_selectorELNS0_4arch9wavefront6targetE0EEEvT1_
    .private_segment_fixed_size: 0
    .sgpr_count:     0
    .sgpr_spill_count: 0
    .symbol:         _ZN7rocprim17ROCPRIM_400000_NS6detail17trampoline_kernelINS0_14default_configENS1_25partition_config_selectorILNS1_17partition_subalgoE9EsjbEEZZNS1_14partition_implILS5_9ELb0ES3_jN6thrust23THRUST_200600_302600_NS6detail15normal_iteratorINS9_10device_ptrIsEEEENSB_INSC_IjEEEEPNS0_10empty_typeENS0_5tupleIJSE_SH_EEENSJ_IJNS9_16discard_iteratorINS9_11use_defaultEEESI_EEENS0_18inequality_wrapperINS9_8equal_toIsEEEEPmJSH_EEE10hipError_tPvRmT3_T4_T5_T6_T7_T9_mT8_P12ihipStream_tbDpT10_ENKUlT_T0_E_clISt17integral_constantIbLb0EES1D_EEDaS18_S19_EUlS18_E_NS1_11comp_targetILNS1_3genE2ELNS1_11target_archE906ELNS1_3gpuE6ELNS1_3repE0EEENS1_30default_config_static_selectorELNS0_4arch9wavefront6targetE0EEEvT1_.kd
    .uniform_work_group_size: 1
    .uses_dynamic_stack: false
    .vgpr_count:     0
    .vgpr_spill_count: 0
    .wavefront_size: 32
    .workgroup_processor_mode: 1
  - .args:
      - .offset:         0
        .size:           120
        .value_kind:     by_value
    .group_segment_fixed_size: 0
    .kernarg_segment_align: 8
    .kernarg_segment_size: 120
    .language:       OpenCL C
    .language_version:
      - 2
      - 0
    .max_flat_workgroup_size: 512
    .name:           _ZN7rocprim17ROCPRIM_400000_NS6detail17trampoline_kernelINS0_14default_configENS1_25partition_config_selectorILNS1_17partition_subalgoE9EsjbEEZZNS1_14partition_implILS5_9ELb0ES3_jN6thrust23THRUST_200600_302600_NS6detail15normal_iteratorINS9_10device_ptrIsEEEENSB_INSC_IjEEEEPNS0_10empty_typeENS0_5tupleIJSE_SH_EEENSJ_IJNS9_16discard_iteratorINS9_11use_defaultEEESI_EEENS0_18inequality_wrapperINS9_8equal_toIsEEEEPmJSH_EEE10hipError_tPvRmT3_T4_T5_T6_T7_T9_mT8_P12ihipStream_tbDpT10_ENKUlT_T0_E_clISt17integral_constantIbLb0EES1D_EEDaS18_S19_EUlS18_E_NS1_11comp_targetILNS1_3genE10ELNS1_11target_archE1200ELNS1_3gpuE4ELNS1_3repE0EEENS1_30default_config_static_selectorELNS0_4arch9wavefront6targetE0EEEvT1_
    .private_segment_fixed_size: 0
    .sgpr_count:     0
    .sgpr_spill_count: 0
    .symbol:         _ZN7rocprim17ROCPRIM_400000_NS6detail17trampoline_kernelINS0_14default_configENS1_25partition_config_selectorILNS1_17partition_subalgoE9EsjbEEZZNS1_14partition_implILS5_9ELb0ES3_jN6thrust23THRUST_200600_302600_NS6detail15normal_iteratorINS9_10device_ptrIsEEEENSB_INSC_IjEEEEPNS0_10empty_typeENS0_5tupleIJSE_SH_EEENSJ_IJNS9_16discard_iteratorINS9_11use_defaultEEESI_EEENS0_18inequality_wrapperINS9_8equal_toIsEEEEPmJSH_EEE10hipError_tPvRmT3_T4_T5_T6_T7_T9_mT8_P12ihipStream_tbDpT10_ENKUlT_T0_E_clISt17integral_constantIbLb0EES1D_EEDaS18_S19_EUlS18_E_NS1_11comp_targetILNS1_3genE10ELNS1_11target_archE1200ELNS1_3gpuE4ELNS1_3repE0EEENS1_30default_config_static_selectorELNS0_4arch9wavefront6targetE0EEEvT1_.kd
    .uniform_work_group_size: 1
    .uses_dynamic_stack: false
    .vgpr_count:     0
    .vgpr_spill_count: 0
    .wavefront_size: 32
    .workgroup_processor_mode: 1
  - .args:
      - .offset:         0
        .size:           120
        .value_kind:     by_value
    .group_segment_fixed_size: 5640
    .kernarg_segment_align: 8
    .kernarg_segment_size: 120
    .language:       OpenCL C
    .language_version:
      - 2
      - 0
    .max_flat_workgroup_size: 128
    .name:           _ZN7rocprim17ROCPRIM_400000_NS6detail17trampoline_kernelINS0_14default_configENS1_25partition_config_selectorILNS1_17partition_subalgoE9EsjbEEZZNS1_14partition_implILS5_9ELb0ES3_jN6thrust23THRUST_200600_302600_NS6detail15normal_iteratorINS9_10device_ptrIsEEEENSB_INSC_IjEEEEPNS0_10empty_typeENS0_5tupleIJSE_SH_EEENSJ_IJNS9_16discard_iteratorINS9_11use_defaultEEESI_EEENS0_18inequality_wrapperINS9_8equal_toIsEEEEPmJSH_EEE10hipError_tPvRmT3_T4_T5_T6_T7_T9_mT8_P12ihipStream_tbDpT10_ENKUlT_T0_E_clISt17integral_constantIbLb0EES1D_EEDaS18_S19_EUlS18_E_NS1_11comp_targetILNS1_3genE9ELNS1_11target_archE1100ELNS1_3gpuE3ELNS1_3repE0EEENS1_30default_config_static_selectorELNS0_4arch9wavefront6targetE0EEEvT1_
    .private_segment_fixed_size: 0
    .sgpr_count:     26
    .sgpr_spill_count: 0
    .symbol:         _ZN7rocprim17ROCPRIM_400000_NS6detail17trampoline_kernelINS0_14default_configENS1_25partition_config_selectorILNS1_17partition_subalgoE9EsjbEEZZNS1_14partition_implILS5_9ELb0ES3_jN6thrust23THRUST_200600_302600_NS6detail15normal_iteratorINS9_10device_ptrIsEEEENSB_INSC_IjEEEEPNS0_10empty_typeENS0_5tupleIJSE_SH_EEENSJ_IJNS9_16discard_iteratorINS9_11use_defaultEEESI_EEENS0_18inequality_wrapperINS9_8equal_toIsEEEEPmJSH_EEE10hipError_tPvRmT3_T4_T5_T6_T7_T9_mT8_P12ihipStream_tbDpT10_ENKUlT_T0_E_clISt17integral_constantIbLb0EES1D_EEDaS18_S19_EUlS18_E_NS1_11comp_targetILNS1_3genE9ELNS1_11target_archE1100ELNS1_3gpuE3ELNS1_3repE0EEENS1_30default_config_static_selectorELNS0_4arch9wavefront6targetE0EEEvT1_.kd
    .uniform_work_group_size: 1
    .uses_dynamic_stack: false
    .vgpr_count:     84
    .vgpr_spill_count: 0
    .wavefront_size: 32
    .workgroup_processor_mode: 1
  - .args:
      - .offset:         0
        .size:           120
        .value_kind:     by_value
    .group_segment_fixed_size: 0
    .kernarg_segment_align: 8
    .kernarg_segment_size: 120
    .language:       OpenCL C
    .language_version:
      - 2
      - 0
    .max_flat_workgroup_size: 512
    .name:           _ZN7rocprim17ROCPRIM_400000_NS6detail17trampoline_kernelINS0_14default_configENS1_25partition_config_selectorILNS1_17partition_subalgoE9EsjbEEZZNS1_14partition_implILS5_9ELb0ES3_jN6thrust23THRUST_200600_302600_NS6detail15normal_iteratorINS9_10device_ptrIsEEEENSB_INSC_IjEEEEPNS0_10empty_typeENS0_5tupleIJSE_SH_EEENSJ_IJNS9_16discard_iteratorINS9_11use_defaultEEESI_EEENS0_18inequality_wrapperINS9_8equal_toIsEEEEPmJSH_EEE10hipError_tPvRmT3_T4_T5_T6_T7_T9_mT8_P12ihipStream_tbDpT10_ENKUlT_T0_E_clISt17integral_constantIbLb0EES1D_EEDaS18_S19_EUlS18_E_NS1_11comp_targetILNS1_3genE8ELNS1_11target_archE1030ELNS1_3gpuE2ELNS1_3repE0EEENS1_30default_config_static_selectorELNS0_4arch9wavefront6targetE0EEEvT1_
    .private_segment_fixed_size: 0
    .sgpr_count:     0
    .sgpr_spill_count: 0
    .symbol:         _ZN7rocprim17ROCPRIM_400000_NS6detail17trampoline_kernelINS0_14default_configENS1_25partition_config_selectorILNS1_17partition_subalgoE9EsjbEEZZNS1_14partition_implILS5_9ELb0ES3_jN6thrust23THRUST_200600_302600_NS6detail15normal_iteratorINS9_10device_ptrIsEEEENSB_INSC_IjEEEEPNS0_10empty_typeENS0_5tupleIJSE_SH_EEENSJ_IJNS9_16discard_iteratorINS9_11use_defaultEEESI_EEENS0_18inequality_wrapperINS9_8equal_toIsEEEEPmJSH_EEE10hipError_tPvRmT3_T4_T5_T6_T7_T9_mT8_P12ihipStream_tbDpT10_ENKUlT_T0_E_clISt17integral_constantIbLb0EES1D_EEDaS18_S19_EUlS18_E_NS1_11comp_targetILNS1_3genE8ELNS1_11target_archE1030ELNS1_3gpuE2ELNS1_3repE0EEENS1_30default_config_static_selectorELNS0_4arch9wavefront6targetE0EEEvT1_.kd
    .uniform_work_group_size: 1
    .uses_dynamic_stack: false
    .vgpr_count:     0
    .vgpr_spill_count: 0
    .wavefront_size: 32
    .workgroup_processor_mode: 1
  - .args:
      - .offset:         0
        .size:           136
        .value_kind:     by_value
    .group_segment_fixed_size: 0
    .kernarg_segment_align: 8
    .kernarg_segment_size: 136
    .language:       OpenCL C
    .language_version:
      - 2
      - 0
    .max_flat_workgroup_size: 256
    .name:           _ZN7rocprim17ROCPRIM_400000_NS6detail17trampoline_kernelINS0_14default_configENS1_25partition_config_selectorILNS1_17partition_subalgoE9EsjbEEZZNS1_14partition_implILS5_9ELb0ES3_jN6thrust23THRUST_200600_302600_NS6detail15normal_iteratorINS9_10device_ptrIsEEEENSB_INSC_IjEEEEPNS0_10empty_typeENS0_5tupleIJSE_SH_EEENSJ_IJNS9_16discard_iteratorINS9_11use_defaultEEESI_EEENS0_18inequality_wrapperINS9_8equal_toIsEEEEPmJSH_EEE10hipError_tPvRmT3_T4_T5_T6_T7_T9_mT8_P12ihipStream_tbDpT10_ENKUlT_T0_E_clISt17integral_constantIbLb1EES1D_EEDaS18_S19_EUlS18_E_NS1_11comp_targetILNS1_3genE0ELNS1_11target_archE4294967295ELNS1_3gpuE0ELNS1_3repE0EEENS1_30default_config_static_selectorELNS0_4arch9wavefront6targetE0EEEvT1_
    .private_segment_fixed_size: 0
    .sgpr_count:     0
    .sgpr_spill_count: 0
    .symbol:         _ZN7rocprim17ROCPRIM_400000_NS6detail17trampoline_kernelINS0_14default_configENS1_25partition_config_selectorILNS1_17partition_subalgoE9EsjbEEZZNS1_14partition_implILS5_9ELb0ES3_jN6thrust23THRUST_200600_302600_NS6detail15normal_iteratorINS9_10device_ptrIsEEEENSB_INSC_IjEEEEPNS0_10empty_typeENS0_5tupleIJSE_SH_EEENSJ_IJNS9_16discard_iteratorINS9_11use_defaultEEESI_EEENS0_18inequality_wrapperINS9_8equal_toIsEEEEPmJSH_EEE10hipError_tPvRmT3_T4_T5_T6_T7_T9_mT8_P12ihipStream_tbDpT10_ENKUlT_T0_E_clISt17integral_constantIbLb1EES1D_EEDaS18_S19_EUlS18_E_NS1_11comp_targetILNS1_3genE0ELNS1_11target_archE4294967295ELNS1_3gpuE0ELNS1_3repE0EEENS1_30default_config_static_selectorELNS0_4arch9wavefront6targetE0EEEvT1_.kd
    .uniform_work_group_size: 1
    .uses_dynamic_stack: false
    .vgpr_count:     0
    .vgpr_spill_count: 0
    .wavefront_size: 32
    .workgroup_processor_mode: 1
  - .args:
      - .offset:         0
        .size:           136
        .value_kind:     by_value
    .group_segment_fixed_size: 0
    .kernarg_segment_align: 8
    .kernarg_segment_size: 136
    .language:       OpenCL C
    .language_version:
      - 2
      - 0
    .max_flat_workgroup_size: 512
    .name:           _ZN7rocprim17ROCPRIM_400000_NS6detail17trampoline_kernelINS0_14default_configENS1_25partition_config_selectorILNS1_17partition_subalgoE9EsjbEEZZNS1_14partition_implILS5_9ELb0ES3_jN6thrust23THRUST_200600_302600_NS6detail15normal_iteratorINS9_10device_ptrIsEEEENSB_INSC_IjEEEEPNS0_10empty_typeENS0_5tupleIJSE_SH_EEENSJ_IJNS9_16discard_iteratorINS9_11use_defaultEEESI_EEENS0_18inequality_wrapperINS9_8equal_toIsEEEEPmJSH_EEE10hipError_tPvRmT3_T4_T5_T6_T7_T9_mT8_P12ihipStream_tbDpT10_ENKUlT_T0_E_clISt17integral_constantIbLb1EES1D_EEDaS18_S19_EUlS18_E_NS1_11comp_targetILNS1_3genE5ELNS1_11target_archE942ELNS1_3gpuE9ELNS1_3repE0EEENS1_30default_config_static_selectorELNS0_4arch9wavefront6targetE0EEEvT1_
    .private_segment_fixed_size: 0
    .sgpr_count:     0
    .sgpr_spill_count: 0
    .symbol:         _ZN7rocprim17ROCPRIM_400000_NS6detail17trampoline_kernelINS0_14default_configENS1_25partition_config_selectorILNS1_17partition_subalgoE9EsjbEEZZNS1_14partition_implILS5_9ELb0ES3_jN6thrust23THRUST_200600_302600_NS6detail15normal_iteratorINS9_10device_ptrIsEEEENSB_INSC_IjEEEEPNS0_10empty_typeENS0_5tupleIJSE_SH_EEENSJ_IJNS9_16discard_iteratorINS9_11use_defaultEEESI_EEENS0_18inequality_wrapperINS9_8equal_toIsEEEEPmJSH_EEE10hipError_tPvRmT3_T4_T5_T6_T7_T9_mT8_P12ihipStream_tbDpT10_ENKUlT_T0_E_clISt17integral_constantIbLb1EES1D_EEDaS18_S19_EUlS18_E_NS1_11comp_targetILNS1_3genE5ELNS1_11target_archE942ELNS1_3gpuE9ELNS1_3repE0EEENS1_30default_config_static_selectorELNS0_4arch9wavefront6targetE0EEEvT1_.kd
    .uniform_work_group_size: 1
    .uses_dynamic_stack: false
    .vgpr_count:     0
    .vgpr_spill_count: 0
    .wavefront_size: 32
    .workgroup_processor_mode: 1
  - .args:
      - .offset:         0
        .size:           136
        .value_kind:     by_value
    .group_segment_fixed_size: 0
    .kernarg_segment_align: 8
    .kernarg_segment_size: 136
    .language:       OpenCL C
    .language_version:
      - 2
      - 0
    .max_flat_workgroup_size: 192
    .name:           _ZN7rocprim17ROCPRIM_400000_NS6detail17trampoline_kernelINS0_14default_configENS1_25partition_config_selectorILNS1_17partition_subalgoE9EsjbEEZZNS1_14partition_implILS5_9ELb0ES3_jN6thrust23THRUST_200600_302600_NS6detail15normal_iteratorINS9_10device_ptrIsEEEENSB_INSC_IjEEEEPNS0_10empty_typeENS0_5tupleIJSE_SH_EEENSJ_IJNS9_16discard_iteratorINS9_11use_defaultEEESI_EEENS0_18inequality_wrapperINS9_8equal_toIsEEEEPmJSH_EEE10hipError_tPvRmT3_T4_T5_T6_T7_T9_mT8_P12ihipStream_tbDpT10_ENKUlT_T0_E_clISt17integral_constantIbLb1EES1D_EEDaS18_S19_EUlS18_E_NS1_11comp_targetILNS1_3genE4ELNS1_11target_archE910ELNS1_3gpuE8ELNS1_3repE0EEENS1_30default_config_static_selectorELNS0_4arch9wavefront6targetE0EEEvT1_
    .private_segment_fixed_size: 0
    .sgpr_count:     0
    .sgpr_spill_count: 0
    .symbol:         _ZN7rocprim17ROCPRIM_400000_NS6detail17trampoline_kernelINS0_14default_configENS1_25partition_config_selectorILNS1_17partition_subalgoE9EsjbEEZZNS1_14partition_implILS5_9ELb0ES3_jN6thrust23THRUST_200600_302600_NS6detail15normal_iteratorINS9_10device_ptrIsEEEENSB_INSC_IjEEEEPNS0_10empty_typeENS0_5tupleIJSE_SH_EEENSJ_IJNS9_16discard_iteratorINS9_11use_defaultEEESI_EEENS0_18inequality_wrapperINS9_8equal_toIsEEEEPmJSH_EEE10hipError_tPvRmT3_T4_T5_T6_T7_T9_mT8_P12ihipStream_tbDpT10_ENKUlT_T0_E_clISt17integral_constantIbLb1EES1D_EEDaS18_S19_EUlS18_E_NS1_11comp_targetILNS1_3genE4ELNS1_11target_archE910ELNS1_3gpuE8ELNS1_3repE0EEENS1_30default_config_static_selectorELNS0_4arch9wavefront6targetE0EEEvT1_.kd
    .uniform_work_group_size: 1
    .uses_dynamic_stack: false
    .vgpr_count:     0
    .vgpr_spill_count: 0
    .wavefront_size: 32
    .workgroup_processor_mode: 1
  - .args:
      - .offset:         0
        .size:           136
        .value_kind:     by_value
    .group_segment_fixed_size: 0
    .kernarg_segment_align: 8
    .kernarg_segment_size: 136
    .language:       OpenCL C
    .language_version:
      - 2
      - 0
    .max_flat_workgroup_size: 256
    .name:           _ZN7rocprim17ROCPRIM_400000_NS6detail17trampoline_kernelINS0_14default_configENS1_25partition_config_selectorILNS1_17partition_subalgoE9EsjbEEZZNS1_14partition_implILS5_9ELb0ES3_jN6thrust23THRUST_200600_302600_NS6detail15normal_iteratorINS9_10device_ptrIsEEEENSB_INSC_IjEEEEPNS0_10empty_typeENS0_5tupleIJSE_SH_EEENSJ_IJNS9_16discard_iteratorINS9_11use_defaultEEESI_EEENS0_18inequality_wrapperINS9_8equal_toIsEEEEPmJSH_EEE10hipError_tPvRmT3_T4_T5_T6_T7_T9_mT8_P12ihipStream_tbDpT10_ENKUlT_T0_E_clISt17integral_constantIbLb1EES1D_EEDaS18_S19_EUlS18_E_NS1_11comp_targetILNS1_3genE3ELNS1_11target_archE908ELNS1_3gpuE7ELNS1_3repE0EEENS1_30default_config_static_selectorELNS0_4arch9wavefront6targetE0EEEvT1_
    .private_segment_fixed_size: 0
    .sgpr_count:     0
    .sgpr_spill_count: 0
    .symbol:         _ZN7rocprim17ROCPRIM_400000_NS6detail17trampoline_kernelINS0_14default_configENS1_25partition_config_selectorILNS1_17partition_subalgoE9EsjbEEZZNS1_14partition_implILS5_9ELb0ES3_jN6thrust23THRUST_200600_302600_NS6detail15normal_iteratorINS9_10device_ptrIsEEEENSB_INSC_IjEEEEPNS0_10empty_typeENS0_5tupleIJSE_SH_EEENSJ_IJNS9_16discard_iteratorINS9_11use_defaultEEESI_EEENS0_18inequality_wrapperINS9_8equal_toIsEEEEPmJSH_EEE10hipError_tPvRmT3_T4_T5_T6_T7_T9_mT8_P12ihipStream_tbDpT10_ENKUlT_T0_E_clISt17integral_constantIbLb1EES1D_EEDaS18_S19_EUlS18_E_NS1_11comp_targetILNS1_3genE3ELNS1_11target_archE908ELNS1_3gpuE7ELNS1_3repE0EEENS1_30default_config_static_selectorELNS0_4arch9wavefront6targetE0EEEvT1_.kd
    .uniform_work_group_size: 1
    .uses_dynamic_stack: false
    .vgpr_count:     0
    .vgpr_spill_count: 0
    .wavefront_size: 32
    .workgroup_processor_mode: 1
  - .args:
      - .offset:         0
        .size:           136
        .value_kind:     by_value
    .group_segment_fixed_size: 0
    .kernarg_segment_align: 8
    .kernarg_segment_size: 136
    .language:       OpenCL C
    .language_version:
      - 2
      - 0
    .max_flat_workgroup_size: 256
    .name:           _ZN7rocprim17ROCPRIM_400000_NS6detail17trampoline_kernelINS0_14default_configENS1_25partition_config_selectorILNS1_17partition_subalgoE9EsjbEEZZNS1_14partition_implILS5_9ELb0ES3_jN6thrust23THRUST_200600_302600_NS6detail15normal_iteratorINS9_10device_ptrIsEEEENSB_INSC_IjEEEEPNS0_10empty_typeENS0_5tupleIJSE_SH_EEENSJ_IJNS9_16discard_iteratorINS9_11use_defaultEEESI_EEENS0_18inequality_wrapperINS9_8equal_toIsEEEEPmJSH_EEE10hipError_tPvRmT3_T4_T5_T6_T7_T9_mT8_P12ihipStream_tbDpT10_ENKUlT_T0_E_clISt17integral_constantIbLb1EES1D_EEDaS18_S19_EUlS18_E_NS1_11comp_targetILNS1_3genE2ELNS1_11target_archE906ELNS1_3gpuE6ELNS1_3repE0EEENS1_30default_config_static_selectorELNS0_4arch9wavefront6targetE0EEEvT1_
    .private_segment_fixed_size: 0
    .sgpr_count:     0
    .sgpr_spill_count: 0
    .symbol:         _ZN7rocprim17ROCPRIM_400000_NS6detail17trampoline_kernelINS0_14default_configENS1_25partition_config_selectorILNS1_17partition_subalgoE9EsjbEEZZNS1_14partition_implILS5_9ELb0ES3_jN6thrust23THRUST_200600_302600_NS6detail15normal_iteratorINS9_10device_ptrIsEEEENSB_INSC_IjEEEEPNS0_10empty_typeENS0_5tupleIJSE_SH_EEENSJ_IJNS9_16discard_iteratorINS9_11use_defaultEEESI_EEENS0_18inequality_wrapperINS9_8equal_toIsEEEEPmJSH_EEE10hipError_tPvRmT3_T4_T5_T6_T7_T9_mT8_P12ihipStream_tbDpT10_ENKUlT_T0_E_clISt17integral_constantIbLb1EES1D_EEDaS18_S19_EUlS18_E_NS1_11comp_targetILNS1_3genE2ELNS1_11target_archE906ELNS1_3gpuE6ELNS1_3repE0EEENS1_30default_config_static_selectorELNS0_4arch9wavefront6targetE0EEEvT1_.kd
    .uniform_work_group_size: 1
    .uses_dynamic_stack: false
    .vgpr_count:     0
    .vgpr_spill_count: 0
    .wavefront_size: 32
    .workgroup_processor_mode: 1
  - .args:
      - .offset:         0
        .size:           136
        .value_kind:     by_value
    .group_segment_fixed_size: 0
    .kernarg_segment_align: 8
    .kernarg_segment_size: 136
    .language:       OpenCL C
    .language_version:
      - 2
      - 0
    .max_flat_workgroup_size: 512
    .name:           _ZN7rocprim17ROCPRIM_400000_NS6detail17trampoline_kernelINS0_14default_configENS1_25partition_config_selectorILNS1_17partition_subalgoE9EsjbEEZZNS1_14partition_implILS5_9ELb0ES3_jN6thrust23THRUST_200600_302600_NS6detail15normal_iteratorINS9_10device_ptrIsEEEENSB_INSC_IjEEEEPNS0_10empty_typeENS0_5tupleIJSE_SH_EEENSJ_IJNS9_16discard_iteratorINS9_11use_defaultEEESI_EEENS0_18inequality_wrapperINS9_8equal_toIsEEEEPmJSH_EEE10hipError_tPvRmT3_T4_T5_T6_T7_T9_mT8_P12ihipStream_tbDpT10_ENKUlT_T0_E_clISt17integral_constantIbLb1EES1D_EEDaS18_S19_EUlS18_E_NS1_11comp_targetILNS1_3genE10ELNS1_11target_archE1200ELNS1_3gpuE4ELNS1_3repE0EEENS1_30default_config_static_selectorELNS0_4arch9wavefront6targetE0EEEvT1_
    .private_segment_fixed_size: 0
    .sgpr_count:     0
    .sgpr_spill_count: 0
    .symbol:         _ZN7rocprim17ROCPRIM_400000_NS6detail17trampoline_kernelINS0_14default_configENS1_25partition_config_selectorILNS1_17partition_subalgoE9EsjbEEZZNS1_14partition_implILS5_9ELb0ES3_jN6thrust23THRUST_200600_302600_NS6detail15normal_iteratorINS9_10device_ptrIsEEEENSB_INSC_IjEEEEPNS0_10empty_typeENS0_5tupleIJSE_SH_EEENSJ_IJNS9_16discard_iteratorINS9_11use_defaultEEESI_EEENS0_18inequality_wrapperINS9_8equal_toIsEEEEPmJSH_EEE10hipError_tPvRmT3_T4_T5_T6_T7_T9_mT8_P12ihipStream_tbDpT10_ENKUlT_T0_E_clISt17integral_constantIbLb1EES1D_EEDaS18_S19_EUlS18_E_NS1_11comp_targetILNS1_3genE10ELNS1_11target_archE1200ELNS1_3gpuE4ELNS1_3repE0EEENS1_30default_config_static_selectorELNS0_4arch9wavefront6targetE0EEEvT1_.kd
    .uniform_work_group_size: 1
    .uses_dynamic_stack: false
    .vgpr_count:     0
    .vgpr_spill_count: 0
    .wavefront_size: 32
    .workgroup_processor_mode: 1
  - .args:
      - .offset:         0
        .size:           136
        .value_kind:     by_value
    .group_segment_fixed_size: 5640
    .kernarg_segment_align: 8
    .kernarg_segment_size: 136
    .language:       OpenCL C
    .language_version:
      - 2
      - 0
    .max_flat_workgroup_size: 128
    .name:           _ZN7rocprim17ROCPRIM_400000_NS6detail17trampoline_kernelINS0_14default_configENS1_25partition_config_selectorILNS1_17partition_subalgoE9EsjbEEZZNS1_14partition_implILS5_9ELb0ES3_jN6thrust23THRUST_200600_302600_NS6detail15normal_iteratorINS9_10device_ptrIsEEEENSB_INSC_IjEEEEPNS0_10empty_typeENS0_5tupleIJSE_SH_EEENSJ_IJNS9_16discard_iteratorINS9_11use_defaultEEESI_EEENS0_18inequality_wrapperINS9_8equal_toIsEEEEPmJSH_EEE10hipError_tPvRmT3_T4_T5_T6_T7_T9_mT8_P12ihipStream_tbDpT10_ENKUlT_T0_E_clISt17integral_constantIbLb1EES1D_EEDaS18_S19_EUlS18_E_NS1_11comp_targetILNS1_3genE9ELNS1_11target_archE1100ELNS1_3gpuE3ELNS1_3repE0EEENS1_30default_config_static_selectorELNS0_4arch9wavefront6targetE0EEEvT1_
    .private_segment_fixed_size: 0
    .sgpr_count:     28
    .sgpr_spill_count: 0
    .symbol:         _ZN7rocprim17ROCPRIM_400000_NS6detail17trampoline_kernelINS0_14default_configENS1_25partition_config_selectorILNS1_17partition_subalgoE9EsjbEEZZNS1_14partition_implILS5_9ELb0ES3_jN6thrust23THRUST_200600_302600_NS6detail15normal_iteratorINS9_10device_ptrIsEEEENSB_INSC_IjEEEEPNS0_10empty_typeENS0_5tupleIJSE_SH_EEENSJ_IJNS9_16discard_iteratorINS9_11use_defaultEEESI_EEENS0_18inequality_wrapperINS9_8equal_toIsEEEEPmJSH_EEE10hipError_tPvRmT3_T4_T5_T6_T7_T9_mT8_P12ihipStream_tbDpT10_ENKUlT_T0_E_clISt17integral_constantIbLb1EES1D_EEDaS18_S19_EUlS18_E_NS1_11comp_targetILNS1_3genE9ELNS1_11target_archE1100ELNS1_3gpuE3ELNS1_3repE0EEENS1_30default_config_static_selectorELNS0_4arch9wavefront6targetE0EEEvT1_.kd
    .uniform_work_group_size: 1
    .uses_dynamic_stack: false
    .vgpr_count:     86
    .vgpr_spill_count: 0
    .wavefront_size: 32
    .workgroup_processor_mode: 1
  - .args:
      - .offset:         0
        .size:           136
        .value_kind:     by_value
    .group_segment_fixed_size: 0
    .kernarg_segment_align: 8
    .kernarg_segment_size: 136
    .language:       OpenCL C
    .language_version:
      - 2
      - 0
    .max_flat_workgroup_size: 512
    .name:           _ZN7rocprim17ROCPRIM_400000_NS6detail17trampoline_kernelINS0_14default_configENS1_25partition_config_selectorILNS1_17partition_subalgoE9EsjbEEZZNS1_14partition_implILS5_9ELb0ES3_jN6thrust23THRUST_200600_302600_NS6detail15normal_iteratorINS9_10device_ptrIsEEEENSB_INSC_IjEEEEPNS0_10empty_typeENS0_5tupleIJSE_SH_EEENSJ_IJNS9_16discard_iteratorINS9_11use_defaultEEESI_EEENS0_18inequality_wrapperINS9_8equal_toIsEEEEPmJSH_EEE10hipError_tPvRmT3_T4_T5_T6_T7_T9_mT8_P12ihipStream_tbDpT10_ENKUlT_T0_E_clISt17integral_constantIbLb1EES1D_EEDaS18_S19_EUlS18_E_NS1_11comp_targetILNS1_3genE8ELNS1_11target_archE1030ELNS1_3gpuE2ELNS1_3repE0EEENS1_30default_config_static_selectorELNS0_4arch9wavefront6targetE0EEEvT1_
    .private_segment_fixed_size: 0
    .sgpr_count:     0
    .sgpr_spill_count: 0
    .symbol:         _ZN7rocprim17ROCPRIM_400000_NS6detail17trampoline_kernelINS0_14default_configENS1_25partition_config_selectorILNS1_17partition_subalgoE9EsjbEEZZNS1_14partition_implILS5_9ELb0ES3_jN6thrust23THRUST_200600_302600_NS6detail15normal_iteratorINS9_10device_ptrIsEEEENSB_INSC_IjEEEEPNS0_10empty_typeENS0_5tupleIJSE_SH_EEENSJ_IJNS9_16discard_iteratorINS9_11use_defaultEEESI_EEENS0_18inequality_wrapperINS9_8equal_toIsEEEEPmJSH_EEE10hipError_tPvRmT3_T4_T5_T6_T7_T9_mT8_P12ihipStream_tbDpT10_ENKUlT_T0_E_clISt17integral_constantIbLb1EES1D_EEDaS18_S19_EUlS18_E_NS1_11comp_targetILNS1_3genE8ELNS1_11target_archE1030ELNS1_3gpuE2ELNS1_3repE0EEENS1_30default_config_static_selectorELNS0_4arch9wavefront6targetE0EEEvT1_.kd
    .uniform_work_group_size: 1
    .uses_dynamic_stack: false
    .vgpr_count:     0
    .vgpr_spill_count: 0
    .wavefront_size: 32
    .workgroup_processor_mode: 1
  - .args:
      - .offset:         0
        .size:           120
        .value_kind:     by_value
    .group_segment_fixed_size: 0
    .kernarg_segment_align: 8
    .kernarg_segment_size: 120
    .language:       OpenCL C
    .language_version:
      - 2
      - 0
    .max_flat_workgroup_size: 256
    .name:           _ZN7rocprim17ROCPRIM_400000_NS6detail17trampoline_kernelINS0_14default_configENS1_25partition_config_selectorILNS1_17partition_subalgoE9EsjbEEZZNS1_14partition_implILS5_9ELb0ES3_jN6thrust23THRUST_200600_302600_NS6detail15normal_iteratorINS9_10device_ptrIsEEEENSB_INSC_IjEEEEPNS0_10empty_typeENS0_5tupleIJSE_SH_EEENSJ_IJNS9_16discard_iteratorINS9_11use_defaultEEESI_EEENS0_18inequality_wrapperINS9_8equal_toIsEEEEPmJSH_EEE10hipError_tPvRmT3_T4_T5_T6_T7_T9_mT8_P12ihipStream_tbDpT10_ENKUlT_T0_E_clISt17integral_constantIbLb1EES1C_IbLb0EEEEDaS18_S19_EUlS18_E_NS1_11comp_targetILNS1_3genE0ELNS1_11target_archE4294967295ELNS1_3gpuE0ELNS1_3repE0EEENS1_30default_config_static_selectorELNS0_4arch9wavefront6targetE0EEEvT1_
    .private_segment_fixed_size: 0
    .sgpr_count:     0
    .sgpr_spill_count: 0
    .symbol:         _ZN7rocprim17ROCPRIM_400000_NS6detail17trampoline_kernelINS0_14default_configENS1_25partition_config_selectorILNS1_17partition_subalgoE9EsjbEEZZNS1_14partition_implILS5_9ELb0ES3_jN6thrust23THRUST_200600_302600_NS6detail15normal_iteratorINS9_10device_ptrIsEEEENSB_INSC_IjEEEEPNS0_10empty_typeENS0_5tupleIJSE_SH_EEENSJ_IJNS9_16discard_iteratorINS9_11use_defaultEEESI_EEENS0_18inequality_wrapperINS9_8equal_toIsEEEEPmJSH_EEE10hipError_tPvRmT3_T4_T5_T6_T7_T9_mT8_P12ihipStream_tbDpT10_ENKUlT_T0_E_clISt17integral_constantIbLb1EES1C_IbLb0EEEEDaS18_S19_EUlS18_E_NS1_11comp_targetILNS1_3genE0ELNS1_11target_archE4294967295ELNS1_3gpuE0ELNS1_3repE0EEENS1_30default_config_static_selectorELNS0_4arch9wavefront6targetE0EEEvT1_.kd
    .uniform_work_group_size: 1
    .uses_dynamic_stack: false
    .vgpr_count:     0
    .vgpr_spill_count: 0
    .wavefront_size: 32
    .workgroup_processor_mode: 1
  - .args:
      - .offset:         0
        .size:           120
        .value_kind:     by_value
    .group_segment_fixed_size: 0
    .kernarg_segment_align: 8
    .kernarg_segment_size: 120
    .language:       OpenCL C
    .language_version:
      - 2
      - 0
    .max_flat_workgroup_size: 512
    .name:           _ZN7rocprim17ROCPRIM_400000_NS6detail17trampoline_kernelINS0_14default_configENS1_25partition_config_selectorILNS1_17partition_subalgoE9EsjbEEZZNS1_14partition_implILS5_9ELb0ES3_jN6thrust23THRUST_200600_302600_NS6detail15normal_iteratorINS9_10device_ptrIsEEEENSB_INSC_IjEEEEPNS0_10empty_typeENS0_5tupleIJSE_SH_EEENSJ_IJNS9_16discard_iteratorINS9_11use_defaultEEESI_EEENS0_18inequality_wrapperINS9_8equal_toIsEEEEPmJSH_EEE10hipError_tPvRmT3_T4_T5_T6_T7_T9_mT8_P12ihipStream_tbDpT10_ENKUlT_T0_E_clISt17integral_constantIbLb1EES1C_IbLb0EEEEDaS18_S19_EUlS18_E_NS1_11comp_targetILNS1_3genE5ELNS1_11target_archE942ELNS1_3gpuE9ELNS1_3repE0EEENS1_30default_config_static_selectorELNS0_4arch9wavefront6targetE0EEEvT1_
    .private_segment_fixed_size: 0
    .sgpr_count:     0
    .sgpr_spill_count: 0
    .symbol:         _ZN7rocprim17ROCPRIM_400000_NS6detail17trampoline_kernelINS0_14default_configENS1_25partition_config_selectorILNS1_17partition_subalgoE9EsjbEEZZNS1_14partition_implILS5_9ELb0ES3_jN6thrust23THRUST_200600_302600_NS6detail15normal_iteratorINS9_10device_ptrIsEEEENSB_INSC_IjEEEEPNS0_10empty_typeENS0_5tupleIJSE_SH_EEENSJ_IJNS9_16discard_iteratorINS9_11use_defaultEEESI_EEENS0_18inequality_wrapperINS9_8equal_toIsEEEEPmJSH_EEE10hipError_tPvRmT3_T4_T5_T6_T7_T9_mT8_P12ihipStream_tbDpT10_ENKUlT_T0_E_clISt17integral_constantIbLb1EES1C_IbLb0EEEEDaS18_S19_EUlS18_E_NS1_11comp_targetILNS1_3genE5ELNS1_11target_archE942ELNS1_3gpuE9ELNS1_3repE0EEENS1_30default_config_static_selectorELNS0_4arch9wavefront6targetE0EEEvT1_.kd
    .uniform_work_group_size: 1
    .uses_dynamic_stack: false
    .vgpr_count:     0
    .vgpr_spill_count: 0
    .wavefront_size: 32
    .workgroup_processor_mode: 1
  - .args:
      - .offset:         0
        .size:           120
        .value_kind:     by_value
    .group_segment_fixed_size: 0
    .kernarg_segment_align: 8
    .kernarg_segment_size: 120
    .language:       OpenCL C
    .language_version:
      - 2
      - 0
    .max_flat_workgroup_size: 192
    .name:           _ZN7rocprim17ROCPRIM_400000_NS6detail17trampoline_kernelINS0_14default_configENS1_25partition_config_selectorILNS1_17partition_subalgoE9EsjbEEZZNS1_14partition_implILS5_9ELb0ES3_jN6thrust23THRUST_200600_302600_NS6detail15normal_iteratorINS9_10device_ptrIsEEEENSB_INSC_IjEEEEPNS0_10empty_typeENS0_5tupleIJSE_SH_EEENSJ_IJNS9_16discard_iteratorINS9_11use_defaultEEESI_EEENS0_18inequality_wrapperINS9_8equal_toIsEEEEPmJSH_EEE10hipError_tPvRmT3_T4_T5_T6_T7_T9_mT8_P12ihipStream_tbDpT10_ENKUlT_T0_E_clISt17integral_constantIbLb1EES1C_IbLb0EEEEDaS18_S19_EUlS18_E_NS1_11comp_targetILNS1_3genE4ELNS1_11target_archE910ELNS1_3gpuE8ELNS1_3repE0EEENS1_30default_config_static_selectorELNS0_4arch9wavefront6targetE0EEEvT1_
    .private_segment_fixed_size: 0
    .sgpr_count:     0
    .sgpr_spill_count: 0
    .symbol:         _ZN7rocprim17ROCPRIM_400000_NS6detail17trampoline_kernelINS0_14default_configENS1_25partition_config_selectorILNS1_17partition_subalgoE9EsjbEEZZNS1_14partition_implILS5_9ELb0ES3_jN6thrust23THRUST_200600_302600_NS6detail15normal_iteratorINS9_10device_ptrIsEEEENSB_INSC_IjEEEEPNS0_10empty_typeENS0_5tupleIJSE_SH_EEENSJ_IJNS9_16discard_iteratorINS9_11use_defaultEEESI_EEENS0_18inequality_wrapperINS9_8equal_toIsEEEEPmJSH_EEE10hipError_tPvRmT3_T4_T5_T6_T7_T9_mT8_P12ihipStream_tbDpT10_ENKUlT_T0_E_clISt17integral_constantIbLb1EES1C_IbLb0EEEEDaS18_S19_EUlS18_E_NS1_11comp_targetILNS1_3genE4ELNS1_11target_archE910ELNS1_3gpuE8ELNS1_3repE0EEENS1_30default_config_static_selectorELNS0_4arch9wavefront6targetE0EEEvT1_.kd
    .uniform_work_group_size: 1
    .uses_dynamic_stack: false
    .vgpr_count:     0
    .vgpr_spill_count: 0
    .wavefront_size: 32
    .workgroup_processor_mode: 1
  - .args:
      - .offset:         0
        .size:           120
        .value_kind:     by_value
    .group_segment_fixed_size: 0
    .kernarg_segment_align: 8
    .kernarg_segment_size: 120
    .language:       OpenCL C
    .language_version:
      - 2
      - 0
    .max_flat_workgroup_size: 256
    .name:           _ZN7rocprim17ROCPRIM_400000_NS6detail17trampoline_kernelINS0_14default_configENS1_25partition_config_selectorILNS1_17partition_subalgoE9EsjbEEZZNS1_14partition_implILS5_9ELb0ES3_jN6thrust23THRUST_200600_302600_NS6detail15normal_iteratorINS9_10device_ptrIsEEEENSB_INSC_IjEEEEPNS0_10empty_typeENS0_5tupleIJSE_SH_EEENSJ_IJNS9_16discard_iteratorINS9_11use_defaultEEESI_EEENS0_18inequality_wrapperINS9_8equal_toIsEEEEPmJSH_EEE10hipError_tPvRmT3_T4_T5_T6_T7_T9_mT8_P12ihipStream_tbDpT10_ENKUlT_T0_E_clISt17integral_constantIbLb1EES1C_IbLb0EEEEDaS18_S19_EUlS18_E_NS1_11comp_targetILNS1_3genE3ELNS1_11target_archE908ELNS1_3gpuE7ELNS1_3repE0EEENS1_30default_config_static_selectorELNS0_4arch9wavefront6targetE0EEEvT1_
    .private_segment_fixed_size: 0
    .sgpr_count:     0
    .sgpr_spill_count: 0
    .symbol:         _ZN7rocprim17ROCPRIM_400000_NS6detail17trampoline_kernelINS0_14default_configENS1_25partition_config_selectorILNS1_17partition_subalgoE9EsjbEEZZNS1_14partition_implILS5_9ELb0ES3_jN6thrust23THRUST_200600_302600_NS6detail15normal_iteratorINS9_10device_ptrIsEEEENSB_INSC_IjEEEEPNS0_10empty_typeENS0_5tupleIJSE_SH_EEENSJ_IJNS9_16discard_iteratorINS9_11use_defaultEEESI_EEENS0_18inequality_wrapperINS9_8equal_toIsEEEEPmJSH_EEE10hipError_tPvRmT3_T4_T5_T6_T7_T9_mT8_P12ihipStream_tbDpT10_ENKUlT_T0_E_clISt17integral_constantIbLb1EES1C_IbLb0EEEEDaS18_S19_EUlS18_E_NS1_11comp_targetILNS1_3genE3ELNS1_11target_archE908ELNS1_3gpuE7ELNS1_3repE0EEENS1_30default_config_static_selectorELNS0_4arch9wavefront6targetE0EEEvT1_.kd
    .uniform_work_group_size: 1
    .uses_dynamic_stack: false
    .vgpr_count:     0
    .vgpr_spill_count: 0
    .wavefront_size: 32
    .workgroup_processor_mode: 1
  - .args:
      - .offset:         0
        .size:           120
        .value_kind:     by_value
    .group_segment_fixed_size: 0
    .kernarg_segment_align: 8
    .kernarg_segment_size: 120
    .language:       OpenCL C
    .language_version:
      - 2
      - 0
    .max_flat_workgroup_size: 256
    .name:           _ZN7rocprim17ROCPRIM_400000_NS6detail17trampoline_kernelINS0_14default_configENS1_25partition_config_selectorILNS1_17partition_subalgoE9EsjbEEZZNS1_14partition_implILS5_9ELb0ES3_jN6thrust23THRUST_200600_302600_NS6detail15normal_iteratorINS9_10device_ptrIsEEEENSB_INSC_IjEEEEPNS0_10empty_typeENS0_5tupleIJSE_SH_EEENSJ_IJNS9_16discard_iteratorINS9_11use_defaultEEESI_EEENS0_18inequality_wrapperINS9_8equal_toIsEEEEPmJSH_EEE10hipError_tPvRmT3_T4_T5_T6_T7_T9_mT8_P12ihipStream_tbDpT10_ENKUlT_T0_E_clISt17integral_constantIbLb1EES1C_IbLb0EEEEDaS18_S19_EUlS18_E_NS1_11comp_targetILNS1_3genE2ELNS1_11target_archE906ELNS1_3gpuE6ELNS1_3repE0EEENS1_30default_config_static_selectorELNS0_4arch9wavefront6targetE0EEEvT1_
    .private_segment_fixed_size: 0
    .sgpr_count:     0
    .sgpr_spill_count: 0
    .symbol:         _ZN7rocprim17ROCPRIM_400000_NS6detail17trampoline_kernelINS0_14default_configENS1_25partition_config_selectorILNS1_17partition_subalgoE9EsjbEEZZNS1_14partition_implILS5_9ELb0ES3_jN6thrust23THRUST_200600_302600_NS6detail15normal_iteratorINS9_10device_ptrIsEEEENSB_INSC_IjEEEEPNS0_10empty_typeENS0_5tupleIJSE_SH_EEENSJ_IJNS9_16discard_iteratorINS9_11use_defaultEEESI_EEENS0_18inequality_wrapperINS9_8equal_toIsEEEEPmJSH_EEE10hipError_tPvRmT3_T4_T5_T6_T7_T9_mT8_P12ihipStream_tbDpT10_ENKUlT_T0_E_clISt17integral_constantIbLb1EES1C_IbLb0EEEEDaS18_S19_EUlS18_E_NS1_11comp_targetILNS1_3genE2ELNS1_11target_archE906ELNS1_3gpuE6ELNS1_3repE0EEENS1_30default_config_static_selectorELNS0_4arch9wavefront6targetE0EEEvT1_.kd
    .uniform_work_group_size: 1
    .uses_dynamic_stack: false
    .vgpr_count:     0
    .vgpr_spill_count: 0
    .wavefront_size: 32
    .workgroup_processor_mode: 1
  - .args:
      - .offset:         0
        .size:           120
        .value_kind:     by_value
    .group_segment_fixed_size: 0
    .kernarg_segment_align: 8
    .kernarg_segment_size: 120
    .language:       OpenCL C
    .language_version:
      - 2
      - 0
    .max_flat_workgroup_size: 512
    .name:           _ZN7rocprim17ROCPRIM_400000_NS6detail17trampoline_kernelINS0_14default_configENS1_25partition_config_selectorILNS1_17partition_subalgoE9EsjbEEZZNS1_14partition_implILS5_9ELb0ES3_jN6thrust23THRUST_200600_302600_NS6detail15normal_iteratorINS9_10device_ptrIsEEEENSB_INSC_IjEEEEPNS0_10empty_typeENS0_5tupleIJSE_SH_EEENSJ_IJNS9_16discard_iteratorINS9_11use_defaultEEESI_EEENS0_18inequality_wrapperINS9_8equal_toIsEEEEPmJSH_EEE10hipError_tPvRmT3_T4_T5_T6_T7_T9_mT8_P12ihipStream_tbDpT10_ENKUlT_T0_E_clISt17integral_constantIbLb1EES1C_IbLb0EEEEDaS18_S19_EUlS18_E_NS1_11comp_targetILNS1_3genE10ELNS1_11target_archE1200ELNS1_3gpuE4ELNS1_3repE0EEENS1_30default_config_static_selectorELNS0_4arch9wavefront6targetE0EEEvT1_
    .private_segment_fixed_size: 0
    .sgpr_count:     0
    .sgpr_spill_count: 0
    .symbol:         _ZN7rocprim17ROCPRIM_400000_NS6detail17trampoline_kernelINS0_14default_configENS1_25partition_config_selectorILNS1_17partition_subalgoE9EsjbEEZZNS1_14partition_implILS5_9ELb0ES3_jN6thrust23THRUST_200600_302600_NS6detail15normal_iteratorINS9_10device_ptrIsEEEENSB_INSC_IjEEEEPNS0_10empty_typeENS0_5tupleIJSE_SH_EEENSJ_IJNS9_16discard_iteratorINS9_11use_defaultEEESI_EEENS0_18inequality_wrapperINS9_8equal_toIsEEEEPmJSH_EEE10hipError_tPvRmT3_T4_T5_T6_T7_T9_mT8_P12ihipStream_tbDpT10_ENKUlT_T0_E_clISt17integral_constantIbLb1EES1C_IbLb0EEEEDaS18_S19_EUlS18_E_NS1_11comp_targetILNS1_3genE10ELNS1_11target_archE1200ELNS1_3gpuE4ELNS1_3repE0EEENS1_30default_config_static_selectorELNS0_4arch9wavefront6targetE0EEEvT1_.kd
    .uniform_work_group_size: 1
    .uses_dynamic_stack: false
    .vgpr_count:     0
    .vgpr_spill_count: 0
    .wavefront_size: 32
    .workgroup_processor_mode: 1
  - .args:
      - .offset:         0
        .size:           120
        .value_kind:     by_value
    .group_segment_fixed_size: 5640
    .kernarg_segment_align: 8
    .kernarg_segment_size: 120
    .language:       OpenCL C
    .language_version:
      - 2
      - 0
    .max_flat_workgroup_size: 128
    .name:           _ZN7rocprim17ROCPRIM_400000_NS6detail17trampoline_kernelINS0_14default_configENS1_25partition_config_selectorILNS1_17partition_subalgoE9EsjbEEZZNS1_14partition_implILS5_9ELb0ES3_jN6thrust23THRUST_200600_302600_NS6detail15normal_iteratorINS9_10device_ptrIsEEEENSB_INSC_IjEEEEPNS0_10empty_typeENS0_5tupleIJSE_SH_EEENSJ_IJNS9_16discard_iteratorINS9_11use_defaultEEESI_EEENS0_18inequality_wrapperINS9_8equal_toIsEEEEPmJSH_EEE10hipError_tPvRmT3_T4_T5_T6_T7_T9_mT8_P12ihipStream_tbDpT10_ENKUlT_T0_E_clISt17integral_constantIbLb1EES1C_IbLb0EEEEDaS18_S19_EUlS18_E_NS1_11comp_targetILNS1_3genE9ELNS1_11target_archE1100ELNS1_3gpuE3ELNS1_3repE0EEENS1_30default_config_static_selectorELNS0_4arch9wavefront6targetE0EEEvT1_
    .private_segment_fixed_size: 0
    .sgpr_count:     26
    .sgpr_spill_count: 0
    .symbol:         _ZN7rocprim17ROCPRIM_400000_NS6detail17trampoline_kernelINS0_14default_configENS1_25partition_config_selectorILNS1_17partition_subalgoE9EsjbEEZZNS1_14partition_implILS5_9ELb0ES3_jN6thrust23THRUST_200600_302600_NS6detail15normal_iteratorINS9_10device_ptrIsEEEENSB_INSC_IjEEEEPNS0_10empty_typeENS0_5tupleIJSE_SH_EEENSJ_IJNS9_16discard_iteratorINS9_11use_defaultEEESI_EEENS0_18inequality_wrapperINS9_8equal_toIsEEEEPmJSH_EEE10hipError_tPvRmT3_T4_T5_T6_T7_T9_mT8_P12ihipStream_tbDpT10_ENKUlT_T0_E_clISt17integral_constantIbLb1EES1C_IbLb0EEEEDaS18_S19_EUlS18_E_NS1_11comp_targetILNS1_3genE9ELNS1_11target_archE1100ELNS1_3gpuE3ELNS1_3repE0EEENS1_30default_config_static_selectorELNS0_4arch9wavefront6targetE0EEEvT1_.kd
    .uniform_work_group_size: 1
    .uses_dynamic_stack: false
    .vgpr_count:     84
    .vgpr_spill_count: 0
    .wavefront_size: 32
    .workgroup_processor_mode: 1
  - .args:
      - .offset:         0
        .size:           120
        .value_kind:     by_value
    .group_segment_fixed_size: 0
    .kernarg_segment_align: 8
    .kernarg_segment_size: 120
    .language:       OpenCL C
    .language_version:
      - 2
      - 0
    .max_flat_workgroup_size: 512
    .name:           _ZN7rocprim17ROCPRIM_400000_NS6detail17trampoline_kernelINS0_14default_configENS1_25partition_config_selectorILNS1_17partition_subalgoE9EsjbEEZZNS1_14partition_implILS5_9ELb0ES3_jN6thrust23THRUST_200600_302600_NS6detail15normal_iteratorINS9_10device_ptrIsEEEENSB_INSC_IjEEEEPNS0_10empty_typeENS0_5tupleIJSE_SH_EEENSJ_IJNS9_16discard_iteratorINS9_11use_defaultEEESI_EEENS0_18inequality_wrapperINS9_8equal_toIsEEEEPmJSH_EEE10hipError_tPvRmT3_T4_T5_T6_T7_T9_mT8_P12ihipStream_tbDpT10_ENKUlT_T0_E_clISt17integral_constantIbLb1EES1C_IbLb0EEEEDaS18_S19_EUlS18_E_NS1_11comp_targetILNS1_3genE8ELNS1_11target_archE1030ELNS1_3gpuE2ELNS1_3repE0EEENS1_30default_config_static_selectorELNS0_4arch9wavefront6targetE0EEEvT1_
    .private_segment_fixed_size: 0
    .sgpr_count:     0
    .sgpr_spill_count: 0
    .symbol:         _ZN7rocprim17ROCPRIM_400000_NS6detail17trampoline_kernelINS0_14default_configENS1_25partition_config_selectorILNS1_17partition_subalgoE9EsjbEEZZNS1_14partition_implILS5_9ELb0ES3_jN6thrust23THRUST_200600_302600_NS6detail15normal_iteratorINS9_10device_ptrIsEEEENSB_INSC_IjEEEEPNS0_10empty_typeENS0_5tupleIJSE_SH_EEENSJ_IJNS9_16discard_iteratorINS9_11use_defaultEEESI_EEENS0_18inequality_wrapperINS9_8equal_toIsEEEEPmJSH_EEE10hipError_tPvRmT3_T4_T5_T6_T7_T9_mT8_P12ihipStream_tbDpT10_ENKUlT_T0_E_clISt17integral_constantIbLb1EES1C_IbLb0EEEEDaS18_S19_EUlS18_E_NS1_11comp_targetILNS1_3genE8ELNS1_11target_archE1030ELNS1_3gpuE2ELNS1_3repE0EEENS1_30default_config_static_selectorELNS0_4arch9wavefront6targetE0EEEvT1_.kd
    .uniform_work_group_size: 1
    .uses_dynamic_stack: false
    .vgpr_count:     0
    .vgpr_spill_count: 0
    .wavefront_size: 32
    .workgroup_processor_mode: 1
  - .args:
      - .offset:         0
        .size:           136
        .value_kind:     by_value
    .group_segment_fixed_size: 0
    .kernarg_segment_align: 8
    .kernarg_segment_size: 136
    .language:       OpenCL C
    .language_version:
      - 2
      - 0
    .max_flat_workgroup_size: 256
    .name:           _ZN7rocprim17ROCPRIM_400000_NS6detail17trampoline_kernelINS0_14default_configENS1_25partition_config_selectorILNS1_17partition_subalgoE9EsjbEEZZNS1_14partition_implILS5_9ELb0ES3_jN6thrust23THRUST_200600_302600_NS6detail15normal_iteratorINS9_10device_ptrIsEEEENSB_INSC_IjEEEEPNS0_10empty_typeENS0_5tupleIJSE_SH_EEENSJ_IJNS9_16discard_iteratorINS9_11use_defaultEEESI_EEENS0_18inequality_wrapperINS9_8equal_toIsEEEEPmJSH_EEE10hipError_tPvRmT3_T4_T5_T6_T7_T9_mT8_P12ihipStream_tbDpT10_ENKUlT_T0_E_clISt17integral_constantIbLb0EES1C_IbLb1EEEEDaS18_S19_EUlS18_E_NS1_11comp_targetILNS1_3genE0ELNS1_11target_archE4294967295ELNS1_3gpuE0ELNS1_3repE0EEENS1_30default_config_static_selectorELNS0_4arch9wavefront6targetE0EEEvT1_
    .private_segment_fixed_size: 0
    .sgpr_count:     0
    .sgpr_spill_count: 0
    .symbol:         _ZN7rocprim17ROCPRIM_400000_NS6detail17trampoline_kernelINS0_14default_configENS1_25partition_config_selectorILNS1_17partition_subalgoE9EsjbEEZZNS1_14partition_implILS5_9ELb0ES3_jN6thrust23THRUST_200600_302600_NS6detail15normal_iteratorINS9_10device_ptrIsEEEENSB_INSC_IjEEEEPNS0_10empty_typeENS0_5tupleIJSE_SH_EEENSJ_IJNS9_16discard_iteratorINS9_11use_defaultEEESI_EEENS0_18inequality_wrapperINS9_8equal_toIsEEEEPmJSH_EEE10hipError_tPvRmT3_T4_T5_T6_T7_T9_mT8_P12ihipStream_tbDpT10_ENKUlT_T0_E_clISt17integral_constantIbLb0EES1C_IbLb1EEEEDaS18_S19_EUlS18_E_NS1_11comp_targetILNS1_3genE0ELNS1_11target_archE4294967295ELNS1_3gpuE0ELNS1_3repE0EEENS1_30default_config_static_selectorELNS0_4arch9wavefront6targetE0EEEvT1_.kd
    .uniform_work_group_size: 1
    .uses_dynamic_stack: false
    .vgpr_count:     0
    .vgpr_spill_count: 0
    .wavefront_size: 32
    .workgroup_processor_mode: 1
  - .args:
      - .offset:         0
        .size:           136
        .value_kind:     by_value
    .group_segment_fixed_size: 0
    .kernarg_segment_align: 8
    .kernarg_segment_size: 136
    .language:       OpenCL C
    .language_version:
      - 2
      - 0
    .max_flat_workgroup_size: 512
    .name:           _ZN7rocprim17ROCPRIM_400000_NS6detail17trampoline_kernelINS0_14default_configENS1_25partition_config_selectorILNS1_17partition_subalgoE9EsjbEEZZNS1_14partition_implILS5_9ELb0ES3_jN6thrust23THRUST_200600_302600_NS6detail15normal_iteratorINS9_10device_ptrIsEEEENSB_INSC_IjEEEEPNS0_10empty_typeENS0_5tupleIJSE_SH_EEENSJ_IJNS9_16discard_iteratorINS9_11use_defaultEEESI_EEENS0_18inequality_wrapperINS9_8equal_toIsEEEEPmJSH_EEE10hipError_tPvRmT3_T4_T5_T6_T7_T9_mT8_P12ihipStream_tbDpT10_ENKUlT_T0_E_clISt17integral_constantIbLb0EES1C_IbLb1EEEEDaS18_S19_EUlS18_E_NS1_11comp_targetILNS1_3genE5ELNS1_11target_archE942ELNS1_3gpuE9ELNS1_3repE0EEENS1_30default_config_static_selectorELNS0_4arch9wavefront6targetE0EEEvT1_
    .private_segment_fixed_size: 0
    .sgpr_count:     0
    .sgpr_spill_count: 0
    .symbol:         _ZN7rocprim17ROCPRIM_400000_NS6detail17trampoline_kernelINS0_14default_configENS1_25partition_config_selectorILNS1_17partition_subalgoE9EsjbEEZZNS1_14partition_implILS5_9ELb0ES3_jN6thrust23THRUST_200600_302600_NS6detail15normal_iteratorINS9_10device_ptrIsEEEENSB_INSC_IjEEEEPNS0_10empty_typeENS0_5tupleIJSE_SH_EEENSJ_IJNS9_16discard_iteratorINS9_11use_defaultEEESI_EEENS0_18inequality_wrapperINS9_8equal_toIsEEEEPmJSH_EEE10hipError_tPvRmT3_T4_T5_T6_T7_T9_mT8_P12ihipStream_tbDpT10_ENKUlT_T0_E_clISt17integral_constantIbLb0EES1C_IbLb1EEEEDaS18_S19_EUlS18_E_NS1_11comp_targetILNS1_3genE5ELNS1_11target_archE942ELNS1_3gpuE9ELNS1_3repE0EEENS1_30default_config_static_selectorELNS0_4arch9wavefront6targetE0EEEvT1_.kd
    .uniform_work_group_size: 1
    .uses_dynamic_stack: false
    .vgpr_count:     0
    .vgpr_spill_count: 0
    .wavefront_size: 32
    .workgroup_processor_mode: 1
  - .args:
      - .offset:         0
        .size:           136
        .value_kind:     by_value
    .group_segment_fixed_size: 0
    .kernarg_segment_align: 8
    .kernarg_segment_size: 136
    .language:       OpenCL C
    .language_version:
      - 2
      - 0
    .max_flat_workgroup_size: 192
    .name:           _ZN7rocprim17ROCPRIM_400000_NS6detail17trampoline_kernelINS0_14default_configENS1_25partition_config_selectorILNS1_17partition_subalgoE9EsjbEEZZNS1_14partition_implILS5_9ELb0ES3_jN6thrust23THRUST_200600_302600_NS6detail15normal_iteratorINS9_10device_ptrIsEEEENSB_INSC_IjEEEEPNS0_10empty_typeENS0_5tupleIJSE_SH_EEENSJ_IJNS9_16discard_iteratorINS9_11use_defaultEEESI_EEENS0_18inequality_wrapperINS9_8equal_toIsEEEEPmJSH_EEE10hipError_tPvRmT3_T4_T5_T6_T7_T9_mT8_P12ihipStream_tbDpT10_ENKUlT_T0_E_clISt17integral_constantIbLb0EES1C_IbLb1EEEEDaS18_S19_EUlS18_E_NS1_11comp_targetILNS1_3genE4ELNS1_11target_archE910ELNS1_3gpuE8ELNS1_3repE0EEENS1_30default_config_static_selectorELNS0_4arch9wavefront6targetE0EEEvT1_
    .private_segment_fixed_size: 0
    .sgpr_count:     0
    .sgpr_spill_count: 0
    .symbol:         _ZN7rocprim17ROCPRIM_400000_NS6detail17trampoline_kernelINS0_14default_configENS1_25partition_config_selectorILNS1_17partition_subalgoE9EsjbEEZZNS1_14partition_implILS5_9ELb0ES3_jN6thrust23THRUST_200600_302600_NS6detail15normal_iteratorINS9_10device_ptrIsEEEENSB_INSC_IjEEEEPNS0_10empty_typeENS0_5tupleIJSE_SH_EEENSJ_IJNS9_16discard_iteratorINS9_11use_defaultEEESI_EEENS0_18inequality_wrapperINS9_8equal_toIsEEEEPmJSH_EEE10hipError_tPvRmT3_T4_T5_T6_T7_T9_mT8_P12ihipStream_tbDpT10_ENKUlT_T0_E_clISt17integral_constantIbLb0EES1C_IbLb1EEEEDaS18_S19_EUlS18_E_NS1_11comp_targetILNS1_3genE4ELNS1_11target_archE910ELNS1_3gpuE8ELNS1_3repE0EEENS1_30default_config_static_selectorELNS0_4arch9wavefront6targetE0EEEvT1_.kd
    .uniform_work_group_size: 1
    .uses_dynamic_stack: false
    .vgpr_count:     0
    .vgpr_spill_count: 0
    .wavefront_size: 32
    .workgroup_processor_mode: 1
  - .args:
      - .offset:         0
        .size:           136
        .value_kind:     by_value
    .group_segment_fixed_size: 0
    .kernarg_segment_align: 8
    .kernarg_segment_size: 136
    .language:       OpenCL C
    .language_version:
      - 2
      - 0
    .max_flat_workgroup_size: 256
    .name:           _ZN7rocprim17ROCPRIM_400000_NS6detail17trampoline_kernelINS0_14default_configENS1_25partition_config_selectorILNS1_17partition_subalgoE9EsjbEEZZNS1_14partition_implILS5_9ELb0ES3_jN6thrust23THRUST_200600_302600_NS6detail15normal_iteratorINS9_10device_ptrIsEEEENSB_INSC_IjEEEEPNS0_10empty_typeENS0_5tupleIJSE_SH_EEENSJ_IJNS9_16discard_iteratorINS9_11use_defaultEEESI_EEENS0_18inequality_wrapperINS9_8equal_toIsEEEEPmJSH_EEE10hipError_tPvRmT3_T4_T5_T6_T7_T9_mT8_P12ihipStream_tbDpT10_ENKUlT_T0_E_clISt17integral_constantIbLb0EES1C_IbLb1EEEEDaS18_S19_EUlS18_E_NS1_11comp_targetILNS1_3genE3ELNS1_11target_archE908ELNS1_3gpuE7ELNS1_3repE0EEENS1_30default_config_static_selectorELNS0_4arch9wavefront6targetE0EEEvT1_
    .private_segment_fixed_size: 0
    .sgpr_count:     0
    .sgpr_spill_count: 0
    .symbol:         _ZN7rocprim17ROCPRIM_400000_NS6detail17trampoline_kernelINS0_14default_configENS1_25partition_config_selectorILNS1_17partition_subalgoE9EsjbEEZZNS1_14partition_implILS5_9ELb0ES3_jN6thrust23THRUST_200600_302600_NS6detail15normal_iteratorINS9_10device_ptrIsEEEENSB_INSC_IjEEEEPNS0_10empty_typeENS0_5tupleIJSE_SH_EEENSJ_IJNS9_16discard_iteratorINS9_11use_defaultEEESI_EEENS0_18inequality_wrapperINS9_8equal_toIsEEEEPmJSH_EEE10hipError_tPvRmT3_T4_T5_T6_T7_T9_mT8_P12ihipStream_tbDpT10_ENKUlT_T0_E_clISt17integral_constantIbLb0EES1C_IbLb1EEEEDaS18_S19_EUlS18_E_NS1_11comp_targetILNS1_3genE3ELNS1_11target_archE908ELNS1_3gpuE7ELNS1_3repE0EEENS1_30default_config_static_selectorELNS0_4arch9wavefront6targetE0EEEvT1_.kd
    .uniform_work_group_size: 1
    .uses_dynamic_stack: false
    .vgpr_count:     0
    .vgpr_spill_count: 0
    .wavefront_size: 32
    .workgroup_processor_mode: 1
  - .args:
      - .offset:         0
        .size:           136
        .value_kind:     by_value
    .group_segment_fixed_size: 0
    .kernarg_segment_align: 8
    .kernarg_segment_size: 136
    .language:       OpenCL C
    .language_version:
      - 2
      - 0
    .max_flat_workgroup_size: 256
    .name:           _ZN7rocprim17ROCPRIM_400000_NS6detail17trampoline_kernelINS0_14default_configENS1_25partition_config_selectorILNS1_17partition_subalgoE9EsjbEEZZNS1_14partition_implILS5_9ELb0ES3_jN6thrust23THRUST_200600_302600_NS6detail15normal_iteratorINS9_10device_ptrIsEEEENSB_INSC_IjEEEEPNS0_10empty_typeENS0_5tupleIJSE_SH_EEENSJ_IJNS9_16discard_iteratorINS9_11use_defaultEEESI_EEENS0_18inequality_wrapperINS9_8equal_toIsEEEEPmJSH_EEE10hipError_tPvRmT3_T4_T5_T6_T7_T9_mT8_P12ihipStream_tbDpT10_ENKUlT_T0_E_clISt17integral_constantIbLb0EES1C_IbLb1EEEEDaS18_S19_EUlS18_E_NS1_11comp_targetILNS1_3genE2ELNS1_11target_archE906ELNS1_3gpuE6ELNS1_3repE0EEENS1_30default_config_static_selectorELNS0_4arch9wavefront6targetE0EEEvT1_
    .private_segment_fixed_size: 0
    .sgpr_count:     0
    .sgpr_spill_count: 0
    .symbol:         _ZN7rocprim17ROCPRIM_400000_NS6detail17trampoline_kernelINS0_14default_configENS1_25partition_config_selectorILNS1_17partition_subalgoE9EsjbEEZZNS1_14partition_implILS5_9ELb0ES3_jN6thrust23THRUST_200600_302600_NS6detail15normal_iteratorINS9_10device_ptrIsEEEENSB_INSC_IjEEEEPNS0_10empty_typeENS0_5tupleIJSE_SH_EEENSJ_IJNS9_16discard_iteratorINS9_11use_defaultEEESI_EEENS0_18inequality_wrapperINS9_8equal_toIsEEEEPmJSH_EEE10hipError_tPvRmT3_T4_T5_T6_T7_T9_mT8_P12ihipStream_tbDpT10_ENKUlT_T0_E_clISt17integral_constantIbLb0EES1C_IbLb1EEEEDaS18_S19_EUlS18_E_NS1_11comp_targetILNS1_3genE2ELNS1_11target_archE906ELNS1_3gpuE6ELNS1_3repE0EEENS1_30default_config_static_selectorELNS0_4arch9wavefront6targetE0EEEvT1_.kd
    .uniform_work_group_size: 1
    .uses_dynamic_stack: false
    .vgpr_count:     0
    .vgpr_spill_count: 0
    .wavefront_size: 32
    .workgroup_processor_mode: 1
  - .args:
      - .offset:         0
        .size:           136
        .value_kind:     by_value
    .group_segment_fixed_size: 0
    .kernarg_segment_align: 8
    .kernarg_segment_size: 136
    .language:       OpenCL C
    .language_version:
      - 2
      - 0
    .max_flat_workgroup_size: 512
    .name:           _ZN7rocprim17ROCPRIM_400000_NS6detail17trampoline_kernelINS0_14default_configENS1_25partition_config_selectorILNS1_17partition_subalgoE9EsjbEEZZNS1_14partition_implILS5_9ELb0ES3_jN6thrust23THRUST_200600_302600_NS6detail15normal_iteratorINS9_10device_ptrIsEEEENSB_INSC_IjEEEEPNS0_10empty_typeENS0_5tupleIJSE_SH_EEENSJ_IJNS9_16discard_iteratorINS9_11use_defaultEEESI_EEENS0_18inequality_wrapperINS9_8equal_toIsEEEEPmJSH_EEE10hipError_tPvRmT3_T4_T5_T6_T7_T9_mT8_P12ihipStream_tbDpT10_ENKUlT_T0_E_clISt17integral_constantIbLb0EES1C_IbLb1EEEEDaS18_S19_EUlS18_E_NS1_11comp_targetILNS1_3genE10ELNS1_11target_archE1200ELNS1_3gpuE4ELNS1_3repE0EEENS1_30default_config_static_selectorELNS0_4arch9wavefront6targetE0EEEvT1_
    .private_segment_fixed_size: 0
    .sgpr_count:     0
    .sgpr_spill_count: 0
    .symbol:         _ZN7rocprim17ROCPRIM_400000_NS6detail17trampoline_kernelINS0_14default_configENS1_25partition_config_selectorILNS1_17partition_subalgoE9EsjbEEZZNS1_14partition_implILS5_9ELb0ES3_jN6thrust23THRUST_200600_302600_NS6detail15normal_iteratorINS9_10device_ptrIsEEEENSB_INSC_IjEEEEPNS0_10empty_typeENS0_5tupleIJSE_SH_EEENSJ_IJNS9_16discard_iteratorINS9_11use_defaultEEESI_EEENS0_18inequality_wrapperINS9_8equal_toIsEEEEPmJSH_EEE10hipError_tPvRmT3_T4_T5_T6_T7_T9_mT8_P12ihipStream_tbDpT10_ENKUlT_T0_E_clISt17integral_constantIbLb0EES1C_IbLb1EEEEDaS18_S19_EUlS18_E_NS1_11comp_targetILNS1_3genE10ELNS1_11target_archE1200ELNS1_3gpuE4ELNS1_3repE0EEENS1_30default_config_static_selectorELNS0_4arch9wavefront6targetE0EEEvT1_.kd
    .uniform_work_group_size: 1
    .uses_dynamic_stack: false
    .vgpr_count:     0
    .vgpr_spill_count: 0
    .wavefront_size: 32
    .workgroup_processor_mode: 1
  - .args:
      - .offset:         0
        .size:           136
        .value_kind:     by_value
    .group_segment_fixed_size: 5640
    .kernarg_segment_align: 8
    .kernarg_segment_size: 136
    .language:       OpenCL C
    .language_version:
      - 2
      - 0
    .max_flat_workgroup_size: 128
    .name:           _ZN7rocprim17ROCPRIM_400000_NS6detail17trampoline_kernelINS0_14default_configENS1_25partition_config_selectorILNS1_17partition_subalgoE9EsjbEEZZNS1_14partition_implILS5_9ELb0ES3_jN6thrust23THRUST_200600_302600_NS6detail15normal_iteratorINS9_10device_ptrIsEEEENSB_INSC_IjEEEEPNS0_10empty_typeENS0_5tupleIJSE_SH_EEENSJ_IJNS9_16discard_iteratorINS9_11use_defaultEEESI_EEENS0_18inequality_wrapperINS9_8equal_toIsEEEEPmJSH_EEE10hipError_tPvRmT3_T4_T5_T6_T7_T9_mT8_P12ihipStream_tbDpT10_ENKUlT_T0_E_clISt17integral_constantIbLb0EES1C_IbLb1EEEEDaS18_S19_EUlS18_E_NS1_11comp_targetILNS1_3genE9ELNS1_11target_archE1100ELNS1_3gpuE3ELNS1_3repE0EEENS1_30default_config_static_selectorELNS0_4arch9wavefront6targetE0EEEvT1_
    .private_segment_fixed_size: 0
    .sgpr_count:     28
    .sgpr_spill_count: 0
    .symbol:         _ZN7rocprim17ROCPRIM_400000_NS6detail17trampoline_kernelINS0_14default_configENS1_25partition_config_selectorILNS1_17partition_subalgoE9EsjbEEZZNS1_14partition_implILS5_9ELb0ES3_jN6thrust23THRUST_200600_302600_NS6detail15normal_iteratorINS9_10device_ptrIsEEEENSB_INSC_IjEEEEPNS0_10empty_typeENS0_5tupleIJSE_SH_EEENSJ_IJNS9_16discard_iteratorINS9_11use_defaultEEESI_EEENS0_18inequality_wrapperINS9_8equal_toIsEEEEPmJSH_EEE10hipError_tPvRmT3_T4_T5_T6_T7_T9_mT8_P12ihipStream_tbDpT10_ENKUlT_T0_E_clISt17integral_constantIbLb0EES1C_IbLb1EEEEDaS18_S19_EUlS18_E_NS1_11comp_targetILNS1_3genE9ELNS1_11target_archE1100ELNS1_3gpuE3ELNS1_3repE0EEENS1_30default_config_static_selectorELNS0_4arch9wavefront6targetE0EEEvT1_.kd
    .uniform_work_group_size: 1
    .uses_dynamic_stack: false
    .vgpr_count:     86
    .vgpr_spill_count: 0
    .wavefront_size: 32
    .workgroup_processor_mode: 1
  - .args:
      - .offset:         0
        .size:           136
        .value_kind:     by_value
    .group_segment_fixed_size: 0
    .kernarg_segment_align: 8
    .kernarg_segment_size: 136
    .language:       OpenCL C
    .language_version:
      - 2
      - 0
    .max_flat_workgroup_size: 512
    .name:           _ZN7rocprim17ROCPRIM_400000_NS6detail17trampoline_kernelINS0_14default_configENS1_25partition_config_selectorILNS1_17partition_subalgoE9EsjbEEZZNS1_14partition_implILS5_9ELb0ES3_jN6thrust23THRUST_200600_302600_NS6detail15normal_iteratorINS9_10device_ptrIsEEEENSB_INSC_IjEEEEPNS0_10empty_typeENS0_5tupleIJSE_SH_EEENSJ_IJNS9_16discard_iteratorINS9_11use_defaultEEESI_EEENS0_18inequality_wrapperINS9_8equal_toIsEEEEPmJSH_EEE10hipError_tPvRmT3_T4_T5_T6_T7_T9_mT8_P12ihipStream_tbDpT10_ENKUlT_T0_E_clISt17integral_constantIbLb0EES1C_IbLb1EEEEDaS18_S19_EUlS18_E_NS1_11comp_targetILNS1_3genE8ELNS1_11target_archE1030ELNS1_3gpuE2ELNS1_3repE0EEENS1_30default_config_static_selectorELNS0_4arch9wavefront6targetE0EEEvT1_
    .private_segment_fixed_size: 0
    .sgpr_count:     0
    .sgpr_spill_count: 0
    .symbol:         _ZN7rocprim17ROCPRIM_400000_NS6detail17trampoline_kernelINS0_14default_configENS1_25partition_config_selectorILNS1_17partition_subalgoE9EsjbEEZZNS1_14partition_implILS5_9ELb0ES3_jN6thrust23THRUST_200600_302600_NS6detail15normal_iteratorINS9_10device_ptrIsEEEENSB_INSC_IjEEEEPNS0_10empty_typeENS0_5tupleIJSE_SH_EEENSJ_IJNS9_16discard_iteratorINS9_11use_defaultEEESI_EEENS0_18inequality_wrapperINS9_8equal_toIsEEEEPmJSH_EEE10hipError_tPvRmT3_T4_T5_T6_T7_T9_mT8_P12ihipStream_tbDpT10_ENKUlT_T0_E_clISt17integral_constantIbLb0EES1C_IbLb1EEEEDaS18_S19_EUlS18_E_NS1_11comp_targetILNS1_3genE8ELNS1_11target_archE1030ELNS1_3gpuE2ELNS1_3repE0EEENS1_30default_config_static_selectorELNS0_4arch9wavefront6targetE0EEEvT1_.kd
    .uniform_work_group_size: 1
    .uses_dynamic_stack: false
    .vgpr_count:     0
    .vgpr_spill_count: 0
    .wavefront_size: 32
    .workgroup_processor_mode: 1
  - .args:
      - .offset:         0
        .size:           120
        .value_kind:     by_value
    .group_segment_fixed_size: 0
    .kernarg_segment_align: 8
    .kernarg_segment_size: 120
    .language:       OpenCL C
    .language_version:
      - 2
      - 0
    .max_flat_workgroup_size: 256
    .name:           _ZN7rocprim17ROCPRIM_400000_NS6detail17trampoline_kernelINS0_14default_configENS1_25partition_config_selectorILNS1_17partition_subalgoE9EsjbEEZZNS1_14partition_implILS5_9ELb0ES3_jN6thrust23THRUST_200600_302600_NS6detail15normal_iteratorINS9_10device_ptrIsEEEENSB_INSC_IjEEEEPNS0_10empty_typeENS0_5tupleIJNS9_16discard_iteratorINS9_11use_defaultEEESH_EEENSJ_IJSG_SI_EEENS0_18inequality_wrapperINS9_8equal_toIsEEEEPmJSH_EEE10hipError_tPvRmT3_T4_T5_T6_T7_T9_mT8_P12ihipStream_tbDpT10_ENKUlT_T0_E_clISt17integral_constantIbLb0EES1D_EEDaS18_S19_EUlS18_E_NS1_11comp_targetILNS1_3genE0ELNS1_11target_archE4294967295ELNS1_3gpuE0ELNS1_3repE0EEENS1_30default_config_static_selectorELNS0_4arch9wavefront6targetE0EEEvT1_
    .private_segment_fixed_size: 0
    .sgpr_count:     0
    .sgpr_spill_count: 0
    .symbol:         _ZN7rocprim17ROCPRIM_400000_NS6detail17trampoline_kernelINS0_14default_configENS1_25partition_config_selectorILNS1_17partition_subalgoE9EsjbEEZZNS1_14partition_implILS5_9ELb0ES3_jN6thrust23THRUST_200600_302600_NS6detail15normal_iteratorINS9_10device_ptrIsEEEENSB_INSC_IjEEEEPNS0_10empty_typeENS0_5tupleIJNS9_16discard_iteratorINS9_11use_defaultEEESH_EEENSJ_IJSG_SI_EEENS0_18inequality_wrapperINS9_8equal_toIsEEEEPmJSH_EEE10hipError_tPvRmT3_T4_T5_T6_T7_T9_mT8_P12ihipStream_tbDpT10_ENKUlT_T0_E_clISt17integral_constantIbLb0EES1D_EEDaS18_S19_EUlS18_E_NS1_11comp_targetILNS1_3genE0ELNS1_11target_archE4294967295ELNS1_3gpuE0ELNS1_3repE0EEENS1_30default_config_static_selectorELNS0_4arch9wavefront6targetE0EEEvT1_.kd
    .uniform_work_group_size: 1
    .uses_dynamic_stack: false
    .vgpr_count:     0
    .vgpr_spill_count: 0
    .wavefront_size: 32
    .workgroup_processor_mode: 1
  - .args:
      - .offset:         0
        .size:           120
        .value_kind:     by_value
    .group_segment_fixed_size: 0
    .kernarg_segment_align: 8
    .kernarg_segment_size: 120
    .language:       OpenCL C
    .language_version:
      - 2
      - 0
    .max_flat_workgroup_size: 512
    .name:           _ZN7rocprim17ROCPRIM_400000_NS6detail17trampoline_kernelINS0_14default_configENS1_25partition_config_selectorILNS1_17partition_subalgoE9EsjbEEZZNS1_14partition_implILS5_9ELb0ES3_jN6thrust23THRUST_200600_302600_NS6detail15normal_iteratorINS9_10device_ptrIsEEEENSB_INSC_IjEEEEPNS0_10empty_typeENS0_5tupleIJNS9_16discard_iteratorINS9_11use_defaultEEESH_EEENSJ_IJSG_SI_EEENS0_18inequality_wrapperINS9_8equal_toIsEEEEPmJSH_EEE10hipError_tPvRmT3_T4_T5_T6_T7_T9_mT8_P12ihipStream_tbDpT10_ENKUlT_T0_E_clISt17integral_constantIbLb0EES1D_EEDaS18_S19_EUlS18_E_NS1_11comp_targetILNS1_3genE5ELNS1_11target_archE942ELNS1_3gpuE9ELNS1_3repE0EEENS1_30default_config_static_selectorELNS0_4arch9wavefront6targetE0EEEvT1_
    .private_segment_fixed_size: 0
    .sgpr_count:     0
    .sgpr_spill_count: 0
    .symbol:         _ZN7rocprim17ROCPRIM_400000_NS6detail17trampoline_kernelINS0_14default_configENS1_25partition_config_selectorILNS1_17partition_subalgoE9EsjbEEZZNS1_14partition_implILS5_9ELb0ES3_jN6thrust23THRUST_200600_302600_NS6detail15normal_iteratorINS9_10device_ptrIsEEEENSB_INSC_IjEEEEPNS0_10empty_typeENS0_5tupleIJNS9_16discard_iteratorINS9_11use_defaultEEESH_EEENSJ_IJSG_SI_EEENS0_18inequality_wrapperINS9_8equal_toIsEEEEPmJSH_EEE10hipError_tPvRmT3_T4_T5_T6_T7_T9_mT8_P12ihipStream_tbDpT10_ENKUlT_T0_E_clISt17integral_constantIbLb0EES1D_EEDaS18_S19_EUlS18_E_NS1_11comp_targetILNS1_3genE5ELNS1_11target_archE942ELNS1_3gpuE9ELNS1_3repE0EEENS1_30default_config_static_selectorELNS0_4arch9wavefront6targetE0EEEvT1_.kd
    .uniform_work_group_size: 1
    .uses_dynamic_stack: false
    .vgpr_count:     0
    .vgpr_spill_count: 0
    .wavefront_size: 32
    .workgroup_processor_mode: 1
  - .args:
      - .offset:         0
        .size:           120
        .value_kind:     by_value
    .group_segment_fixed_size: 0
    .kernarg_segment_align: 8
    .kernarg_segment_size: 120
    .language:       OpenCL C
    .language_version:
      - 2
      - 0
    .max_flat_workgroup_size: 192
    .name:           _ZN7rocprim17ROCPRIM_400000_NS6detail17trampoline_kernelINS0_14default_configENS1_25partition_config_selectorILNS1_17partition_subalgoE9EsjbEEZZNS1_14partition_implILS5_9ELb0ES3_jN6thrust23THRUST_200600_302600_NS6detail15normal_iteratorINS9_10device_ptrIsEEEENSB_INSC_IjEEEEPNS0_10empty_typeENS0_5tupleIJNS9_16discard_iteratorINS9_11use_defaultEEESH_EEENSJ_IJSG_SI_EEENS0_18inequality_wrapperINS9_8equal_toIsEEEEPmJSH_EEE10hipError_tPvRmT3_T4_T5_T6_T7_T9_mT8_P12ihipStream_tbDpT10_ENKUlT_T0_E_clISt17integral_constantIbLb0EES1D_EEDaS18_S19_EUlS18_E_NS1_11comp_targetILNS1_3genE4ELNS1_11target_archE910ELNS1_3gpuE8ELNS1_3repE0EEENS1_30default_config_static_selectorELNS0_4arch9wavefront6targetE0EEEvT1_
    .private_segment_fixed_size: 0
    .sgpr_count:     0
    .sgpr_spill_count: 0
    .symbol:         _ZN7rocprim17ROCPRIM_400000_NS6detail17trampoline_kernelINS0_14default_configENS1_25partition_config_selectorILNS1_17partition_subalgoE9EsjbEEZZNS1_14partition_implILS5_9ELb0ES3_jN6thrust23THRUST_200600_302600_NS6detail15normal_iteratorINS9_10device_ptrIsEEEENSB_INSC_IjEEEEPNS0_10empty_typeENS0_5tupleIJNS9_16discard_iteratorINS9_11use_defaultEEESH_EEENSJ_IJSG_SI_EEENS0_18inequality_wrapperINS9_8equal_toIsEEEEPmJSH_EEE10hipError_tPvRmT3_T4_T5_T6_T7_T9_mT8_P12ihipStream_tbDpT10_ENKUlT_T0_E_clISt17integral_constantIbLb0EES1D_EEDaS18_S19_EUlS18_E_NS1_11comp_targetILNS1_3genE4ELNS1_11target_archE910ELNS1_3gpuE8ELNS1_3repE0EEENS1_30default_config_static_selectorELNS0_4arch9wavefront6targetE0EEEvT1_.kd
    .uniform_work_group_size: 1
    .uses_dynamic_stack: false
    .vgpr_count:     0
    .vgpr_spill_count: 0
    .wavefront_size: 32
    .workgroup_processor_mode: 1
  - .args:
      - .offset:         0
        .size:           120
        .value_kind:     by_value
    .group_segment_fixed_size: 0
    .kernarg_segment_align: 8
    .kernarg_segment_size: 120
    .language:       OpenCL C
    .language_version:
      - 2
      - 0
    .max_flat_workgroup_size: 256
    .name:           _ZN7rocprim17ROCPRIM_400000_NS6detail17trampoline_kernelINS0_14default_configENS1_25partition_config_selectorILNS1_17partition_subalgoE9EsjbEEZZNS1_14partition_implILS5_9ELb0ES3_jN6thrust23THRUST_200600_302600_NS6detail15normal_iteratorINS9_10device_ptrIsEEEENSB_INSC_IjEEEEPNS0_10empty_typeENS0_5tupleIJNS9_16discard_iteratorINS9_11use_defaultEEESH_EEENSJ_IJSG_SI_EEENS0_18inequality_wrapperINS9_8equal_toIsEEEEPmJSH_EEE10hipError_tPvRmT3_T4_T5_T6_T7_T9_mT8_P12ihipStream_tbDpT10_ENKUlT_T0_E_clISt17integral_constantIbLb0EES1D_EEDaS18_S19_EUlS18_E_NS1_11comp_targetILNS1_3genE3ELNS1_11target_archE908ELNS1_3gpuE7ELNS1_3repE0EEENS1_30default_config_static_selectorELNS0_4arch9wavefront6targetE0EEEvT1_
    .private_segment_fixed_size: 0
    .sgpr_count:     0
    .sgpr_spill_count: 0
    .symbol:         _ZN7rocprim17ROCPRIM_400000_NS6detail17trampoline_kernelINS0_14default_configENS1_25partition_config_selectorILNS1_17partition_subalgoE9EsjbEEZZNS1_14partition_implILS5_9ELb0ES3_jN6thrust23THRUST_200600_302600_NS6detail15normal_iteratorINS9_10device_ptrIsEEEENSB_INSC_IjEEEEPNS0_10empty_typeENS0_5tupleIJNS9_16discard_iteratorINS9_11use_defaultEEESH_EEENSJ_IJSG_SI_EEENS0_18inequality_wrapperINS9_8equal_toIsEEEEPmJSH_EEE10hipError_tPvRmT3_T4_T5_T6_T7_T9_mT8_P12ihipStream_tbDpT10_ENKUlT_T0_E_clISt17integral_constantIbLb0EES1D_EEDaS18_S19_EUlS18_E_NS1_11comp_targetILNS1_3genE3ELNS1_11target_archE908ELNS1_3gpuE7ELNS1_3repE0EEENS1_30default_config_static_selectorELNS0_4arch9wavefront6targetE0EEEvT1_.kd
    .uniform_work_group_size: 1
    .uses_dynamic_stack: false
    .vgpr_count:     0
    .vgpr_spill_count: 0
    .wavefront_size: 32
    .workgroup_processor_mode: 1
  - .args:
      - .offset:         0
        .size:           120
        .value_kind:     by_value
    .group_segment_fixed_size: 0
    .kernarg_segment_align: 8
    .kernarg_segment_size: 120
    .language:       OpenCL C
    .language_version:
      - 2
      - 0
    .max_flat_workgroup_size: 256
    .name:           _ZN7rocprim17ROCPRIM_400000_NS6detail17trampoline_kernelINS0_14default_configENS1_25partition_config_selectorILNS1_17partition_subalgoE9EsjbEEZZNS1_14partition_implILS5_9ELb0ES3_jN6thrust23THRUST_200600_302600_NS6detail15normal_iteratorINS9_10device_ptrIsEEEENSB_INSC_IjEEEEPNS0_10empty_typeENS0_5tupleIJNS9_16discard_iteratorINS9_11use_defaultEEESH_EEENSJ_IJSG_SI_EEENS0_18inequality_wrapperINS9_8equal_toIsEEEEPmJSH_EEE10hipError_tPvRmT3_T4_T5_T6_T7_T9_mT8_P12ihipStream_tbDpT10_ENKUlT_T0_E_clISt17integral_constantIbLb0EES1D_EEDaS18_S19_EUlS18_E_NS1_11comp_targetILNS1_3genE2ELNS1_11target_archE906ELNS1_3gpuE6ELNS1_3repE0EEENS1_30default_config_static_selectorELNS0_4arch9wavefront6targetE0EEEvT1_
    .private_segment_fixed_size: 0
    .sgpr_count:     0
    .sgpr_spill_count: 0
    .symbol:         _ZN7rocprim17ROCPRIM_400000_NS6detail17trampoline_kernelINS0_14default_configENS1_25partition_config_selectorILNS1_17partition_subalgoE9EsjbEEZZNS1_14partition_implILS5_9ELb0ES3_jN6thrust23THRUST_200600_302600_NS6detail15normal_iteratorINS9_10device_ptrIsEEEENSB_INSC_IjEEEEPNS0_10empty_typeENS0_5tupleIJNS9_16discard_iteratorINS9_11use_defaultEEESH_EEENSJ_IJSG_SI_EEENS0_18inequality_wrapperINS9_8equal_toIsEEEEPmJSH_EEE10hipError_tPvRmT3_T4_T5_T6_T7_T9_mT8_P12ihipStream_tbDpT10_ENKUlT_T0_E_clISt17integral_constantIbLb0EES1D_EEDaS18_S19_EUlS18_E_NS1_11comp_targetILNS1_3genE2ELNS1_11target_archE906ELNS1_3gpuE6ELNS1_3repE0EEENS1_30default_config_static_selectorELNS0_4arch9wavefront6targetE0EEEvT1_.kd
    .uniform_work_group_size: 1
    .uses_dynamic_stack: false
    .vgpr_count:     0
    .vgpr_spill_count: 0
    .wavefront_size: 32
    .workgroup_processor_mode: 1
  - .args:
      - .offset:         0
        .size:           120
        .value_kind:     by_value
    .group_segment_fixed_size: 0
    .kernarg_segment_align: 8
    .kernarg_segment_size: 120
    .language:       OpenCL C
    .language_version:
      - 2
      - 0
    .max_flat_workgroup_size: 512
    .name:           _ZN7rocprim17ROCPRIM_400000_NS6detail17trampoline_kernelINS0_14default_configENS1_25partition_config_selectorILNS1_17partition_subalgoE9EsjbEEZZNS1_14partition_implILS5_9ELb0ES3_jN6thrust23THRUST_200600_302600_NS6detail15normal_iteratorINS9_10device_ptrIsEEEENSB_INSC_IjEEEEPNS0_10empty_typeENS0_5tupleIJNS9_16discard_iteratorINS9_11use_defaultEEESH_EEENSJ_IJSG_SI_EEENS0_18inequality_wrapperINS9_8equal_toIsEEEEPmJSH_EEE10hipError_tPvRmT3_T4_T5_T6_T7_T9_mT8_P12ihipStream_tbDpT10_ENKUlT_T0_E_clISt17integral_constantIbLb0EES1D_EEDaS18_S19_EUlS18_E_NS1_11comp_targetILNS1_3genE10ELNS1_11target_archE1200ELNS1_3gpuE4ELNS1_3repE0EEENS1_30default_config_static_selectorELNS0_4arch9wavefront6targetE0EEEvT1_
    .private_segment_fixed_size: 0
    .sgpr_count:     0
    .sgpr_spill_count: 0
    .symbol:         _ZN7rocprim17ROCPRIM_400000_NS6detail17trampoline_kernelINS0_14default_configENS1_25partition_config_selectorILNS1_17partition_subalgoE9EsjbEEZZNS1_14partition_implILS5_9ELb0ES3_jN6thrust23THRUST_200600_302600_NS6detail15normal_iteratorINS9_10device_ptrIsEEEENSB_INSC_IjEEEEPNS0_10empty_typeENS0_5tupleIJNS9_16discard_iteratorINS9_11use_defaultEEESH_EEENSJ_IJSG_SI_EEENS0_18inequality_wrapperINS9_8equal_toIsEEEEPmJSH_EEE10hipError_tPvRmT3_T4_T5_T6_T7_T9_mT8_P12ihipStream_tbDpT10_ENKUlT_T0_E_clISt17integral_constantIbLb0EES1D_EEDaS18_S19_EUlS18_E_NS1_11comp_targetILNS1_3genE10ELNS1_11target_archE1200ELNS1_3gpuE4ELNS1_3repE0EEENS1_30default_config_static_selectorELNS0_4arch9wavefront6targetE0EEEvT1_.kd
    .uniform_work_group_size: 1
    .uses_dynamic_stack: false
    .vgpr_count:     0
    .vgpr_spill_count: 0
    .wavefront_size: 32
    .workgroup_processor_mode: 1
  - .args:
      - .offset:         0
        .size:           120
        .value_kind:     by_value
    .group_segment_fixed_size: 5640
    .kernarg_segment_align: 8
    .kernarg_segment_size: 120
    .language:       OpenCL C
    .language_version:
      - 2
      - 0
    .max_flat_workgroup_size: 128
    .name:           _ZN7rocprim17ROCPRIM_400000_NS6detail17trampoline_kernelINS0_14default_configENS1_25partition_config_selectorILNS1_17partition_subalgoE9EsjbEEZZNS1_14partition_implILS5_9ELb0ES3_jN6thrust23THRUST_200600_302600_NS6detail15normal_iteratorINS9_10device_ptrIsEEEENSB_INSC_IjEEEEPNS0_10empty_typeENS0_5tupleIJNS9_16discard_iteratorINS9_11use_defaultEEESH_EEENSJ_IJSG_SI_EEENS0_18inequality_wrapperINS9_8equal_toIsEEEEPmJSH_EEE10hipError_tPvRmT3_T4_T5_T6_T7_T9_mT8_P12ihipStream_tbDpT10_ENKUlT_T0_E_clISt17integral_constantIbLb0EES1D_EEDaS18_S19_EUlS18_E_NS1_11comp_targetILNS1_3genE9ELNS1_11target_archE1100ELNS1_3gpuE3ELNS1_3repE0EEENS1_30default_config_static_selectorELNS0_4arch9wavefront6targetE0EEEvT1_
    .private_segment_fixed_size: 0
    .sgpr_count:     26
    .sgpr_spill_count: 0
    .symbol:         _ZN7rocprim17ROCPRIM_400000_NS6detail17trampoline_kernelINS0_14default_configENS1_25partition_config_selectorILNS1_17partition_subalgoE9EsjbEEZZNS1_14partition_implILS5_9ELb0ES3_jN6thrust23THRUST_200600_302600_NS6detail15normal_iteratorINS9_10device_ptrIsEEEENSB_INSC_IjEEEEPNS0_10empty_typeENS0_5tupleIJNS9_16discard_iteratorINS9_11use_defaultEEESH_EEENSJ_IJSG_SI_EEENS0_18inequality_wrapperINS9_8equal_toIsEEEEPmJSH_EEE10hipError_tPvRmT3_T4_T5_T6_T7_T9_mT8_P12ihipStream_tbDpT10_ENKUlT_T0_E_clISt17integral_constantIbLb0EES1D_EEDaS18_S19_EUlS18_E_NS1_11comp_targetILNS1_3genE9ELNS1_11target_archE1100ELNS1_3gpuE3ELNS1_3repE0EEENS1_30default_config_static_selectorELNS0_4arch9wavefront6targetE0EEEvT1_.kd
    .uniform_work_group_size: 1
    .uses_dynamic_stack: false
    .vgpr_count:     61
    .vgpr_spill_count: 0
    .wavefront_size: 32
    .workgroup_processor_mode: 1
  - .args:
      - .offset:         0
        .size:           120
        .value_kind:     by_value
    .group_segment_fixed_size: 0
    .kernarg_segment_align: 8
    .kernarg_segment_size: 120
    .language:       OpenCL C
    .language_version:
      - 2
      - 0
    .max_flat_workgroup_size: 512
    .name:           _ZN7rocprim17ROCPRIM_400000_NS6detail17trampoline_kernelINS0_14default_configENS1_25partition_config_selectorILNS1_17partition_subalgoE9EsjbEEZZNS1_14partition_implILS5_9ELb0ES3_jN6thrust23THRUST_200600_302600_NS6detail15normal_iteratorINS9_10device_ptrIsEEEENSB_INSC_IjEEEEPNS0_10empty_typeENS0_5tupleIJNS9_16discard_iteratorINS9_11use_defaultEEESH_EEENSJ_IJSG_SI_EEENS0_18inequality_wrapperINS9_8equal_toIsEEEEPmJSH_EEE10hipError_tPvRmT3_T4_T5_T6_T7_T9_mT8_P12ihipStream_tbDpT10_ENKUlT_T0_E_clISt17integral_constantIbLb0EES1D_EEDaS18_S19_EUlS18_E_NS1_11comp_targetILNS1_3genE8ELNS1_11target_archE1030ELNS1_3gpuE2ELNS1_3repE0EEENS1_30default_config_static_selectorELNS0_4arch9wavefront6targetE0EEEvT1_
    .private_segment_fixed_size: 0
    .sgpr_count:     0
    .sgpr_spill_count: 0
    .symbol:         _ZN7rocprim17ROCPRIM_400000_NS6detail17trampoline_kernelINS0_14default_configENS1_25partition_config_selectorILNS1_17partition_subalgoE9EsjbEEZZNS1_14partition_implILS5_9ELb0ES3_jN6thrust23THRUST_200600_302600_NS6detail15normal_iteratorINS9_10device_ptrIsEEEENSB_INSC_IjEEEEPNS0_10empty_typeENS0_5tupleIJNS9_16discard_iteratorINS9_11use_defaultEEESH_EEENSJ_IJSG_SI_EEENS0_18inequality_wrapperINS9_8equal_toIsEEEEPmJSH_EEE10hipError_tPvRmT3_T4_T5_T6_T7_T9_mT8_P12ihipStream_tbDpT10_ENKUlT_T0_E_clISt17integral_constantIbLb0EES1D_EEDaS18_S19_EUlS18_E_NS1_11comp_targetILNS1_3genE8ELNS1_11target_archE1030ELNS1_3gpuE2ELNS1_3repE0EEENS1_30default_config_static_selectorELNS0_4arch9wavefront6targetE0EEEvT1_.kd
    .uniform_work_group_size: 1
    .uses_dynamic_stack: false
    .vgpr_count:     0
    .vgpr_spill_count: 0
    .wavefront_size: 32
    .workgroup_processor_mode: 1
  - .args:
      - .offset:         0
        .size:           136
        .value_kind:     by_value
    .group_segment_fixed_size: 0
    .kernarg_segment_align: 8
    .kernarg_segment_size: 136
    .language:       OpenCL C
    .language_version:
      - 2
      - 0
    .max_flat_workgroup_size: 256
    .name:           _ZN7rocprim17ROCPRIM_400000_NS6detail17trampoline_kernelINS0_14default_configENS1_25partition_config_selectorILNS1_17partition_subalgoE9EsjbEEZZNS1_14partition_implILS5_9ELb0ES3_jN6thrust23THRUST_200600_302600_NS6detail15normal_iteratorINS9_10device_ptrIsEEEENSB_INSC_IjEEEEPNS0_10empty_typeENS0_5tupleIJNS9_16discard_iteratorINS9_11use_defaultEEESH_EEENSJ_IJSG_SI_EEENS0_18inequality_wrapperINS9_8equal_toIsEEEEPmJSH_EEE10hipError_tPvRmT3_T4_T5_T6_T7_T9_mT8_P12ihipStream_tbDpT10_ENKUlT_T0_E_clISt17integral_constantIbLb1EES1D_EEDaS18_S19_EUlS18_E_NS1_11comp_targetILNS1_3genE0ELNS1_11target_archE4294967295ELNS1_3gpuE0ELNS1_3repE0EEENS1_30default_config_static_selectorELNS0_4arch9wavefront6targetE0EEEvT1_
    .private_segment_fixed_size: 0
    .sgpr_count:     0
    .sgpr_spill_count: 0
    .symbol:         _ZN7rocprim17ROCPRIM_400000_NS6detail17trampoline_kernelINS0_14default_configENS1_25partition_config_selectorILNS1_17partition_subalgoE9EsjbEEZZNS1_14partition_implILS5_9ELb0ES3_jN6thrust23THRUST_200600_302600_NS6detail15normal_iteratorINS9_10device_ptrIsEEEENSB_INSC_IjEEEEPNS0_10empty_typeENS0_5tupleIJNS9_16discard_iteratorINS9_11use_defaultEEESH_EEENSJ_IJSG_SI_EEENS0_18inequality_wrapperINS9_8equal_toIsEEEEPmJSH_EEE10hipError_tPvRmT3_T4_T5_T6_T7_T9_mT8_P12ihipStream_tbDpT10_ENKUlT_T0_E_clISt17integral_constantIbLb1EES1D_EEDaS18_S19_EUlS18_E_NS1_11comp_targetILNS1_3genE0ELNS1_11target_archE4294967295ELNS1_3gpuE0ELNS1_3repE0EEENS1_30default_config_static_selectorELNS0_4arch9wavefront6targetE0EEEvT1_.kd
    .uniform_work_group_size: 1
    .uses_dynamic_stack: false
    .vgpr_count:     0
    .vgpr_spill_count: 0
    .wavefront_size: 32
    .workgroup_processor_mode: 1
  - .args:
      - .offset:         0
        .size:           136
        .value_kind:     by_value
    .group_segment_fixed_size: 0
    .kernarg_segment_align: 8
    .kernarg_segment_size: 136
    .language:       OpenCL C
    .language_version:
      - 2
      - 0
    .max_flat_workgroup_size: 512
    .name:           _ZN7rocprim17ROCPRIM_400000_NS6detail17trampoline_kernelINS0_14default_configENS1_25partition_config_selectorILNS1_17partition_subalgoE9EsjbEEZZNS1_14partition_implILS5_9ELb0ES3_jN6thrust23THRUST_200600_302600_NS6detail15normal_iteratorINS9_10device_ptrIsEEEENSB_INSC_IjEEEEPNS0_10empty_typeENS0_5tupleIJNS9_16discard_iteratorINS9_11use_defaultEEESH_EEENSJ_IJSG_SI_EEENS0_18inequality_wrapperINS9_8equal_toIsEEEEPmJSH_EEE10hipError_tPvRmT3_T4_T5_T6_T7_T9_mT8_P12ihipStream_tbDpT10_ENKUlT_T0_E_clISt17integral_constantIbLb1EES1D_EEDaS18_S19_EUlS18_E_NS1_11comp_targetILNS1_3genE5ELNS1_11target_archE942ELNS1_3gpuE9ELNS1_3repE0EEENS1_30default_config_static_selectorELNS0_4arch9wavefront6targetE0EEEvT1_
    .private_segment_fixed_size: 0
    .sgpr_count:     0
    .sgpr_spill_count: 0
    .symbol:         _ZN7rocprim17ROCPRIM_400000_NS6detail17trampoline_kernelINS0_14default_configENS1_25partition_config_selectorILNS1_17partition_subalgoE9EsjbEEZZNS1_14partition_implILS5_9ELb0ES3_jN6thrust23THRUST_200600_302600_NS6detail15normal_iteratorINS9_10device_ptrIsEEEENSB_INSC_IjEEEEPNS0_10empty_typeENS0_5tupleIJNS9_16discard_iteratorINS9_11use_defaultEEESH_EEENSJ_IJSG_SI_EEENS0_18inequality_wrapperINS9_8equal_toIsEEEEPmJSH_EEE10hipError_tPvRmT3_T4_T5_T6_T7_T9_mT8_P12ihipStream_tbDpT10_ENKUlT_T0_E_clISt17integral_constantIbLb1EES1D_EEDaS18_S19_EUlS18_E_NS1_11comp_targetILNS1_3genE5ELNS1_11target_archE942ELNS1_3gpuE9ELNS1_3repE0EEENS1_30default_config_static_selectorELNS0_4arch9wavefront6targetE0EEEvT1_.kd
    .uniform_work_group_size: 1
    .uses_dynamic_stack: false
    .vgpr_count:     0
    .vgpr_spill_count: 0
    .wavefront_size: 32
    .workgroup_processor_mode: 1
  - .args:
      - .offset:         0
        .size:           136
        .value_kind:     by_value
    .group_segment_fixed_size: 0
    .kernarg_segment_align: 8
    .kernarg_segment_size: 136
    .language:       OpenCL C
    .language_version:
      - 2
      - 0
    .max_flat_workgroup_size: 192
    .name:           _ZN7rocprim17ROCPRIM_400000_NS6detail17trampoline_kernelINS0_14default_configENS1_25partition_config_selectorILNS1_17partition_subalgoE9EsjbEEZZNS1_14partition_implILS5_9ELb0ES3_jN6thrust23THRUST_200600_302600_NS6detail15normal_iteratorINS9_10device_ptrIsEEEENSB_INSC_IjEEEEPNS0_10empty_typeENS0_5tupleIJNS9_16discard_iteratorINS9_11use_defaultEEESH_EEENSJ_IJSG_SI_EEENS0_18inequality_wrapperINS9_8equal_toIsEEEEPmJSH_EEE10hipError_tPvRmT3_T4_T5_T6_T7_T9_mT8_P12ihipStream_tbDpT10_ENKUlT_T0_E_clISt17integral_constantIbLb1EES1D_EEDaS18_S19_EUlS18_E_NS1_11comp_targetILNS1_3genE4ELNS1_11target_archE910ELNS1_3gpuE8ELNS1_3repE0EEENS1_30default_config_static_selectorELNS0_4arch9wavefront6targetE0EEEvT1_
    .private_segment_fixed_size: 0
    .sgpr_count:     0
    .sgpr_spill_count: 0
    .symbol:         _ZN7rocprim17ROCPRIM_400000_NS6detail17trampoline_kernelINS0_14default_configENS1_25partition_config_selectorILNS1_17partition_subalgoE9EsjbEEZZNS1_14partition_implILS5_9ELb0ES3_jN6thrust23THRUST_200600_302600_NS6detail15normal_iteratorINS9_10device_ptrIsEEEENSB_INSC_IjEEEEPNS0_10empty_typeENS0_5tupleIJNS9_16discard_iteratorINS9_11use_defaultEEESH_EEENSJ_IJSG_SI_EEENS0_18inequality_wrapperINS9_8equal_toIsEEEEPmJSH_EEE10hipError_tPvRmT3_T4_T5_T6_T7_T9_mT8_P12ihipStream_tbDpT10_ENKUlT_T0_E_clISt17integral_constantIbLb1EES1D_EEDaS18_S19_EUlS18_E_NS1_11comp_targetILNS1_3genE4ELNS1_11target_archE910ELNS1_3gpuE8ELNS1_3repE0EEENS1_30default_config_static_selectorELNS0_4arch9wavefront6targetE0EEEvT1_.kd
    .uniform_work_group_size: 1
    .uses_dynamic_stack: false
    .vgpr_count:     0
    .vgpr_spill_count: 0
    .wavefront_size: 32
    .workgroup_processor_mode: 1
  - .args:
      - .offset:         0
        .size:           136
        .value_kind:     by_value
    .group_segment_fixed_size: 0
    .kernarg_segment_align: 8
    .kernarg_segment_size: 136
    .language:       OpenCL C
    .language_version:
      - 2
      - 0
    .max_flat_workgroup_size: 256
    .name:           _ZN7rocprim17ROCPRIM_400000_NS6detail17trampoline_kernelINS0_14default_configENS1_25partition_config_selectorILNS1_17partition_subalgoE9EsjbEEZZNS1_14partition_implILS5_9ELb0ES3_jN6thrust23THRUST_200600_302600_NS6detail15normal_iteratorINS9_10device_ptrIsEEEENSB_INSC_IjEEEEPNS0_10empty_typeENS0_5tupleIJNS9_16discard_iteratorINS9_11use_defaultEEESH_EEENSJ_IJSG_SI_EEENS0_18inequality_wrapperINS9_8equal_toIsEEEEPmJSH_EEE10hipError_tPvRmT3_T4_T5_T6_T7_T9_mT8_P12ihipStream_tbDpT10_ENKUlT_T0_E_clISt17integral_constantIbLb1EES1D_EEDaS18_S19_EUlS18_E_NS1_11comp_targetILNS1_3genE3ELNS1_11target_archE908ELNS1_3gpuE7ELNS1_3repE0EEENS1_30default_config_static_selectorELNS0_4arch9wavefront6targetE0EEEvT1_
    .private_segment_fixed_size: 0
    .sgpr_count:     0
    .sgpr_spill_count: 0
    .symbol:         _ZN7rocprim17ROCPRIM_400000_NS6detail17trampoline_kernelINS0_14default_configENS1_25partition_config_selectorILNS1_17partition_subalgoE9EsjbEEZZNS1_14partition_implILS5_9ELb0ES3_jN6thrust23THRUST_200600_302600_NS6detail15normal_iteratorINS9_10device_ptrIsEEEENSB_INSC_IjEEEEPNS0_10empty_typeENS0_5tupleIJNS9_16discard_iteratorINS9_11use_defaultEEESH_EEENSJ_IJSG_SI_EEENS0_18inequality_wrapperINS9_8equal_toIsEEEEPmJSH_EEE10hipError_tPvRmT3_T4_T5_T6_T7_T9_mT8_P12ihipStream_tbDpT10_ENKUlT_T0_E_clISt17integral_constantIbLb1EES1D_EEDaS18_S19_EUlS18_E_NS1_11comp_targetILNS1_3genE3ELNS1_11target_archE908ELNS1_3gpuE7ELNS1_3repE0EEENS1_30default_config_static_selectorELNS0_4arch9wavefront6targetE0EEEvT1_.kd
    .uniform_work_group_size: 1
    .uses_dynamic_stack: false
    .vgpr_count:     0
    .vgpr_spill_count: 0
    .wavefront_size: 32
    .workgroup_processor_mode: 1
  - .args:
      - .offset:         0
        .size:           136
        .value_kind:     by_value
    .group_segment_fixed_size: 0
    .kernarg_segment_align: 8
    .kernarg_segment_size: 136
    .language:       OpenCL C
    .language_version:
      - 2
      - 0
    .max_flat_workgroup_size: 256
    .name:           _ZN7rocprim17ROCPRIM_400000_NS6detail17trampoline_kernelINS0_14default_configENS1_25partition_config_selectorILNS1_17partition_subalgoE9EsjbEEZZNS1_14partition_implILS5_9ELb0ES3_jN6thrust23THRUST_200600_302600_NS6detail15normal_iteratorINS9_10device_ptrIsEEEENSB_INSC_IjEEEEPNS0_10empty_typeENS0_5tupleIJNS9_16discard_iteratorINS9_11use_defaultEEESH_EEENSJ_IJSG_SI_EEENS0_18inequality_wrapperINS9_8equal_toIsEEEEPmJSH_EEE10hipError_tPvRmT3_T4_T5_T6_T7_T9_mT8_P12ihipStream_tbDpT10_ENKUlT_T0_E_clISt17integral_constantIbLb1EES1D_EEDaS18_S19_EUlS18_E_NS1_11comp_targetILNS1_3genE2ELNS1_11target_archE906ELNS1_3gpuE6ELNS1_3repE0EEENS1_30default_config_static_selectorELNS0_4arch9wavefront6targetE0EEEvT1_
    .private_segment_fixed_size: 0
    .sgpr_count:     0
    .sgpr_spill_count: 0
    .symbol:         _ZN7rocprim17ROCPRIM_400000_NS6detail17trampoline_kernelINS0_14default_configENS1_25partition_config_selectorILNS1_17partition_subalgoE9EsjbEEZZNS1_14partition_implILS5_9ELb0ES3_jN6thrust23THRUST_200600_302600_NS6detail15normal_iteratorINS9_10device_ptrIsEEEENSB_INSC_IjEEEEPNS0_10empty_typeENS0_5tupleIJNS9_16discard_iteratorINS9_11use_defaultEEESH_EEENSJ_IJSG_SI_EEENS0_18inequality_wrapperINS9_8equal_toIsEEEEPmJSH_EEE10hipError_tPvRmT3_T4_T5_T6_T7_T9_mT8_P12ihipStream_tbDpT10_ENKUlT_T0_E_clISt17integral_constantIbLb1EES1D_EEDaS18_S19_EUlS18_E_NS1_11comp_targetILNS1_3genE2ELNS1_11target_archE906ELNS1_3gpuE6ELNS1_3repE0EEENS1_30default_config_static_selectorELNS0_4arch9wavefront6targetE0EEEvT1_.kd
    .uniform_work_group_size: 1
    .uses_dynamic_stack: false
    .vgpr_count:     0
    .vgpr_spill_count: 0
    .wavefront_size: 32
    .workgroup_processor_mode: 1
  - .args:
      - .offset:         0
        .size:           136
        .value_kind:     by_value
    .group_segment_fixed_size: 0
    .kernarg_segment_align: 8
    .kernarg_segment_size: 136
    .language:       OpenCL C
    .language_version:
      - 2
      - 0
    .max_flat_workgroup_size: 512
    .name:           _ZN7rocprim17ROCPRIM_400000_NS6detail17trampoline_kernelINS0_14default_configENS1_25partition_config_selectorILNS1_17partition_subalgoE9EsjbEEZZNS1_14partition_implILS5_9ELb0ES3_jN6thrust23THRUST_200600_302600_NS6detail15normal_iteratorINS9_10device_ptrIsEEEENSB_INSC_IjEEEEPNS0_10empty_typeENS0_5tupleIJNS9_16discard_iteratorINS9_11use_defaultEEESH_EEENSJ_IJSG_SI_EEENS0_18inequality_wrapperINS9_8equal_toIsEEEEPmJSH_EEE10hipError_tPvRmT3_T4_T5_T6_T7_T9_mT8_P12ihipStream_tbDpT10_ENKUlT_T0_E_clISt17integral_constantIbLb1EES1D_EEDaS18_S19_EUlS18_E_NS1_11comp_targetILNS1_3genE10ELNS1_11target_archE1200ELNS1_3gpuE4ELNS1_3repE0EEENS1_30default_config_static_selectorELNS0_4arch9wavefront6targetE0EEEvT1_
    .private_segment_fixed_size: 0
    .sgpr_count:     0
    .sgpr_spill_count: 0
    .symbol:         _ZN7rocprim17ROCPRIM_400000_NS6detail17trampoline_kernelINS0_14default_configENS1_25partition_config_selectorILNS1_17partition_subalgoE9EsjbEEZZNS1_14partition_implILS5_9ELb0ES3_jN6thrust23THRUST_200600_302600_NS6detail15normal_iteratorINS9_10device_ptrIsEEEENSB_INSC_IjEEEEPNS0_10empty_typeENS0_5tupleIJNS9_16discard_iteratorINS9_11use_defaultEEESH_EEENSJ_IJSG_SI_EEENS0_18inequality_wrapperINS9_8equal_toIsEEEEPmJSH_EEE10hipError_tPvRmT3_T4_T5_T6_T7_T9_mT8_P12ihipStream_tbDpT10_ENKUlT_T0_E_clISt17integral_constantIbLb1EES1D_EEDaS18_S19_EUlS18_E_NS1_11comp_targetILNS1_3genE10ELNS1_11target_archE1200ELNS1_3gpuE4ELNS1_3repE0EEENS1_30default_config_static_selectorELNS0_4arch9wavefront6targetE0EEEvT1_.kd
    .uniform_work_group_size: 1
    .uses_dynamic_stack: false
    .vgpr_count:     0
    .vgpr_spill_count: 0
    .wavefront_size: 32
    .workgroup_processor_mode: 1
  - .args:
      - .offset:         0
        .size:           136
        .value_kind:     by_value
    .group_segment_fixed_size: 5640
    .kernarg_segment_align: 8
    .kernarg_segment_size: 136
    .language:       OpenCL C
    .language_version:
      - 2
      - 0
    .max_flat_workgroup_size: 128
    .name:           _ZN7rocprim17ROCPRIM_400000_NS6detail17trampoline_kernelINS0_14default_configENS1_25partition_config_selectorILNS1_17partition_subalgoE9EsjbEEZZNS1_14partition_implILS5_9ELb0ES3_jN6thrust23THRUST_200600_302600_NS6detail15normal_iteratorINS9_10device_ptrIsEEEENSB_INSC_IjEEEEPNS0_10empty_typeENS0_5tupleIJNS9_16discard_iteratorINS9_11use_defaultEEESH_EEENSJ_IJSG_SI_EEENS0_18inequality_wrapperINS9_8equal_toIsEEEEPmJSH_EEE10hipError_tPvRmT3_T4_T5_T6_T7_T9_mT8_P12ihipStream_tbDpT10_ENKUlT_T0_E_clISt17integral_constantIbLb1EES1D_EEDaS18_S19_EUlS18_E_NS1_11comp_targetILNS1_3genE9ELNS1_11target_archE1100ELNS1_3gpuE3ELNS1_3repE0EEENS1_30default_config_static_selectorELNS0_4arch9wavefront6targetE0EEEvT1_
    .private_segment_fixed_size: 0
    .sgpr_count:     28
    .sgpr_spill_count: 0
    .symbol:         _ZN7rocprim17ROCPRIM_400000_NS6detail17trampoline_kernelINS0_14default_configENS1_25partition_config_selectorILNS1_17partition_subalgoE9EsjbEEZZNS1_14partition_implILS5_9ELb0ES3_jN6thrust23THRUST_200600_302600_NS6detail15normal_iteratorINS9_10device_ptrIsEEEENSB_INSC_IjEEEEPNS0_10empty_typeENS0_5tupleIJNS9_16discard_iteratorINS9_11use_defaultEEESH_EEENSJ_IJSG_SI_EEENS0_18inequality_wrapperINS9_8equal_toIsEEEEPmJSH_EEE10hipError_tPvRmT3_T4_T5_T6_T7_T9_mT8_P12ihipStream_tbDpT10_ENKUlT_T0_E_clISt17integral_constantIbLb1EES1D_EEDaS18_S19_EUlS18_E_NS1_11comp_targetILNS1_3genE9ELNS1_11target_archE1100ELNS1_3gpuE3ELNS1_3repE0EEENS1_30default_config_static_selectorELNS0_4arch9wavefront6targetE0EEEvT1_.kd
    .uniform_work_group_size: 1
    .uses_dynamic_stack: false
    .vgpr_count:     63
    .vgpr_spill_count: 0
    .wavefront_size: 32
    .workgroup_processor_mode: 1
  - .args:
      - .offset:         0
        .size:           136
        .value_kind:     by_value
    .group_segment_fixed_size: 0
    .kernarg_segment_align: 8
    .kernarg_segment_size: 136
    .language:       OpenCL C
    .language_version:
      - 2
      - 0
    .max_flat_workgroup_size: 512
    .name:           _ZN7rocprim17ROCPRIM_400000_NS6detail17trampoline_kernelINS0_14default_configENS1_25partition_config_selectorILNS1_17partition_subalgoE9EsjbEEZZNS1_14partition_implILS5_9ELb0ES3_jN6thrust23THRUST_200600_302600_NS6detail15normal_iteratorINS9_10device_ptrIsEEEENSB_INSC_IjEEEEPNS0_10empty_typeENS0_5tupleIJNS9_16discard_iteratorINS9_11use_defaultEEESH_EEENSJ_IJSG_SI_EEENS0_18inequality_wrapperINS9_8equal_toIsEEEEPmJSH_EEE10hipError_tPvRmT3_T4_T5_T6_T7_T9_mT8_P12ihipStream_tbDpT10_ENKUlT_T0_E_clISt17integral_constantIbLb1EES1D_EEDaS18_S19_EUlS18_E_NS1_11comp_targetILNS1_3genE8ELNS1_11target_archE1030ELNS1_3gpuE2ELNS1_3repE0EEENS1_30default_config_static_selectorELNS0_4arch9wavefront6targetE0EEEvT1_
    .private_segment_fixed_size: 0
    .sgpr_count:     0
    .sgpr_spill_count: 0
    .symbol:         _ZN7rocprim17ROCPRIM_400000_NS6detail17trampoline_kernelINS0_14default_configENS1_25partition_config_selectorILNS1_17partition_subalgoE9EsjbEEZZNS1_14partition_implILS5_9ELb0ES3_jN6thrust23THRUST_200600_302600_NS6detail15normal_iteratorINS9_10device_ptrIsEEEENSB_INSC_IjEEEEPNS0_10empty_typeENS0_5tupleIJNS9_16discard_iteratorINS9_11use_defaultEEESH_EEENSJ_IJSG_SI_EEENS0_18inequality_wrapperINS9_8equal_toIsEEEEPmJSH_EEE10hipError_tPvRmT3_T4_T5_T6_T7_T9_mT8_P12ihipStream_tbDpT10_ENKUlT_T0_E_clISt17integral_constantIbLb1EES1D_EEDaS18_S19_EUlS18_E_NS1_11comp_targetILNS1_3genE8ELNS1_11target_archE1030ELNS1_3gpuE2ELNS1_3repE0EEENS1_30default_config_static_selectorELNS0_4arch9wavefront6targetE0EEEvT1_.kd
    .uniform_work_group_size: 1
    .uses_dynamic_stack: false
    .vgpr_count:     0
    .vgpr_spill_count: 0
    .wavefront_size: 32
    .workgroup_processor_mode: 1
  - .args:
      - .offset:         0
        .size:           120
        .value_kind:     by_value
    .group_segment_fixed_size: 0
    .kernarg_segment_align: 8
    .kernarg_segment_size: 120
    .language:       OpenCL C
    .language_version:
      - 2
      - 0
    .max_flat_workgroup_size: 256
    .name:           _ZN7rocprim17ROCPRIM_400000_NS6detail17trampoline_kernelINS0_14default_configENS1_25partition_config_selectorILNS1_17partition_subalgoE9EsjbEEZZNS1_14partition_implILS5_9ELb0ES3_jN6thrust23THRUST_200600_302600_NS6detail15normal_iteratorINS9_10device_ptrIsEEEENSB_INSC_IjEEEEPNS0_10empty_typeENS0_5tupleIJNS9_16discard_iteratorINS9_11use_defaultEEESH_EEENSJ_IJSG_SI_EEENS0_18inequality_wrapperINS9_8equal_toIsEEEEPmJSH_EEE10hipError_tPvRmT3_T4_T5_T6_T7_T9_mT8_P12ihipStream_tbDpT10_ENKUlT_T0_E_clISt17integral_constantIbLb1EES1C_IbLb0EEEEDaS18_S19_EUlS18_E_NS1_11comp_targetILNS1_3genE0ELNS1_11target_archE4294967295ELNS1_3gpuE0ELNS1_3repE0EEENS1_30default_config_static_selectorELNS0_4arch9wavefront6targetE0EEEvT1_
    .private_segment_fixed_size: 0
    .sgpr_count:     0
    .sgpr_spill_count: 0
    .symbol:         _ZN7rocprim17ROCPRIM_400000_NS6detail17trampoline_kernelINS0_14default_configENS1_25partition_config_selectorILNS1_17partition_subalgoE9EsjbEEZZNS1_14partition_implILS5_9ELb0ES3_jN6thrust23THRUST_200600_302600_NS6detail15normal_iteratorINS9_10device_ptrIsEEEENSB_INSC_IjEEEEPNS0_10empty_typeENS0_5tupleIJNS9_16discard_iteratorINS9_11use_defaultEEESH_EEENSJ_IJSG_SI_EEENS0_18inequality_wrapperINS9_8equal_toIsEEEEPmJSH_EEE10hipError_tPvRmT3_T4_T5_T6_T7_T9_mT8_P12ihipStream_tbDpT10_ENKUlT_T0_E_clISt17integral_constantIbLb1EES1C_IbLb0EEEEDaS18_S19_EUlS18_E_NS1_11comp_targetILNS1_3genE0ELNS1_11target_archE4294967295ELNS1_3gpuE0ELNS1_3repE0EEENS1_30default_config_static_selectorELNS0_4arch9wavefront6targetE0EEEvT1_.kd
    .uniform_work_group_size: 1
    .uses_dynamic_stack: false
    .vgpr_count:     0
    .vgpr_spill_count: 0
    .wavefront_size: 32
    .workgroup_processor_mode: 1
  - .args:
      - .offset:         0
        .size:           120
        .value_kind:     by_value
    .group_segment_fixed_size: 0
    .kernarg_segment_align: 8
    .kernarg_segment_size: 120
    .language:       OpenCL C
    .language_version:
      - 2
      - 0
    .max_flat_workgroup_size: 512
    .name:           _ZN7rocprim17ROCPRIM_400000_NS6detail17trampoline_kernelINS0_14default_configENS1_25partition_config_selectorILNS1_17partition_subalgoE9EsjbEEZZNS1_14partition_implILS5_9ELb0ES3_jN6thrust23THRUST_200600_302600_NS6detail15normal_iteratorINS9_10device_ptrIsEEEENSB_INSC_IjEEEEPNS0_10empty_typeENS0_5tupleIJNS9_16discard_iteratorINS9_11use_defaultEEESH_EEENSJ_IJSG_SI_EEENS0_18inequality_wrapperINS9_8equal_toIsEEEEPmJSH_EEE10hipError_tPvRmT3_T4_T5_T6_T7_T9_mT8_P12ihipStream_tbDpT10_ENKUlT_T0_E_clISt17integral_constantIbLb1EES1C_IbLb0EEEEDaS18_S19_EUlS18_E_NS1_11comp_targetILNS1_3genE5ELNS1_11target_archE942ELNS1_3gpuE9ELNS1_3repE0EEENS1_30default_config_static_selectorELNS0_4arch9wavefront6targetE0EEEvT1_
    .private_segment_fixed_size: 0
    .sgpr_count:     0
    .sgpr_spill_count: 0
    .symbol:         _ZN7rocprim17ROCPRIM_400000_NS6detail17trampoline_kernelINS0_14default_configENS1_25partition_config_selectorILNS1_17partition_subalgoE9EsjbEEZZNS1_14partition_implILS5_9ELb0ES3_jN6thrust23THRUST_200600_302600_NS6detail15normal_iteratorINS9_10device_ptrIsEEEENSB_INSC_IjEEEEPNS0_10empty_typeENS0_5tupleIJNS9_16discard_iteratorINS9_11use_defaultEEESH_EEENSJ_IJSG_SI_EEENS0_18inequality_wrapperINS9_8equal_toIsEEEEPmJSH_EEE10hipError_tPvRmT3_T4_T5_T6_T7_T9_mT8_P12ihipStream_tbDpT10_ENKUlT_T0_E_clISt17integral_constantIbLb1EES1C_IbLb0EEEEDaS18_S19_EUlS18_E_NS1_11comp_targetILNS1_3genE5ELNS1_11target_archE942ELNS1_3gpuE9ELNS1_3repE0EEENS1_30default_config_static_selectorELNS0_4arch9wavefront6targetE0EEEvT1_.kd
    .uniform_work_group_size: 1
    .uses_dynamic_stack: false
    .vgpr_count:     0
    .vgpr_spill_count: 0
    .wavefront_size: 32
    .workgroup_processor_mode: 1
  - .args:
      - .offset:         0
        .size:           120
        .value_kind:     by_value
    .group_segment_fixed_size: 0
    .kernarg_segment_align: 8
    .kernarg_segment_size: 120
    .language:       OpenCL C
    .language_version:
      - 2
      - 0
    .max_flat_workgroup_size: 192
    .name:           _ZN7rocprim17ROCPRIM_400000_NS6detail17trampoline_kernelINS0_14default_configENS1_25partition_config_selectorILNS1_17partition_subalgoE9EsjbEEZZNS1_14partition_implILS5_9ELb0ES3_jN6thrust23THRUST_200600_302600_NS6detail15normal_iteratorINS9_10device_ptrIsEEEENSB_INSC_IjEEEEPNS0_10empty_typeENS0_5tupleIJNS9_16discard_iteratorINS9_11use_defaultEEESH_EEENSJ_IJSG_SI_EEENS0_18inequality_wrapperINS9_8equal_toIsEEEEPmJSH_EEE10hipError_tPvRmT3_T4_T5_T6_T7_T9_mT8_P12ihipStream_tbDpT10_ENKUlT_T0_E_clISt17integral_constantIbLb1EES1C_IbLb0EEEEDaS18_S19_EUlS18_E_NS1_11comp_targetILNS1_3genE4ELNS1_11target_archE910ELNS1_3gpuE8ELNS1_3repE0EEENS1_30default_config_static_selectorELNS0_4arch9wavefront6targetE0EEEvT1_
    .private_segment_fixed_size: 0
    .sgpr_count:     0
    .sgpr_spill_count: 0
    .symbol:         _ZN7rocprim17ROCPRIM_400000_NS6detail17trampoline_kernelINS0_14default_configENS1_25partition_config_selectorILNS1_17partition_subalgoE9EsjbEEZZNS1_14partition_implILS5_9ELb0ES3_jN6thrust23THRUST_200600_302600_NS6detail15normal_iteratorINS9_10device_ptrIsEEEENSB_INSC_IjEEEEPNS0_10empty_typeENS0_5tupleIJNS9_16discard_iteratorINS9_11use_defaultEEESH_EEENSJ_IJSG_SI_EEENS0_18inequality_wrapperINS9_8equal_toIsEEEEPmJSH_EEE10hipError_tPvRmT3_T4_T5_T6_T7_T9_mT8_P12ihipStream_tbDpT10_ENKUlT_T0_E_clISt17integral_constantIbLb1EES1C_IbLb0EEEEDaS18_S19_EUlS18_E_NS1_11comp_targetILNS1_3genE4ELNS1_11target_archE910ELNS1_3gpuE8ELNS1_3repE0EEENS1_30default_config_static_selectorELNS0_4arch9wavefront6targetE0EEEvT1_.kd
    .uniform_work_group_size: 1
    .uses_dynamic_stack: false
    .vgpr_count:     0
    .vgpr_spill_count: 0
    .wavefront_size: 32
    .workgroup_processor_mode: 1
  - .args:
      - .offset:         0
        .size:           120
        .value_kind:     by_value
    .group_segment_fixed_size: 0
    .kernarg_segment_align: 8
    .kernarg_segment_size: 120
    .language:       OpenCL C
    .language_version:
      - 2
      - 0
    .max_flat_workgroup_size: 256
    .name:           _ZN7rocprim17ROCPRIM_400000_NS6detail17trampoline_kernelINS0_14default_configENS1_25partition_config_selectorILNS1_17partition_subalgoE9EsjbEEZZNS1_14partition_implILS5_9ELb0ES3_jN6thrust23THRUST_200600_302600_NS6detail15normal_iteratorINS9_10device_ptrIsEEEENSB_INSC_IjEEEEPNS0_10empty_typeENS0_5tupleIJNS9_16discard_iteratorINS9_11use_defaultEEESH_EEENSJ_IJSG_SI_EEENS0_18inequality_wrapperINS9_8equal_toIsEEEEPmJSH_EEE10hipError_tPvRmT3_T4_T5_T6_T7_T9_mT8_P12ihipStream_tbDpT10_ENKUlT_T0_E_clISt17integral_constantIbLb1EES1C_IbLb0EEEEDaS18_S19_EUlS18_E_NS1_11comp_targetILNS1_3genE3ELNS1_11target_archE908ELNS1_3gpuE7ELNS1_3repE0EEENS1_30default_config_static_selectorELNS0_4arch9wavefront6targetE0EEEvT1_
    .private_segment_fixed_size: 0
    .sgpr_count:     0
    .sgpr_spill_count: 0
    .symbol:         _ZN7rocprim17ROCPRIM_400000_NS6detail17trampoline_kernelINS0_14default_configENS1_25partition_config_selectorILNS1_17partition_subalgoE9EsjbEEZZNS1_14partition_implILS5_9ELb0ES3_jN6thrust23THRUST_200600_302600_NS6detail15normal_iteratorINS9_10device_ptrIsEEEENSB_INSC_IjEEEEPNS0_10empty_typeENS0_5tupleIJNS9_16discard_iteratorINS9_11use_defaultEEESH_EEENSJ_IJSG_SI_EEENS0_18inequality_wrapperINS9_8equal_toIsEEEEPmJSH_EEE10hipError_tPvRmT3_T4_T5_T6_T7_T9_mT8_P12ihipStream_tbDpT10_ENKUlT_T0_E_clISt17integral_constantIbLb1EES1C_IbLb0EEEEDaS18_S19_EUlS18_E_NS1_11comp_targetILNS1_3genE3ELNS1_11target_archE908ELNS1_3gpuE7ELNS1_3repE0EEENS1_30default_config_static_selectorELNS0_4arch9wavefront6targetE0EEEvT1_.kd
    .uniform_work_group_size: 1
    .uses_dynamic_stack: false
    .vgpr_count:     0
    .vgpr_spill_count: 0
    .wavefront_size: 32
    .workgroup_processor_mode: 1
  - .args:
      - .offset:         0
        .size:           120
        .value_kind:     by_value
    .group_segment_fixed_size: 0
    .kernarg_segment_align: 8
    .kernarg_segment_size: 120
    .language:       OpenCL C
    .language_version:
      - 2
      - 0
    .max_flat_workgroup_size: 256
    .name:           _ZN7rocprim17ROCPRIM_400000_NS6detail17trampoline_kernelINS0_14default_configENS1_25partition_config_selectorILNS1_17partition_subalgoE9EsjbEEZZNS1_14partition_implILS5_9ELb0ES3_jN6thrust23THRUST_200600_302600_NS6detail15normal_iteratorINS9_10device_ptrIsEEEENSB_INSC_IjEEEEPNS0_10empty_typeENS0_5tupleIJNS9_16discard_iteratorINS9_11use_defaultEEESH_EEENSJ_IJSG_SI_EEENS0_18inequality_wrapperINS9_8equal_toIsEEEEPmJSH_EEE10hipError_tPvRmT3_T4_T5_T6_T7_T9_mT8_P12ihipStream_tbDpT10_ENKUlT_T0_E_clISt17integral_constantIbLb1EES1C_IbLb0EEEEDaS18_S19_EUlS18_E_NS1_11comp_targetILNS1_3genE2ELNS1_11target_archE906ELNS1_3gpuE6ELNS1_3repE0EEENS1_30default_config_static_selectorELNS0_4arch9wavefront6targetE0EEEvT1_
    .private_segment_fixed_size: 0
    .sgpr_count:     0
    .sgpr_spill_count: 0
    .symbol:         _ZN7rocprim17ROCPRIM_400000_NS6detail17trampoline_kernelINS0_14default_configENS1_25partition_config_selectorILNS1_17partition_subalgoE9EsjbEEZZNS1_14partition_implILS5_9ELb0ES3_jN6thrust23THRUST_200600_302600_NS6detail15normal_iteratorINS9_10device_ptrIsEEEENSB_INSC_IjEEEEPNS0_10empty_typeENS0_5tupleIJNS9_16discard_iteratorINS9_11use_defaultEEESH_EEENSJ_IJSG_SI_EEENS0_18inequality_wrapperINS9_8equal_toIsEEEEPmJSH_EEE10hipError_tPvRmT3_T4_T5_T6_T7_T9_mT8_P12ihipStream_tbDpT10_ENKUlT_T0_E_clISt17integral_constantIbLb1EES1C_IbLb0EEEEDaS18_S19_EUlS18_E_NS1_11comp_targetILNS1_3genE2ELNS1_11target_archE906ELNS1_3gpuE6ELNS1_3repE0EEENS1_30default_config_static_selectorELNS0_4arch9wavefront6targetE0EEEvT1_.kd
    .uniform_work_group_size: 1
    .uses_dynamic_stack: false
    .vgpr_count:     0
    .vgpr_spill_count: 0
    .wavefront_size: 32
    .workgroup_processor_mode: 1
  - .args:
      - .offset:         0
        .size:           120
        .value_kind:     by_value
    .group_segment_fixed_size: 0
    .kernarg_segment_align: 8
    .kernarg_segment_size: 120
    .language:       OpenCL C
    .language_version:
      - 2
      - 0
    .max_flat_workgroup_size: 512
    .name:           _ZN7rocprim17ROCPRIM_400000_NS6detail17trampoline_kernelINS0_14default_configENS1_25partition_config_selectorILNS1_17partition_subalgoE9EsjbEEZZNS1_14partition_implILS5_9ELb0ES3_jN6thrust23THRUST_200600_302600_NS6detail15normal_iteratorINS9_10device_ptrIsEEEENSB_INSC_IjEEEEPNS0_10empty_typeENS0_5tupleIJNS9_16discard_iteratorINS9_11use_defaultEEESH_EEENSJ_IJSG_SI_EEENS0_18inequality_wrapperINS9_8equal_toIsEEEEPmJSH_EEE10hipError_tPvRmT3_T4_T5_T6_T7_T9_mT8_P12ihipStream_tbDpT10_ENKUlT_T0_E_clISt17integral_constantIbLb1EES1C_IbLb0EEEEDaS18_S19_EUlS18_E_NS1_11comp_targetILNS1_3genE10ELNS1_11target_archE1200ELNS1_3gpuE4ELNS1_3repE0EEENS1_30default_config_static_selectorELNS0_4arch9wavefront6targetE0EEEvT1_
    .private_segment_fixed_size: 0
    .sgpr_count:     0
    .sgpr_spill_count: 0
    .symbol:         _ZN7rocprim17ROCPRIM_400000_NS6detail17trampoline_kernelINS0_14default_configENS1_25partition_config_selectorILNS1_17partition_subalgoE9EsjbEEZZNS1_14partition_implILS5_9ELb0ES3_jN6thrust23THRUST_200600_302600_NS6detail15normal_iteratorINS9_10device_ptrIsEEEENSB_INSC_IjEEEEPNS0_10empty_typeENS0_5tupleIJNS9_16discard_iteratorINS9_11use_defaultEEESH_EEENSJ_IJSG_SI_EEENS0_18inequality_wrapperINS9_8equal_toIsEEEEPmJSH_EEE10hipError_tPvRmT3_T4_T5_T6_T7_T9_mT8_P12ihipStream_tbDpT10_ENKUlT_T0_E_clISt17integral_constantIbLb1EES1C_IbLb0EEEEDaS18_S19_EUlS18_E_NS1_11comp_targetILNS1_3genE10ELNS1_11target_archE1200ELNS1_3gpuE4ELNS1_3repE0EEENS1_30default_config_static_selectorELNS0_4arch9wavefront6targetE0EEEvT1_.kd
    .uniform_work_group_size: 1
    .uses_dynamic_stack: false
    .vgpr_count:     0
    .vgpr_spill_count: 0
    .wavefront_size: 32
    .workgroup_processor_mode: 1
  - .args:
      - .offset:         0
        .size:           120
        .value_kind:     by_value
    .group_segment_fixed_size: 5640
    .kernarg_segment_align: 8
    .kernarg_segment_size: 120
    .language:       OpenCL C
    .language_version:
      - 2
      - 0
    .max_flat_workgroup_size: 128
    .name:           _ZN7rocprim17ROCPRIM_400000_NS6detail17trampoline_kernelINS0_14default_configENS1_25partition_config_selectorILNS1_17partition_subalgoE9EsjbEEZZNS1_14partition_implILS5_9ELb0ES3_jN6thrust23THRUST_200600_302600_NS6detail15normal_iteratorINS9_10device_ptrIsEEEENSB_INSC_IjEEEEPNS0_10empty_typeENS0_5tupleIJNS9_16discard_iteratorINS9_11use_defaultEEESH_EEENSJ_IJSG_SI_EEENS0_18inequality_wrapperINS9_8equal_toIsEEEEPmJSH_EEE10hipError_tPvRmT3_T4_T5_T6_T7_T9_mT8_P12ihipStream_tbDpT10_ENKUlT_T0_E_clISt17integral_constantIbLb1EES1C_IbLb0EEEEDaS18_S19_EUlS18_E_NS1_11comp_targetILNS1_3genE9ELNS1_11target_archE1100ELNS1_3gpuE3ELNS1_3repE0EEENS1_30default_config_static_selectorELNS0_4arch9wavefront6targetE0EEEvT1_
    .private_segment_fixed_size: 0
    .sgpr_count:     26
    .sgpr_spill_count: 0
    .symbol:         _ZN7rocprim17ROCPRIM_400000_NS6detail17trampoline_kernelINS0_14default_configENS1_25partition_config_selectorILNS1_17partition_subalgoE9EsjbEEZZNS1_14partition_implILS5_9ELb0ES3_jN6thrust23THRUST_200600_302600_NS6detail15normal_iteratorINS9_10device_ptrIsEEEENSB_INSC_IjEEEEPNS0_10empty_typeENS0_5tupleIJNS9_16discard_iteratorINS9_11use_defaultEEESH_EEENSJ_IJSG_SI_EEENS0_18inequality_wrapperINS9_8equal_toIsEEEEPmJSH_EEE10hipError_tPvRmT3_T4_T5_T6_T7_T9_mT8_P12ihipStream_tbDpT10_ENKUlT_T0_E_clISt17integral_constantIbLb1EES1C_IbLb0EEEEDaS18_S19_EUlS18_E_NS1_11comp_targetILNS1_3genE9ELNS1_11target_archE1100ELNS1_3gpuE3ELNS1_3repE0EEENS1_30default_config_static_selectorELNS0_4arch9wavefront6targetE0EEEvT1_.kd
    .uniform_work_group_size: 1
    .uses_dynamic_stack: false
    .vgpr_count:     61
    .vgpr_spill_count: 0
    .wavefront_size: 32
    .workgroup_processor_mode: 1
  - .args:
      - .offset:         0
        .size:           120
        .value_kind:     by_value
    .group_segment_fixed_size: 0
    .kernarg_segment_align: 8
    .kernarg_segment_size: 120
    .language:       OpenCL C
    .language_version:
      - 2
      - 0
    .max_flat_workgroup_size: 512
    .name:           _ZN7rocprim17ROCPRIM_400000_NS6detail17trampoline_kernelINS0_14default_configENS1_25partition_config_selectorILNS1_17partition_subalgoE9EsjbEEZZNS1_14partition_implILS5_9ELb0ES3_jN6thrust23THRUST_200600_302600_NS6detail15normal_iteratorINS9_10device_ptrIsEEEENSB_INSC_IjEEEEPNS0_10empty_typeENS0_5tupleIJNS9_16discard_iteratorINS9_11use_defaultEEESH_EEENSJ_IJSG_SI_EEENS0_18inequality_wrapperINS9_8equal_toIsEEEEPmJSH_EEE10hipError_tPvRmT3_T4_T5_T6_T7_T9_mT8_P12ihipStream_tbDpT10_ENKUlT_T0_E_clISt17integral_constantIbLb1EES1C_IbLb0EEEEDaS18_S19_EUlS18_E_NS1_11comp_targetILNS1_3genE8ELNS1_11target_archE1030ELNS1_3gpuE2ELNS1_3repE0EEENS1_30default_config_static_selectorELNS0_4arch9wavefront6targetE0EEEvT1_
    .private_segment_fixed_size: 0
    .sgpr_count:     0
    .sgpr_spill_count: 0
    .symbol:         _ZN7rocprim17ROCPRIM_400000_NS6detail17trampoline_kernelINS0_14default_configENS1_25partition_config_selectorILNS1_17partition_subalgoE9EsjbEEZZNS1_14partition_implILS5_9ELb0ES3_jN6thrust23THRUST_200600_302600_NS6detail15normal_iteratorINS9_10device_ptrIsEEEENSB_INSC_IjEEEEPNS0_10empty_typeENS0_5tupleIJNS9_16discard_iteratorINS9_11use_defaultEEESH_EEENSJ_IJSG_SI_EEENS0_18inequality_wrapperINS9_8equal_toIsEEEEPmJSH_EEE10hipError_tPvRmT3_T4_T5_T6_T7_T9_mT8_P12ihipStream_tbDpT10_ENKUlT_T0_E_clISt17integral_constantIbLb1EES1C_IbLb0EEEEDaS18_S19_EUlS18_E_NS1_11comp_targetILNS1_3genE8ELNS1_11target_archE1030ELNS1_3gpuE2ELNS1_3repE0EEENS1_30default_config_static_selectorELNS0_4arch9wavefront6targetE0EEEvT1_.kd
    .uniform_work_group_size: 1
    .uses_dynamic_stack: false
    .vgpr_count:     0
    .vgpr_spill_count: 0
    .wavefront_size: 32
    .workgroup_processor_mode: 1
  - .args:
      - .offset:         0
        .size:           136
        .value_kind:     by_value
    .group_segment_fixed_size: 0
    .kernarg_segment_align: 8
    .kernarg_segment_size: 136
    .language:       OpenCL C
    .language_version:
      - 2
      - 0
    .max_flat_workgroup_size: 256
    .name:           _ZN7rocprim17ROCPRIM_400000_NS6detail17trampoline_kernelINS0_14default_configENS1_25partition_config_selectorILNS1_17partition_subalgoE9EsjbEEZZNS1_14partition_implILS5_9ELb0ES3_jN6thrust23THRUST_200600_302600_NS6detail15normal_iteratorINS9_10device_ptrIsEEEENSB_INSC_IjEEEEPNS0_10empty_typeENS0_5tupleIJNS9_16discard_iteratorINS9_11use_defaultEEESH_EEENSJ_IJSG_SI_EEENS0_18inequality_wrapperINS9_8equal_toIsEEEEPmJSH_EEE10hipError_tPvRmT3_T4_T5_T6_T7_T9_mT8_P12ihipStream_tbDpT10_ENKUlT_T0_E_clISt17integral_constantIbLb0EES1C_IbLb1EEEEDaS18_S19_EUlS18_E_NS1_11comp_targetILNS1_3genE0ELNS1_11target_archE4294967295ELNS1_3gpuE0ELNS1_3repE0EEENS1_30default_config_static_selectorELNS0_4arch9wavefront6targetE0EEEvT1_
    .private_segment_fixed_size: 0
    .sgpr_count:     0
    .sgpr_spill_count: 0
    .symbol:         _ZN7rocprim17ROCPRIM_400000_NS6detail17trampoline_kernelINS0_14default_configENS1_25partition_config_selectorILNS1_17partition_subalgoE9EsjbEEZZNS1_14partition_implILS5_9ELb0ES3_jN6thrust23THRUST_200600_302600_NS6detail15normal_iteratorINS9_10device_ptrIsEEEENSB_INSC_IjEEEEPNS0_10empty_typeENS0_5tupleIJNS9_16discard_iteratorINS9_11use_defaultEEESH_EEENSJ_IJSG_SI_EEENS0_18inequality_wrapperINS9_8equal_toIsEEEEPmJSH_EEE10hipError_tPvRmT3_T4_T5_T6_T7_T9_mT8_P12ihipStream_tbDpT10_ENKUlT_T0_E_clISt17integral_constantIbLb0EES1C_IbLb1EEEEDaS18_S19_EUlS18_E_NS1_11comp_targetILNS1_3genE0ELNS1_11target_archE4294967295ELNS1_3gpuE0ELNS1_3repE0EEENS1_30default_config_static_selectorELNS0_4arch9wavefront6targetE0EEEvT1_.kd
    .uniform_work_group_size: 1
    .uses_dynamic_stack: false
    .vgpr_count:     0
    .vgpr_spill_count: 0
    .wavefront_size: 32
    .workgroup_processor_mode: 1
  - .args:
      - .offset:         0
        .size:           136
        .value_kind:     by_value
    .group_segment_fixed_size: 0
    .kernarg_segment_align: 8
    .kernarg_segment_size: 136
    .language:       OpenCL C
    .language_version:
      - 2
      - 0
    .max_flat_workgroup_size: 512
    .name:           _ZN7rocprim17ROCPRIM_400000_NS6detail17trampoline_kernelINS0_14default_configENS1_25partition_config_selectorILNS1_17partition_subalgoE9EsjbEEZZNS1_14partition_implILS5_9ELb0ES3_jN6thrust23THRUST_200600_302600_NS6detail15normal_iteratorINS9_10device_ptrIsEEEENSB_INSC_IjEEEEPNS0_10empty_typeENS0_5tupleIJNS9_16discard_iteratorINS9_11use_defaultEEESH_EEENSJ_IJSG_SI_EEENS0_18inequality_wrapperINS9_8equal_toIsEEEEPmJSH_EEE10hipError_tPvRmT3_T4_T5_T6_T7_T9_mT8_P12ihipStream_tbDpT10_ENKUlT_T0_E_clISt17integral_constantIbLb0EES1C_IbLb1EEEEDaS18_S19_EUlS18_E_NS1_11comp_targetILNS1_3genE5ELNS1_11target_archE942ELNS1_3gpuE9ELNS1_3repE0EEENS1_30default_config_static_selectorELNS0_4arch9wavefront6targetE0EEEvT1_
    .private_segment_fixed_size: 0
    .sgpr_count:     0
    .sgpr_spill_count: 0
    .symbol:         _ZN7rocprim17ROCPRIM_400000_NS6detail17trampoline_kernelINS0_14default_configENS1_25partition_config_selectorILNS1_17partition_subalgoE9EsjbEEZZNS1_14partition_implILS5_9ELb0ES3_jN6thrust23THRUST_200600_302600_NS6detail15normal_iteratorINS9_10device_ptrIsEEEENSB_INSC_IjEEEEPNS0_10empty_typeENS0_5tupleIJNS9_16discard_iteratorINS9_11use_defaultEEESH_EEENSJ_IJSG_SI_EEENS0_18inequality_wrapperINS9_8equal_toIsEEEEPmJSH_EEE10hipError_tPvRmT3_T4_T5_T6_T7_T9_mT8_P12ihipStream_tbDpT10_ENKUlT_T0_E_clISt17integral_constantIbLb0EES1C_IbLb1EEEEDaS18_S19_EUlS18_E_NS1_11comp_targetILNS1_3genE5ELNS1_11target_archE942ELNS1_3gpuE9ELNS1_3repE0EEENS1_30default_config_static_selectorELNS0_4arch9wavefront6targetE0EEEvT1_.kd
    .uniform_work_group_size: 1
    .uses_dynamic_stack: false
    .vgpr_count:     0
    .vgpr_spill_count: 0
    .wavefront_size: 32
    .workgroup_processor_mode: 1
  - .args:
      - .offset:         0
        .size:           136
        .value_kind:     by_value
    .group_segment_fixed_size: 0
    .kernarg_segment_align: 8
    .kernarg_segment_size: 136
    .language:       OpenCL C
    .language_version:
      - 2
      - 0
    .max_flat_workgroup_size: 192
    .name:           _ZN7rocprim17ROCPRIM_400000_NS6detail17trampoline_kernelINS0_14default_configENS1_25partition_config_selectorILNS1_17partition_subalgoE9EsjbEEZZNS1_14partition_implILS5_9ELb0ES3_jN6thrust23THRUST_200600_302600_NS6detail15normal_iteratorINS9_10device_ptrIsEEEENSB_INSC_IjEEEEPNS0_10empty_typeENS0_5tupleIJNS9_16discard_iteratorINS9_11use_defaultEEESH_EEENSJ_IJSG_SI_EEENS0_18inequality_wrapperINS9_8equal_toIsEEEEPmJSH_EEE10hipError_tPvRmT3_T4_T5_T6_T7_T9_mT8_P12ihipStream_tbDpT10_ENKUlT_T0_E_clISt17integral_constantIbLb0EES1C_IbLb1EEEEDaS18_S19_EUlS18_E_NS1_11comp_targetILNS1_3genE4ELNS1_11target_archE910ELNS1_3gpuE8ELNS1_3repE0EEENS1_30default_config_static_selectorELNS0_4arch9wavefront6targetE0EEEvT1_
    .private_segment_fixed_size: 0
    .sgpr_count:     0
    .sgpr_spill_count: 0
    .symbol:         _ZN7rocprim17ROCPRIM_400000_NS6detail17trampoline_kernelINS0_14default_configENS1_25partition_config_selectorILNS1_17partition_subalgoE9EsjbEEZZNS1_14partition_implILS5_9ELb0ES3_jN6thrust23THRUST_200600_302600_NS6detail15normal_iteratorINS9_10device_ptrIsEEEENSB_INSC_IjEEEEPNS0_10empty_typeENS0_5tupleIJNS9_16discard_iteratorINS9_11use_defaultEEESH_EEENSJ_IJSG_SI_EEENS0_18inequality_wrapperINS9_8equal_toIsEEEEPmJSH_EEE10hipError_tPvRmT3_T4_T5_T6_T7_T9_mT8_P12ihipStream_tbDpT10_ENKUlT_T0_E_clISt17integral_constantIbLb0EES1C_IbLb1EEEEDaS18_S19_EUlS18_E_NS1_11comp_targetILNS1_3genE4ELNS1_11target_archE910ELNS1_3gpuE8ELNS1_3repE0EEENS1_30default_config_static_selectorELNS0_4arch9wavefront6targetE0EEEvT1_.kd
    .uniform_work_group_size: 1
    .uses_dynamic_stack: false
    .vgpr_count:     0
    .vgpr_spill_count: 0
    .wavefront_size: 32
    .workgroup_processor_mode: 1
  - .args:
      - .offset:         0
        .size:           136
        .value_kind:     by_value
    .group_segment_fixed_size: 0
    .kernarg_segment_align: 8
    .kernarg_segment_size: 136
    .language:       OpenCL C
    .language_version:
      - 2
      - 0
    .max_flat_workgroup_size: 256
    .name:           _ZN7rocprim17ROCPRIM_400000_NS6detail17trampoline_kernelINS0_14default_configENS1_25partition_config_selectorILNS1_17partition_subalgoE9EsjbEEZZNS1_14partition_implILS5_9ELb0ES3_jN6thrust23THRUST_200600_302600_NS6detail15normal_iteratorINS9_10device_ptrIsEEEENSB_INSC_IjEEEEPNS0_10empty_typeENS0_5tupleIJNS9_16discard_iteratorINS9_11use_defaultEEESH_EEENSJ_IJSG_SI_EEENS0_18inequality_wrapperINS9_8equal_toIsEEEEPmJSH_EEE10hipError_tPvRmT3_T4_T5_T6_T7_T9_mT8_P12ihipStream_tbDpT10_ENKUlT_T0_E_clISt17integral_constantIbLb0EES1C_IbLb1EEEEDaS18_S19_EUlS18_E_NS1_11comp_targetILNS1_3genE3ELNS1_11target_archE908ELNS1_3gpuE7ELNS1_3repE0EEENS1_30default_config_static_selectorELNS0_4arch9wavefront6targetE0EEEvT1_
    .private_segment_fixed_size: 0
    .sgpr_count:     0
    .sgpr_spill_count: 0
    .symbol:         _ZN7rocprim17ROCPRIM_400000_NS6detail17trampoline_kernelINS0_14default_configENS1_25partition_config_selectorILNS1_17partition_subalgoE9EsjbEEZZNS1_14partition_implILS5_9ELb0ES3_jN6thrust23THRUST_200600_302600_NS6detail15normal_iteratorINS9_10device_ptrIsEEEENSB_INSC_IjEEEEPNS0_10empty_typeENS0_5tupleIJNS9_16discard_iteratorINS9_11use_defaultEEESH_EEENSJ_IJSG_SI_EEENS0_18inequality_wrapperINS9_8equal_toIsEEEEPmJSH_EEE10hipError_tPvRmT3_T4_T5_T6_T7_T9_mT8_P12ihipStream_tbDpT10_ENKUlT_T0_E_clISt17integral_constantIbLb0EES1C_IbLb1EEEEDaS18_S19_EUlS18_E_NS1_11comp_targetILNS1_3genE3ELNS1_11target_archE908ELNS1_3gpuE7ELNS1_3repE0EEENS1_30default_config_static_selectorELNS0_4arch9wavefront6targetE0EEEvT1_.kd
    .uniform_work_group_size: 1
    .uses_dynamic_stack: false
    .vgpr_count:     0
    .vgpr_spill_count: 0
    .wavefront_size: 32
    .workgroup_processor_mode: 1
  - .args:
      - .offset:         0
        .size:           136
        .value_kind:     by_value
    .group_segment_fixed_size: 0
    .kernarg_segment_align: 8
    .kernarg_segment_size: 136
    .language:       OpenCL C
    .language_version:
      - 2
      - 0
    .max_flat_workgroup_size: 256
    .name:           _ZN7rocprim17ROCPRIM_400000_NS6detail17trampoline_kernelINS0_14default_configENS1_25partition_config_selectorILNS1_17partition_subalgoE9EsjbEEZZNS1_14partition_implILS5_9ELb0ES3_jN6thrust23THRUST_200600_302600_NS6detail15normal_iteratorINS9_10device_ptrIsEEEENSB_INSC_IjEEEEPNS0_10empty_typeENS0_5tupleIJNS9_16discard_iteratorINS9_11use_defaultEEESH_EEENSJ_IJSG_SI_EEENS0_18inequality_wrapperINS9_8equal_toIsEEEEPmJSH_EEE10hipError_tPvRmT3_T4_T5_T6_T7_T9_mT8_P12ihipStream_tbDpT10_ENKUlT_T0_E_clISt17integral_constantIbLb0EES1C_IbLb1EEEEDaS18_S19_EUlS18_E_NS1_11comp_targetILNS1_3genE2ELNS1_11target_archE906ELNS1_3gpuE6ELNS1_3repE0EEENS1_30default_config_static_selectorELNS0_4arch9wavefront6targetE0EEEvT1_
    .private_segment_fixed_size: 0
    .sgpr_count:     0
    .sgpr_spill_count: 0
    .symbol:         _ZN7rocprim17ROCPRIM_400000_NS6detail17trampoline_kernelINS0_14default_configENS1_25partition_config_selectorILNS1_17partition_subalgoE9EsjbEEZZNS1_14partition_implILS5_9ELb0ES3_jN6thrust23THRUST_200600_302600_NS6detail15normal_iteratorINS9_10device_ptrIsEEEENSB_INSC_IjEEEEPNS0_10empty_typeENS0_5tupleIJNS9_16discard_iteratorINS9_11use_defaultEEESH_EEENSJ_IJSG_SI_EEENS0_18inequality_wrapperINS9_8equal_toIsEEEEPmJSH_EEE10hipError_tPvRmT3_T4_T5_T6_T7_T9_mT8_P12ihipStream_tbDpT10_ENKUlT_T0_E_clISt17integral_constantIbLb0EES1C_IbLb1EEEEDaS18_S19_EUlS18_E_NS1_11comp_targetILNS1_3genE2ELNS1_11target_archE906ELNS1_3gpuE6ELNS1_3repE0EEENS1_30default_config_static_selectorELNS0_4arch9wavefront6targetE0EEEvT1_.kd
    .uniform_work_group_size: 1
    .uses_dynamic_stack: false
    .vgpr_count:     0
    .vgpr_spill_count: 0
    .wavefront_size: 32
    .workgroup_processor_mode: 1
  - .args:
      - .offset:         0
        .size:           136
        .value_kind:     by_value
    .group_segment_fixed_size: 0
    .kernarg_segment_align: 8
    .kernarg_segment_size: 136
    .language:       OpenCL C
    .language_version:
      - 2
      - 0
    .max_flat_workgroup_size: 512
    .name:           _ZN7rocprim17ROCPRIM_400000_NS6detail17trampoline_kernelINS0_14default_configENS1_25partition_config_selectorILNS1_17partition_subalgoE9EsjbEEZZNS1_14partition_implILS5_9ELb0ES3_jN6thrust23THRUST_200600_302600_NS6detail15normal_iteratorINS9_10device_ptrIsEEEENSB_INSC_IjEEEEPNS0_10empty_typeENS0_5tupleIJNS9_16discard_iteratorINS9_11use_defaultEEESH_EEENSJ_IJSG_SI_EEENS0_18inequality_wrapperINS9_8equal_toIsEEEEPmJSH_EEE10hipError_tPvRmT3_T4_T5_T6_T7_T9_mT8_P12ihipStream_tbDpT10_ENKUlT_T0_E_clISt17integral_constantIbLb0EES1C_IbLb1EEEEDaS18_S19_EUlS18_E_NS1_11comp_targetILNS1_3genE10ELNS1_11target_archE1200ELNS1_3gpuE4ELNS1_3repE0EEENS1_30default_config_static_selectorELNS0_4arch9wavefront6targetE0EEEvT1_
    .private_segment_fixed_size: 0
    .sgpr_count:     0
    .sgpr_spill_count: 0
    .symbol:         _ZN7rocprim17ROCPRIM_400000_NS6detail17trampoline_kernelINS0_14default_configENS1_25partition_config_selectorILNS1_17partition_subalgoE9EsjbEEZZNS1_14partition_implILS5_9ELb0ES3_jN6thrust23THRUST_200600_302600_NS6detail15normal_iteratorINS9_10device_ptrIsEEEENSB_INSC_IjEEEEPNS0_10empty_typeENS0_5tupleIJNS9_16discard_iteratorINS9_11use_defaultEEESH_EEENSJ_IJSG_SI_EEENS0_18inequality_wrapperINS9_8equal_toIsEEEEPmJSH_EEE10hipError_tPvRmT3_T4_T5_T6_T7_T9_mT8_P12ihipStream_tbDpT10_ENKUlT_T0_E_clISt17integral_constantIbLb0EES1C_IbLb1EEEEDaS18_S19_EUlS18_E_NS1_11comp_targetILNS1_3genE10ELNS1_11target_archE1200ELNS1_3gpuE4ELNS1_3repE0EEENS1_30default_config_static_selectorELNS0_4arch9wavefront6targetE0EEEvT1_.kd
    .uniform_work_group_size: 1
    .uses_dynamic_stack: false
    .vgpr_count:     0
    .vgpr_spill_count: 0
    .wavefront_size: 32
    .workgroup_processor_mode: 1
  - .args:
      - .offset:         0
        .size:           136
        .value_kind:     by_value
    .group_segment_fixed_size: 5640
    .kernarg_segment_align: 8
    .kernarg_segment_size: 136
    .language:       OpenCL C
    .language_version:
      - 2
      - 0
    .max_flat_workgroup_size: 128
    .name:           _ZN7rocprim17ROCPRIM_400000_NS6detail17trampoline_kernelINS0_14default_configENS1_25partition_config_selectorILNS1_17partition_subalgoE9EsjbEEZZNS1_14partition_implILS5_9ELb0ES3_jN6thrust23THRUST_200600_302600_NS6detail15normal_iteratorINS9_10device_ptrIsEEEENSB_INSC_IjEEEEPNS0_10empty_typeENS0_5tupleIJNS9_16discard_iteratorINS9_11use_defaultEEESH_EEENSJ_IJSG_SI_EEENS0_18inequality_wrapperINS9_8equal_toIsEEEEPmJSH_EEE10hipError_tPvRmT3_T4_T5_T6_T7_T9_mT8_P12ihipStream_tbDpT10_ENKUlT_T0_E_clISt17integral_constantIbLb0EES1C_IbLb1EEEEDaS18_S19_EUlS18_E_NS1_11comp_targetILNS1_3genE9ELNS1_11target_archE1100ELNS1_3gpuE3ELNS1_3repE0EEENS1_30default_config_static_selectorELNS0_4arch9wavefront6targetE0EEEvT1_
    .private_segment_fixed_size: 0
    .sgpr_count:     28
    .sgpr_spill_count: 0
    .symbol:         _ZN7rocprim17ROCPRIM_400000_NS6detail17trampoline_kernelINS0_14default_configENS1_25partition_config_selectorILNS1_17partition_subalgoE9EsjbEEZZNS1_14partition_implILS5_9ELb0ES3_jN6thrust23THRUST_200600_302600_NS6detail15normal_iteratorINS9_10device_ptrIsEEEENSB_INSC_IjEEEEPNS0_10empty_typeENS0_5tupleIJNS9_16discard_iteratorINS9_11use_defaultEEESH_EEENSJ_IJSG_SI_EEENS0_18inequality_wrapperINS9_8equal_toIsEEEEPmJSH_EEE10hipError_tPvRmT3_T4_T5_T6_T7_T9_mT8_P12ihipStream_tbDpT10_ENKUlT_T0_E_clISt17integral_constantIbLb0EES1C_IbLb1EEEEDaS18_S19_EUlS18_E_NS1_11comp_targetILNS1_3genE9ELNS1_11target_archE1100ELNS1_3gpuE3ELNS1_3repE0EEENS1_30default_config_static_selectorELNS0_4arch9wavefront6targetE0EEEvT1_.kd
    .uniform_work_group_size: 1
    .uses_dynamic_stack: false
    .vgpr_count:     63
    .vgpr_spill_count: 0
    .wavefront_size: 32
    .workgroup_processor_mode: 1
  - .args:
      - .offset:         0
        .size:           136
        .value_kind:     by_value
    .group_segment_fixed_size: 0
    .kernarg_segment_align: 8
    .kernarg_segment_size: 136
    .language:       OpenCL C
    .language_version:
      - 2
      - 0
    .max_flat_workgroup_size: 512
    .name:           _ZN7rocprim17ROCPRIM_400000_NS6detail17trampoline_kernelINS0_14default_configENS1_25partition_config_selectorILNS1_17partition_subalgoE9EsjbEEZZNS1_14partition_implILS5_9ELb0ES3_jN6thrust23THRUST_200600_302600_NS6detail15normal_iteratorINS9_10device_ptrIsEEEENSB_INSC_IjEEEEPNS0_10empty_typeENS0_5tupleIJNS9_16discard_iteratorINS9_11use_defaultEEESH_EEENSJ_IJSG_SI_EEENS0_18inequality_wrapperINS9_8equal_toIsEEEEPmJSH_EEE10hipError_tPvRmT3_T4_T5_T6_T7_T9_mT8_P12ihipStream_tbDpT10_ENKUlT_T0_E_clISt17integral_constantIbLb0EES1C_IbLb1EEEEDaS18_S19_EUlS18_E_NS1_11comp_targetILNS1_3genE8ELNS1_11target_archE1030ELNS1_3gpuE2ELNS1_3repE0EEENS1_30default_config_static_selectorELNS0_4arch9wavefront6targetE0EEEvT1_
    .private_segment_fixed_size: 0
    .sgpr_count:     0
    .sgpr_spill_count: 0
    .symbol:         _ZN7rocprim17ROCPRIM_400000_NS6detail17trampoline_kernelINS0_14default_configENS1_25partition_config_selectorILNS1_17partition_subalgoE9EsjbEEZZNS1_14partition_implILS5_9ELb0ES3_jN6thrust23THRUST_200600_302600_NS6detail15normal_iteratorINS9_10device_ptrIsEEEENSB_INSC_IjEEEEPNS0_10empty_typeENS0_5tupleIJNS9_16discard_iteratorINS9_11use_defaultEEESH_EEENSJ_IJSG_SI_EEENS0_18inequality_wrapperINS9_8equal_toIsEEEEPmJSH_EEE10hipError_tPvRmT3_T4_T5_T6_T7_T9_mT8_P12ihipStream_tbDpT10_ENKUlT_T0_E_clISt17integral_constantIbLb0EES1C_IbLb1EEEEDaS18_S19_EUlS18_E_NS1_11comp_targetILNS1_3genE8ELNS1_11target_archE1030ELNS1_3gpuE2ELNS1_3repE0EEENS1_30default_config_static_selectorELNS0_4arch9wavefront6targetE0EEEvT1_.kd
    .uniform_work_group_size: 1
    .uses_dynamic_stack: false
    .vgpr_count:     0
    .vgpr_spill_count: 0
    .wavefront_size: 32
    .workgroup_processor_mode: 1
  - .args:
      - .offset:         0
        .size:           112
        .value_kind:     by_value
    .group_segment_fixed_size: 0
    .kernarg_segment_align: 8
    .kernarg_segment_size: 112
    .language:       OpenCL C
    .language_version:
      - 2
      - 0
    .max_flat_workgroup_size: 256
    .name:           _ZN7rocprim17ROCPRIM_400000_NS6detail17trampoline_kernelINS0_14default_configENS1_25partition_config_selectorILNS1_17partition_subalgoE9EiibEEZZNS1_14partition_implILS5_9ELb0ES3_jN6thrust23THRUST_200600_302600_NS10device_ptrIiEESB_PNS0_10empty_typeENS0_5tupleIJSB_SC_EEENSE_IJSB_SD_EEENS0_18inequality_wrapperINS9_8equal_toIiEEEEPmJSC_EEE10hipError_tPvRmT3_T4_T5_T6_T7_T9_mT8_P12ihipStream_tbDpT10_ENKUlT_T0_E_clISt17integral_constantIbLb0EES15_EEDaS10_S11_EUlS10_E_NS1_11comp_targetILNS1_3genE0ELNS1_11target_archE4294967295ELNS1_3gpuE0ELNS1_3repE0EEENS1_30default_config_static_selectorELNS0_4arch9wavefront6targetE0EEEvT1_
    .private_segment_fixed_size: 0
    .sgpr_count:     0
    .sgpr_spill_count: 0
    .symbol:         _ZN7rocprim17ROCPRIM_400000_NS6detail17trampoline_kernelINS0_14default_configENS1_25partition_config_selectorILNS1_17partition_subalgoE9EiibEEZZNS1_14partition_implILS5_9ELb0ES3_jN6thrust23THRUST_200600_302600_NS10device_ptrIiEESB_PNS0_10empty_typeENS0_5tupleIJSB_SC_EEENSE_IJSB_SD_EEENS0_18inequality_wrapperINS9_8equal_toIiEEEEPmJSC_EEE10hipError_tPvRmT3_T4_T5_T6_T7_T9_mT8_P12ihipStream_tbDpT10_ENKUlT_T0_E_clISt17integral_constantIbLb0EES15_EEDaS10_S11_EUlS10_E_NS1_11comp_targetILNS1_3genE0ELNS1_11target_archE4294967295ELNS1_3gpuE0ELNS1_3repE0EEENS1_30default_config_static_selectorELNS0_4arch9wavefront6targetE0EEEvT1_.kd
    .uniform_work_group_size: 1
    .uses_dynamic_stack: false
    .vgpr_count:     0
    .vgpr_spill_count: 0
    .wavefront_size: 32
    .workgroup_processor_mode: 1
  - .args:
      - .offset:         0
        .size:           112
        .value_kind:     by_value
    .group_segment_fixed_size: 0
    .kernarg_segment_align: 8
    .kernarg_segment_size: 112
    .language:       OpenCL C
    .language_version:
      - 2
      - 0
    .max_flat_workgroup_size: 512
    .name:           _ZN7rocprim17ROCPRIM_400000_NS6detail17trampoline_kernelINS0_14default_configENS1_25partition_config_selectorILNS1_17partition_subalgoE9EiibEEZZNS1_14partition_implILS5_9ELb0ES3_jN6thrust23THRUST_200600_302600_NS10device_ptrIiEESB_PNS0_10empty_typeENS0_5tupleIJSB_SC_EEENSE_IJSB_SD_EEENS0_18inequality_wrapperINS9_8equal_toIiEEEEPmJSC_EEE10hipError_tPvRmT3_T4_T5_T6_T7_T9_mT8_P12ihipStream_tbDpT10_ENKUlT_T0_E_clISt17integral_constantIbLb0EES15_EEDaS10_S11_EUlS10_E_NS1_11comp_targetILNS1_3genE5ELNS1_11target_archE942ELNS1_3gpuE9ELNS1_3repE0EEENS1_30default_config_static_selectorELNS0_4arch9wavefront6targetE0EEEvT1_
    .private_segment_fixed_size: 0
    .sgpr_count:     0
    .sgpr_spill_count: 0
    .symbol:         _ZN7rocprim17ROCPRIM_400000_NS6detail17trampoline_kernelINS0_14default_configENS1_25partition_config_selectorILNS1_17partition_subalgoE9EiibEEZZNS1_14partition_implILS5_9ELb0ES3_jN6thrust23THRUST_200600_302600_NS10device_ptrIiEESB_PNS0_10empty_typeENS0_5tupleIJSB_SC_EEENSE_IJSB_SD_EEENS0_18inequality_wrapperINS9_8equal_toIiEEEEPmJSC_EEE10hipError_tPvRmT3_T4_T5_T6_T7_T9_mT8_P12ihipStream_tbDpT10_ENKUlT_T0_E_clISt17integral_constantIbLb0EES15_EEDaS10_S11_EUlS10_E_NS1_11comp_targetILNS1_3genE5ELNS1_11target_archE942ELNS1_3gpuE9ELNS1_3repE0EEENS1_30default_config_static_selectorELNS0_4arch9wavefront6targetE0EEEvT1_.kd
    .uniform_work_group_size: 1
    .uses_dynamic_stack: false
    .vgpr_count:     0
    .vgpr_spill_count: 0
    .wavefront_size: 32
    .workgroup_processor_mode: 1
  - .args:
      - .offset:         0
        .size:           112
        .value_kind:     by_value
    .group_segment_fixed_size: 0
    .kernarg_segment_align: 8
    .kernarg_segment_size: 112
    .language:       OpenCL C
    .language_version:
      - 2
      - 0
    .max_flat_workgroup_size: 192
    .name:           _ZN7rocprim17ROCPRIM_400000_NS6detail17trampoline_kernelINS0_14default_configENS1_25partition_config_selectorILNS1_17partition_subalgoE9EiibEEZZNS1_14partition_implILS5_9ELb0ES3_jN6thrust23THRUST_200600_302600_NS10device_ptrIiEESB_PNS0_10empty_typeENS0_5tupleIJSB_SC_EEENSE_IJSB_SD_EEENS0_18inequality_wrapperINS9_8equal_toIiEEEEPmJSC_EEE10hipError_tPvRmT3_T4_T5_T6_T7_T9_mT8_P12ihipStream_tbDpT10_ENKUlT_T0_E_clISt17integral_constantIbLb0EES15_EEDaS10_S11_EUlS10_E_NS1_11comp_targetILNS1_3genE4ELNS1_11target_archE910ELNS1_3gpuE8ELNS1_3repE0EEENS1_30default_config_static_selectorELNS0_4arch9wavefront6targetE0EEEvT1_
    .private_segment_fixed_size: 0
    .sgpr_count:     0
    .sgpr_spill_count: 0
    .symbol:         _ZN7rocprim17ROCPRIM_400000_NS6detail17trampoline_kernelINS0_14default_configENS1_25partition_config_selectorILNS1_17partition_subalgoE9EiibEEZZNS1_14partition_implILS5_9ELb0ES3_jN6thrust23THRUST_200600_302600_NS10device_ptrIiEESB_PNS0_10empty_typeENS0_5tupleIJSB_SC_EEENSE_IJSB_SD_EEENS0_18inequality_wrapperINS9_8equal_toIiEEEEPmJSC_EEE10hipError_tPvRmT3_T4_T5_T6_T7_T9_mT8_P12ihipStream_tbDpT10_ENKUlT_T0_E_clISt17integral_constantIbLb0EES15_EEDaS10_S11_EUlS10_E_NS1_11comp_targetILNS1_3genE4ELNS1_11target_archE910ELNS1_3gpuE8ELNS1_3repE0EEENS1_30default_config_static_selectorELNS0_4arch9wavefront6targetE0EEEvT1_.kd
    .uniform_work_group_size: 1
    .uses_dynamic_stack: false
    .vgpr_count:     0
    .vgpr_spill_count: 0
    .wavefront_size: 32
    .workgroup_processor_mode: 1
  - .args:
      - .offset:         0
        .size:           112
        .value_kind:     by_value
    .group_segment_fixed_size: 0
    .kernarg_segment_align: 8
    .kernarg_segment_size: 112
    .language:       OpenCL C
    .language_version:
      - 2
      - 0
    .max_flat_workgroup_size: 256
    .name:           _ZN7rocprim17ROCPRIM_400000_NS6detail17trampoline_kernelINS0_14default_configENS1_25partition_config_selectorILNS1_17partition_subalgoE9EiibEEZZNS1_14partition_implILS5_9ELb0ES3_jN6thrust23THRUST_200600_302600_NS10device_ptrIiEESB_PNS0_10empty_typeENS0_5tupleIJSB_SC_EEENSE_IJSB_SD_EEENS0_18inequality_wrapperINS9_8equal_toIiEEEEPmJSC_EEE10hipError_tPvRmT3_T4_T5_T6_T7_T9_mT8_P12ihipStream_tbDpT10_ENKUlT_T0_E_clISt17integral_constantIbLb0EES15_EEDaS10_S11_EUlS10_E_NS1_11comp_targetILNS1_3genE3ELNS1_11target_archE908ELNS1_3gpuE7ELNS1_3repE0EEENS1_30default_config_static_selectorELNS0_4arch9wavefront6targetE0EEEvT1_
    .private_segment_fixed_size: 0
    .sgpr_count:     0
    .sgpr_spill_count: 0
    .symbol:         _ZN7rocprim17ROCPRIM_400000_NS6detail17trampoline_kernelINS0_14default_configENS1_25partition_config_selectorILNS1_17partition_subalgoE9EiibEEZZNS1_14partition_implILS5_9ELb0ES3_jN6thrust23THRUST_200600_302600_NS10device_ptrIiEESB_PNS0_10empty_typeENS0_5tupleIJSB_SC_EEENSE_IJSB_SD_EEENS0_18inequality_wrapperINS9_8equal_toIiEEEEPmJSC_EEE10hipError_tPvRmT3_T4_T5_T6_T7_T9_mT8_P12ihipStream_tbDpT10_ENKUlT_T0_E_clISt17integral_constantIbLb0EES15_EEDaS10_S11_EUlS10_E_NS1_11comp_targetILNS1_3genE3ELNS1_11target_archE908ELNS1_3gpuE7ELNS1_3repE0EEENS1_30default_config_static_selectorELNS0_4arch9wavefront6targetE0EEEvT1_.kd
    .uniform_work_group_size: 1
    .uses_dynamic_stack: false
    .vgpr_count:     0
    .vgpr_spill_count: 0
    .wavefront_size: 32
    .workgroup_processor_mode: 1
  - .args:
      - .offset:         0
        .size:           112
        .value_kind:     by_value
    .group_segment_fixed_size: 0
    .kernarg_segment_align: 8
    .kernarg_segment_size: 112
    .language:       OpenCL C
    .language_version:
      - 2
      - 0
    .max_flat_workgroup_size: 256
    .name:           _ZN7rocprim17ROCPRIM_400000_NS6detail17trampoline_kernelINS0_14default_configENS1_25partition_config_selectorILNS1_17partition_subalgoE9EiibEEZZNS1_14partition_implILS5_9ELb0ES3_jN6thrust23THRUST_200600_302600_NS10device_ptrIiEESB_PNS0_10empty_typeENS0_5tupleIJSB_SC_EEENSE_IJSB_SD_EEENS0_18inequality_wrapperINS9_8equal_toIiEEEEPmJSC_EEE10hipError_tPvRmT3_T4_T5_T6_T7_T9_mT8_P12ihipStream_tbDpT10_ENKUlT_T0_E_clISt17integral_constantIbLb0EES15_EEDaS10_S11_EUlS10_E_NS1_11comp_targetILNS1_3genE2ELNS1_11target_archE906ELNS1_3gpuE6ELNS1_3repE0EEENS1_30default_config_static_selectorELNS0_4arch9wavefront6targetE0EEEvT1_
    .private_segment_fixed_size: 0
    .sgpr_count:     0
    .sgpr_spill_count: 0
    .symbol:         _ZN7rocprim17ROCPRIM_400000_NS6detail17trampoline_kernelINS0_14default_configENS1_25partition_config_selectorILNS1_17partition_subalgoE9EiibEEZZNS1_14partition_implILS5_9ELb0ES3_jN6thrust23THRUST_200600_302600_NS10device_ptrIiEESB_PNS0_10empty_typeENS0_5tupleIJSB_SC_EEENSE_IJSB_SD_EEENS0_18inequality_wrapperINS9_8equal_toIiEEEEPmJSC_EEE10hipError_tPvRmT3_T4_T5_T6_T7_T9_mT8_P12ihipStream_tbDpT10_ENKUlT_T0_E_clISt17integral_constantIbLb0EES15_EEDaS10_S11_EUlS10_E_NS1_11comp_targetILNS1_3genE2ELNS1_11target_archE906ELNS1_3gpuE6ELNS1_3repE0EEENS1_30default_config_static_selectorELNS0_4arch9wavefront6targetE0EEEvT1_.kd
    .uniform_work_group_size: 1
    .uses_dynamic_stack: false
    .vgpr_count:     0
    .vgpr_spill_count: 0
    .wavefront_size: 32
    .workgroup_processor_mode: 1
  - .args:
      - .offset:         0
        .size:           112
        .value_kind:     by_value
    .group_segment_fixed_size: 0
    .kernarg_segment_align: 8
    .kernarg_segment_size: 112
    .language:       OpenCL C
    .language_version:
      - 2
      - 0
    .max_flat_workgroup_size: 384
    .name:           _ZN7rocprim17ROCPRIM_400000_NS6detail17trampoline_kernelINS0_14default_configENS1_25partition_config_selectorILNS1_17partition_subalgoE9EiibEEZZNS1_14partition_implILS5_9ELb0ES3_jN6thrust23THRUST_200600_302600_NS10device_ptrIiEESB_PNS0_10empty_typeENS0_5tupleIJSB_SC_EEENSE_IJSB_SD_EEENS0_18inequality_wrapperINS9_8equal_toIiEEEEPmJSC_EEE10hipError_tPvRmT3_T4_T5_T6_T7_T9_mT8_P12ihipStream_tbDpT10_ENKUlT_T0_E_clISt17integral_constantIbLb0EES15_EEDaS10_S11_EUlS10_E_NS1_11comp_targetILNS1_3genE10ELNS1_11target_archE1200ELNS1_3gpuE4ELNS1_3repE0EEENS1_30default_config_static_selectorELNS0_4arch9wavefront6targetE0EEEvT1_
    .private_segment_fixed_size: 0
    .sgpr_count:     0
    .sgpr_spill_count: 0
    .symbol:         _ZN7rocprim17ROCPRIM_400000_NS6detail17trampoline_kernelINS0_14default_configENS1_25partition_config_selectorILNS1_17partition_subalgoE9EiibEEZZNS1_14partition_implILS5_9ELb0ES3_jN6thrust23THRUST_200600_302600_NS10device_ptrIiEESB_PNS0_10empty_typeENS0_5tupleIJSB_SC_EEENSE_IJSB_SD_EEENS0_18inequality_wrapperINS9_8equal_toIiEEEEPmJSC_EEE10hipError_tPvRmT3_T4_T5_T6_T7_T9_mT8_P12ihipStream_tbDpT10_ENKUlT_T0_E_clISt17integral_constantIbLb0EES15_EEDaS10_S11_EUlS10_E_NS1_11comp_targetILNS1_3genE10ELNS1_11target_archE1200ELNS1_3gpuE4ELNS1_3repE0EEENS1_30default_config_static_selectorELNS0_4arch9wavefront6targetE0EEEvT1_.kd
    .uniform_work_group_size: 1
    .uses_dynamic_stack: false
    .vgpr_count:     0
    .vgpr_spill_count: 0
    .wavefront_size: 32
    .workgroup_processor_mode: 1
  - .args:
      - .offset:         0
        .size:           112
        .value_kind:     by_value
    .group_segment_fixed_size: 12680
    .kernarg_segment_align: 8
    .kernarg_segment_size: 112
    .language:       OpenCL C
    .language_version:
      - 2
      - 0
    .max_flat_workgroup_size: 384
    .name:           _ZN7rocprim17ROCPRIM_400000_NS6detail17trampoline_kernelINS0_14default_configENS1_25partition_config_selectorILNS1_17partition_subalgoE9EiibEEZZNS1_14partition_implILS5_9ELb0ES3_jN6thrust23THRUST_200600_302600_NS10device_ptrIiEESB_PNS0_10empty_typeENS0_5tupleIJSB_SC_EEENSE_IJSB_SD_EEENS0_18inequality_wrapperINS9_8equal_toIiEEEEPmJSC_EEE10hipError_tPvRmT3_T4_T5_T6_T7_T9_mT8_P12ihipStream_tbDpT10_ENKUlT_T0_E_clISt17integral_constantIbLb0EES15_EEDaS10_S11_EUlS10_E_NS1_11comp_targetILNS1_3genE9ELNS1_11target_archE1100ELNS1_3gpuE3ELNS1_3repE0EEENS1_30default_config_static_selectorELNS0_4arch9wavefront6targetE0EEEvT1_
    .private_segment_fixed_size: 0
    .sgpr_count:     27
    .sgpr_spill_count: 0
    .symbol:         _ZN7rocprim17ROCPRIM_400000_NS6detail17trampoline_kernelINS0_14default_configENS1_25partition_config_selectorILNS1_17partition_subalgoE9EiibEEZZNS1_14partition_implILS5_9ELb0ES3_jN6thrust23THRUST_200600_302600_NS10device_ptrIiEESB_PNS0_10empty_typeENS0_5tupleIJSB_SC_EEENSE_IJSB_SD_EEENS0_18inequality_wrapperINS9_8equal_toIiEEEEPmJSC_EEE10hipError_tPvRmT3_T4_T5_T6_T7_T9_mT8_P12ihipStream_tbDpT10_ENKUlT_T0_E_clISt17integral_constantIbLb0EES15_EEDaS10_S11_EUlS10_E_NS1_11comp_targetILNS1_3genE9ELNS1_11target_archE1100ELNS1_3gpuE3ELNS1_3repE0EEENS1_30default_config_static_selectorELNS0_4arch9wavefront6targetE0EEEvT1_.kd
    .uniform_work_group_size: 1
    .uses_dynamic_stack: false
    .vgpr_count:     51
    .vgpr_spill_count: 0
    .wavefront_size: 32
    .workgroup_processor_mode: 1
  - .args:
      - .offset:         0
        .size:           112
        .value_kind:     by_value
    .group_segment_fixed_size: 0
    .kernarg_segment_align: 8
    .kernarg_segment_size: 112
    .language:       OpenCL C
    .language_version:
      - 2
      - 0
    .max_flat_workgroup_size: 512
    .name:           _ZN7rocprim17ROCPRIM_400000_NS6detail17trampoline_kernelINS0_14default_configENS1_25partition_config_selectorILNS1_17partition_subalgoE9EiibEEZZNS1_14partition_implILS5_9ELb0ES3_jN6thrust23THRUST_200600_302600_NS10device_ptrIiEESB_PNS0_10empty_typeENS0_5tupleIJSB_SC_EEENSE_IJSB_SD_EEENS0_18inequality_wrapperINS9_8equal_toIiEEEEPmJSC_EEE10hipError_tPvRmT3_T4_T5_T6_T7_T9_mT8_P12ihipStream_tbDpT10_ENKUlT_T0_E_clISt17integral_constantIbLb0EES15_EEDaS10_S11_EUlS10_E_NS1_11comp_targetILNS1_3genE8ELNS1_11target_archE1030ELNS1_3gpuE2ELNS1_3repE0EEENS1_30default_config_static_selectorELNS0_4arch9wavefront6targetE0EEEvT1_
    .private_segment_fixed_size: 0
    .sgpr_count:     0
    .sgpr_spill_count: 0
    .symbol:         _ZN7rocprim17ROCPRIM_400000_NS6detail17trampoline_kernelINS0_14default_configENS1_25partition_config_selectorILNS1_17partition_subalgoE9EiibEEZZNS1_14partition_implILS5_9ELb0ES3_jN6thrust23THRUST_200600_302600_NS10device_ptrIiEESB_PNS0_10empty_typeENS0_5tupleIJSB_SC_EEENSE_IJSB_SD_EEENS0_18inequality_wrapperINS9_8equal_toIiEEEEPmJSC_EEE10hipError_tPvRmT3_T4_T5_T6_T7_T9_mT8_P12ihipStream_tbDpT10_ENKUlT_T0_E_clISt17integral_constantIbLb0EES15_EEDaS10_S11_EUlS10_E_NS1_11comp_targetILNS1_3genE8ELNS1_11target_archE1030ELNS1_3gpuE2ELNS1_3repE0EEENS1_30default_config_static_selectorELNS0_4arch9wavefront6targetE0EEEvT1_.kd
    .uniform_work_group_size: 1
    .uses_dynamic_stack: false
    .vgpr_count:     0
    .vgpr_spill_count: 0
    .wavefront_size: 32
    .workgroup_processor_mode: 1
  - .args:
      - .offset:         0
        .size:           128
        .value_kind:     by_value
    .group_segment_fixed_size: 0
    .kernarg_segment_align: 8
    .kernarg_segment_size: 128
    .language:       OpenCL C
    .language_version:
      - 2
      - 0
    .max_flat_workgroup_size: 256
    .name:           _ZN7rocprim17ROCPRIM_400000_NS6detail17trampoline_kernelINS0_14default_configENS1_25partition_config_selectorILNS1_17partition_subalgoE9EiibEEZZNS1_14partition_implILS5_9ELb0ES3_jN6thrust23THRUST_200600_302600_NS10device_ptrIiEESB_PNS0_10empty_typeENS0_5tupleIJSB_SC_EEENSE_IJSB_SD_EEENS0_18inequality_wrapperINS9_8equal_toIiEEEEPmJSC_EEE10hipError_tPvRmT3_T4_T5_T6_T7_T9_mT8_P12ihipStream_tbDpT10_ENKUlT_T0_E_clISt17integral_constantIbLb1EES15_EEDaS10_S11_EUlS10_E_NS1_11comp_targetILNS1_3genE0ELNS1_11target_archE4294967295ELNS1_3gpuE0ELNS1_3repE0EEENS1_30default_config_static_selectorELNS0_4arch9wavefront6targetE0EEEvT1_
    .private_segment_fixed_size: 0
    .sgpr_count:     0
    .sgpr_spill_count: 0
    .symbol:         _ZN7rocprim17ROCPRIM_400000_NS6detail17trampoline_kernelINS0_14default_configENS1_25partition_config_selectorILNS1_17partition_subalgoE9EiibEEZZNS1_14partition_implILS5_9ELb0ES3_jN6thrust23THRUST_200600_302600_NS10device_ptrIiEESB_PNS0_10empty_typeENS0_5tupleIJSB_SC_EEENSE_IJSB_SD_EEENS0_18inequality_wrapperINS9_8equal_toIiEEEEPmJSC_EEE10hipError_tPvRmT3_T4_T5_T6_T7_T9_mT8_P12ihipStream_tbDpT10_ENKUlT_T0_E_clISt17integral_constantIbLb1EES15_EEDaS10_S11_EUlS10_E_NS1_11comp_targetILNS1_3genE0ELNS1_11target_archE4294967295ELNS1_3gpuE0ELNS1_3repE0EEENS1_30default_config_static_selectorELNS0_4arch9wavefront6targetE0EEEvT1_.kd
    .uniform_work_group_size: 1
    .uses_dynamic_stack: false
    .vgpr_count:     0
    .vgpr_spill_count: 0
    .wavefront_size: 32
    .workgroup_processor_mode: 1
  - .args:
      - .offset:         0
        .size:           128
        .value_kind:     by_value
    .group_segment_fixed_size: 0
    .kernarg_segment_align: 8
    .kernarg_segment_size: 128
    .language:       OpenCL C
    .language_version:
      - 2
      - 0
    .max_flat_workgroup_size: 512
    .name:           _ZN7rocprim17ROCPRIM_400000_NS6detail17trampoline_kernelINS0_14default_configENS1_25partition_config_selectorILNS1_17partition_subalgoE9EiibEEZZNS1_14partition_implILS5_9ELb0ES3_jN6thrust23THRUST_200600_302600_NS10device_ptrIiEESB_PNS0_10empty_typeENS0_5tupleIJSB_SC_EEENSE_IJSB_SD_EEENS0_18inequality_wrapperINS9_8equal_toIiEEEEPmJSC_EEE10hipError_tPvRmT3_T4_T5_T6_T7_T9_mT8_P12ihipStream_tbDpT10_ENKUlT_T0_E_clISt17integral_constantIbLb1EES15_EEDaS10_S11_EUlS10_E_NS1_11comp_targetILNS1_3genE5ELNS1_11target_archE942ELNS1_3gpuE9ELNS1_3repE0EEENS1_30default_config_static_selectorELNS0_4arch9wavefront6targetE0EEEvT1_
    .private_segment_fixed_size: 0
    .sgpr_count:     0
    .sgpr_spill_count: 0
    .symbol:         _ZN7rocprim17ROCPRIM_400000_NS6detail17trampoline_kernelINS0_14default_configENS1_25partition_config_selectorILNS1_17partition_subalgoE9EiibEEZZNS1_14partition_implILS5_9ELb0ES3_jN6thrust23THRUST_200600_302600_NS10device_ptrIiEESB_PNS0_10empty_typeENS0_5tupleIJSB_SC_EEENSE_IJSB_SD_EEENS0_18inequality_wrapperINS9_8equal_toIiEEEEPmJSC_EEE10hipError_tPvRmT3_T4_T5_T6_T7_T9_mT8_P12ihipStream_tbDpT10_ENKUlT_T0_E_clISt17integral_constantIbLb1EES15_EEDaS10_S11_EUlS10_E_NS1_11comp_targetILNS1_3genE5ELNS1_11target_archE942ELNS1_3gpuE9ELNS1_3repE0EEENS1_30default_config_static_selectorELNS0_4arch9wavefront6targetE0EEEvT1_.kd
    .uniform_work_group_size: 1
    .uses_dynamic_stack: false
    .vgpr_count:     0
    .vgpr_spill_count: 0
    .wavefront_size: 32
    .workgroup_processor_mode: 1
  - .args:
      - .offset:         0
        .size:           128
        .value_kind:     by_value
    .group_segment_fixed_size: 0
    .kernarg_segment_align: 8
    .kernarg_segment_size: 128
    .language:       OpenCL C
    .language_version:
      - 2
      - 0
    .max_flat_workgroup_size: 192
    .name:           _ZN7rocprim17ROCPRIM_400000_NS6detail17trampoline_kernelINS0_14default_configENS1_25partition_config_selectorILNS1_17partition_subalgoE9EiibEEZZNS1_14partition_implILS5_9ELb0ES3_jN6thrust23THRUST_200600_302600_NS10device_ptrIiEESB_PNS0_10empty_typeENS0_5tupleIJSB_SC_EEENSE_IJSB_SD_EEENS0_18inequality_wrapperINS9_8equal_toIiEEEEPmJSC_EEE10hipError_tPvRmT3_T4_T5_T6_T7_T9_mT8_P12ihipStream_tbDpT10_ENKUlT_T0_E_clISt17integral_constantIbLb1EES15_EEDaS10_S11_EUlS10_E_NS1_11comp_targetILNS1_3genE4ELNS1_11target_archE910ELNS1_3gpuE8ELNS1_3repE0EEENS1_30default_config_static_selectorELNS0_4arch9wavefront6targetE0EEEvT1_
    .private_segment_fixed_size: 0
    .sgpr_count:     0
    .sgpr_spill_count: 0
    .symbol:         _ZN7rocprim17ROCPRIM_400000_NS6detail17trampoline_kernelINS0_14default_configENS1_25partition_config_selectorILNS1_17partition_subalgoE9EiibEEZZNS1_14partition_implILS5_9ELb0ES3_jN6thrust23THRUST_200600_302600_NS10device_ptrIiEESB_PNS0_10empty_typeENS0_5tupleIJSB_SC_EEENSE_IJSB_SD_EEENS0_18inequality_wrapperINS9_8equal_toIiEEEEPmJSC_EEE10hipError_tPvRmT3_T4_T5_T6_T7_T9_mT8_P12ihipStream_tbDpT10_ENKUlT_T0_E_clISt17integral_constantIbLb1EES15_EEDaS10_S11_EUlS10_E_NS1_11comp_targetILNS1_3genE4ELNS1_11target_archE910ELNS1_3gpuE8ELNS1_3repE0EEENS1_30default_config_static_selectorELNS0_4arch9wavefront6targetE0EEEvT1_.kd
    .uniform_work_group_size: 1
    .uses_dynamic_stack: false
    .vgpr_count:     0
    .vgpr_spill_count: 0
    .wavefront_size: 32
    .workgroup_processor_mode: 1
  - .args:
      - .offset:         0
        .size:           128
        .value_kind:     by_value
    .group_segment_fixed_size: 0
    .kernarg_segment_align: 8
    .kernarg_segment_size: 128
    .language:       OpenCL C
    .language_version:
      - 2
      - 0
    .max_flat_workgroup_size: 256
    .name:           _ZN7rocprim17ROCPRIM_400000_NS6detail17trampoline_kernelINS0_14default_configENS1_25partition_config_selectorILNS1_17partition_subalgoE9EiibEEZZNS1_14partition_implILS5_9ELb0ES3_jN6thrust23THRUST_200600_302600_NS10device_ptrIiEESB_PNS0_10empty_typeENS0_5tupleIJSB_SC_EEENSE_IJSB_SD_EEENS0_18inequality_wrapperINS9_8equal_toIiEEEEPmJSC_EEE10hipError_tPvRmT3_T4_T5_T6_T7_T9_mT8_P12ihipStream_tbDpT10_ENKUlT_T0_E_clISt17integral_constantIbLb1EES15_EEDaS10_S11_EUlS10_E_NS1_11comp_targetILNS1_3genE3ELNS1_11target_archE908ELNS1_3gpuE7ELNS1_3repE0EEENS1_30default_config_static_selectorELNS0_4arch9wavefront6targetE0EEEvT1_
    .private_segment_fixed_size: 0
    .sgpr_count:     0
    .sgpr_spill_count: 0
    .symbol:         _ZN7rocprim17ROCPRIM_400000_NS6detail17trampoline_kernelINS0_14default_configENS1_25partition_config_selectorILNS1_17partition_subalgoE9EiibEEZZNS1_14partition_implILS5_9ELb0ES3_jN6thrust23THRUST_200600_302600_NS10device_ptrIiEESB_PNS0_10empty_typeENS0_5tupleIJSB_SC_EEENSE_IJSB_SD_EEENS0_18inequality_wrapperINS9_8equal_toIiEEEEPmJSC_EEE10hipError_tPvRmT3_T4_T5_T6_T7_T9_mT8_P12ihipStream_tbDpT10_ENKUlT_T0_E_clISt17integral_constantIbLb1EES15_EEDaS10_S11_EUlS10_E_NS1_11comp_targetILNS1_3genE3ELNS1_11target_archE908ELNS1_3gpuE7ELNS1_3repE0EEENS1_30default_config_static_selectorELNS0_4arch9wavefront6targetE0EEEvT1_.kd
    .uniform_work_group_size: 1
    .uses_dynamic_stack: false
    .vgpr_count:     0
    .vgpr_spill_count: 0
    .wavefront_size: 32
    .workgroup_processor_mode: 1
  - .args:
      - .offset:         0
        .size:           128
        .value_kind:     by_value
    .group_segment_fixed_size: 0
    .kernarg_segment_align: 8
    .kernarg_segment_size: 128
    .language:       OpenCL C
    .language_version:
      - 2
      - 0
    .max_flat_workgroup_size: 256
    .name:           _ZN7rocprim17ROCPRIM_400000_NS6detail17trampoline_kernelINS0_14default_configENS1_25partition_config_selectorILNS1_17partition_subalgoE9EiibEEZZNS1_14partition_implILS5_9ELb0ES3_jN6thrust23THRUST_200600_302600_NS10device_ptrIiEESB_PNS0_10empty_typeENS0_5tupleIJSB_SC_EEENSE_IJSB_SD_EEENS0_18inequality_wrapperINS9_8equal_toIiEEEEPmJSC_EEE10hipError_tPvRmT3_T4_T5_T6_T7_T9_mT8_P12ihipStream_tbDpT10_ENKUlT_T0_E_clISt17integral_constantIbLb1EES15_EEDaS10_S11_EUlS10_E_NS1_11comp_targetILNS1_3genE2ELNS1_11target_archE906ELNS1_3gpuE6ELNS1_3repE0EEENS1_30default_config_static_selectorELNS0_4arch9wavefront6targetE0EEEvT1_
    .private_segment_fixed_size: 0
    .sgpr_count:     0
    .sgpr_spill_count: 0
    .symbol:         _ZN7rocprim17ROCPRIM_400000_NS6detail17trampoline_kernelINS0_14default_configENS1_25partition_config_selectorILNS1_17partition_subalgoE9EiibEEZZNS1_14partition_implILS5_9ELb0ES3_jN6thrust23THRUST_200600_302600_NS10device_ptrIiEESB_PNS0_10empty_typeENS0_5tupleIJSB_SC_EEENSE_IJSB_SD_EEENS0_18inequality_wrapperINS9_8equal_toIiEEEEPmJSC_EEE10hipError_tPvRmT3_T4_T5_T6_T7_T9_mT8_P12ihipStream_tbDpT10_ENKUlT_T0_E_clISt17integral_constantIbLb1EES15_EEDaS10_S11_EUlS10_E_NS1_11comp_targetILNS1_3genE2ELNS1_11target_archE906ELNS1_3gpuE6ELNS1_3repE0EEENS1_30default_config_static_selectorELNS0_4arch9wavefront6targetE0EEEvT1_.kd
    .uniform_work_group_size: 1
    .uses_dynamic_stack: false
    .vgpr_count:     0
    .vgpr_spill_count: 0
    .wavefront_size: 32
    .workgroup_processor_mode: 1
  - .args:
      - .offset:         0
        .size:           128
        .value_kind:     by_value
    .group_segment_fixed_size: 0
    .kernarg_segment_align: 8
    .kernarg_segment_size: 128
    .language:       OpenCL C
    .language_version:
      - 2
      - 0
    .max_flat_workgroup_size: 384
    .name:           _ZN7rocprim17ROCPRIM_400000_NS6detail17trampoline_kernelINS0_14default_configENS1_25partition_config_selectorILNS1_17partition_subalgoE9EiibEEZZNS1_14partition_implILS5_9ELb0ES3_jN6thrust23THRUST_200600_302600_NS10device_ptrIiEESB_PNS0_10empty_typeENS0_5tupleIJSB_SC_EEENSE_IJSB_SD_EEENS0_18inequality_wrapperINS9_8equal_toIiEEEEPmJSC_EEE10hipError_tPvRmT3_T4_T5_T6_T7_T9_mT8_P12ihipStream_tbDpT10_ENKUlT_T0_E_clISt17integral_constantIbLb1EES15_EEDaS10_S11_EUlS10_E_NS1_11comp_targetILNS1_3genE10ELNS1_11target_archE1200ELNS1_3gpuE4ELNS1_3repE0EEENS1_30default_config_static_selectorELNS0_4arch9wavefront6targetE0EEEvT1_
    .private_segment_fixed_size: 0
    .sgpr_count:     0
    .sgpr_spill_count: 0
    .symbol:         _ZN7rocprim17ROCPRIM_400000_NS6detail17trampoline_kernelINS0_14default_configENS1_25partition_config_selectorILNS1_17partition_subalgoE9EiibEEZZNS1_14partition_implILS5_9ELb0ES3_jN6thrust23THRUST_200600_302600_NS10device_ptrIiEESB_PNS0_10empty_typeENS0_5tupleIJSB_SC_EEENSE_IJSB_SD_EEENS0_18inequality_wrapperINS9_8equal_toIiEEEEPmJSC_EEE10hipError_tPvRmT3_T4_T5_T6_T7_T9_mT8_P12ihipStream_tbDpT10_ENKUlT_T0_E_clISt17integral_constantIbLb1EES15_EEDaS10_S11_EUlS10_E_NS1_11comp_targetILNS1_3genE10ELNS1_11target_archE1200ELNS1_3gpuE4ELNS1_3repE0EEENS1_30default_config_static_selectorELNS0_4arch9wavefront6targetE0EEEvT1_.kd
    .uniform_work_group_size: 1
    .uses_dynamic_stack: false
    .vgpr_count:     0
    .vgpr_spill_count: 0
    .wavefront_size: 32
    .workgroup_processor_mode: 1
  - .args:
      - .offset:         0
        .size:           128
        .value_kind:     by_value
    .group_segment_fixed_size: 12680
    .kernarg_segment_align: 8
    .kernarg_segment_size: 128
    .language:       OpenCL C
    .language_version:
      - 2
      - 0
    .max_flat_workgroup_size: 384
    .name:           _ZN7rocprim17ROCPRIM_400000_NS6detail17trampoline_kernelINS0_14default_configENS1_25partition_config_selectorILNS1_17partition_subalgoE9EiibEEZZNS1_14partition_implILS5_9ELb0ES3_jN6thrust23THRUST_200600_302600_NS10device_ptrIiEESB_PNS0_10empty_typeENS0_5tupleIJSB_SC_EEENSE_IJSB_SD_EEENS0_18inequality_wrapperINS9_8equal_toIiEEEEPmJSC_EEE10hipError_tPvRmT3_T4_T5_T6_T7_T9_mT8_P12ihipStream_tbDpT10_ENKUlT_T0_E_clISt17integral_constantIbLb1EES15_EEDaS10_S11_EUlS10_E_NS1_11comp_targetILNS1_3genE9ELNS1_11target_archE1100ELNS1_3gpuE3ELNS1_3repE0EEENS1_30default_config_static_selectorELNS0_4arch9wavefront6targetE0EEEvT1_
    .private_segment_fixed_size: 0
    .sgpr_count:     31
    .sgpr_spill_count: 0
    .symbol:         _ZN7rocprim17ROCPRIM_400000_NS6detail17trampoline_kernelINS0_14default_configENS1_25partition_config_selectorILNS1_17partition_subalgoE9EiibEEZZNS1_14partition_implILS5_9ELb0ES3_jN6thrust23THRUST_200600_302600_NS10device_ptrIiEESB_PNS0_10empty_typeENS0_5tupleIJSB_SC_EEENSE_IJSB_SD_EEENS0_18inequality_wrapperINS9_8equal_toIiEEEEPmJSC_EEE10hipError_tPvRmT3_T4_T5_T6_T7_T9_mT8_P12ihipStream_tbDpT10_ENKUlT_T0_E_clISt17integral_constantIbLb1EES15_EEDaS10_S11_EUlS10_E_NS1_11comp_targetILNS1_3genE9ELNS1_11target_archE1100ELNS1_3gpuE3ELNS1_3repE0EEENS1_30default_config_static_selectorELNS0_4arch9wavefront6targetE0EEEvT1_.kd
    .uniform_work_group_size: 1
    .uses_dynamic_stack: false
    .vgpr_count:     51
    .vgpr_spill_count: 0
    .wavefront_size: 32
    .workgroup_processor_mode: 1
  - .args:
      - .offset:         0
        .size:           128
        .value_kind:     by_value
    .group_segment_fixed_size: 0
    .kernarg_segment_align: 8
    .kernarg_segment_size: 128
    .language:       OpenCL C
    .language_version:
      - 2
      - 0
    .max_flat_workgroup_size: 512
    .name:           _ZN7rocprim17ROCPRIM_400000_NS6detail17trampoline_kernelINS0_14default_configENS1_25partition_config_selectorILNS1_17partition_subalgoE9EiibEEZZNS1_14partition_implILS5_9ELb0ES3_jN6thrust23THRUST_200600_302600_NS10device_ptrIiEESB_PNS0_10empty_typeENS0_5tupleIJSB_SC_EEENSE_IJSB_SD_EEENS0_18inequality_wrapperINS9_8equal_toIiEEEEPmJSC_EEE10hipError_tPvRmT3_T4_T5_T6_T7_T9_mT8_P12ihipStream_tbDpT10_ENKUlT_T0_E_clISt17integral_constantIbLb1EES15_EEDaS10_S11_EUlS10_E_NS1_11comp_targetILNS1_3genE8ELNS1_11target_archE1030ELNS1_3gpuE2ELNS1_3repE0EEENS1_30default_config_static_selectorELNS0_4arch9wavefront6targetE0EEEvT1_
    .private_segment_fixed_size: 0
    .sgpr_count:     0
    .sgpr_spill_count: 0
    .symbol:         _ZN7rocprim17ROCPRIM_400000_NS6detail17trampoline_kernelINS0_14default_configENS1_25partition_config_selectorILNS1_17partition_subalgoE9EiibEEZZNS1_14partition_implILS5_9ELb0ES3_jN6thrust23THRUST_200600_302600_NS10device_ptrIiEESB_PNS0_10empty_typeENS0_5tupleIJSB_SC_EEENSE_IJSB_SD_EEENS0_18inequality_wrapperINS9_8equal_toIiEEEEPmJSC_EEE10hipError_tPvRmT3_T4_T5_T6_T7_T9_mT8_P12ihipStream_tbDpT10_ENKUlT_T0_E_clISt17integral_constantIbLb1EES15_EEDaS10_S11_EUlS10_E_NS1_11comp_targetILNS1_3genE8ELNS1_11target_archE1030ELNS1_3gpuE2ELNS1_3repE0EEENS1_30default_config_static_selectorELNS0_4arch9wavefront6targetE0EEEvT1_.kd
    .uniform_work_group_size: 1
    .uses_dynamic_stack: false
    .vgpr_count:     0
    .vgpr_spill_count: 0
    .wavefront_size: 32
    .workgroup_processor_mode: 1
  - .args:
      - .offset:         0
        .size:           112
        .value_kind:     by_value
    .group_segment_fixed_size: 0
    .kernarg_segment_align: 8
    .kernarg_segment_size: 112
    .language:       OpenCL C
    .language_version:
      - 2
      - 0
    .max_flat_workgroup_size: 256
    .name:           _ZN7rocprim17ROCPRIM_400000_NS6detail17trampoline_kernelINS0_14default_configENS1_25partition_config_selectorILNS1_17partition_subalgoE9EiibEEZZNS1_14partition_implILS5_9ELb0ES3_jN6thrust23THRUST_200600_302600_NS10device_ptrIiEESB_PNS0_10empty_typeENS0_5tupleIJSB_SC_EEENSE_IJSB_SD_EEENS0_18inequality_wrapperINS9_8equal_toIiEEEEPmJSC_EEE10hipError_tPvRmT3_T4_T5_T6_T7_T9_mT8_P12ihipStream_tbDpT10_ENKUlT_T0_E_clISt17integral_constantIbLb1EES14_IbLb0EEEEDaS10_S11_EUlS10_E_NS1_11comp_targetILNS1_3genE0ELNS1_11target_archE4294967295ELNS1_3gpuE0ELNS1_3repE0EEENS1_30default_config_static_selectorELNS0_4arch9wavefront6targetE0EEEvT1_
    .private_segment_fixed_size: 0
    .sgpr_count:     0
    .sgpr_spill_count: 0
    .symbol:         _ZN7rocprim17ROCPRIM_400000_NS6detail17trampoline_kernelINS0_14default_configENS1_25partition_config_selectorILNS1_17partition_subalgoE9EiibEEZZNS1_14partition_implILS5_9ELb0ES3_jN6thrust23THRUST_200600_302600_NS10device_ptrIiEESB_PNS0_10empty_typeENS0_5tupleIJSB_SC_EEENSE_IJSB_SD_EEENS0_18inequality_wrapperINS9_8equal_toIiEEEEPmJSC_EEE10hipError_tPvRmT3_T4_T5_T6_T7_T9_mT8_P12ihipStream_tbDpT10_ENKUlT_T0_E_clISt17integral_constantIbLb1EES14_IbLb0EEEEDaS10_S11_EUlS10_E_NS1_11comp_targetILNS1_3genE0ELNS1_11target_archE4294967295ELNS1_3gpuE0ELNS1_3repE0EEENS1_30default_config_static_selectorELNS0_4arch9wavefront6targetE0EEEvT1_.kd
    .uniform_work_group_size: 1
    .uses_dynamic_stack: false
    .vgpr_count:     0
    .vgpr_spill_count: 0
    .wavefront_size: 32
    .workgroup_processor_mode: 1
  - .args:
      - .offset:         0
        .size:           112
        .value_kind:     by_value
    .group_segment_fixed_size: 0
    .kernarg_segment_align: 8
    .kernarg_segment_size: 112
    .language:       OpenCL C
    .language_version:
      - 2
      - 0
    .max_flat_workgroup_size: 512
    .name:           _ZN7rocprim17ROCPRIM_400000_NS6detail17trampoline_kernelINS0_14default_configENS1_25partition_config_selectorILNS1_17partition_subalgoE9EiibEEZZNS1_14partition_implILS5_9ELb0ES3_jN6thrust23THRUST_200600_302600_NS10device_ptrIiEESB_PNS0_10empty_typeENS0_5tupleIJSB_SC_EEENSE_IJSB_SD_EEENS0_18inequality_wrapperINS9_8equal_toIiEEEEPmJSC_EEE10hipError_tPvRmT3_T4_T5_T6_T7_T9_mT8_P12ihipStream_tbDpT10_ENKUlT_T0_E_clISt17integral_constantIbLb1EES14_IbLb0EEEEDaS10_S11_EUlS10_E_NS1_11comp_targetILNS1_3genE5ELNS1_11target_archE942ELNS1_3gpuE9ELNS1_3repE0EEENS1_30default_config_static_selectorELNS0_4arch9wavefront6targetE0EEEvT1_
    .private_segment_fixed_size: 0
    .sgpr_count:     0
    .sgpr_spill_count: 0
    .symbol:         _ZN7rocprim17ROCPRIM_400000_NS6detail17trampoline_kernelINS0_14default_configENS1_25partition_config_selectorILNS1_17partition_subalgoE9EiibEEZZNS1_14partition_implILS5_9ELb0ES3_jN6thrust23THRUST_200600_302600_NS10device_ptrIiEESB_PNS0_10empty_typeENS0_5tupleIJSB_SC_EEENSE_IJSB_SD_EEENS0_18inequality_wrapperINS9_8equal_toIiEEEEPmJSC_EEE10hipError_tPvRmT3_T4_T5_T6_T7_T9_mT8_P12ihipStream_tbDpT10_ENKUlT_T0_E_clISt17integral_constantIbLb1EES14_IbLb0EEEEDaS10_S11_EUlS10_E_NS1_11comp_targetILNS1_3genE5ELNS1_11target_archE942ELNS1_3gpuE9ELNS1_3repE0EEENS1_30default_config_static_selectorELNS0_4arch9wavefront6targetE0EEEvT1_.kd
    .uniform_work_group_size: 1
    .uses_dynamic_stack: false
    .vgpr_count:     0
    .vgpr_spill_count: 0
    .wavefront_size: 32
    .workgroup_processor_mode: 1
  - .args:
      - .offset:         0
        .size:           112
        .value_kind:     by_value
    .group_segment_fixed_size: 0
    .kernarg_segment_align: 8
    .kernarg_segment_size: 112
    .language:       OpenCL C
    .language_version:
      - 2
      - 0
    .max_flat_workgroup_size: 192
    .name:           _ZN7rocprim17ROCPRIM_400000_NS6detail17trampoline_kernelINS0_14default_configENS1_25partition_config_selectorILNS1_17partition_subalgoE9EiibEEZZNS1_14partition_implILS5_9ELb0ES3_jN6thrust23THRUST_200600_302600_NS10device_ptrIiEESB_PNS0_10empty_typeENS0_5tupleIJSB_SC_EEENSE_IJSB_SD_EEENS0_18inequality_wrapperINS9_8equal_toIiEEEEPmJSC_EEE10hipError_tPvRmT3_T4_T5_T6_T7_T9_mT8_P12ihipStream_tbDpT10_ENKUlT_T0_E_clISt17integral_constantIbLb1EES14_IbLb0EEEEDaS10_S11_EUlS10_E_NS1_11comp_targetILNS1_3genE4ELNS1_11target_archE910ELNS1_3gpuE8ELNS1_3repE0EEENS1_30default_config_static_selectorELNS0_4arch9wavefront6targetE0EEEvT1_
    .private_segment_fixed_size: 0
    .sgpr_count:     0
    .sgpr_spill_count: 0
    .symbol:         _ZN7rocprim17ROCPRIM_400000_NS6detail17trampoline_kernelINS0_14default_configENS1_25partition_config_selectorILNS1_17partition_subalgoE9EiibEEZZNS1_14partition_implILS5_9ELb0ES3_jN6thrust23THRUST_200600_302600_NS10device_ptrIiEESB_PNS0_10empty_typeENS0_5tupleIJSB_SC_EEENSE_IJSB_SD_EEENS0_18inequality_wrapperINS9_8equal_toIiEEEEPmJSC_EEE10hipError_tPvRmT3_T4_T5_T6_T7_T9_mT8_P12ihipStream_tbDpT10_ENKUlT_T0_E_clISt17integral_constantIbLb1EES14_IbLb0EEEEDaS10_S11_EUlS10_E_NS1_11comp_targetILNS1_3genE4ELNS1_11target_archE910ELNS1_3gpuE8ELNS1_3repE0EEENS1_30default_config_static_selectorELNS0_4arch9wavefront6targetE0EEEvT1_.kd
    .uniform_work_group_size: 1
    .uses_dynamic_stack: false
    .vgpr_count:     0
    .vgpr_spill_count: 0
    .wavefront_size: 32
    .workgroup_processor_mode: 1
  - .args:
      - .offset:         0
        .size:           112
        .value_kind:     by_value
    .group_segment_fixed_size: 0
    .kernarg_segment_align: 8
    .kernarg_segment_size: 112
    .language:       OpenCL C
    .language_version:
      - 2
      - 0
    .max_flat_workgroup_size: 256
    .name:           _ZN7rocprim17ROCPRIM_400000_NS6detail17trampoline_kernelINS0_14default_configENS1_25partition_config_selectorILNS1_17partition_subalgoE9EiibEEZZNS1_14partition_implILS5_9ELb0ES3_jN6thrust23THRUST_200600_302600_NS10device_ptrIiEESB_PNS0_10empty_typeENS0_5tupleIJSB_SC_EEENSE_IJSB_SD_EEENS0_18inequality_wrapperINS9_8equal_toIiEEEEPmJSC_EEE10hipError_tPvRmT3_T4_T5_T6_T7_T9_mT8_P12ihipStream_tbDpT10_ENKUlT_T0_E_clISt17integral_constantIbLb1EES14_IbLb0EEEEDaS10_S11_EUlS10_E_NS1_11comp_targetILNS1_3genE3ELNS1_11target_archE908ELNS1_3gpuE7ELNS1_3repE0EEENS1_30default_config_static_selectorELNS0_4arch9wavefront6targetE0EEEvT1_
    .private_segment_fixed_size: 0
    .sgpr_count:     0
    .sgpr_spill_count: 0
    .symbol:         _ZN7rocprim17ROCPRIM_400000_NS6detail17trampoline_kernelINS0_14default_configENS1_25partition_config_selectorILNS1_17partition_subalgoE9EiibEEZZNS1_14partition_implILS5_9ELb0ES3_jN6thrust23THRUST_200600_302600_NS10device_ptrIiEESB_PNS0_10empty_typeENS0_5tupleIJSB_SC_EEENSE_IJSB_SD_EEENS0_18inequality_wrapperINS9_8equal_toIiEEEEPmJSC_EEE10hipError_tPvRmT3_T4_T5_T6_T7_T9_mT8_P12ihipStream_tbDpT10_ENKUlT_T0_E_clISt17integral_constantIbLb1EES14_IbLb0EEEEDaS10_S11_EUlS10_E_NS1_11comp_targetILNS1_3genE3ELNS1_11target_archE908ELNS1_3gpuE7ELNS1_3repE0EEENS1_30default_config_static_selectorELNS0_4arch9wavefront6targetE0EEEvT1_.kd
    .uniform_work_group_size: 1
    .uses_dynamic_stack: false
    .vgpr_count:     0
    .vgpr_spill_count: 0
    .wavefront_size: 32
    .workgroup_processor_mode: 1
  - .args:
      - .offset:         0
        .size:           112
        .value_kind:     by_value
    .group_segment_fixed_size: 0
    .kernarg_segment_align: 8
    .kernarg_segment_size: 112
    .language:       OpenCL C
    .language_version:
      - 2
      - 0
    .max_flat_workgroup_size: 256
    .name:           _ZN7rocprim17ROCPRIM_400000_NS6detail17trampoline_kernelINS0_14default_configENS1_25partition_config_selectorILNS1_17partition_subalgoE9EiibEEZZNS1_14partition_implILS5_9ELb0ES3_jN6thrust23THRUST_200600_302600_NS10device_ptrIiEESB_PNS0_10empty_typeENS0_5tupleIJSB_SC_EEENSE_IJSB_SD_EEENS0_18inequality_wrapperINS9_8equal_toIiEEEEPmJSC_EEE10hipError_tPvRmT3_T4_T5_T6_T7_T9_mT8_P12ihipStream_tbDpT10_ENKUlT_T0_E_clISt17integral_constantIbLb1EES14_IbLb0EEEEDaS10_S11_EUlS10_E_NS1_11comp_targetILNS1_3genE2ELNS1_11target_archE906ELNS1_3gpuE6ELNS1_3repE0EEENS1_30default_config_static_selectorELNS0_4arch9wavefront6targetE0EEEvT1_
    .private_segment_fixed_size: 0
    .sgpr_count:     0
    .sgpr_spill_count: 0
    .symbol:         _ZN7rocprim17ROCPRIM_400000_NS6detail17trampoline_kernelINS0_14default_configENS1_25partition_config_selectorILNS1_17partition_subalgoE9EiibEEZZNS1_14partition_implILS5_9ELb0ES3_jN6thrust23THRUST_200600_302600_NS10device_ptrIiEESB_PNS0_10empty_typeENS0_5tupleIJSB_SC_EEENSE_IJSB_SD_EEENS0_18inequality_wrapperINS9_8equal_toIiEEEEPmJSC_EEE10hipError_tPvRmT3_T4_T5_T6_T7_T9_mT8_P12ihipStream_tbDpT10_ENKUlT_T0_E_clISt17integral_constantIbLb1EES14_IbLb0EEEEDaS10_S11_EUlS10_E_NS1_11comp_targetILNS1_3genE2ELNS1_11target_archE906ELNS1_3gpuE6ELNS1_3repE0EEENS1_30default_config_static_selectorELNS0_4arch9wavefront6targetE0EEEvT1_.kd
    .uniform_work_group_size: 1
    .uses_dynamic_stack: false
    .vgpr_count:     0
    .vgpr_spill_count: 0
    .wavefront_size: 32
    .workgroup_processor_mode: 1
  - .args:
      - .offset:         0
        .size:           112
        .value_kind:     by_value
    .group_segment_fixed_size: 0
    .kernarg_segment_align: 8
    .kernarg_segment_size: 112
    .language:       OpenCL C
    .language_version:
      - 2
      - 0
    .max_flat_workgroup_size: 384
    .name:           _ZN7rocprim17ROCPRIM_400000_NS6detail17trampoline_kernelINS0_14default_configENS1_25partition_config_selectorILNS1_17partition_subalgoE9EiibEEZZNS1_14partition_implILS5_9ELb0ES3_jN6thrust23THRUST_200600_302600_NS10device_ptrIiEESB_PNS0_10empty_typeENS0_5tupleIJSB_SC_EEENSE_IJSB_SD_EEENS0_18inequality_wrapperINS9_8equal_toIiEEEEPmJSC_EEE10hipError_tPvRmT3_T4_T5_T6_T7_T9_mT8_P12ihipStream_tbDpT10_ENKUlT_T0_E_clISt17integral_constantIbLb1EES14_IbLb0EEEEDaS10_S11_EUlS10_E_NS1_11comp_targetILNS1_3genE10ELNS1_11target_archE1200ELNS1_3gpuE4ELNS1_3repE0EEENS1_30default_config_static_selectorELNS0_4arch9wavefront6targetE0EEEvT1_
    .private_segment_fixed_size: 0
    .sgpr_count:     0
    .sgpr_spill_count: 0
    .symbol:         _ZN7rocprim17ROCPRIM_400000_NS6detail17trampoline_kernelINS0_14default_configENS1_25partition_config_selectorILNS1_17partition_subalgoE9EiibEEZZNS1_14partition_implILS5_9ELb0ES3_jN6thrust23THRUST_200600_302600_NS10device_ptrIiEESB_PNS0_10empty_typeENS0_5tupleIJSB_SC_EEENSE_IJSB_SD_EEENS0_18inequality_wrapperINS9_8equal_toIiEEEEPmJSC_EEE10hipError_tPvRmT3_T4_T5_T6_T7_T9_mT8_P12ihipStream_tbDpT10_ENKUlT_T0_E_clISt17integral_constantIbLb1EES14_IbLb0EEEEDaS10_S11_EUlS10_E_NS1_11comp_targetILNS1_3genE10ELNS1_11target_archE1200ELNS1_3gpuE4ELNS1_3repE0EEENS1_30default_config_static_selectorELNS0_4arch9wavefront6targetE0EEEvT1_.kd
    .uniform_work_group_size: 1
    .uses_dynamic_stack: false
    .vgpr_count:     0
    .vgpr_spill_count: 0
    .wavefront_size: 32
    .workgroup_processor_mode: 1
  - .args:
      - .offset:         0
        .size:           112
        .value_kind:     by_value
    .group_segment_fixed_size: 12680
    .kernarg_segment_align: 8
    .kernarg_segment_size: 112
    .language:       OpenCL C
    .language_version:
      - 2
      - 0
    .max_flat_workgroup_size: 384
    .name:           _ZN7rocprim17ROCPRIM_400000_NS6detail17trampoline_kernelINS0_14default_configENS1_25partition_config_selectorILNS1_17partition_subalgoE9EiibEEZZNS1_14partition_implILS5_9ELb0ES3_jN6thrust23THRUST_200600_302600_NS10device_ptrIiEESB_PNS0_10empty_typeENS0_5tupleIJSB_SC_EEENSE_IJSB_SD_EEENS0_18inequality_wrapperINS9_8equal_toIiEEEEPmJSC_EEE10hipError_tPvRmT3_T4_T5_T6_T7_T9_mT8_P12ihipStream_tbDpT10_ENKUlT_T0_E_clISt17integral_constantIbLb1EES14_IbLb0EEEEDaS10_S11_EUlS10_E_NS1_11comp_targetILNS1_3genE9ELNS1_11target_archE1100ELNS1_3gpuE3ELNS1_3repE0EEENS1_30default_config_static_selectorELNS0_4arch9wavefront6targetE0EEEvT1_
    .private_segment_fixed_size: 0
    .sgpr_count:     27
    .sgpr_spill_count: 0
    .symbol:         _ZN7rocprim17ROCPRIM_400000_NS6detail17trampoline_kernelINS0_14default_configENS1_25partition_config_selectorILNS1_17partition_subalgoE9EiibEEZZNS1_14partition_implILS5_9ELb0ES3_jN6thrust23THRUST_200600_302600_NS10device_ptrIiEESB_PNS0_10empty_typeENS0_5tupleIJSB_SC_EEENSE_IJSB_SD_EEENS0_18inequality_wrapperINS9_8equal_toIiEEEEPmJSC_EEE10hipError_tPvRmT3_T4_T5_T6_T7_T9_mT8_P12ihipStream_tbDpT10_ENKUlT_T0_E_clISt17integral_constantIbLb1EES14_IbLb0EEEEDaS10_S11_EUlS10_E_NS1_11comp_targetILNS1_3genE9ELNS1_11target_archE1100ELNS1_3gpuE3ELNS1_3repE0EEENS1_30default_config_static_selectorELNS0_4arch9wavefront6targetE0EEEvT1_.kd
    .uniform_work_group_size: 1
    .uses_dynamic_stack: false
    .vgpr_count:     51
    .vgpr_spill_count: 0
    .wavefront_size: 32
    .workgroup_processor_mode: 1
  - .args:
      - .offset:         0
        .size:           112
        .value_kind:     by_value
    .group_segment_fixed_size: 0
    .kernarg_segment_align: 8
    .kernarg_segment_size: 112
    .language:       OpenCL C
    .language_version:
      - 2
      - 0
    .max_flat_workgroup_size: 512
    .name:           _ZN7rocprim17ROCPRIM_400000_NS6detail17trampoline_kernelINS0_14default_configENS1_25partition_config_selectorILNS1_17partition_subalgoE9EiibEEZZNS1_14partition_implILS5_9ELb0ES3_jN6thrust23THRUST_200600_302600_NS10device_ptrIiEESB_PNS0_10empty_typeENS0_5tupleIJSB_SC_EEENSE_IJSB_SD_EEENS0_18inequality_wrapperINS9_8equal_toIiEEEEPmJSC_EEE10hipError_tPvRmT3_T4_T5_T6_T7_T9_mT8_P12ihipStream_tbDpT10_ENKUlT_T0_E_clISt17integral_constantIbLb1EES14_IbLb0EEEEDaS10_S11_EUlS10_E_NS1_11comp_targetILNS1_3genE8ELNS1_11target_archE1030ELNS1_3gpuE2ELNS1_3repE0EEENS1_30default_config_static_selectorELNS0_4arch9wavefront6targetE0EEEvT1_
    .private_segment_fixed_size: 0
    .sgpr_count:     0
    .sgpr_spill_count: 0
    .symbol:         _ZN7rocprim17ROCPRIM_400000_NS6detail17trampoline_kernelINS0_14default_configENS1_25partition_config_selectorILNS1_17partition_subalgoE9EiibEEZZNS1_14partition_implILS5_9ELb0ES3_jN6thrust23THRUST_200600_302600_NS10device_ptrIiEESB_PNS0_10empty_typeENS0_5tupleIJSB_SC_EEENSE_IJSB_SD_EEENS0_18inequality_wrapperINS9_8equal_toIiEEEEPmJSC_EEE10hipError_tPvRmT3_T4_T5_T6_T7_T9_mT8_P12ihipStream_tbDpT10_ENKUlT_T0_E_clISt17integral_constantIbLb1EES14_IbLb0EEEEDaS10_S11_EUlS10_E_NS1_11comp_targetILNS1_3genE8ELNS1_11target_archE1030ELNS1_3gpuE2ELNS1_3repE0EEENS1_30default_config_static_selectorELNS0_4arch9wavefront6targetE0EEEvT1_.kd
    .uniform_work_group_size: 1
    .uses_dynamic_stack: false
    .vgpr_count:     0
    .vgpr_spill_count: 0
    .wavefront_size: 32
    .workgroup_processor_mode: 1
  - .args:
      - .offset:         0
        .size:           128
        .value_kind:     by_value
    .group_segment_fixed_size: 0
    .kernarg_segment_align: 8
    .kernarg_segment_size: 128
    .language:       OpenCL C
    .language_version:
      - 2
      - 0
    .max_flat_workgroup_size: 256
    .name:           _ZN7rocprim17ROCPRIM_400000_NS6detail17trampoline_kernelINS0_14default_configENS1_25partition_config_selectorILNS1_17partition_subalgoE9EiibEEZZNS1_14partition_implILS5_9ELb0ES3_jN6thrust23THRUST_200600_302600_NS10device_ptrIiEESB_PNS0_10empty_typeENS0_5tupleIJSB_SC_EEENSE_IJSB_SD_EEENS0_18inequality_wrapperINS9_8equal_toIiEEEEPmJSC_EEE10hipError_tPvRmT3_T4_T5_T6_T7_T9_mT8_P12ihipStream_tbDpT10_ENKUlT_T0_E_clISt17integral_constantIbLb0EES14_IbLb1EEEEDaS10_S11_EUlS10_E_NS1_11comp_targetILNS1_3genE0ELNS1_11target_archE4294967295ELNS1_3gpuE0ELNS1_3repE0EEENS1_30default_config_static_selectorELNS0_4arch9wavefront6targetE0EEEvT1_
    .private_segment_fixed_size: 0
    .sgpr_count:     0
    .sgpr_spill_count: 0
    .symbol:         _ZN7rocprim17ROCPRIM_400000_NS6detail17trampoline_kernelINS0_14default_configENS1_25partition_config_selectorILNS1_17partition_subalgoE9EiibEEZZNS1_14partition_implILS5_9ELb0ES3_jN6thrust23THRUST_200600_302600_NS10device_ptrIiEESB_PNS0_10empty_typeENS0_5tupleIJSB_SC_EEENSE_IJSB_SD_EEENS0_18inequality_wrapperINS9_8equal_toIiEEEEPmJSC_EEE10hipError_tPvRmT3_T4_T5_T6_T7_T9_mT8_P12ihipStream_tbDpT10_ENKUlT_T0_E_clISt17integral_constantIbLb0EES14_IbLb1EEEEDaS10_S11_EUlS10_E_NS1_11comp_targetILNS1_3genE0ELNS1_11target_archE4294967295ELNS1_3gpuE0ELNS1_3repE0EEENS1_30default_config_static_selectorELNS0_4arch9wavefront6targetE0EEEvT1_.kd
    .uniform_work_group_size: 1
    .uses_dynamic_stack: false
    .vgpr_count:     0
    .vgpr_spill_count: 0
    .wavefront_size: 32
    .workgroup_processor_mode: 1
  - .args:
      - .offset:         0
        .size:           128
        .value_kind:     by_value
    .group_segment_fixed_size: 0
    .kernarg_segment_align: 8
    .kernarg_segment_size: 128
    .language:       OpenCL C
    .language_version:
      - 2
      - 0
    .max_flat_workgroup_size: 512
    .name:           _ZN7rocprim17ROCPRIM_400000_NS6detail17trampoline_kernelINS0_14default_configENS1_25partition_config_selectorILNS1_17partition_subalgoE9EiibEEZZNS1_14partition_implILS5_9ELb0ES3_jN6thrust23THRUST_200600_302600_NS10device_ptrIiEESB_PNS0_10empty_typeENS0_5tupleIJSB_SC_EEENSE_IJSB_SD_EEENS0_18inequality_wrapperINS9_8equal_toIiEEEEPmJSC_EEE10hipError_tPvRmT3_T4_T5_T6_T7_T9_mT8_P12ihipStream_tbDpT10_ENKUlT_T0_E_clISt17integral_constantIbLb0EES14_IbLb1EEEEDaS10_S11_EUlS10_E_NS1_11comp_targetILNS1_3genE5ELNS1_11target_archE942ELNS1_3gpuE9ELNS1_3repE0EEENS1_30default_config_static_selectorELNS0_4arch9wavefront6targetE0EEEvT1_
    .private_segment_fixed_size: 0
    .sgpr_count:     0
    .sgpr_spill_count: 0
    .symbol:         _ZN7rocprim17ROCPRIM_400000_NS6detail17trampoline_kernelINS0_14default_configENS1_25partition_config_selectorILNS1_17partition_subalgoE9EiibEEZZNS1_14partition_implILS5_9ELb0ES3_jN6thrust23THRUST_200600_302600_NS10device_ptrIiEESB_PNS0_10empty_typeENS0_5tupleIJSB_SC_EEENSE_IJSB_SD_EEENS0_18inequality_wrapperINS9_8equal_toIiEEEEPmJSC_EEE10hipError_tPvRmT3_T4_T5_T6_T7_T9_mT8_P12ihipStream_tbDpT10_ENKUlT_T0_E_clISt17integral_constantIbLb0EES14_IbLb1EEEEDaS10_S11_EUlS10_E_NS1_11comp_targetILNS1_3genE5ELNS1_11target_archE942ELNS1_3gpuE9ELNS1_3repE0EEENS1_30default_config_static_selectorELNS0_4arch9wavefront6targetE0EEEvT1_.kd
    .uniform_work_group_size: 1
    .uses_dynamic_stack: false
    .vgpr_count:     0
    .vgpr_spill_count: 0
    .wavefront_size: 32
    .workgroup_processor_mode: 1
  - .args:
      - .offset:         0
        .size:           128
        .value_kind:     by_value
    .group_segment_fixed_size: 0
    .kernarg_segment_align: 8
    .kernarg_segment_size: 128
    .language:       OpenCL C
    .language_version:
      - 2
      - 0
    .max_flat_workgroup_size: 192
    .name:           _ZN7rocprim17ROCPRIM_400000_NS6detail17trampoline_kernelINS0_14default_configENS1_25partition_config_selectorILNS1_17partition_subalgoE9EiibEEZZNS1_14partition_implILS5_9ELb0ES3_jN6thrust23THRUST_200600_302600_NS10device_ptrIiEESB_PNS0_10empty_typeENS0_5tupleIJSB_SC_EEENSE_IJSB_SD_EEENS0_18inequality_wrapperINS9_8equal_toIiEEEEPmJSC_EEE10hipError_tPvRmT3_T4_T5_T6_T7_T9_mT8_P12ihipStream_tbDpT10_ENKUlT_T0_E_clISt17integral_constantIbLb0EES14_IbLb1EEEEDaS10_S11_EUlS10_E_NS1_11comp_targetILNS1_3genE4ELNS1_11target_archE910ELNS1_3gpuE8ELNS1_3repE0EEENS1_30default_config_static_selectorELNS0_4arch9wavefront6targetE0EEEvT1_
    .private_segment_fixed_size: 0
    .sgpr_count:     0
    .sgpr_spill_count: 0
    .symbol:         _ZN7rocprim17ROCPRIM_400000_NS6detail17trampoline_kernelINS0_14default_configENS1_25partition_config_selectorILNS1_17partition_subalgoE9EiibEEZZNS1_14partition_implILS5_9ELb0ES3_jN6thrust23THRUST_200600_302600_NS10device_ptrIiEESB_PNS0_10empty_typeENS0_5tupleIJSB_SC_EEENSE_IJSB_SD_EEENS0_18inequality_wrapperINS9_8equal_toIiEEEEPmJSC_EEE10hipError_tPvRmT3_T4_T5_T6_T7_T9_mT8_P12ihipStream_tbDpT10_ENKUlT_T0_E_clISt17integral_constantIbLb0EES14_IbLb1EEEEDaS10_S11_EUlS10_E_NS1_11comp_targetILNS1_3genE4ELNS1_11target_archE910ELNS1_3gpuE8ELNS1_3repE0EEENS1_30default_config_static_selectorELNS0_4arch9wavefront6targetE0EEEvT1_.kd
    .uniform_work_group_size: 1
    .uses_dynamic_stack: false
    .vgpr_count:     0
    .vgpr_spill_count: 0
    .wavefront_size: 32
    .workgroup_processor_mode: 1
  - .args:
      - .offset:         0
        .size:           128
        .value_kind:     by_value
    .group_segment_fixed_size: 0
    .kernarg_segment_align: 8
    .kernarg_segment_size: 128
    .language:       OpenCL C
    .language_version:
      - 2
      - 0
    .max_flat_workgroup_size: 256
    .name:           _ZN7rocprim17ROCPRIM_400000_NS6detail17trampoline_kernelINS0_14default_configENS1_25partition_config_selectorILNS1_17partition_subalgoE9EiibEEZZNS1_14partition_implILS5_9ELb0ES3_jN6thrust23THRUST_200600_302600_NS10device_ptrIiEESB_PNS0_10empty_typeENS0_5tupleIJSB_SC_EEENSE_IJSB_SD_EEENS0_18inequality_wrapperINS9_8equal_toIiEEEEPmJSC_EEE10hipError_tPvRmT3_T4_T5_T6_T7_T9_mT8_P12ihipStream_tbDpT10_ENKUlT_T0_E_clISt17integral_constantIbLb0EES14_IbLb1EEEEDaS10_S11_EUlS10_E_NS1_11comp_targetILNS1_3genE3ELNS1_11target_archE908ELNS1_3gpuE7ELNS1_3repE0EEENS1_30default_config_static_selectorELNS0_4arch9wavefront6targetE0EEEvT1_
    .private_segment_fixed_size: 0
    .sgpr_count:     0
    .sgpr_spill_count: 0
    .symbol:         _ZN7rocprim17ROCPRIM_400000_NS6detail17trampoline_kernelINS0_14default_configENS1_25partition_config_selectorILNS1_17partition_subalgoE9EiibEEZZNS1_14partition_implILS5_9ELb0ES3_jN6thrust23THRUST_200600_302600_NS10device_ptrIiEESB_PNS0_10empty_typeENS0_5tupleIJSB_SC_EEENSE_IJSB_SD_EEENS0_18inequality_wrapperINS9_8equal_toIiEEEEPmJSC_EEE10hipError_tPvRmT3_T4_T5_T6_T7_T9_mT8_P12ihipStream_tbDpT10_ENKUlT_T0_E_clISt17integral_constantIbLb0EES14_IbLb1EEEEDaS10_S11_EUlS10_E_NS1_11comp_targetILNS1_3genE3ELNS1_11target_archE908ELNS1_3gpuE7ELNS1_3repE0EEENS1_30default_config_static_selectorELNS0_4arch9wavefront6targetE0EEEvT1_.kd
    .uniform_work_group_size: 1
    .uses_dynamic_stack: false
    .vgpr_count:     0
    .vgpr_spill_count: 0
    .wavefront_size: 32
    .workgroup_processor_mode: 1
  - .args:
      - .offset:         0
        .size:           128
        .value_kind:     by_value
    .group_segment_fixed_size: 0
    .kernarg_segment_align: 8
    .kernarg_segment_size: 128
    .language:       OpenCL C
    .language_version:
      - 2
      - 0
    .max_flat_workgroup_size: 256
    .name:           _ZN7rocprim17ROCPRIM_400000_NS6detail17trampoline_kernelINS0_14default_configENS1_25partition_config_selectorILNS1_17partition_subalgoE9EiibEEZZNS1_14partition_implILS5_9ELb0ES3_jN6thrust23THRUST_200600_302600_NS10device_ptrIiEESB_PNS0_10empty_typeENS0_5tupleIJSB_SC_EEENSE_IJSB_SD_EEENS0_18inequality_wrapperINS9_8equal_toIiEEEEPmJSC_EEE10hipError_tPvRmT3_T4_T5_T6_T7_T9_mT8_P12ihipStream_tbDpT10_ENKUlT_T0_E_clISt17integral_constantIbLb0EES14_IbLb1EEEEDaS10_S11_EUlS10_E_NS1_11comp_targetILNS1_3genE2ELNS1_11target_archE906ELNS1_3gpuE6ELNS1_3repE0EEENS1_30default_config_static_selectorELNS0_4arch9wavefront6targetE0EEEvT1_
    .private_segment_fixed_size: 0
    .sgpr_count:     0
    .sgpr_spill_count: 0
    .symbol:         _ZN7rocprim17ROCPRIM_400000_NS6detail17trampoline_kernelINS0_14default_configENS1_25partition_config_selectorILNS1_17partition_subalgoE9EiibEEZZNS1_14partition_implILS5_9ELb0ES3_jN6thrust23THRUST_200600_302600_NS10device_ptrIiEESB_PNS0_10empty_typeENS0_5tupleIJSB_SC_EEENSE_IJSB_SD_EEENS0_18inequality_wrapperINS9_8equal_toIiEEEEPmJSC_EEE10hipError_tPvRmT3_T4_T5_T6_T7_T9_mT8_P12ihipStream_tbDpT10_ENKUlT_T0_E_clISt17integral_constantIbLb0EES14_IbLb1EEEEDaS10_S11_EUlS10_E_NS1_11comp_targetILNS1_3genE2ELNS1_11target_archE906ELNS1_3gpuE6ELNS1_3repE0EEENS1_30default_config_static_selectorELNS0_4arch9wavefront6targetE0EEEvT1_.kd
    .uniform_work_group_size: 1
    .uses_dynamic_stack: false
    .vgpr_count:     0
    .vgpr_spill_count: 0
    .wavefront_size: 32
    .workgroup_processor_mode: 1
  - .args:
      - .offset:         0
        .size:           128
        .value_kind:     by_value
    .group_segment_fixed_size: 0
    .kernarg_segment_align: 8
    .kernarg_segment_size: 128
    .language:       OpenCL C
    .language_version:
      - 2
      - 0
    .max_flat_workgroup_size: 384
    .name:           _ZN7rocprim17ROCPRIM_400000_NS6detail17trampoline_kernelINS0_14default_configENS1_25partition_config_selectorILNS1_17partition_subalgoE9EiibEEZZNS1_14partition_implILS5_9ELb0ES3_jN6thrust23THRUST_200600_302600_NS10device_ptrIiEESB_PNS0_10empty_typeENS0_5tupleIJSB_SC_EEENSE_IJSB_SD_EEENS0_18inequality_wrapperINS9_8equal_toIiEEEEPmJSC_EEE10hipError_tPvRmT3_T4_T5_T6_T7_T9_mT8_P12ihipStream_tbDpT10_ENKUlT_T0_E_clISt17integral_constantIbLb0EES14_IbLb1EEEEDaS10_S11_EUlS10_E_NS1_11comp_targetILNS1_3genE10ELNS1_11target_archE1200ELNS1_3gpuE4ELNS1_3repE0EEENS1_30default_config_static_selectorELNS0_4arch9wavefront6targetE0EEEvT1_
    .private_segment_fixed_size: 0
    .sgpr_count:     0
    .sgpr_spill_count: 0
    .symbol:         _ZN7rocprim17ROCPRIM_400000_NS6detail17trampoline_kernelINS0_14default_configENS1_25partition_config_selectorILNS1_17partition_subalgoE9EiibEEZZNS1_14partition_implILS5_9ELb0ES3_jN6thrust23THRUST_200600_302600_NS10device_ptrIiEESB_PNS0_10empty_typeENS0_5tupleIJSB_SC_EEENSE_IJSB_SD_EEENS0_18inequality_wrapperINS9_8equal_toIiEEEEPmJSC_EEE10hipError_tPvRmT3_T4_T5_T6_T7_T9_mT8_P12ihipStream_tbDpT10_ENKUlT_T0_E_clISt17integral_constantIbLb0EES14_IbLb1EEEEDaS10_S11_EUlS10_E_NS1_11comp_targetILNS1_3genE10ELNS1_11target_archE1200ELNS1_3gpuE4ELNS1_3repE0EEENS1_30default_config_static_selectorELNS0_4arch9wavefront6targetE0EEEvT1_.kd
    .uniform_work_group_size: 1
    .uses_dynamic_stack: false
    .vgpr_count:     0
    .vgpr_spill_count: 0
    .wavefront_size: 32
    .workgroup_processor_mode: 1
  - .args:
      - .offset:         0
        .size:           128
        .value_kind:     by_value
    .group_segment_fixed_size: 12680
    .kernarg_segment_align: 8
    .kernarg_segment_size: 128
    .language:       OpenCL C
    .language_version:
      - 2
      - 0
    .max_flat_workgroup_size: 384
    .name:           _ZN7rocprim17ROCPRIM_400000_NS6detail17trampoline_kernelINS0_14default_configENS1_25partition_config_selectorILNS1_17partition_subalgoE9EiibEEZZNS1_14partition_implILS5_9ELb0ES3_jN6thrust23THRUST_200600_302600_NS10device_ptrIiEESB_PNS0_10empty_typeENS0_5tupleIJSB_SC_EEENSE_IJSB_SD_EEENS0_18inequality_wrapperINS9_8equal_toIiEEEEPmJSC_EEE10hipError_tPvRmT3_T4_T5_T6_T7_T9_mT8_P12ihipStream_tbDpT10_ENKUlT_T0_E_clISt17integral_constantIbLb0EES14_IbLb1EEEEDaS10_S11_EUlS10_E_NS1_11comp_targetILNS1_3genE9ELNS1_11target_archE1100ELNS1_3gpuE3ELNS1_3repE0EEENS1_30default_config_static_selectorELNS0_4arch9wavefront6targetE0EEEvT1_
    .private_segment_fixed_size: 0
    .sgpr_count:     31
    .sgpr_spill_count: 0
    .symbol:         _ZN7rocprim17ROCPRIM_400000_NS6detail17trampoline_kernelINS0_14default_configENS1_25partition_config_selectorILNS1_17partition_subalgoE9EiibEEZZNS1_14partition_implILS5_9ELb0ES3_jN6thrust23THRUST_200600_302600_NS10device_ptrIiEESB_PNS0_10empty_typeENS0_5tupleIJSB_SC_EEENSE_IJSB_SD_EEENS0_18inequality_wrapperINS9_8equal_toIiEEEEPmJSC_EEE10hipError_tPvRmT3_T4_T5_T6_T7_T9_mT8_P12ihipStream_tbDpT10_ENKUlT_T0_E_clISt17integral_constantIbLb0EES14_IbLb1EEEEDaS10_S11_EUlS10_E_NS1_11comp_targetILNS1_3genE9ELNS1_11target_archE1100ELNS1_3gpuE3ELNS1_3repE0EEENS1_30default_config_static_selectorELNS0_4arch9wavefront6targetE0EEEvT1_.kd
    .uniform_work_group_size: 1
    .uses_dynamic_stack: false
    .vgpr_count:     51
    .vgpr_spill_count: 0
    .wavefront_size: 32
    .workgroup_processor_mode: 1
  - .args:
      - .offset:         0
        .size:           128
        .value_kind:     by_value
    .group_segment_fixed_size: 0
    .kernarg_segment_align: 8
    .kernarg_segment_size: 128
    .language:       OpenCL C
    .language_version:
      - 2
      - 0
    .max_flat_workgroup_size: 512
    .name:           _ZN7rocprim17ROCPRIM_400000_NS6detail17trampoline_kernelINS0_14default_configENS1_25partition_config_selectorILNS1_17partition_subalgoE9EiibEEZZNS1_14partition_implILS5_9ELb0ES3_jN6thrust23THRUST_200600_302600_NS10device_ptrIiEESB_PNS0_10empty_typeENS0_5tupleIJSB_SC_EEENSE_IJSB_SD_EEENS0_18inequality_wrapperINS9_8equal_toIiEEEEPmJSC_EEE10hipError_tPvRmT3_T4_T5_T6_T7_T9_mT8_P12ihipStream_tbDpT10_ENKUlT_T0_E_clISt17integral_constantIbLb0EES14_IbLb1EEEEDaS10_S11_EUlS10_E_NS1_11comp_targetILNS1_3genE8ELNS1_11target_archE1030ELNS1_3gpuE2ELNS1_3repE0EEENS1_30default_config_static_selectorELNS0_4arch9wavefront6targetE0EEEvT1_
    .private_segment_fixed_size: 0
    .sgpr_count:     0
    .sgpr_spill_count: 0
    .symbol:         _ZN7rocprim17ROCPRIM_400000_NS6detail17trampoline_kernelINS0_14default_configENS1_25partition_config_selectorILNS1_17partition_subalgoE9EiibEEZZNS1_14partition_implILS5_9ELb0ES3_jN6thrust23THRUST_200600_302600_NS10device_ptrIiEESB_PNS0_10empty_typeENS0_5tupleIJSB_SC_EEENSE_IJSB_SD_EEENS0_18inequality_wrapperINS9_8equal_toIiEEEEPmJSC_EEE10hipError_tPvRmT3_T4_T5_T6_T7_T9_mT8_P12ihipStream_tbDpT10_ENKUlT_T0_E_clISt17integral_constantIbLb0EES14_IbLb1EEEEDaS10_S11_EUlS10_E_NS1_11comp_targetILNS1_3genE8ELNS1_11target_archE1030ELNS1_3gpuE2ELNS1_3repE0EEENS1_30default_config_static_selectorELNS0_4arch9wavefront6targetE0EEEvT1_.kd
    .uniform_work_group_size: 1
    .uses_dynamic_stack: false
    .vgpr_count:     0
    .vgpr_spill_count: 0
    .wavefront_size: 32
    .workgroup_processor_mode: 1
  - .args:
      - .offset:         0
        .size:           16
        .value_kind:     by_value
      - .offset:         16
        .size:           8
        .value_kind:     by_value
      - .offset:         24
        .size:           8
        .value_kind:     by_value
    .group_segment_fixed_size: 0
    .kernarg_segment_align: 8
    .kernarg_segment_size: 32
    .language:       OpenCL C
    .language_version:
      - 2
      - 0
    .max_flat_workgroup_size: 256
    .name:           _ZN6thrust23THRUST_200600_302600_NS11hip_rocprim14__parallel_for6kernelILj256ENS1_10for_each_fINS0_10device_ptrINS0_4pairIiN12_GLOBAL__N_15EntryEEEEENS0_6detail16wrapped_functionINSB_23allocator_traits_detail5gozerEvEEEElLj1EEEvT0_T1_SI_
    .private_segment_fixed_size: 0
    .sgpr_count:     0
    .sgpr_spill_count: 0
    .symbol:         _ZN6thrust23THRUST_200600_302600_NS11hip_rocprim14__parallel_for6kernelILj256ENS1_10for_each_fINS0_10device_ptrINS0_4pairIiN12_GLOBAL__N_15EntryEEEEENS0_6detail16wrapped_functionINSB_23allocator_traits_detail5gozerEvEEEElLj1EEEvT0_T1_SI_.kd
    .uniform_work_group_size: 1
    .uses_dynamic_stack: false
    .vgpr_count:     0
    .vgpr_spill_count: 0
    .wavefront_size: 32
    .workgroup_processor_mode: 1
  - .args:
      - .offset:         0
        .size:           16
        .value_kind:     by_value
      - .offset:         16
        .size:           8
        .value_kind:     by_value
      - .offset:         24
        .size:           8
        .value_kind:     by_value
    .group_segment_fixed_size: 0
    .kernarg_segment_align: 8
    .kernarg_segment_size: 32
    .language:       OpenCL C
    .language_version:
      - 2
      - 0
    .max_flat_workgroup_size: 256
    .name:           _ZN6thrust23THRUST_200600_302600_NS11hip_rocprim14__parallel_for6kernelILj256ENS1_10for_each_fINS0_10device_ptrINS0_4pairIiN12_GLOBAL__N_15EntryEEEEENS0_6detail16wrapped_functionINSB_23allocator_traits_detail24construct1_via_allocatorINS0_16device_allocatorIS9_EEEEvEEEEmLj1EEEvT0_T1_SL_
    .private_segment_fixed_size: 0
    .sgpr_count:     18
    .sgpr_spill_count: 0
    .symbol:         _ZN6thrust23THRUST_200600_302600_NS11hip_rocprim14__parallel_for6kernelILj256ENS1_10for_each_fINS0_10device_ptrINS0_4pairIiN12_GLOBAL__N_15EntryEEEEENS0_6detail16wrapped_functionINSB_23allocator_traits_detail24construct1_via_allocatorINS0_16device_allocatorIS9_EEEEvEEEEmLj1EEEvT0_T1_SL_.kd
    .uniform_work_group_size: 1
    .uses_dynamic_stack: false
    .vgpr_count:     6
    .vgpr_spill_count: 0
    .wavefront_size: 32
    .workgroup_processor_mode: 1
  - .args:
      - .offset:         0
        .size:           16
        .value_kind:     by_value
      - .offset:         16
        .size:           8
        .value_kind:     by_value
      - .offset:         24
        .size:           8
        .value_kind:     by_value
    .group_segment_fixed_size: 0
    .kernarg_segment_align: 8
    .kernarg_segment_size: 32
    .language:       OpenCL C
    .language_version:
      - 2
      - 0
    .max_flat_workgroup_size: 256
    .name:           _ZN6thrust23THRUST_200600_302600_NS11hip_rocprim14__parallel_for6kernelILj256ENS1_20__uninitialized_fill7functorINS0_10device_ptrIN12_GLOBAL__N_15EntryEEES8_EEmLj1EEEvT0_T1_SC_
    .private_segment_fixed_size: 0
    .sgpr_count:     18
    .sgpr_spill_count: 0
    .symbol:         _ZN6thrust23THRUST_200600_302600_NS11hip_rocprim14__parallel_for6kernelILj256ENS1_20__uninitialized_fill7functorINS0_10device_ptrIN12_GLOBAL__N_15EntryEEES8_EEmLj1EEEvT0_T1_SC_.kd
    .uniform_work_group_size: 1
    .uses_dynamic_stack: false
    .vgpr_count:     4
    .vgpr_spill_count: 0
    .wavefront_size: 32
    .workgroup_processor_mode: 1
  - .args:
      - .offset:         0
        .size:           112
        .value_kind:     by_value
    .group_segment_fixed_size: 0
    .kernarg_segment_align: 8
    .kernarg_segment_size: 112
    .language:       OpenCL C
    .language_version:
      - 2
      - 0
    .max_flat_workgroup_size: 192
    .name:           _ZN7rocprim17ROCPRIM_400000_NS6detail17trampoline_kernelINS0_14default_configENS1_25partition_config_selectorILNS1_17partition_subalgoE9EN6thrust23THRUST_200600_302600_NS4pairIiN12_GLOBAL__N_15EntryEEESA_bEEZZNS1_14partition_implILS5_9ELb0ES3_jNS7_6detail15normal_iteratorINS7_10device_ptrIKSB_EEEENSF_INSG_ISA_EEEEPNS0_10empty_typeENS0_5tupleIJNSF_INSG_ISB_EEEESM_EEENSO_IJSL_SN_EEENS0_18inequality_wrapperINS9_12CompareFirstEEEPmJSM_EEE10hipError_tPvRmT3_T4_T5_T6_T7_T9_mT8_P12ihipStream_tbDpT10_ENKUlT_T0_E_clISt17integral_constantIbLb0EES1G_EEDaS1B_S1C_EUlS1B_E_NS1_11comp_targetILNS1_3genE0ELNS1_11target_archE4294967295ELNS1_3gpuE0ELNS1_3repE0EEENS1_30default_config_static_selectorELNS0_4arch9wavefront6targetE0EEEvT1_
    .private_segment_fixed_size: 0
    .sgpr_count:     0
    .sgpr_spill_count: 0
    .symbol:         _ZN7rocprim17ROCPRIM_400000_NS6detail17trampoline_kernelINS0_14default_configENS1_25partition_config_selectorILNS1_17partition_subalgoE9EN6thrust23THRUST_200600_302600_NS4pairIiN12_GLOBAL__N_15EntryEEESA_bEEZZNS1_14partition_implILS5_9ELb0ES3_jNS7_6detail15normal_iteratorINS7_10device_ptrIKSB_EEEENSF_INSG_ISA_EEEEPNS0_10empty_typeENS0_5tupleIJNSF_INSG_ISB_EEEESM_EEENSO_IJSL_SN_EEENS0_18inequality_wrapperINS9_12CompareFirstEEEPmJSM_EEE10hipError_tPvRmT3_T4_T5_T6_T7_T9_mT8_P12ihipStream_tbDpT10_ENKUlT_T0_E_clISt17integral_constantIbLb0EES1G_EEDaS1B_S1C_EUlS1B_E_NS1_11comp_targetILNS1_3genE0ELNS1_11target_archE4294967295ELNS1_3gpuE0ELNS1_3repE0EEENS1_30default_config_static_selectorELNS0_4arch9wavefront6targetE0EEEvT1_.kd
    .uniform_work_group_size: 1
    .uses_dynamic_stack: false
    .vgpr_count:     0
    .vgpr_spill_count: 0
    .wavefront_size: 32
    .workgroup_processor_mode: 1
  - .args:
      - .offset:         0
        .size:           112
        .value_kind:     by_value
    .group_segment_fixed_size: 0
    .kernarg_segment_align: 8
    .kernarg_segment_size: 112
    .language:       OpenCL C
    .language_version:
      - 2
      - 0
    .max_flat_workgroup_size: 384
    .name:           _ZN7rocprim17ROCPRIM_400000_NS6detail17trampoline_kernelINS0_14default_configENS1_25partition_config_selectorILNS1_17partition_subalgoE9EN6thrust23THRUST_200600_302600_NS4pairIiN12_GLOBAL__N_15EntryEEESA_bEEZZNS1_14partition_implILS5_9ELb0ES3_jNS7_6detail15normal_iteratorINS7_10device_ptrIKSB_EEEENSF_INSG_ISA_EEEEPNS0_10empty_typeENS0_5tupleIJNSF_INSG_ISB_EEEESM_EEENSO_IJSL_SN_EEENS0_18inequality_wrapperINS9_12CompareFirstEEEPmJSM_EEE10hipError_tPvRmT3_T4_T5_T6_T7_T9_mT8_P12ihipStream_tbDpT10_ENKUlT_T0_E_clISt17integral_constantIbLb0EES1G_EEDaS1B_S1C_EUlS1B_E_NS1_11comp_targetILNS1_3genE5ELNS1_11target_archE942ELNS1_3gpuE9ELNS1_3repE0EEENS1_30default_config_static_selectorELNS0_4arch9wavefront6targetE0EEEvT1_
    .private_segment_fixed_size: 0
    .sgpr_count:     0
    .sgpr_spill_count: 0
    .symbol:         _ZN7rocprim17ROCPRIM_400000_NS6detail17trampoline_kernelINS0_14default_configENS1_25partition_config_selectorILNS1_17partition_subalgoE9EN6thrust23THRUST_200600_302600_NS4pairIiN12_GLOBAL__N_15EntryEEESA_bEEZZNS1_14partition_implILS5_9ELb0ES3_jNS7_6detail15normal_iteratorINS7_10device_ptrIKSB_EEEENSF_INSG_ISA_EEEEPNS0_10empty_typeENS0_5tupleIJNSF_INSG_ISB_EEEESM_EEENSO_IJSL_SN_EEENS0_18inequality_wrapperINS9_12CompareFirstEEEPmJSM_EEE10hipError_tPvRmT3_T4_T5_T6_T7_T9_mT8_P12ihipStream_tbDpT10_ENKUlT_T0_E_clISt17integral_constantIbLb0EES1G_EEDaS1B_S1C_EUlS1B_E_NS1_11comp_targetILNS1_3genE5ELNS1_11target_archE942ELNS1_3gpuE9ELNS1_3repE0EEENS1_30default_config_static_selectorELNS0_4arch9wavefront6targetE0EEEvT1_.kd
    .uniform_work_group_size: 1
    .uses_dynamic_stack: false
    .vgpr_count:     0
    .vgpr_spill_count: 0
    .wavefront_size: 32
    .workgroup_processor_mode: 1
  - .args:
      - .offset:         0
        .size:           112
        .value_kind:     by_value
    .group_segment_fixed_size: 0
    .kernarg_segment_align: 8
    .kernarg_segment_size: 112
    .language:       OpenCL C
    .language_version:
      - 2
      - 0
    .max_flat_workgroup_size: 128
    .name:           _ZN7rocprim17ROCPRIM_400000_NS6detail17trampoline_kernelINS0_14default_configENS1_25partition_config_selectorILNS1_17partition_subalgoE9EN6thrust23THRUST_200600_302600_NS4pairIiN12_GLOBAL__N_15EntryEEESA_bEEZZNS1_14partition_implILS5_9ELb0ES3_jNS7_6detail15normal_iteratorINS7_10device_ptrIKSB_EEEENSF_INSG_ISA_EEEEPNS0_10empty_typeENS0_5tupleIJNSF_INSG_ISB_EEEESM_EEENSO_IJSL_SN_EEENS0_18inequality_wrapperINS9_12CompareFirstEEEPmJSM_EEE10hipError_tPvRmT3_T4_T5_T6_T7_T9_mT8_P12ihipStream_tbDpT10_ENKUlT_T0_E_clISt17integral_constantIbLb0EES1G_EEDaS1B_S1C_EUlS1B_E_NS1_11comp_targetILNS1_3genE4ELNS1_11target_archE910ELNS1_3gpuE8ELNS1_3repE0EEENS1_30default_config_static_selectorELNS0_4arch9wavefront6targetE0EEEvT1_
    .private_segment_fixed_size: 0
    .sgpr_count:     0
    .sgpr_spill_count: 0
    .symbol:         _ZN7rocprim17ROCPRIM_400000_NS6detail17trampoline_kernelINS0_14default_configENS1_25partition_config_selectorILNS1_17partition_subalgoE9EN6thrust23THRUST_200600_302600_NS4pairIiN12_GLOBAL__N_15EntryEEESA_bEEZZNS1_14partition_implILS5_9ELb0ES3_jNS7_6detail15normal_iteratorINS7_10device_ptrIKSB_EEEENSF_INSG_ISA_EEEEPNS0_10empty_typeENS0_5tupleIJNSF_INSG_ISB_EEEESM_EEENSO_IJSL_SN_EEENS0_18inequality_wrapperINS9_12CompareFirstEEEPmJSM_EEE10hipError_tPvRmT3_T4_T5_T6_T7_T9_mT8_P12ihipStream_tbDpT10_ENKUlT_T0_E_clISt17integral_constantIbLb0EES1G_EEDaS1B_S1C_EUlS1B_E_NS1_11comp_targetILNS1_3genE4ELNS1_11target_archE910ELNS1_3gpuE8ELNS1_3repE0EEENS1_30default_config_static_selectorELNS0_4arch9wavefront6targetE0EEEvT1_.kd
    .uniform_work_group_size: 1
    .uses_dynamic_stack: false
    .vgpr_count:     0
    .vgpr_spill_count: 0
    .wavefront_size: 32
    .workgroup_processor_mode: 1
  - .args:
      - .offset:         0
        .size:           112
        .value_kind:     by_value
    .group_segment_fixed_size: 0
    .kernarg_segment_align: 8
    .kernarg_segment_size: 112
    .language:       OpenCL C
    .language_version:
      - 2
      - 0
    .max_flat_workgroup_size: 192
    .name:           _ZN7rocprim17ROCPRIM_400000_NS6detail17trampoline_kernelINS0_14default_configENS1_25partition_config_selectorILNS1_17partition_subalgoE9EN6thrust23THRUST_200600_302600_NS4pairIiN12_GLOBAL__N_15EntryEEESA_bEEZZNS1_14partition_implILS5_9ELb0ES3_jNS7_6detail15normal_iteratorINS7_10device_ptrIKSB_EEEENSF_INSG_ISA_EEEEPNS0_10empty_typeENS0_5tupleIJNSF_INSG_ISB_EEEESM_EEENSO_IJSL_SN_EEENS0_18inequality_wrapperINS9_12CompareFirstEEEPmJSM_EEE10hipError_tPvRmT3_T4_T5_T6_T7_T9_mT8_P12ihipStream_tbDpT10_ENKUlT_T0_E_clISt17integral_constantIbLb0EES1G_EEDaS1B_S1C_EUlS1B_E_NS1_11comp_targetILNS1_3genE3ELNS1_11target_archE908ELNS1_3gpuE7ELNS1_3repE0EEENS1_30default_config_static_selectorELNS0_4arch9wavefront6targetE0EEEvT1_
    .private_segment_fixed_size: 0
    .sgpr_count:     0
    .sgpr_spill_count: 0
    .symbol:         _ZN7rocprim17ROCPRIM_400000_NS6detail17trampoline_kernelINS0_14default_configENS1_25partition_config_selectorILNS1_17partition_subalgoE9EN6thrust23THRUST_200600_302600_NS4pairIiN12_GLOBAL__N_15EntryEEESA_bEEZZNS1_14partition_implILS5_9ELb0ES3_jNS7_6detail15normal_iteratorINS7_10device_ptrIKSB_EEEENSF_INSG_ISA_EEEEPNS0_10empty_typeENS0_5tupleIJNSF_INSG_ISB_EEEESM_EEENSO_IJSL_SN_EEENS0_18inequality_wrapperINS9_12CompareFirstEEEPmJSM_EEE10hipError_tPvRmT3_T4_T5_T6_T7_T9_mT8_P12ihipStream_tbDpT10_ENKUlT_T0_E_clISt17integral_constantIbLb0EES1G_EEDaS1B_S1C_EUlS1B_E_NS1_11comp_targetILNS1_3genE3ELNS1_11target_archE908ELNS1_3gpuE7ELNS1_3repE0EEENS1_30default_config_static_selectorELNS0_4arch9wavefront6targetE0EEEvT1_.kd
    .uniform_work_group_size: 1
    .uses_dynamic_stack: false
    .vgpr_count:     0
    .vgpr_spill_count: 0
    .wavefront_size: 32
    .workgroup_processor_mode: 1
  - .args:
      - .offset:         0
        .size:           112
        .value_kind:     by_value
    .group_segment_fixed_size: 0
    .kernarg_segment_align: 8
    .kernarg_segment_size: 112
    .language:       OpenCL C
    .language_version:
      - 2
      - 0
    .max_flat_workgroup_size: 192
    .name:           _ZN7rocprim17ROCPRIM_400000_NS6detail17trampoline_kernelINS0_14default_configENS1_25partition_config_selectorILNS1_17partition_subalgoE9EN6thrust23THRUST_200600_302600_NS4pairIiN12_GLOBAL__N_15EntryEEESA_bEEZZNS1_14partition_implILS5_9ELb0ES3_jNS7_6detail15normal_iteratorINS7_10device_ptrIKSB_EEEENSF_INSG_ISA_EEEEPNS0_10empty_typeENS0_5tupleIJNSF_INSG_ISB_EEEESM_EEENSO_IJSL_SN_EEENS0_18inequality_wrapperINS9_12CompareFirstEEEPmJSM_EEE10hipError_tPvRmT3_T4_T5_T6_T7_T9_mT8_P12ihipStream_tbDpT10_ENKUlT_T0_E_clISt17integral_constantIbLb0EES1G_EEDaS1B_S1C_EUlS1B_E_NS1_11comp_targetILNS1_3genE2ELNS1_11target_archE906ELNS1_3gpuE6ELNS1_3repE0EEENS1_30default_config_static_selectorELNS0_4arch9wavefront6targetE0EEEvT1_
    .private_segment_fixed_size: 0
    .sgpr_count:     0
    .sgpr_spill_count: 0
    .symbol:         _ZN7rocprim17ROCPRIM_400000_NS6detail17trampoline_kernelINS0_14default_configENS1_25partition_config_selectorILNS1_17partition_subalgoE9EN6thrust23THRUST_200600_302600_NS4pairIiN12_GLOBAL__N_15EntryEEESA_bEEZZNS1_14partition_implILS5_9ELb0ES3_jNS7_6detail15normal_iteratorINS7_10device_ptrIKSB_EEEENSF_INSG_ISA_EEEEPNS0_10empty_typeENS0_5tupleIJNSF_INSG_ISB_EEEESM_EEENSO_IJSL_SN_EEENS0_18inequality_wrapperINS9_12CompareFirstEEEPmJSM_EEE10hipError_tPvRmT3_T4_T5_T6_T7_T9_mT8_P12ihipStream_tbDpT10_ENKUlT_T0_E_clISt17integral_constantIbLb0EES1G_EEDaS1B_S1C_EUlS1B_E_NS1_11comp_targetILNS1_3genE2ELNS1_11target_archE906ELNS1_3gpuE6ELNS1_3repE0EEENS1_30default_config_static_selectorELNS0_4arch9wavefront6targetE0EEEvT1_.kd
    .uniform_work_group_size: 1
    .uses_dynamic_stack: false
    .vgpr_count:     0
    .vgpr_spill_count: 0
    .wavefront_size: 32
    .workgroup_processor_mode: 1
  - .args:
      - .offset:         0
        .size:           112
        .value_kind:     by_value
    .group_segment_fixed_size: 0
    .kernarg_segment_align: 8
    .kernarg_segment_size: 112
    .language:       OpenCL C
    .language_version:
      - 2
      - 0
    .max_flat_workgroup_size: 256
    .name:           _ZN7rocprim17ROCPRIM_400000_NS6detail17trampoline_kernelINS0_14default_configENS1_25partition_config_selectorILNS1_17partition_subalgoE9EN6thrust23THRUST_200600_302600_NS4pairIiN12_GLOBAL__N_15EntryEEESA_bEEZZNS1_14partition_implILS5_9ELb0ES3_jNS7_6detail15normal_iteratorINS7_10device_ptrIKSB_EEEENSF_INSG_ISA_EEEEPNS0_10empty_typeENS0_5tupleIJNSF_INSG_ISB_EEEESM_EEENSO_IJSL_SN_EEENS0_18inequality_wrapperINS9_12CompareFirstEEEPmJSM_EEE10hipError_tPvRmT3_T4_T5_T6_T7_T9_mT8_P12ihipStream_tbDpT10_ENKUlT_T0_E_clISt17integral_constantIbLb0EES1G_EEDaS1B_S1C_EUlS1B_E_NS1_11comp_targetILNS1_3genE10ELNS1_11target_archE1200ELNS1_3gpuE4ELNS1_3repE0EEENS1_30default_config_static_selectorELNS0_4arch9wavefront6targetE0EEEvT1_
    .private_segment_fixed_size: 0
    .sgpr_count:     0
    .sgpr_spill_count: 0
    .symbol:         _ZN7rocprim17ROCPRIM_400000_NS6detail17trampoline_kernelINS0_14default_configENS1_25partition_config_selectorILNS1_17partition_subalgoE9EN6thrust23THRUST_200600_302600_NS4pairIiN12_GLOBAL__N_15EntryEEESA_bEEZZNS1_14partition_implILS5_9ELb0ES3_jNS7_6detail15normal_iteratorINS7_10device_ptrIKSB_EEEENSF_INSG_ISA_EEEEPNS0_10empty_typeENS0_5tupleIJNSF_INSG_ISB_EEEESM_EEENSO_IJSL_SN_EEENS0_18inequality_wrapperINS9_12CompareFirstEEEPmJSM_EEE10hipError_tPvRmT3_T4_T5_T6_T7_T9_mT8_P12ihipStream_tbDpT10_ENKUlT_T0_E_clISt17integral_constantIbLb0EES1G_EEDaS1B_S1C_EUlS1B_E_NS1_11comp_targetILNS1_3genE10ELNS1_11target_archE1200ELNS1_3gpuE4ELNS1_3repE0EEENS1_30default_config_static_selectorELNS0_4arch9wavefront6targetE0EEEvT1_.kd
    .uniform_work_group_size: 1
    .uses_dynamic_stack: false
    .vgpr_count:     0
    .vgpr_spill_count: 0
    .wavefront_size: 32
    .workgroup_processor_mode: 1
  - .args:
      - .offset:         0
        .size:           112
        .value_kind:     by_value
    .group_segment_fixed_size: 25356
    .kernarg_segment_align: 8
    .kernarg_segment_size: 112
    .language:       OpenCL C
    .language_version:
      - 2
      - 0
    .max_flat_workgroup_size: 512
    .name:           _ZN7rocprim17ROCPRIM_400000_NS6detail17trampoline_kernelINS0_14default_configENS1_25partition_config_selectorILNS1_17partition_subalgoE9EN6thrust23THRUST_200600_302600_NS4pairIiN12_GLOBAL__N_15EntryEEESA_bEEZZNS1_14partition_implILS5_9ELb0ES3_jNS7_6detail15normal_iteratorINS7_10device_ptrIKSB_EEEENSF_INSG_ISA_EEEEPNS0_10empty_typeENS0_5tupleIJNSF_INSG_ISB_EEEESM_EEENSO_IJSL_SN_EEENS0_18inequality_wrapperINS9_12CompareFirstEEEPmJSM_EEE10hipError_tPvRmT3_T4_T5_T6_T7_T9_mT8_P12ihipStream_tbDpT10_ENKUlT_T0_E_clISt17integral_constantIbLb0EES1G_EEDaS1B_S1C_EUlS1B_E_NS1_11comp_targetILNS1_3genE9ELNS1_11target_archE1100ELNS1_3gpuE3ELNS1_3repE0EEENS1_30default_config_static_selectorELNS0_4arch9wavefront6targetE0EEEvT1_
    .private_segment_fixed_size: 0
    .sgpr_count:     26
    .sgpr_spill_count: 0
    .symbol:         _ZN7rocprim17ROCPRIM_400000_NS6detail17trampoline_kernelINS0_14default_configENS1_25partition_config_selectorILNS1_17partition_subalgoE9EN6thrust23THRUST_200600_302600_NS4pairIiN12_GLOBAL__N_15EntryEEESA_bEEZZNS1_14partition_implILS5_9ELb0ES3_jNS7_6detail15normal_iteratorINS7_10device_ptrIKSB_EEEENSF_INSG_ISA_EEEEPNS0_10empty_typeENS0_5tupleIJNSF_INSG_ISB_EEEESM_EEENSO_IJSL_SN_EEENS0_18inequality_wrapperINS9_12CompareFirstEEEPmJSM_EEE10hipError_tPvRmT3_T4_T5_T6_T7_T9_mT8_P12ihipStream_tbDpT10_ENKUlT_T0_E_clISt17integral_constantIbLb0EES1G_EEDaS1B_S1C_EUlS1B_E_NS1_11comp_targetILNS1_3genE9ELNS1_11target_archE1100ELNS1_3gpuE3ELNS1_3repE0EEENS1_30default_config_static_selectorELNS0_4arch9wavefront6targetE0EEEvT1_.kd
    .uniform_work_group_size: 1
    .uses_dynamic_stack: false
    .vgpr_count:     51
    .vgpr_spill_count: 0
    .wavefront_size: 32
    .workgroup_processor_mode: 1
  - .args:
      - .offset:         0
        .size:           112
        .value_kind:     by_value
    .group_segment_fixed_size: 0
    .kernarg_segment_align: 8
    .kernarg_segment_size: 112
    .language:       OpenCL C
    .language_version:
      - 2
      - 0
    .max_flat_workgroup_size: 256
    .name:           _ZN7rocprim17ROCPRIM_400000_NS6detail17trampoline_kernelINS0_14default_configENS1_25partition_config_selectorILNS1_17partition_subalgoE9EN6thrust23THRUST_200600_302600_NS4pairIiN12_GLOBAL__N_15EntryEEESA_bEEZZNS1_14partition_implILS5_9ELb0ES3_jNS7_6detail15normal_iteratorINS7_10device_ptrIKSB_EEEENSF_INSG_ISA_EEEEPNS0_10empty_typeENS0_5tupleIJNSF_INSG_ISB_EEEESM_EEENSO_IJSL_SN_EEENS0_18inequality_wrapperINS9_12CompareFirstEEEPmJSM_EEE10hipError_tPvRmT3_T4_T5_T6_T7_T9_mT8_P12ihipStream_tbDpT10_ENKUlT_T0_E_clISt17integral_constantIbLb0EES1G_EEDaS1B_S1C_EUlS1B_E_NS1_11comp_targetILNS1_3genE8ELNS1_11target_archE1030ELNS1_3gpuE2ELNS1_3repE0EEENS1_30default_config_static_selectorELNS0_4arch9wavefront6targetE0EEEvT1_
    .private_segment_fixed_size: 0
    .sgpr_count:     0
    .sgpr_spill_count: 0
    .symbol:         _ZN7rocprim17ROCPRIM_400000_NS6detail17trampoline_kernelINS0_14default_configENS1_25partition_config_selectorILNS1_17partition_subalgoE9EN6thrust23THRUST_200600_302600_NS4pairIiN12_GLOBAL__N_15EntryEEESA_bEEZZNS1_14partition_implILS5_9ELb0ES3_jNS7_6detail15normal_iteratorINS7_10device_ptrIKSB_EEEENSF_INSG_ISA_EEEEPNS0_10empty_typeENS0_5tupleIJNSF_INSG_ISB_EEEESM_EEENSO_IJSL_SN_EEENS0_18inequality_wrapperINS9_12CompareFirstEEEPmJSM_EEE10hipError_tPvRmT3_T4_T5_T6_T7_T9_mT8_P12ihipStream_tbDpT10_ENKUlT_T0_E_clISt17integral_constantIbLb0EES1G_EEDaS1B_S1C_EUlS1B_E_NS1_11comp_targetILNS1_3genE8ELNS1_11target_archE1030ELNS1_3gpuE2ELNS1_3repE0EEENS1_30default_config_static_selectorELNS0_4arch9wavefront6targetE0EEEvT1_.kd
    .uniform_work_group_size: 1
    .uses_dynamic_stack: false
    .vgpr_count:     0
    .vgpr_spill_count: 0
    .wavefront_size: 32
    .workgroup_processor_mode: 1
  - .args:
      - .offset:         0
        .size:           128
        .value_kind:     by_value
    .group_segment_fixed_size: 0
    .kernarg_segment_align: 8
    .kernarg_segment_size: 128
    .language:       OpenCL C
    .language_version:
      - 2
      - 0
    .max_flat_workgroup_size: 192
    .name:           _ZN7rocprim17ROCPRIM_400000_NS6detail17trampoline_kernelINS0_14default_configENS1_25partition_config_selectorILNS1_17partition_subalgoE9EN6thrust23THRUST_200600_302600_NS4pairIiN12_GLOBAL__N_15EntryEEESA_bEEZZNS1_14partition_implILS5_9ELb0ES3_jNS7_6detail15normal_iteratorINS7_10device_ptrIKSB_EEEENSF_INSG_ISA_EEEEPNS0_10empty_typeENS0_5tupleIJNSF_INSG_ISB_EEEESM_EEENSO_IJSL_SN_EEENS0_18inequality_wrapperINS9_12CompareFirstEEEPmJSM_EEE10hipError_tPvRmT3_T4_T5_T6_T7_T9_mT8_P12ihipStream_tbDpT10_ENKUlT_T0_E_clISt17integral_constantIbLb1EES1G_EEDaS1B_S1C_EUlS1B_E_NS1_11comp_targetILNS1_3genE0ELNS1_11target_archE4294967295ELNS1_3gpuE0ELNS1_3repE0EEENS1_30default_config_static_selectorELNS0_4arch9wavefront6targetE0EEEvT1_
    .private_segment_fixed_size: 0
    .sgpr_count:     0
    .sgpr_spill_count: 0
    .symbol:         _ZN7rocprim17ROCPRIM_400000_NS6detail17trampoline_kernelINS0_14default_configENS1_25partition_config_selectorILNS1_17partition_subalgoE9EN6thrust23THRUST_200600_302600_NS4pairIiN12_GLOBAL__N_15EntryEEESA_bEEZZNS1_14partition_implILS5_9ELb0ES3_jNS7_6detail15normal_iteratorINS7_10device_ptrIKSB_EEEENSF_INSG_ISA_EEEEPNS0_10empty_typeENS0_5tupleIJNSF_INSG_ISB_EEEESM_EEENSO_IJSL_SN_EEENS0_18inequality_wrapperINS9_12CompareFirstEEEPmJSM_EEE10hipError_tPvRmT3_T4_T5_T6_T7_T9_mT8_P12ihipStream_tbDpT10_ENKUlT_T0_E_clISt17integral_constantIbLb1EES1G_EEDaS1B_S1C_EUlS1B_E_NS1_11comp_targetILNS1_3genE0ELNS1_11target_archE4294967295ELNS1_3gpuE0ELNS1_3repE0EEENS1_30default_config_static_selectorELNS0_4arch9wavefront6targetE0EEEvT1_.kd
    .uniform_work_group_size: 1
    .uses_dynamic_stack: false
    .vgpr_count:     0
    .vgpr_spill_count: 0
    .wavefront_size: 32
    .workgroup_processor_mode: 1
  - .args:
      - .offset:         0
        .size:           128
        .value_kind:     by_value
    .group_segment_fixed_size: 0
    .kernarg_segment_align: 8
    .kernarg_segment_size: 128
    .language:       OpenCL C
    .language_version:
      - 2
      - 0
    .max_flat_workgroup_size: 384
    .name:           _ZN7rocprim17ROCPRIM_400000_NS6detail17trampoline_kernelINS0_14default_configENS1_25partition_config_selectorILNS1_17partition_subalgoE9EN6thrust23THRUST_200600_302600_NS4pairIiN12_GLOBAL__N_15EntryEEESA_bEEZZNS1_14partition_implILS5_9ELb0ES3_jNS7_6detail15normal_iteratorINS7_10device_ptrIKSB_EEEENSF_INSG_ISA_EEEEPNS0_10empty_typeENS0_5tupleIJNSF_INSG_ISB_EEEESM_EEENSO_IJSL_SN_EEENS0_18inequality_wrapperINS9_12CompareFirstEEEPmJSM_EEE10hipError_tPvRmT3_T4_T5_T6_T7_T9_mT8_P12ihipStream_tbDpT10_ENKUlT_T0_E_clISt17integral_constantIbLb1EES1G_EEDaS1B_S1C_EUlS1B_E_NS1_11comp_targetILNS1_3genE5ELNS1_11target_archE942ELNS1_3gpuE9ELNS1_3repE0EEENS1_30default_config_static_selectorELNS0_4arch9wavefront6targetE0EEEvT1_
    .private_segment_fixed_size: 0
    .sgpr_count:     0
    .sgpr_spill_count: 0
    .symbol:         _ZN7rocprim17ROCPRIM_400000_NS6detail17trampoline_kernelINS0_14default_configENS1_25partition_config_selectorILNS1_17partition_subalgoE9EN6thrust23THRUST_200600_302600_NS4pairIiN12_GLOBAL__N_15EntryEEESA_bEEZZNS1_14partition_implILS5_9ELb0ES3_jNS7_6detail15normal_iteratorINS7_10device_ptrIKSB_EEEENSF_INSG_ISA_EEEEPNS0_10empty_typeENS0_5tupleIJNSF_INSG_ISB_EEEESM_EEENSO_IJSL_SN_EEENS0_18inequality_wrapperINS9_12CompareFirstEEEPmJSM_EEE10hipError_tPvRmT3_T4_T5_T6_T7_T9_mT8_P12ihipStream_tbDpT10_ENKUlT_T0_E_clISt17integral_constantIbLb1EES1G_EEDaS1B_S1C_EUlS1B_E_NS1_11comp_targetILNS1_3genE5ELNS1_11target_archE942ELNS1_3gpuE9ELNS1_3repE0EEENS1_30default_config_static_selectorELNS0_4arch9wavefront6targetE0EEEvT1_.kd
    .uniform_work_group_size: 1
    .uses_dynamic_stack: false
    .vgpr_count:     0
    .vgpr_spill_count: 0
    .wavefront_size: 32
    .workgroup_processor_mode: 1
  - .args:
      - .offset:         0
        .size:           128
        .value_kind:     by_value
    .group_segment_fixed_size: 0
    .kernarg_segment_align: 8
    .kernarg_segment_size: 128
    .language:       OpenCL C
    .language_version:
      - 2
      - 0
    .max_flat_workgroup_size: 128
    .name:           _ZN7rocprim17ROCPRIM_400000_NS6detail17trampoline_kernelINS0_14default_configENS1_25partition_config_selectorILNS1_17partition_subalgoE9EN6thrust23THRUST_200600_302600_NS4pairIiN12_GLOBAL__N_15EntryEEESA_bEEZZNS1_14partition_implILS5_9ELb0ES3_jNS7_6detail15normal_iteratorINS7_10device_ptrIKSB_EEEENSF_INSG_ISA_EEEEPNS0_10empty_typeENS0_5tupleIJNSF_INSG_ISB_EEEESM_EEENSO_IJSL_SN_EEENS0_18inequality_wrapperINS9_12CompareFirstEEEPmJSM_EEE10hipError_tPvRmT3_T4_T5_T6_T7_T9_mT8_P12ihipStream_tbDpT10_ENKUlT_T0_E_clISt17integral_constantIbLb1EES1G_EEDaS1B_S1C_EUlS1B_E_NS1_11comp_targetILNS1_3genE4ELNS1_11target_archE910ELNS1_3gpuE8ELNS1_3repE0EEENS1_30default_config_static_selectorELNS0_4arch9wavefront6targetE0EEEvT1_
    .private_segment_fixed_size: 0
    .sgpr_count:     0
    .sgpr_spill_count: 0
    .symbol:         _ZN7rocprim17ROCPRIM_400000_NS6detail17trampoline_kernelINS0_14default_configENS1_25partition_config_selectorILNS1_17partition_subalgoE9EN6thrust23THRUST_200600_302600_NS4pairIiN12_GLOBAL__N_15EntryEEESA_bEEZZNS1_14partition_implILS5_9ELb0ES3_jNS7_6detail15normal_iteratorINS7_10device_ptrIKSB_EEEENSF_INSG_ISA_EEEEPNS0_10empty_typeENS0_5tupleIJNSF_INSG_ISB_EEEESM_EEENSO_IJSL_SN_EEENS0_18inequality_wrapperINS9_12CompareFirstEEEPmJSM_EEE10hipError_tPvRmT3_T4_T5_T6_T7_T9_mT8_P12ihipStream_tbDpT10_ENKUlT_T0_E_clISt17integral_constantIbLb1EES1G_EEDaS1B_S1C_EUlS1B_E_NS1_11comp_targetILNS1_3genE4ELNS1_11target_archE910ELNS1_3gpuE8ELNS1_3repE0EEENS1_30default_config_static_selectorELNS0_4arch9wavefront6targetE0EEEvT1_.kd
    .uniform_work_group_size: 1
    .uses_dynamic_stack: false
    .vgpr_count:     0
    .vgpr_spill_count: 0
    .wavefront_size: 32
    .workgroup_processor_mode: 1
  - .args:
      - .offset:         0
        .size:           128
        .value_kind:     by_value
    .group_segment_fixed_size: 0
    .kernarg_segment_align: 8
    .kernarg_segment_size: 128
    .language:       OpenCL C
    .language_version:
      - 2
      - 0
    .max_flat_workgroup_size: 192
    .name:           _ZN7rocprim17ROCPRIM_400000_NS6detail17trampoline_kernelINS0_14default_configENS1_25partition_config_selectorILNS1_17partition_subalgoE9EN6thrust23THRUST_200600_302600_NS4pairIiN12_GLOBAL__N_15EntryEEESA_bEEZZNS1_14partition_implILS5_9ELb0ES3_jNS7_6detail15normal_iteratorINS7_10device_ptrIKSB_EEEENSF_INSG_ISA_EEEEPNS0_10empty_typeENS0_5tupleIJNSF_INSG_ISB_EEEESM_EEENSO_IJSL_SN_EEENS0_18inequality_wrapperINS9_12CompareFirstEEEPmJSM_EEE10hipError_tPvRmT3_T4_T5_T6_T7_T9_mT8_P12ihipStream_tbDpT10_ENKUlT_T0_E_clISt17integral_constantIbLb1EES1G_EEDaS1B_S1C_EUlS1B_E_NS1_11comp_targetILNS1_3genE3ELNS1_11target_archE908ELNS1_3gpuE7ELNS1_3repE0EEENS1_30default_config_static_selectorELNS0_4arch9wavefront6targetE0EEEvT1_
    .private_segment_fixed_size: 0
    .sgpr_count:     0
    .sgpr_spill_count: 0
    .symbol:         _ZN7rocprim17ROCPRIM_400000_NS6detail17trampoline_kernelINS0_14default_configENS1_25partition_config_selectorILNS1_17partition_subalgoE9EN6thrust23THRUST_200600_302600_NS4pairIiN12_GLOBAL__N_15EntryEEESA_bEEZZNS1_14partition_implILS5_9ELb0ES3_jNS7_6detail15normal_iteratorINS7_10device_ptrIKSB_EEEENSF_INSG_ISA_EEEEPNS0_10empty_typeENS0_5tupleIJNSF_INSG_ISB_EEEESM_EEENSO_IJSL_SN_EEENS0_18inequality_wrapperINS9_12CompareFirstEEEPmJSM_EEE10hipError_tPvRmT3_T4_T5_T6_T7_T9_mT8_P12ihipStream_tbDpT10_ENKUlT_T0_E_clISt17integral_constantIbLb1EES1G_EEDaS1B_S1C_EUlS1B_E_NS1_11comp_targetILNS1_3genE3ELNS1_11target_archE908ELNS1_3gpuE7ELNS1_3repE0EEENS1_30default_config_static_selectorELNS0_4arch9wavefront6targetE0EEEvT1_.kd
    .uniform_work_group_size: 1
    .uses_dynamic_stack: false
    .vgpr_count:     0
    .vgpr_spill_count: 0
    .wavefront_size: 32
    .workgroup_processor_mode: 1
  - .args:
      - .offset:         0
        .size:           128
        .value_kind:     by_value
    .group_segment_fixed_size: 0
    .kernarg_segment_align: 8
    .kernarg_segment_size: 128
    .language:       OpenCL C
    .language_version:
      - 2
      - 0
    .max_flat_workgroup_size: 192
    .name:           _ZN7rocprim17ROCPRIM_400000_NS6detail17trampoline_kernelINS0_14default_configENS1_25partition_config_selectorILNS1_17partition_subalgoE9EN6thrust23THRUST_200600_302600_NS4pairIiN12_GLOBAL__N_15EntryEEESA_bEEZZNS1_14partition_implILS5_9ELb0ES3_jNS7_6detail15normal_iteratorINS7_10device_ptrIKSB_EEEENSF_INSG_ISA_EEEEPNS0_10empty_typeENS0_5tupleIJNSF_INSG_ISB_EEEESM_EEENSO_IJSL_SN_EEENS0_18inequality_wrapperINS9_12CompareFirstEEEPmJSM_EEE10hipError_tPvRmT3_T4_T5_T6_T7_T9_mT8_P12ihipStream_tbDpT10_ENKUlT_T0_E_clISt17integral_constantIbLb1EES1G_EEDaS1B_S1C_EUlS1B_E_NS1_11comp_targetILNS1_3genE2ELNS1_11target_archE906ELNS1_3gpuE6ELNS1_3repE0EEENS1_30default_config_static_selectorELNS0_4arch9wavefront6targetE0EEEvT1_
    .private_segment_fixed_size: 0
    .sgpr_count:     0
    .sgpr_spill_count: 0
    .symbol:         _ZN7rocprim17ROCPRIM_400000_NS6detail17trampoline_kernelINS0_14default_configENS1_25partition_config_selectorILNS1_17partition_subalgoE9EN6thrust23THRUST_200600_302600_NS4pairIiN12_GLOBAL__N_15EntryEEESA_bEEZZNS1_14partition_implILS5_9ELb0ES3_jNS7_6detail15normal_iteratorINS7_10device_ptrIKSB_EEEENSF_INSG_ISA_EEEEPNS0_10empty_typeENS0_5tupleIJNSF_INSG_ISB_EEEESM_EEENSO_IJSL_SN_EEENS0_18inequality_wrapperINS9_12CompareFirstEEEPmJSM_EEE10hipError_tPvRmT3_T4_T5_T6_T7_T9_mT8_P12ihipStream_tbDpT10_ENKUlT_T0_E_clISt17integral_constantIbLb1EES1G_EEDaS1B_S1C_EUlS1B_E_NS1_11comp_targetILNS1_3genE2ELNS1_11target_archE906ELNS1_3gpuE6ELNS1_3repE0EEENS1_30default_config_static_selectorELNS0_4arch9wavefront6targetE0EEEvT1_.kd
    .uniform_work_group_size: 1
    .uses_dynamic_stack: false
    .vgpr_count:     0
    .vgpr_spill_count: 0
    .wavefront_size: 32
    .workgroup_processor_mode: 1
  - .args:
      - .offset:         0
        .size:           128
        .value_kind:     by_value
    .group_segment_fixed_size: 0
    .kernarg_segment_align: 8
    .kernarg_segment_size: 128
    .language:       OpenCL C
    .language_version:
      - 2
      - 0
    .max_flat_workgroup_size: 256
    .name:           _ZN7rocprim17ROCPRIM_400000_NS6detail17trampoline_kernelINS0_14default_configENS1_25partition_config_selectorILNS1_17partition_subalgoE9EN6thrust23THRUST_200600_302600_NS4pairIiN12_GLOBAL__N_15EntryEEESA_bEEZZNS1_14partition_implILS5_9ELb0ES3_jNS7_6detail15normal_iteratorINS7_10device_ptrIKSB_EEEENSF_INSG_ISA_EEEEPNS0_10empty_typeENS0_5tupleIJNSF_INSG_ISB_EEEESM_EEENSO_IJSL_SN_EEENS0_18inequality_wrapperINS9_12CompareFirstEEEPmJSM_EEE10hipError_tPvRmT3_T4_T5_T6_T7_T9_mT8_P12ihipStream_tbDpT10_ENKUlT_T0_E_clISt17integral_constantIbLb1EES1G_EEDaS1B_S1C_EUlS1B_E_NS1_11comp_targetILNS1_3genE10ELNS1_11target_archE1200ELNS1_3gpuE4ELNS1_3repE0EEENS1_30default_config_static_selectorELNS0_4arch9wavefront6targetE0EEEvT1_
    .private_segment_fixed_size: 0
    .sgpr_count:     0
    .sgpr_spill_count: 0
    .symbol:         _ZN7rocprim17ROCPRIM_400000_NS6detail17trampoline_kernelINS0_14default_configENS1_25partition_config_selectorILNS1_17partition_subalgoE9EN6thrust23THRUST_200600_302600_NS4pairIiN12_GLOBAL__N_15EntryEEESA_bEEZZNS1_14partition_implILS5_9ELb0ES3_jNS7_6detail15normal_iteratorINS7_10device_ptrIKSB_EEEENSF_INSG_ISA_EEEEPNS0_10empty_typeENS0_5tupleIJNSF_INSG_ISB_EEEESM_EEENSO_IJSL_SN_EEENS0_18inequality_wrapperINS9_12CompareFirstEEEPmJSM_EEE10hipError_tPvRmT3_T4_T5_T6_T7_T9_mT8_P12ihipStream_tbDpT10_ENKUlT_T0_E_clISt17integral_constantIbLb1EES1G_EEDaS1B_S1C_EUlS1B_E_NS1_11comp_targetILNS1_3genE10ELNS1_11target_archE1200ELNS1_3gpuE4ELNS1_3repE0EEENS1_30default_config_static_selectorELNS0_4arch9wavefront6targetE0EEEvT1_.kd
    .uniform_work_group_size: 1
    .uses_dynamic_stack: false
    .vgpr_count:     0
    .vgpr_spill_count: 0
    .wavefront_size: 32
    .workgroup_processor_mode: 1
  - .args:
      - .offset:         0
        .size:           128
        .value_kind:     by_value
    .group_segment_fixed_size: 25356
    .kernarg_segment_align: 8
    .kernarg_segment_size: 128
    .language:       OpenCL C
    .language_version:
      - 2
      - 0
    .max_flat_workgroup_size: 512
    .name:           _ZN7rocprim17ROCPRIM_400000_NS6detail17trampoline_kernelINS0_14default_configENS1_25partition_config_selectorILNS1_17partition_subalgoE9EN6thrust23THRUST_200600_302600_NS4pairIiN12_GLOBAL__N_15EntryEEESA_bEEZZNS1_14partition_implILS5_9ELb0ES3_jNS7_6detail15normal_iteratorINS7_10device_ptrIKSB_EEEENSF_INSG_ISA_EEEEPNS0_10empty_typeENS0_5tupleIJNSF_INSG_ISB_EEEESM_EEENSO_IJSL_SN_EEENS0_18inequality_wrapperINS9_12CompareFirstEEEPmJSM_EEE10hipError_tPvRmT3_T4_T5_T6_T7_T9_mT8_P12ihipStream_tbDpT10_ENKUlT_T0_E_clISt17integral_constantIbLb1EES1G_EEDaS1B_S1C_EUlS1B_E_NS1_11comp_targetILNS1_3genE9ELNS1_11target_archE1100ELNS1_3gpuE3ELNS1_3repE0EEENS1_30default_config_static_selectorELNS0_4arch9wavefront6targetE0EEEvT1_
    .private_segment_fixed_size: 0
    .sgpr_count:     28
    .sgpr_spill_count: 0
    .symbol:         _ZN7rocprim17ROCPRIM_400000_NS6detail17trampoline_kernelINS0_14default_configENS1_25partition_config_selectorILNS1_17partition_subalgoE9EN6thrust23THRUST_200600_302600_NS4pairIiN12_GLOBAL__N_15EntryEEESA_bEEZZNS1_14partition_implILS5_9ELb0ES3_jNS7_6detail15normal_iteratorINS7_10device_ptrIKSB_EEEENSF_INSG_ISA_EEEEPNS0_10empty_typeENS0_5tupleIJNSF_INSG_ISB_EEEESM_EEENSO_IJSL_SN_EEENS0_18inequality_wrapperINS9_12CompareFirstEEEPmJSM_EEE10hipError_tPvRmT3_T4_T5_T6_T7_T9_mT8_P12ihipStream_tbDpT10_ENKUlT_T0_E_clISt17integral_constantIbLb1EES1G_EEDaS1B_S1C_EUlS1B_E_NS1_11comp_targetILNS1_3genE9ELNS1_11target_archE1100ELNS1_3gpuE3ELNS1_3repE0EEENS1_30default_config_static_selectorELNS0_4arch9wavefront6targetE0EEEvT1_.kd
    .uniform_work_group_size: 1
    .uses_dynamic_stack: false
    .vgpr_count:     51
    .vgpr_spill_count: 0
    .wavefront_size: 32
    .workgroup_processor_mode: 1
  - .args:
      - .offset:         0
        .size:           128
        .value_kind:     by_value
    .group_segment_fixed_size: 0
    .kernarg_segment_align: 8
    .kernarg_segment_size: 128
    .language:       OpenCL C
    .language_version:
      - 2
      - 0
    .max_flat_workgroup_size: 256
    .name:           _ZN7rocprim17ROCPRIM_400000_NS6detail17trampoline_kernelINS0_14default_configENS1_25partition_config_selectorILNS1_17partition_subalgoE9EN6thrust23THRUST_200600_302600_NS4pairIiN12_GLOBAL__N_15EntryEEESA_bEEZZNS1_14partition_implILS5_9ELb0ES3_jNS7_6detail15normal_iteratorINS7_10device_ptrIKSB_EEEENSF_INSG_ISA_EEEEPNS0_10empty_typeENS0_5tupleIJNSF_INSG_ISB_EEEESM_EEENSO_IJSL_SN_EEENS0_18inequality_wrapperINS9_12CompareFirstEEEPmJSM_EEE10hipError_tPvRmT3_T4_T5_T6_T7_T9_mT8_P12ihipStream_tbDpT10_ENKUlT_T0_E_clISt17integral_constantIbLb1EES1G_EEDaS1B_S1C_EUlS1B_E_NS1_11comp_targetILNS1_3genE8ELNS1_11target_archE1030ELNS1_3gpuE2ELNS1_3repE0EEENS1_30default_config_static_selectorELNS0_4arch9wavefront6targetE0EEEvT1_
    .private_segment_fixed_size: 0
    .sgpr_count:     0
    .sgpr_spill_count: 0
    .symbol:         _ZN7rocprim17ROCPRIM_400000_NS6detail17trampoline_kernelINS0_14default_configENS1_25partition_config_selectorILNS1_17partition_subalgoE9EN6thrust23THRUST_200600_302600_NS4pairIiN12_GLOBAL__N_15EntryEEESA_bEEZZNS1_14partition_implILS5_9ELb0ES3_jNS7_6detail15normal_iteratorINS7_10device_ptrIKSB_EEEENSF_INSG_ISA_EEEEPNS0_10empty_typeENS0_5tupleIJNSF_INSG_ISB_EEEESM_EEENSO_IJSL_SN_EEENS0_18inequality_wrapperINS9_12CompareFirstEEEPmJSM_EEE10hipError_tPvRmT3_T4_T5_T6_T7_T9_mT8_P12ihipStream_tbDpT10_ENKUlT_T0_E_clISt17integral_constantIbLb1EES1G_EEDaS1B_S1C_EUlS1B_E_NS1_11comp_targetILNS1_3genE8ELNS1_11target_archE1030ELNS1_3gpuE2ELNS1_3repE0EEENS1_30default_config_static_selectorELNS0_4arch9wavefront6targetE0EEEvT1_.kd
    .uniform_work_group_size: 1
    .uses_dynamic_stack: false
    .vgpr_count:     0
    .vgpr_spill_count: 0
    .wavefront_size: 32
    .workgroup_processor_mode: 1
  - .args:
      - .offset:         0
        .size:           112
        .value_kind:     by_value
    .group_segment_fixed_size: 0
    .kernarg_segment_align: 8
    .kernarg_segment_size: 112
    .language:       OpenCL C
    .language_version:
      - 2
      - 0
    .max_flat_workgroup_size: 192
    .name:           _ZN7rocprim17ROCPRIM_400000_NS6detail17trampoline_kernelINS0_14default_configENS1_25partition_config_selectorILNS1_17partition_subalgoE9EN6thrust23THRUST_200600_302600_NS4pairIiN12_GLOBAL__N_15EntryEEESA_bEEZZNS1_14partition_implILS5_9ELb0ES3_jNS7_6detail15normal_iteratorINS7_10device_ptrIKSB_EEEENSF_INSG_ISA_EEEEPNS0_10empty_typeENS0_5tupleIJNSF_INSG_ISB_EEEESM_EEENSO_IJSL_SN_EEENS0_18inequality_wrapperINS9_12CompareFirstEEEPmJSM_EEE10hipError_tPvRmT3_T4_T5_T6_T7_T9_mT8_P12ihipStream_tbDpT10_ENKUlT_T0_E_clISt17integral_constantIbLb1EES1F_IbLb0EEEEDaS1B_S1C_EUlS1B_E_NS1_11comp_targetILNS1_3genE0ELNS1_11target_archE4294967295ELNS1_3gpuE0ELNS1_3repE0EEENS1_30default_config_static_selectorELNS0_4arch9wavefront6targetE0EEEvT1_
    .private_segment_fixed_size: 0
    .sgpr_count:     0
    .sgpr_spill_count: 0
    .symbol:         _ZN7rocprim17ROCPRIM_400000_NS6detail17trampoline_kernelINS0_14default_configENS1_25partition_config_selectorILNS1_17partition_subalgoE9EN6thrust23THRUST_200600_302600_NS4pairIiN12_GLOBAL__N_15EntryEEESA_bEEZZNS1_14partition_implILS5_9ELb0ES3_jNS7_6detail15normal_iteratorINS7_10device_ptrIKSB_EEEENSF_INSG_ISA_EEEEPNS0_10empty_typeENS0_5tupleIJNSF_INSG_ISB_EEEESM_EEENSO_IJSL_SN_EEENS0_18inequality_wrapperINS9_12CompareFirstEEEPmJSM_EEE10hipError_tPvRmT3_T4_T5_T6_T7_T9_mT8_P12ihipStream_tbDpT10_ENKUlT_T0_E_clISt17integral_constantIbLb1EES1F_IbLb0EEEEDaS1B_S1C_EUlS1B_E_NS1_11comp_targetILNS1_3genE0ELNS1_11target_archE4294967295ELNS1_3gpuE0ELNS1_3repE0EEENS1_30default_config_static_selectorELNS0_4arch9wavefront6targetE0EEEvT1_.kd
    .uniform_work_group_size: 1
    .uses_dynamic_stack: false
    .vgpr_count:     0
    .vgpr_spill_count: 0
    .wavefront_size: 32
    .workgroup_processor_mode: 1
  - .args:
      - .offset:         0
        .size:           112
        .value_kind:     by_value
    .group_segment_fixed_size: 0
    .kernarg_segment_align: 8
    .kernarg_segment_size: 112
    .language:       OpenCL C
    .language_version:
      - 2
      - 0
    .max_flat_workgroup_size: 384
    .name:           _ZN7rocprim17ROCPRIM_400000_NS6detail17trampoline_kernelINS0_14default_configENS1_25partition_config_selectorILNS1_17partition_subalgoE9EN6thrust23THRUST_200600_302600_NS4pairIiN12_GLOBAL__N_15EntryEEESA_bEEZZNS1_14partition_implILS5_9ELb0ES3_jNS7_6detail15normal_iteratorINS7_10device_ptrIKSB_EEEENSF_INSG_ISA_EEEEPNS0_10empty_typeENS0_5tupleIJNSF_INSG_ISB_EEEESM_EEENSO_IJSL_SN_EEENS0_18inequality_wrapperINS9_12CompareFirstEEEPmJSM_EEE10hipError_tPvRmT3_T4_T5_T6_T7_T9_mT8_P12ihipStream_tbDpT10_ENKUlT_T0_E_clISt17integral_constantIbLb1EES1F_IbLb0EEEEDaS1B_S1C_EUlS1B_E_NS1_11comp_targetILNS1_3genE5ELNS1_11target_archE942ELNS1_3gpuE9ELNS1_3repE0EEENS1_30default_config_static_selectorELNS0_4arch9wavefront6targetE0EEEvT1_
    .private_segment_fixed_size: 0
    .sgpr_count:     0
    .sgpr_spill_count: 0
    .symbol:         _ZN7rocprim17ROCPRIM_400000_NS6detail17trampoline_kernelINS0_14default_configENS1_25partition_config_selectorILNS1_17partition_subalgoE9EN6thrust23THRUST_200600_302600_NS4pairIiN12_GLOBAL__N_15EntryEEESA_bEEZZNS1_14partition_implILS5_9ELb0ES3_jNS7_6detail15normal_iteratorINS7_10device_ptrIKSB_EEEENSF_INSG_ISA_EEEEPNS0_10empty_typeENS0_5tupleIJNSF_INSG_ISB_EEEESM_EEENSO_IJSL_SN_EEENS0_18inequality_wrapperINS9_12CompareFirstEEEPmJSM_EEE10hipError_tPvRmT3_T4_T5_T6_T7_T9_mT8_P12ihipStream_tbDpT10_ENKUlT_T0_E_clISt17integral_constantIbLb1EES1F_IbLb0EEEEDaS1B_S1C_EUlS1B_E_NS1_11comp_targetILNS1_3genE5ELNS1_11target_archE942ELNS1_3gpuE9ELNS1_3repE0EEENS1_30default_config_static_selectorELNS0_4arch9wavefront6targetE0EEEvT1_.kd
    .uniform_work_group_size: 1
    .uses_dynamic_stack: false
    .vgpr_count:     0
    .vgpr_spill_count: 0
    .wavefront_size: 32
    .workgroup_processor_mode: 1
  - .args:
      - .offset:         0
        .size:           112
        .value_kind:     by_value
    .group_segment_fixed_size: 0
    .kernarg_segment_align: 8
    .kernarg_segment_size: 112
    .language:       OpenCL C
    .language_version:
      - 2
      - 0
    .max_flat_workgroup_size: 128
    .name:           _ZN7rocprim17ROCPRIM_400000_NS6detail17trampoline_kernelINS0_14default_configENS1_25partition_config_selectorILNS1_17partition_subalgoE9EN6thrust23THRUST_200600_302600_NS4pairIiN12_GLOBAL__N_15EntryEEESA_bEEZZNS1_14partition_implILS5_9ELb0ES3_jNS7_6detail15normal_iteratorINS7_10device_ptrIKSB_EEEENSF_INSG_ISA_EEEEPNS0_10empty_typeENS0_5tupleIJNSF_INSG_ISB_EEEESM_EEENSO_IJSL_SN_EEENS0_18inequality_wrapperINS9_12CompareFirstEEEPmJSM_EEE10hipError_tPvRmT3_T4_T5_T6_T7_T9_mT8_P12ihipStream_tbDpT10_ENKUlT_T0_E_clISt17integral_constantIbLb1EES1F_IbLb0EEEEDaS1B_S1C_EUlS1B_E_NS1_11comp_targetILNS1_3genE4ELNS1_11target_archE910ELNS1_3gpuE8ELNS1_3repE0EEENS1_30default_config_static_selectorELNS0_4arch9wavefront6targetE0EEEvT1_
    .private_segment_fixed_size: 0
    .sgpr_count:     0
    .sgpr_spill_count: 0
    .symbol:         _ZN7rocprim17ROCPRIM_400000_NS6detail17trampoline_kernelINS0_14default_configENS1_25partition_config_selectorILNS1_17partition_subalgoE9EN6thrust23THRUST_200600_302600_NS4pairIiN12_GLOBAL__N_15EntryEEESA_bEEZZNS1_14partition_implILS5_9ELb0ES3_jNS7_6detail15normal_iteratorINS7_10device_ptrIKSB_EEEENSF_INSG_ISA_EEEEPNS0_10empty_typeENS0_5tupleIJNSF_INSG_ISB_EEEESM_EEENSO_IJSL_SN_EEENS0_18inequality_wrapperINS9_12CompareFirstEEEPmJSM_EEE10hipError_tPvRmT3_T4_T5_T6_T7_T9_mT8_P12ihipStream_tbDpT10_ENKUlT_T0_E_clISt17integral_constantIbLb1EES1F_IbLb0EEEEDaS1B_S1C_EUlS1B_E_NS1_11comp_targetILNS1_3genE4ELNS1_11target_archE910ELNS1_3gpuE8ELNS1_3repE0EEENS1_30default_config_static_selectorELNS0_4arch9wavefront6targetE0EEEvT1_.kd
    .uniform_work_group_size: 1
    .uses_dynamic_stack: false
    .vgpr_count:     0
    .vgpr_spill_count: 0
    .wavefront_size: 32
    .workgroup_processor_mode: 1
  - .args:
      - .offset:         0
        .size:           112
        .value_kind:     by_value
    .group_segment_fixed_size: 0
    .kernarg_segment_align: 8
    .kernarg_segment_size: 112
    .language:       OpenCL C
    .language_version:
      - 2
      - 0
    .max_flat_workgroup_size: 192
    .name:           _ZN7rocprim17ROCPRIM_400000_NS6detail17trampoline_kernelINS0_14default_configENS1_25partition_config_selectorILNS1_17partition_subalgoE9EN6thrust23THRUST_200600_302600_NS4pairIiN12_GLOBAL__N_15EntryEEESA_bEEZZNS1_14partition_implILS5_9ELb0ES3_jNS7_6detail15normal_iteratorINS7_10device_ptrIKSB_EEEENSF_INSG_ISA_EEEEPNS0_10empty_typeENS0_5tupleIJNSF_INSG_ISB_EEEESM_EEENSO_IJSL_SN_EEENS0_18inequality_wrapperINS9_12CompareFirstEEEPmJSM_EEE10hipError_tPvRmT3_T4_T5_T6_T7_T9_mT8_P12ihipStream_tbDpT10_ENKUlT_T0_E_clISt17integral_constantIbLb1EES1F_IbLb0EEEEDaS1B_S1C_EUlS1B_E_NS1_11comp_targetILNS1_3genE3ELNS1_11target_archE908ELNS1_3gpuE7ELNS1_3repE0EEENS1_30default_config_static_selectorELNS0_4arch9wavefront6targetE0EEEvT1_
    .private_segment_fixed_size: 0
    .sgpr_count:     0
    .sgpr_spill_count: 0
    .symbol:         _ZN7rocprim17ROCPRIM_400000_NS6detail17trampoline_kernelINS0_14default_configENS1_25partition_config_selectorILNS1_17partition_subalgoE9EN6thrust23THRUST_200600_302600_NS4pairIiN12_GLOBAL__N_15EntryEEESA_bEEZZNS1_14partition_implILS5_9ELb0ES3_jNS7_6detail15normal_iteratorINS7_10device_ptrIKSB_EEEENSF_INSG_ISA_EEEEPNS0_10empty_typeENS0_5tupleIJNSF_INSG_ISB_EEEESM_EEENSO_IJSL_SN_EEENS0_18inequality_wrapperINS9_12CompareFirstEEEPmJSM_EEE10hipError_tPvRmT3_T4_T5_T6_T7_T9_mT8_P12ihipStream_tbDpT10_ENKUlT_T0_E_clISt17integral_constantIbLb1EES1F_IbLb0EEEEDaS1B_S1C_EUlS1B_E_NS1_11comp_targetILNS1_3genE3ELNS1_11target_archE908ELNS1_3gpuE7ELNS1_3repE0EEENS1_30default_config_static_selectorELNS0_4arch9wavefront6targetE0EEEvT1_.kd
    .uniform_work_group_size: 1
    .uses_dynamic_stack: false
    .vgpr_count:     0
    .vgpr_spill_count: 0
    .wavefront_size: 32
    .workgroup_processor_mode: 1
  - .args:
      - .offset:         0
        .size:           112
        .value_kind:     by_value
    .group_segment_fixed_size: 0
    .kernarg_segment_align: 8
    .kernarg_segment_size: 112
    .language:       OpenCL C
    .language_version:
      - 2
      - 0
    .max_flat_workgroup_size: 192
    .name:           _ZN7rocprim17ROCPRIM_400000_NS6detail17trampoline_kernelINS0_14default_configENS1_25partition_config_selectorILNS1_17partition_subalgoE9EN6thrust23THRUST_200600_302600_NS4pairIiN12_GLOBAL__N_15EntryEEESA_bEEZZNS1_14partition_implILS5_9ELb0ES3_jNS7_6detail15normal_iteratorINS7_10device_ptrIKSB_EEEENSF_INSG_ISA_EEEEPNS0_10empty_typeENS0_5tupleIJNSF_INSG_ISB_EEEESM_EEENSO_IJSL_SN_EEENS0_18inequality_wrapperINS9_12CompareFirstEEEPmJSM_EEE10hipError_tPvRmT3_T4_T5_T6_T7_T9_mT8_P12ihipStream_tbDpT10_ENKUlT_T0_E_clISt17integral_constantIbLb1EES1F_IbLb0EEEEDaS1B_S1C_EUlS1B_E_NS1_11comp_targetILNS1_3genE2ELNS1_11target_archE906ELNS1_3gpuE6ELNS1_3repE0EEENS1_30default_config_static_selectorELNS0_4arch9wavefront6targetE0EEEvT1_
    .private_segment_fixed_size: 0
    .sgpr_count:     0
    .sgpr_spill_count: 0
    .symbol:         _ZN7rocprim17ROCPRIM_400000_NS6detail17trampoline_kernelINS0_14default_configENS1_25partition_config_selectorILNS1_17partition_subalgoE9EN6thrust23THRUST_200600_302600_NS4pairIiN12_GLOBAL__N_15EntryEEESA_bEEZZNS1_14partition_implILS5_9ELb0ES3_jNS7_6detail15normal_iteratorINS7_10device_ptrIKSB_EEEENSF_INSG_ISA_EEEEPNS0_10empty_typeENS0_5tupleIJNSF_INSG_ISB_EEEESM_EEENSO_IJSL_SN_EEENS0_18inequality_wrapperINS9_12CompareFirstEEEPmJSM_EEE10hipError_tPvRmT3_T4_T5_T6_T7_T9_mT8_P12ihipStream_tbDpT10_ENKUlT_T0_E_clISt17integral_constantIbLb1EES1F_IbLb0EEEEDaS1B_S1C_EUlS1B_E_NS1_11comp_targetILNS1_3genE2ELNS1_11target_archE906ELNS1_3gpuE6ELNS1_3repE0EEENS1_30default_config_static_selectorELNS0_4arch9wavefront6targetE0EEEvT1_.kd
    .uniform_work_group_size: 1
    .uses_dynamic_stack: false
    .vgpr_count:     0
    .vgpr_spill_count: 0
    .wavefront_size: 32
    .workgroup_processor_mode: 1
  - .args:
      - .offset:         0
        .size:           112
        .value_kind:     by_value
    .group_segment_fixed_size: 0
    .kernarg_segment_align: 8
    .kernarg_segment_size: 112
    .language:       OpenCL C
    .language_version:
      - 2
      - 0
    .max_flat_workgroup_size: 256
    .name:           _ZN7rocprim17ROCPRIM_400000_NS6detail17trampoline_kernelINS0_14default_configENS1_25partition_config_selectorILNS1_17partition_subalgoE9EN6thrust23THRUST_200600_302600_NS4pairIiN12_GLOBAL__N_15EntryEEESA_bEEZZNS1_14partition_implILS5_9ELb0ES3_jNS7_6detail15normal_iteratorINS7_10device_ptrIKSB_EEEENSF_INSG_ISA_EEEEPNS0_10empty_typeENS0_5tupleIJNSF_INSG_ISB_EEEESM_EEENSO_IJSL_SN_EEENS0_18inequality_wrapperINS9_12CompareFirstEEEPmJSM_EEE10hipError_tPvRmT3_T4_T5_T6_T7_T9_mT8_P12ihipStream_tbDpT10_ENKUlT_T0_E_clISt17integral_constantIbLb1EES1F_IbLb0EEEEDaS1B_S1C_EUlS1B_E_NS1_11comp_targetILNS1_3genE10ELNS1_11target_archE1200ELNS1_3gpuE4ELNS1_3repE0EEENS1_30default_config_static_selectorELNS0_4arch9wavefront6targetE0EEEvT1_
    .private_segment_fixed_size: 0
    .sgpr_count:     0
    .sgpr_spill_count: 0
    .symbol:         _ZN7rocprim17ROCPRIM_400000_NS6detail17trampoline_kernelINS0_14default_configENS1_25partition_config_selectorILNS1_17partition_subalgoE9EN6thrust23THRUST_200600_302600_NS4pairIiN12_GLOBAL__N_15EntryEEESA_bEEZZNS1_14partition_implILS5_9ELb0ES3_jNS7_6detail15normal_iteratorINS7_10device_ptrIKSB_EEEENSF_INSG_ISA_EEEEPNS0_10empty_typeENS0_5tupleIJNSF_INSG_ISB_EEEESM_EEENSO_IJSL_SN_EEENS0_18inequality_wrapperINS9_12CompareFirstEEEPmJSM_EEE10hipError_tPvRmT3_T4_T5_T6_T7_T9_mT8_P12ihipStream_tbDpT10_ENKUlT_T0_E_clISt17integral_constantIbLb1EES1F_IbLb0EEEEDaS1B_S1C_EUlS1B_E_NS1_11comp_targetILNS1_3genE10ELNS1_11target_archE1200ELNS1_3gpuE4ELNS1_3repE0EEENS1_30default_config_static_selectorELNS0_4arch9wavefront6targetE0EEEvT1_.kd
    .uniform_work_group_size: 1
    .uses_dynamic_stack: false
    .vgpr_count:     0
    .vgpr_spill_count: 0
    .wavefront_size: 32
    .workgroup_processor_mode: 1
  - .args:
      - .offset:         0
        .size:           112
        .value_kind:     by_value
    .group_segment_fixed_size: 25356
    .kernarg_segment_align: 8
    .kernarg_segment_size: 112
    .language:       OpenCL C
    .language_version:
      - 2
      - 0
    .max_flat_workgroup_size: 512
    .name:           _ZN7rocprim17ROCPRIM_400000_NS6detail17trampoline_kernelINS0_14default_configENS1_25partition_config_selectorILNS1_17partition_subalgoE9EN6thrust23THRUST_200600_302600_NS4pairIiN12_GLOBAL__N_15EntryEEESA_bEEZZNS1_14partition_implILS5_9ELb0ES3_jNS7_6detail15normal_iteratorINS7_10device_ptrIKSB_EEEENSF_INSG_ISA_EEEEPNS0_10empty_typeENS0_5tupleIJNSF_INSG_ISB_EEEESM_EEENSO_IJSL_SN_EEENS0_18inequality_wrapperINS9_12CompareFirstEEEPmJSM_EEE10hipError_tPvRmT3_T4_T5_T6_T7_T9_mT8_P12ihipStream_tbDpT10_ENKUlT_T0_E_clISt17integral_constantIbLb1EES1F_IbLb0EEEEDaS1B_S1C_EUlS1B_E_NS1_11comp_targetILNS1_3genE9ELNS1_11target_archE1100ELNS1_3gpuE3ELNS1_3repE0EEENS1_30default_config_static_selectorELNS0_4arch9wavefront6targetE0EEEvT1_
    .private_segment_fixed_size: 0
    .sgpr_count:     26
    .sgpr_spill_count: 0
    .symbol:         _ZN7rocprim17ROCPRIM_400000_NS6detail17trampoline_kernelINS0_14default_configENS1_25partition_config_selectorILNS1_17partition_subalgoE9EN6thrust23THRUST_200600_302600_NS4pairIiN12_GLOBAL__N_15EntryEEESA_bEEZZNS1_14partition_implILS5_9ELb0ES3_jNS7_6detail15normal_iteratorINS7_10device_ptrIKSB_EEEENSF_INSG_ISA_EEEEPNS0_10empty_typeENS0_5tupleIJNSF_INSG_ISB_EEEESM_EEENSO_IJSL_SN_EEENS0_18inequality_wrapperINS9_12CompareFirstEEEPmJSM_EEE10hipError_tPvRmT3_T4_T5_T6_T7_T9_mT8_P12ihipStream_tbDpT10_ENKUlT_T0_E_clISt17integral_constantIbLb1EES1F_IbLb0EEEEDaS1B_S1C_EUlS1B_E_NS1_11comp_targetILNS1_3genE9ELNS1_11target_archE1100ELNS1_3gpuE3ELNS1_3repE0EEENS1_30default_config_static_selectorELNS0_4arch9wavefront6targetE0EEEvT1_.kd
    .uniform_work_group_size: 1
    .uses_dynamic_stack: false
    .vgpr_count:     51
    .vgpr_spill_count: 0
    .wavefront_size: 32
    .workgroup_processor_mode: 1
  - .args:
      - .offset:         0
        .size:           112
        .value_kind:     by_value
    .group_segment_fixed_size: 0
    .kernarg_segment_align: 8
    .kernarg_segment_size: 112
    .language:       OpenCL C
    .language_version:
      - 2
      - 0
    .max_flat_workgroup_size: 256
    .name:           _ZN7rocprim17ROCPRIM_400000_NS6detail17trampoline_kernelINS0_14default_configENS1_25partition_config_selectorILNS1_17partition_subalgoE9EN6thrust23THRUST_200600_302600_NS4pairIiN12_GLOBAL__N_15EntryEEESA_bEEZZNS1_14partition_implILS5_9ELb0ES3_jNS7_6detail15normal_iteratorINS7_10device_ptrIKSB_EEEENSF_INSG_ISA_EEEEPNS0_10empty_typeENS0_5tupleIJNSF_INSG_ISB_EEEESM_EEENSO_IJSL_SN_EEENS0_18inequality_wrapperINS9_12CompareFirstEEEPmJSM_EEE10hipError_tPvRmT3_T4_T5_T6_T7_T9_mT8_P12ihipStream_tbDpT10_ENKUlT_T0_E_clISt17integral_constantIbLb1EES1F_IbLb0EEEEDaS1B_S1C_EUlS1B_E_NS1_11comp_targetILNS1_3genE8ELNS1_11target_archE1030ELNS1_3gpuE2ELNS1_3repE0EEENS1_30default_config_static_selectorELNS0_4arch9wavefront6targetE0EEEvT1_
    .private_segment_fixed_size: 0
    .sgpr_count:     0
    .sgpr_spill_count: 0
    .symbol:         _ZN7rocprim17ROCPRIM_400000_NS6detail17trampoline_kernelINS0_14default_configENS1_25partition_config_selectorILNS1_17partition_subalgoE9EN6thrust23THRUST_200600_302600_NS4pairIiN12_GLOBAL__N_15EntryEEESA_bEEZZNS1_14partition_implILS5_9ELb0ES3_jNS7_6detail15normal_iteratorINS7_10device_ptrIKSB_EEEENSF_INSG_ISA_EEEEPNS0_10empty_typeENS0_5tupleIJNSF_INSG_ISB_EEEESM_EEENSO_IJSL_SN_EEENS0_18inequality_wrapperINS9_12CompareFirstEEEPmJSM_EEE10hipError_tPvRmT3_T4_T5_T6_T7_T9_mT8_P12ihipStream_tbDpT10_ENKUlT_T0_E_clISt17integral_constantIbLb1EES1F_IbLb0EEEEDaS1B_S1C_EUlS1B_E_NS1_11comp_targetILNS1_3genE8ELNS1_11target_archE1030ELNS1_3gpuE2ELNS1_3repE0EEENS1_30default_config_static_selectorELNS0_4arch9wavefront6targetE0EEEvT1_.kd
    .uniform_work_group_size: 1
    .uses_dynamic_stack: false
    .vgpr_count:     0
    .vgpr_spill_count: 0
    .wavefront_size: 32
    .workgroup_processor_mode: 1
  - .args:
      - .offset:         0
        .size:           128
        .value_kind:     by_value
    .group_segment_fixed_size: 0
    .kernarg_segment_align: 8
    .kernarg_segment_size: 128
    .language:       OpenCL C
    .language_version:
      - 2
      - 0
    .max_flat_workgroup_size: 192
    .name:           _ZN7rocprim17ROCPRIM_400000_NS6detail17trampoline_kernelINS0_14default_configENS1_25partition_config_selectorILNS1_17partition_subalgoE9EN6thrust23THRUST_200600_302600_NS4pairIiN12_GLOBAL__N_15EntryEEESA_bEEZZNS1_14partition_implILS5_9ELb0ES3_jNS7_6detail15normal_iteratorINS7_10device_ptrIKSB_EEEENSF_INSG_ISA_EEEEPNS0_10empty_typeENS0_5tupleIJNSF_INSG_ISB_EEEESM_EEENSO_IJSL_SN_EEENS0_18inequality_wrapperINS9_12CompareFirstEEEPmJSM_EEE10hipError_tPvRmT3_T4_T5_T6_T7_T9_mT8_P12ihipStream_tbDpT10_ENKUlT_T0_E_clISt17integral_constantIbLb0EES1F_IbLb1EEEEDaS1B_S1C_EUlS1B_E_NS1_11comp_targetILNS1_3genE0ELNS1_11target_archE4294967295ELNS1_3gpuE0ELNS1_3repE0EEENS1_30default_config_static_selectorELNS0_4arch9wavefront6targetE0EEEvT1_
    .private_segment_fixed_size: 0
    .sgpr_count:     0
    .sgpr_spill_count: 0
    .symbol:         _ZN7rocprim17ROCPRIM_400000_NS6detail17trampoline_kernelINS0_14default_configENS1_25partition_config_selectorILNS1_17partition_subalgoE9EN6thrust23THRUST_200600_302600_NS4pairIiN12_GLOBAL__N_15EntryEEESA_bEEZZNS1_14partition_implILS5_9ELb0ES3_jNS7_6detail15normal_iteratorINS7_10device_ptrIKSB_EEEENSF_INSG_ISA_EEEEPNS0_10empty_typeENS0_5tupleIJNSF_INSG_ISB_EEEESM_EEENSO_IJSL_SN_EEENS0_18inequality_wrapperINS9_12CompareFirstEEEPmJSM_EEE10hipError_tPvRmT3_T4_T5_T6_T7_T9_mT8_P12ihipStream_tbDpT10_ENKUlT_T0_E_clISt17integral_constantIbLb0EES1F_IbLb1EEEEDaS1B_S1C_EUlS1B_E_NS1_11comp_targetILNS1_3genE0ELNS1_11target_archE4294967295ELNS1_3gpuE0ELNS1_3repE0EEENS1_30default_config_static_selectorELNS0_4arch9wavefront6targetE0EEEvT1_.kd
    .uniform_work_group_size: 1
    .uses_dynamic_stack: false
    .vgpr_count:     0
    .vgpr_spill_count: 0
    .wavefront_size: 32
    .workgroup_processor_mode: 1
  - .args:
      - .offset:         0
        .size:           128
        .value_kind:     by_value
    .group_segment_fixed_size: 0
    .kernarg_segment_align: 8
    .kernarg_segment_size: 128
    .language:       OpenCL C
    .language_version:
      - 2
      - 0
    .max_flat_workgroup_size: 384
    .name:           _ZN7rocprim17ROCPRIM_400000_NS6detail17trampoline_kernelINS0_14default_configENS1_25partition_config_selectorILNS1_17partition_subalgoE9EN6thrust23THRUST_200600_302600_NS4pairIiN12_GLOBAL__N_15EntryEEESA_bEEZZNS1_14partition_implILS5_9ELb0ES3_jNS7_6detail15normal_iteratorINS7_10device_ptrIKSB_EEEENSF_INSG_ISA_EEEEPNS0_10empty_typeENS0_5tupleIJNSF_INSG_ISB_EEEESM_EEENSO_IJSL_SN_EEENS0_18inequality_wrapperINS9_12CompareFirstEEEPmJSM_EEE10hipError_tPvRmT3_T4_T5_T6_T7_T9_mT8_P12ihipStream_tbDpT10_ENKUlT_T0_E_clISt17integral_constantIbLb0EES1F_IbLb1EEEEDaS1B_S1C_EUlS1B_E_NS1_11comp_targetILNS1_3genE5ELNS1_11target_archE942ELNS1_3gpuE9ELNS1_3repE0EEENS1_30default_config_static_selectorELNS0_4arch9wavefront6targetE0EEEvT1_
    .private_segment_fixed_size: 0
    .sgpr_count:     0
    .sgpr_spill_count: 0
    .symbol:         _ZN7rocprim17ROCPRIM_400000_NS6detail17trampoline_kernelINS0_14default_configENS1_25partition_config_selectorILNS1_17partition_subalgoE9EN6thrust23THRUST_200600_302600_NS4pairIiN12_GLOBAL__N_15EntryEEESA_bEEZZNS1_14partition_implILS5_9ELb0ES3_jNS7_6detail15normal_iteratorINS7_10device_ptrIKSB_EEEENSF_INSG_ISA_EEEEPNS0_10empty_typeENS0_5tupleIJNSF_INSG_ISB_EEEESM_EEENSO_IJSL_SN_EEENS0_18inequality_wrapperINS9_12CompareFirstEEEPmJSM_EEE10hipError_tPvRmT3_T4_T5_T6_T7_T9_mT8_P12ihipStream_tbDpT10_ENKUlT_T0_E_clISt17integral_constantIbLb0EES1F_IbLb1EEEEDaS1B_S1C_EUlS1B_E_NS1_11comp_targetILNS1_3genE5ELNS1_11target_archE942ELNS1_3gpuE9ELNS1_3repE0EEENS1_30default_config_static_selectorELNS0_4arch9wavefront6targetE0EEEvT1_.kd
    .uniform_work_group_size: 1
    .uses_dynamic_stack: false
    .vgpr_count:     0
    .vgpr_spill_count: 0
    .wavefront_size: 32
    .workgroup_processor_mode: 1
  - .args:
      - .offset:         0
        .size:           128
        .value_kind:     by_value
    .group_segment_fixed_size: 0
    .kernarg_segment_align: 8
    .kernarg_segment_size: 128
    .language:       OpenCL C
    .language_version:
      - 2
      - 0
    .max_flat_workgroup_size: 128
    .name:           _ZN7rocprim17ROCPRIM_400000_NS6detail17trampoline_kernelINS0_14default_configENS1_25partition_config_selectorILNS1_17partition_subalgoE9EN6thrust23THRUST_200600_302600_NS4pairIiN12_GLOBAL__N_15EntryEEESA_bEEZZNS1_14partition_implILS5_9ELb0ES3_jNS7_6detail15normal_iteratorINS7_10device_ptrIKSB_EEEENSF_INSG_ISA_EEEEPNS0_10empty_typeENS0_5tupleIJNSF_INSG_ISB_EEEESM_EEENSO_IJSL_SN_EEENS0_18inequality_wrapperINS9_12CompareFirstEEEPmJSM_EEE10hipError_tPvRmT3_T4_T5_T6_T7_T9_mT8_P12ihipStream_tbDpT10_ENKUlT_T0_E_clISt17integral_constantIbLb0EES1F_IbLb1EEEEDaS1B_S1C_EUlS1B_E_NS1_11comp_targetILNS1_3genE4ELNS1_11target_archE910ELNS1_3gpuE8ELNS1_3repE0EEENS1_30default_config_static_selectorELNS0_4arch9wavefront6targetE0EEEvT1_
    .private_segment_fixed_size: 0
    .sgpr_count:     0
    .sgpr_spill_count: 0
    .symbol:         _ZN7rocprim17ROCPRIM_400000_NS6detail17trampoline_kernelINS0_14default_configENS1_25partition_config_selectorILNS1_17partition_subalgoE9EN6thrust23THRUST_200600_302600_NS4pairIiN12_GLOBAL__N_15EntryEEESA_bEEZZNS1_14partition_implILS5_9ELb0ES3_jNS7_6detail15normal_iteratorINS7_10device_ptrIKSB_EEEENSF_INSG_ISA_EEEEPNS0_10empty_typeENS0_5tupleIJNSF_INSG_ISB_EEEESM_EEENSO_IJSL_SN_EEENS0_18inequality_wrapperINS9_12CompareFirstEEEPmJSM_EEE10hipError_tPvRmT3_T4_T5_T6_T7_T9_mT8_P12ihipStream_tbDpT10_ENKUlT_T0_E_clISt17integral_constantIbLb0EES1F_IbLb1EEEEDaS1B_S1C_EUlS1B_E_NS1_11comp_targetILNS1_3genE4ELNS1_11target_archE910ELNS1_3gpuE8ELNS1_3repE0EEENS1_30default_config_static_selectorELNS0_4arch9wavefront6targetE0EEEvT1_.kd
    .uniform_work_group_size: 1
    .uses_dynamic_stack: false
    .vgpr_count:     0
    .vgpr_spill_count: 0
    .wavefront_size: 32
    .workgroup_processor_mode: 1
  - .args:
      - .offset:         0
        .size:           128
        .value_kind:     by_value
    .group_segment_fixed_size: 0
    .kernarg_segment_align: 8
    .kernarg_segment_size: 128
    .language:       OpenCL C
    .language_version:
      - 2
      - 0
    .max_flat_workgroup_size: 192
    .name:           _ZN7rocprim17ROCPRIM_400000_NS6detail17trampoline_kernelINS0_14default_configENS1_25partition_config_selectorILNS1_17partition_subalgoE9EN6thrust23THRUST_200600_302600_NS4pairIiN12_GLOBAL__N_15EntryEEESA_bEEZZNS1_14partition_implILS5_9ELb0ES3_jNS7_6detail15normal_iteratorINS7_10device_ptrIKSB_EEEENSF_INSG_ISA_EEEEPNS0_10empty_typeENS0_5tupleIJNSF_INSG_ISB_EEEESM_EEENSO_IJSL_SN_EEENS0_18inequality_wrapperINS9_12CompareFirstEEEPmJSM_EEE10hipError_tPvRmT3_T4_T5_T6_T7_T9_mT8_P12ihipStream_tbDpT10_ENKUlT_T0_E_clISt17integral_constantIbLb0EES1F_IbLb1EEEEDaS1B_S1C_EUlS1B_E_NS1_11comp_targetILNS1_3genE3ELNS1_11target_archE908ELNS1_3gpuE7ELNS1_3repE0EEENS1_30default_config_static_selectorELNS0_4arch9wavefront6targetE0EEEvT1_
    .private_segment_fixed_size: 0
    .sgpr_count:     0
    .sgpr_spill_count: 0
    .symbol:         _ZN7rocprim17ROCPRIM_400000_NS6detail17trampoline_kernelINS0_14default_configENS1_25partition_config_selectorILNS1_17partition_subalgoE9EN6thrust23THRUST_200600_302600_NS4pairIiN12_GLOBAL__N_15EntryEEESA_bEEZZNS1_14partition_implILS5_9ELb0ES3_jNS7_6detail15normal_iteratorINS7_10device_ptrIKSB_EEEENSF_INSG_ISA_EEEEPNS0_10empty_typeENS0_5tupleIJNSF_INSG_ISB_EEEESM_EEENSO_IJSL_SN_EEENS0_18inequality_wrapperINS9_12CompareFirstEEEPmJSM_EEE10hipError_tPvRmT3_T4_T5_T6_T7_T9_mT8_P12ihipStream_tbDpT10_ENKUlT_T0_E_clISt17integral_constantIbLb0EES1F_IbLb1EEEEDaS1B_S1C_EUlS1B_E_NS1_11comp_targetILNS1_3genE3ELNS1_11target_archE908ELNS1_3gpuE7ELNS1_3repE0EEENS1_30default_config_static_selectorELNS0_4arch9wavefront6targetE0EEEvT1_.kd
    .uniform_work_group_size: 1
    .uses_dynamic_stack: false
    .vgpr_count:     0
    .vgpr_spill_count: 0
    .wavefront_size: 32
    .workgroup_processor_mode: 1
  - .args:
      - .offset:         0
        .size:           128
        .value_kind:     by_value
    .group_segment_fixed_size: 0
    .kernarg_segment_align: 8
    .kernarg_segment_size: 128
    .language:       OpenCL C
    .language_version:
      - 2
      - 0
    .max_flat_workgroup_size: 192
    .name:           _ZN7rocprim17ROCPRIM_400000_NS6detail17trampoline_kernelINS0_14default_configENS1_25partition_config_selectorILNS1_17partition_subalgoE9EN6thrust23THRUST_200600_302600_NS4pairIiN12_GLOBAL__N_15EntryEEESA_bEEZZNS1_14partition_implILS5_9ELb0ES3_jNS7_6detail15normal_iteratorINS7_10device_ptrIKSB_EEEENSF_INSG_ISA_EEEEPNS0_10empty_typeENS0_5tupleIJNSF_INSG_ISB_EEEESM_EEENSO_IJSL_SN_EEENS0_18inequality_wrapperINS9_12CompareFirstEEEPmJSM_EEE10hipError_tPvRmT3_T4_T5_T6_T7_T9_mT8_P12ihipStream_tbDpT10_ENKUlT_T0_E_clISt17integral_constantIbLb0EES1F_IbLb1EEEEDaS1B_S1C_EUlS1B_E_NS1_11comp_targetILNS1_3genE2ELNS1_11target_archE906ELNS1_3gpuE6ELNS1_3repE0EEENS1_30default_config_static_selectorELNS0_4arch9wavefront6targetE0EEEvT1_
    .private_segment_fixed_size: 0
    .sgpr_count:     0
    .sgpr_spill_count: 0
    .symbol:         _ZN7rocprim17ROCPRIM_400000_NS6detail17trampoline_kernelINS0_14default_configENS1_25partition_config_selectorILNS1_17partition_subalgoE9EN6thrust23THRUST_200600_302600_NS4pairIiN12_GLOBAL__N_15EntryEEESA_bEEZZNS1_14partition_implILS5_9ELb0ES3_jNS7_6detail15normal_iteratorINS7_10device_ptrIKSB_EEEENSF_INSG_ISA_EEEEPNS0_10empty_typeENS0_5tupleIJNSF_INSG_ISB_EEEESM_EEENSO_IJSL_SN_EEENS0_18inequality_wrapperINS9_12CompareFirstEEEPmJSM_EEE10hipError_tPvRmT3_T4_T5_T6_T7_T9_mT8_P12ihipStream_tbDpT10_ENKUlT_T0_E_clISt17integral_constantIbLb0EES1F_IbLb1EEEEDaS1B_S1C_EUlS1B_E_NS1_11comp_targetILNS1_3genE2ELNS1_11target_archE906ELNS1_3gpuE6ELNS1_3repE0EEENS1_30default_config_static_selectorELNS0_4arch9wavefront6targetE0EEEvT1_.kd
    .uniform_work_group_size: 1
    .uses_dynamic_stack: false
    .vgpr_count:     0
    .vgpr_spill_count: 0
    .wavefront_size: 32
    .workgroup_processor_mode: 1
  - .args:
      - .offset:         0
        .size:           128
        .value_kind:     by_value
    .group_segment_fixed_size: 0
    .kernarg_segment_align: 8
    .kernarg_segment_size: 128
    .language:       OpenCL C
    .language_version:
      - 2
      - 0
    .max_flat_workgroup_size: 256
    .name:           _ZN7rocprim17ROCPRIM_400000_NS6detail17trampoline_kernelINS0_14default_configENS1_25partition_config_selectorILNS1_17partition_subalgoE9EN6thrust23THRUST_200600_302600_NS4pairIiN12_GLOBAL__N_15EntryEEESA_bEEZZNS1_14partition_implILS5_9ELb0ES3_jNS7_6detail15normal_iteratorINS7_10device_ptrIKSB_EEEENSF_INSG_ISA_EEEEPNS0_10empty_typeENS0_5tupleIJNSF_INSG_ISB_EEEESM_EEENSO_IJSL_SN_EEENS0_18inequality_wrapperINS9_12CompareFirstEEEPmJSM_EEE10hipError_tPvRmT3_T4_T5_T6_T7_T9_mT8_P12ihipStream_tbDpT10_ENKUlT_T0_E_clISt17integral_constantIbLb0EES1F_IbLb1EEEEDaS1B_S1C_EUlS1B_E_NS1_11comp_targetILNS1_3genE10ELNS1_11target_archE1200ELNS1_3gpuE4ELNS1_3repE0EEENS1_30default_config_static_selectorELNS0_4arch9wavefront6targetE0EEEvT1_
    .private_segment_fixed_size: 0
    .sgpr_count:     0
    .sgpr_spill_count: 0
    .symbol:         _ZN7rocprim17ROCPRIM_400000_NS6detail17trampoline_kernelINS0_14default_configENS1_25partition_config_selectorILNS1_17partition_subalgoE9EN6thrust23THRUST_200600_302600_NS4pairIiN12_GLOBAL__N_15EntryEEESA_bEEZZNS1_14partition_implILS5_9ELb0ES3_jNS7_6detail15normal_iteratorINS7_10device_ptrIKSB_EEEENSF_INSG_ISA_EEEEPNS0_10empty_typeENS0_5tupleIJNSF_INSG_ISB_EEEESM_EEENSO_IJSL_SN_EEENS0_18inequality_wrapperINS9_12CompareFirstEEEPmJSM_EEE10hipError_tPvRmT3_T4_T5_T6_T7_T9_mT8_P12ihipStream_tbDpT10_ENKUlT_T0_E_clISt17integral_constantIbLb0EES1F_IbLb1EEEEDaS1B_S1C_EUlS1B_E_NS1_11comp_targetILNS1_3genE10ELNS1_11target_archE1200ELNS1_3gpuE4ELNS1_3repE0EEENS1_30default_config_static_selectorELNS0_4arch9wavefront6targetE0EEEvT1_.kd
    .uniform_work_group_size: 1
    .uses_dynamic_stack: false
    .vgpr_count:     0
    .vgpr_spill_count: 0
    .wavefront_size: 32
    .workgroup_processor_mode: 1
  - .args:
      - .offset:         0
        .size:           128
        .value_kind:     by_value
    .group_segment_fixed_size: 25356
    .kernarg_segment_align: 8
    .kernarg_segment_size: 128
    .language:       OpenCL C
    .language_version:
      - 2
      - 0
    .max_flat_workgroup_size: 512
    .name:           _ZN7rocprim17ROCPRIM_400000_NS6detail17trampoline_kernelINS0_14default_configENS1_25partition_config_selectorILNS1_17partition_subalgoE9EN6thrust23THRUST_200600_302600_NS4pairIiN12_GLOBAL__N_15EntryEEESA_bEEZZNS1_14partition_implILS5_9ELb0ES3_jNS7_6detail15normal_iteratorINS7_10device_ptrIKSB_EEEENSF_INSG_ISA_EEEEPNS0_10empty_typeENS0_5tupleIJNSF_INSG_ISB_EEEESM_EEENSO_IJSL_SN_EEENS0_18inequality_wrapperINS9_12CompareFirstEEEPmJSM_EEE10hipError_tPvRmT3_T4_T5_T6_T7_T9_mT8_P12ihipStream_tbDpT10_ENKUlT_T0_E_clISt17integral_constantIbLb0EES1F_IbLb1EEEEDaS1B_S1C_EUlS1B_E_NS1_11comp_targetILNS1_3genE9ELNS1_11target_archE1100ELNS1_3gpuE3ELNS1_3repE0EEENS1_30default_config_static_selectorELNS0_4arch9wavefront6targetE0EEEvT1_
    .private_segment_fixed_size: 0
    .sgpr_count:     28
    .sgpr_spill_count: 0
    .symbol:         _ZN7rocprim17ROCPRIM_400000_NS6detail17trampoline_kernelINS0_14default_configENS1_25partition_config_selectorILNS1_17partition_subalgoE9EN6thrust23THRUST_200600_302600_NS4pairIiN12_GLOBAL__N_15EntryEEESA_bEEZZNS1_14partition_implILS5_9ELb0ES3_jNS7_6detail15normal_iteratorINS7_10device_ptrIKSB_EEEENSF_INSG_ISA_EEEEPNS0_10empty_typeENS0_5tupleIJNSF_INSG_ISB_EEEESM_EEENSO_IJSL_SN_EEENS0_18inequality_wrapperINS9_12CompareFirstEEEPmJSM_EEE10hipError_tPvRmT3_T4_T5_T6_T7_T9_mT8_P12ihipStream_tbDpT10_ENKUlT_T0_E_clISt17integral_constantIbLb0EES1F_IbLb1EEEEDaS1B_S1C_EUlS1B_E_NS1_11comp_targetILNS1_3genE9ELNS1_11target_archE1100ELNS1_3gpuE3ELNS1_3repE0EEENS1_30default_config_static_selectorELNS0_4arch9wavefront6targetE0EEEvT1_.kd
    .uniform_work_group_size: 1
    .uses_dynamic_stack: false
    .vgpr_count:     51
    .vgpr_spill_count: 0
    .wavefront_size: 32
    .workgroup_processor_mode: 1
  - .args:
      - .offset:         0
        .size:           128
        .value_kind:     by_value
    .group_segment_fixed_size: 0
    .kernarg_segment_align: 8
    .kernarg_segment_size: 128
    .language:       OpenCL C
    .language_version:
      - 2
      - 0
    .max_flat_workgroup_size: 256
    .name:           _ZN7rocprim17ROCPRIM_400000_NS6detail17trampoline_kernelINS0_14default_configENS1_25partition_config_selectorILNS1_17partition_subalgoE9EN6thrust23THRUST_200600_302600_NS4pairIiN12_GLOBAL__N_15EntryEEESA_bEEZZNS1_14partition_implILS5_9ELb0ES3_jNS7_6detail15normal_iteratorINS7_10device_ptrIKSB_EEEENSF_INSG_ISA_EEEEPNS0_10empty_typeENS0_5tupleIJNSF_INSG_ISB_EEEESM_EEENSO_IJSL_SN_EEENS0_18inequality_wrapperINS9_12CompareFirstEEEPmJSM_EEE10hipError_tPvRmT3_T4_T5_T6_T7_T9_mT8_P12ihipStream_tbDpT10_ENKUlT_T0_E_clISt17integral_constantIbLb0EES1F_IbLb1EEEEDaS1B_S1C_EUlS1B_E_NS1_11comp_targetILNS1_3genE8ELNS1_11target_archE1030ELNS1_3gpuE2ELNS1_3repE0EEENS1_30default_config_static_selectorELNS0_4arch9wavefront6targetE0EEEvT1_
    .private_segment_fixed_size: 0
    .sgpr_count:     0
    .sgpr_spill_count: 0
    .symbol:         _ZN7rocprim17ROCPRIM_400000_NS6detail17trampoline_kernelINS0_14default_configENS1_25partition_config_selectorILNS1_17partition_subalgoE9EN6thrust23THRUST_200600_302600_NS4pairIiN12_GLOBAL__N_15EntryEEESA_bEEZZNS1_14partition_implILS5_9ELb0ES3_jNS7_6detail15normal_iteratorINS7_10device_ptrIKSB_EEEENSF_INSG_ISA_EEEEPNS0_10empty_typeENS0_5tupleIJNSF_INSG_ISB_EEEESM_EEENSO_IJSL_SN_EEENS0_18inequality_wrapperINS9_12CompareFirstEEEPmJSM_EEE10hipError_tPvRmT3_T4_T5_T6_T7_T9_mT8_P12ihipStream_tbDpT10_ENKUlT_T0_E_clISt17integral_constantIbLb0EES1F_IbLb1EEEEDaS1B_S1C_EUlS1B_E_NS1_11comp_targetILNS1_3genE8ELNS1_11target_archE1030ELNS1_3gpuE2ELNS1_3repE0EEENS1_30default_config_static_selectorELNS0_4arch9wavefront6targetE0EEEvT1_.kd
    .uniform_work_group_size: 1
    .uses_dynamic_stack: false
    .vgpr_count:     0
    .vgpr_spill_count: 0
    .wavefront_size: 32
    .workgroup_processor_mode: 1
  - .args:
      - .offset:         0
        .size:           16
        .value_kind:     by_value
      - .offset:         16
        .size:           8
        .value_kind:     by_value
      - .offset:         24
        .size:           8
        .value_kind:     by_value
    .group_segment_fixed_size: 0
    .kernarg_segment_align: 8
    .kernarg_segment_size: 32
    .language:       OpenCL C
    .language_version:
      - 2
      - 0
    .max_flat_workgroup_size: 256
    .name:           _ZN6thrust23THRUST_200600_302600_NS11hip_rocprim14__parallel_for6kernelILj256ENS1_10for_each_fINS0_7pointerINS0_4pairIiN12_GLOBAL__N_15EntryEEENS1_3tagENS0_11use_defaultESB_EENS0_6detail16wrapped_functionINSD_23allocator_traits_detail5gozerEvEEEElLj1EEEvT0_T1_SK_
    .private_segment_fixed_size: 0
    .sgpr_count:     0
    .sgpr_spill_count: 0
    .symbol:         _ZN6thrust23THRUST_200600_302600_NS11hip_rocprim14__parallel_for6kernelILj256ENS1_10for_each_fINS0_7pointerINS0_4pairIiN12_GLOBAL__N_15EntryEEENS1_3tagENS0_11use_defaultESB_EENS0_6detail16wrapped_functionINSD_23allocator_traits_detail5gozerEvEEEElLj1EEEvT0_T1_SK_.kd
    .uniform_work_group_size: 1
    .uses_dynamic_stack: false
    .vgpr_count:     0
    .vgpr_spill_count: 0
    .wavefront_size: 32
    .workgroup_processor_mode: 1
amdhsa.target:   amdgcn-amd-amdhsa--gfx1100
amdhsa.version:
  - 1
  - 2
...

	.end_amdgpu_metadata
